;; amdgpu-corpus repo=pytorch/pytorch kind=compiled arch=gfx906 opt=O3
	.amdgcn_target "amdgcn-amd-amdhsa--gfx906"
	.amdhsa_code_object_version 6
	.section	.text._ZN2at6native29vectorized_elementwise_kernelILi16ENS0_13AUnaryFunctorIhhhZNS0_12_GLOBAL__N_121threshold_kernel_implIhEEvRNS_18TensorIteratorBaseET_S7_EUlhhE_EESt5arrayIPcLm2EEEEviT0_T1_,"axG",@progbits,_ZN2at6native29vectorized_elementwise_kernelILi16ENS0_13AUnaryFunctorIhhhZNS0_12_GLOBAL__N_121threshold_kernel_implIhEEvRNS_18TensorIteratorBaseET_S7_EUlhhE_EESt5arrayIPcLm2EEEEviT0_T1_,comdat
	.globl	_ZN2at6native29vectorized_elementwise_kernelILi16ENS0_13AUnaryFunctorIhhhZNS0_12_GLOBAL__N_121threshold_kernel_implIhEEvRNS_18TensorIteratorBaseET_S7_EUlhhE_EESt5arrayIPcLm2EEEEviT0_T1_ ; -- Begin function _ZN2at6native29vectorized_elementwise_kernelILi16ENS0_13AUnaryFunctorIhhhZNS0_12_GLOBAL__N_121threshold_kernel_implIhEEvRNS_18TensorIteratorBaseET_S7_EUlhhE_EESt5arrayIPcLm2EEEEviT0_T1_
	.p2align	8
	.type	_ZN2at6native29vectorized_elementwise_kernelILi16ENS0_13AUnaryFunctorIhhhZNS0_12_GLOBAL__N_121threshold_kernel_implIhEEvRNS_18TensorIteratorBaseET_S7_EUlhhE_EESt5arrayIPcLm2EEEEviT0_T1_,@function
_ZN2at6native29vectorized_elementwise_kernelILi16ENS0_13AUnaryFunctorIhhhZNS0_12_GLOBAL__N_121threshold_kernel_implIhEEvRNS_18TensorIteratorBaseET_S7_EUlhhE_EESt5arrayIPcLm2EEEEviT0_T1_: ; @_ZN2at6native29vectorized_elementwise_kernelILi16ENS0_13AUnaryFunctorIhhhZNS0_12_GLOBAL__N_121threshold_kernel_implIhEEvRNS_18TensorIteratorBaseET_S7_EUlhhE_EESt5arrayIPcLm2EEEEviT0_T1_
; %bb.0:
	v_mov_b32_e32 v1, 0
	global_load_ubyte v2, v1, s[4:5] offset:6
	global_load_ushort v3, v1, s[4:5] offset:4
	s_load_dword s0, s[4:5], 0x0
	s_load_dwordx4 s[36:39], s[4:5], 0x8
	s_lshl_b32 s40, s6, 12
	s_waitcnt lgkmcnt(0)
	s_sub_i32 s33, s0, s40
	s_cmpk_gt_i32 s33, 0xfff
	s_mov_b64 s[0:1], -1
	s_waitcnt vmcnt(1)
	v_lshlrev_b32_e32 v1, 16, v2
	s_waitcnt vmcnt(0)
	v_or_b32_e32 v3, v3, v1
	s_cbranch_scc0 .LBB0_2
; %bb.1:
	s_ashr_i32 s2, s40, 31
	s_add_u32 s0, s38, s40
	s_addc_u32 s1, s39, s2
	v_lshlrev_b32_e32 v1, 4, v0
	global_load_dwordx4 v[4:7], v1, s[0:1]
	v_lshrrev_b32_e32 v2, 8, v3
	v_cmp_gt_u32_sdwa vcc, v3, v3 src0_sel:WORD_1 src1_sel:BYTE_0
	s_add_u32 s0, s36, s40
	s_addc_u32 s1, s37, s2
	s_waitcnt vmcnt(0)
	v_lshrrev_b32_e32 v8, 8, v4
	v_lshrrev_b32_e32 v9, 16, v4
	;; [unrolled: 1-line block ×12, first 2 shown]
	v_cndmask_b32_e32 v4, v2, v4, vcc
	v_cndmask_b32_e32 v5, v2, v5, vcc
	;; [unrolled: 1-line block ×16, first 2 shown]
	v_lshlrev_b16_e32 v17, 8, v17
	v_lshlrev_b16_e32 v2, 8, v2
	;; [unrolled: 1-line block ×8, first 2 shown]
	v_or_b32_sdwa v7, v7, v17 dst_sel:DWORD dst_unused:UNUSED_PAD src0_sel:BYTE_0 src1_sel:DWORD
	v_or_b32_sdwa v2, v18, v2 dst_sel:WORD_1 dst_unused:UNUSED_PAD src0_sel:BYTE_0 src1_sel:DWORD
	v_or_b32_sdwa v6, v6, v14 dst_sel:DWORD dst_unused:UNUSED_PAD src0_sel:BYTE_0 src1_sel:DWORD
	v_or_b32_sdwa v14, v15, v16 dst_sel:WORD_1 dst_unused:UNUSED_PAD src0_sel:BYTE_0 src1_sel:DWORD
	;; [unrolled: 2-line block ×4, first 2 shown]
	v_or_b32_sdwa v7, v7, v2 dst_sel:DWORD dst_unused:UNUSED_PAD src0_sel:WORD_0 src1_sel:DWORD
	v_or_b32_sdwa v6, v6, v14 dst_sel:DWORD dst_unused:UNUSED_PAD src0_sel:WORD_0 src1_sel:DWORD
	;; [unrolled: 1-line block ×4, first 2 shown]
	global_store_dwordx4 v1, v[4:7], s[0:1]
	s_mov_b64 s[0:1], 0
.LBB0_2:
	s_andn2_b64 vcc, exec, s[0:1]
	s_cbranch_vccnz .LBB0_52
; %bb.3:
	v_cmp_gt_i32_e32 vcc, s33, v0
	v_or_b32_e32 v5, 0x100, v0
	v_mov_b32_e32 v21, 0
	v_or_b32_e32 v4, s40, v0
	v_mov_b32_e32 v20, 0
	v_mov_b32_e32 v19, 0
	v_mov_b32_e32 v18, 0
	v_mov_b32_e32 v17, 0
	v_mov_b32_e32 v16, 0
	v_mov_b32_e32 v15, 0
	v_mov_b32_e32 v10, 0
	v_mov_b32_e32 v9, 0
	v_mov_b32_e32 v8, 0
	v_mov_b32_e32 v7, 0
	v_mov_b32_e32 v6, 0
	v_mov_b32_e32 v13, 0
	v_mov_b32_e32 v14, 0
	v_mov_b32_e32 v12, 0
	v_mov_b32_e32 v11, 0
	s_and_saveexec_b64 s[2:3], vcc
	s_cbranch_execz .LBB0_35
; %bb.4:
	global_load_ubyte v11, v4, s[38:39]
	v_cmp_gt_u32_e64 s[0:1], s33, v5
	v_mov_b32_e32 v12, 0
	v_mov_b32_e32 v14, 0
	;; [unrolled: 1-line block ×15, first 2 shown]
	s_and_saveexec_b64 s[4:5], s[0:1]
	s_cbranch_execz .LBB0_34
; %bb.5:
	v_add_u32_e32 v1, s40, v0
	global_load_ubyte v12, v1, s[38:39] offset:256
	v_or_b32_e32 v2, 0x200, v0
	v_mov_b32_e32 v14, 0
	v_cmp_gt_u32_e64 s[0:1], s33, v2
	v_mov_b32_e32 v13, 0
	v_mov_b32_e32 v6, 0
	;; [unrolled: 1-line block ×13, first 2 shown]
	s_and_saveexec_b64 s[6:7], s[0:1]
	s_cbranch_execz .LBB0_33
; %bb.6:
	v_mov_b32_e32 v2, s39
	v_add_co_u32_e64 v1, s[0:1], s38, v1
	v_addc_co_u32_e64 v2, s[0:1], 0, v2, s[0:1]
	global_load_ubyte v14, v[1:2], off offset:512
	v_or_b32_e32 v6, 0x300, v0
	v_cmp_gt_u32_e64 s[0:1], s33, v6
	v_mov_b32_e32 v13, 0
	v_mov_b32_e32 v6, 0
	;; [unrolled: 1-line block ×13, first 2 shown]
	s_and_saveexec_b64 s[8:9], s[0:1]
	s_cbranch_execz .LBB0_32
; %bb.7:
	global_load_ubyte v13, v[1:2], off offset:768
	v_or_b32_e32 v6, 0x400, v0
	v_cmp_gt_u32_e64 s[0:1], s33, v6
	v_mov_b32_e32 v6, 0
	v_mov_b32_e32 v7, 0
	;; [unrolled: 1-line block ×12, first 2 shown]
	s_and_saveexec_b64 s[10:11], s[0:1]
	s_cbranch_execz .LBB0_31
; %bb.8:
	global_load_ubyte v6, v[1:2], off offset:1024
	v_or_b32_e32 v7, 0x500, v0
	v_cmp_gt_u32_e64 s[0:1], s33, v7
	v_mov_b32_e32 v7, 0
	v_mov_b32_e32 v8, 0
	;; [unrolled: 1-line block ×11, first 2 shown]
	s_and_saveexec_b64 s[12:13], s[0:1]
	s_cbranch_execz .LBB0_30
; %bb.9:
	global_load_ubyte v7, v[1:2], off offset:1280
	v_or_b32_e32 v8, 0x600, v0
	v_cmp_gt_u32_e64 s[0:1], s33, v8
	v_mov_b32_e32 v8, 0
	v_mov_b32_e32 v9, 0
	;; [unrolled: 1-line block ×10, first 2 shown]
	s_and_saveexec_b64 s[14:15], s[0:1]
	s_cbranch_execz .LBB0_29
; %bb.10:
	global_load_ubyte v8, v[1:2], off offset:1536
	v_or_b32_e32 v9, 0x700, v0
	v_cmp_gt_u32_e64 s[0:1], s33, v9
	v_mov_b32_e32 v9, 0
	v_mov_b32_e32 v10, 0
	v_mov_b32_e32 v15, 0
	v_mov_b32_e32 v16, 0
	v_mov_b32_e32 v17, 0
	v_mov_b32_e32 v18, 0
	v_mov_b32_e32 v19, 0
	v_mov_b32_e32 v20, 0
	v_mov_b32_e32 v21, 0
	s_and_saveexec_b64 s[16:17], s[0:1]
	s_cbranch_execz .LBB0_28
; %bb.11:
	global_load_ubyte v9, v[1:2], off offset:1792
	v_or_b32_e32 v10, 0x800, v0
	v_cmp_gt_u32_e64 s[0:1], s33, v10
	v_mov_b32_e32 v10, 0
	v_mov_b32_e32 v15, 0
	v_mov_b32_e32 v16, 0
	v_mov_b32_e32 v17, 0
	v_mov_b32_e32 v18, 0
	v_mov_b32_e32 v19, 0
	v_mov_b32_e32 v20, 0
	v_mov_b32_e32 v21, 0
	s_and_saveexec_b64 s[18:19], s[0:1]
	s_cbranch_execz .LBB0_27
; %bb.12:
	global_load_ubyte v10, v[1:2], off offset:2048
	v_or_b32_e32 v15, 0x900, v0
	v_cmp_gt_u32_e64 s[0:1], s33, v15
	v_mov_b32_e32 v15, 0
	v_mov_b32_e32 v16, 0
	;; [unrolled: 1-line block ×7, first 2 shown]
	s_and_saveexec_b64 s[20:21], s[0:1]
	s_cbranch_execz .LBB0_26
; %bb.13:
	global_load_ubyte v15, v[1:2], off offset:2304
	v_or_b32_e32 v16, 0xa00, v0
	v_cmp_gt_u32_e64 s[0:1], s33, v16
	v_mov_b32_e32 v16, 0
	v_mov_b32_e32 v17, 0
	;; [unrolled: 1-line block ×6, first 2 shown]
	s_and_saveexec_b64 s[22:23], s[0:1]
	s_cbranch_execz .LBB0_25
; %bb.14:
	global_load_ubyte v16, v[1:2], off offset:2560
	v_or_b32_e32 v17, 0xb00, v0
	v_cmp_gt_u32_e64 s[0:1], s33, v17
	v_mov_b32_e32 v17, 0
	v_mov_b32_e32 v18, 0
	;; [unrolled: 1-line block ×5, first 2 shown]
	s_and_saveexec_b64 s[24:25], s[0:1]
	s_cbranch_execz .LBB0_24
; %bb.15:
	global_load_ubyte v17, v[1:2], off offset:2816
	v_or_b32_e32 v18, 0xc00, v0
	v_cmp_gt_u32_e64 s[0:1], s33, v18
	v_mov_b32_e32 v18, 0
	v_mov_b32_e32 v19, 0
	;; [unrolled: 1-line block ×4, first 2 shown]
	s_and_saveexec_b64 s[26:27], s[0:1]
	s_cbranch_execz .LBB0_23
; %bb.16:
	global_load_ubyte v18, v[1:2], off offset:3072
	v_or_b32_e32 v19, 0xd00, v0
	v_cmp_gt_u32_e64 s[0:1], s33, v19
	v_mov_b32_e32 v19, 0
	v_mov_b32_e32 v20, 0
	;; [unrolled: 1-line block ×3, first 2 shown]
	s_and_saveexec_b64 s[28:29], s[0:1]
	s_cbranch_execz .LBB0_22
; %bb.17:
	global_load_ubyte v19, v[1:2], off offset:3328
	v_or_b32_e32 v20, 0xe00, v0
	v_cmp_gt_u32_e64 s[0:1], s33, v20
	v_mov_b32_e32 v20, 0
	v_mov_b32_e32 v21, 0
	s_and_saveexec_b64 s[30:31], s[0:1]
	s_cbranch_execz .LBB0_21
; %bb.18:
	global_load_ubyte v20, v[1:2], off offset:3584
	v_or_b32_e32 v21, 0xf00, v0
	v_cmp_gt_u32_e64 s[0:1], s33, v21
	v_mov_b32_e32 v21, 0
	s_and_saveexec_b64 s[34:35], s[0:1]
	s_cbranch_execz .LBB0_20
; %bb.19:
	global_load_ubyte v21, v[1:2], off offset:3840
.LBB0_20:
	s_or_b64 exec, exec, s[34:35]
.LBB0_21:
	s_or_b64 exec, exec, s[30:31]
.LBB0_22:
	s_or_b64 exec, exec, s[28:29]
.LBB0_23:
	s_or_b64 exec, exec, s[26:27]
.LBB0_24:
	s_or_b64 exec, exec, s[24:25]
.LBB0_25:
	s_or_b64 exec, exec, s[22:23]
.LBB0_26:
	s_or_b64 exec, exec, s[20:21]
.LBB0_27:
	s_or_b64 exec, exec, s[18:19]
.LBB0_28:
	s_or_b64 exec, exec, s[16:17]
.LBB0_29:
	s_or_b64 exec, exec, s[14:15]
.LBB0_30:
	s_or_b64 exec, exec, s[12:13]
.LBB0_31:
	s_or_b64 exec, exec, s[10:11]
.LBB0_32:
	s_or_b64 exec, exec, s[8:9]
.LBB0_33:
	s_or_b64 exec, exec, s[6:7]
.LBB0_34:
	s_or_b64 exec, exec, s[4:5]
.LBB0_35:
	s_or_b64 exec, exec, s[2:3]
	s_and_saveexec_b64 s[0:1], vcc
	s_cbranch_execz .LBB0_52
; %bb.36:
	v_lshrrev_b32_e32 v1, 8, v3
	v_cmp_gt_u32_sdwa s[18:19], v3, v3 src0_sel:WORD_1 src1_sel:BYTE_0
	s_waitcnt vmcnt(0)
	v_cndmask_b32_e64 v2, v1, v11, s[18:19]
	s_mov_b32 s30, 0xffff
	v_and_b32_sdwa v2, s30, v2 dst_sel:DWORD dst_unused:UNUSED_PAD src0_sel:DWORD src1_sel:BYTE_0
	v_cndmask_b32_e64 v3, v1, v12, s[18:19]
	v_cndmask_b32_e32 v2, 0, v2, vcc
	v_lshlrev_b16_e32 v3, 8, v3
	v_or_b32_e32 v3, v2, v3
	v_and_b32_e32 v3, 0xffff, v3
	v_cmp_gt_i32_e32 vcc, s33, v5
	v_cndmask_b32_e32 v2, v2, v3, vcc
	v_cndmask_b32_e64 v5, v1, v14, s[18:19]
	s_mov_b32 s34, 0xc0c0304
	v_or_b32_e32 v3, 0x200, v0
	v_perm_b32 v5, v5, v2, s34
	v_lshl_or_b32 v5, v5, 16, v2
	v_cmp_gt_i32_e64 s[22:23], s33, v3
	s_movk_i32 s31, 0xff
	v_cndmask_b32_e64 v2, v2, v5, s[22:23]
	v_cndmask_b32_e64 v11, v1, v13, s[18:19]
	v_and_b32_sdwa v3, v2, s31 dst_sel:DWORD dst_unused:UNUSED_PAD src0_sel:WORD_1 src1_sel:DWORD
	v_lshlrev_b16_e32 v11, 8, v11
	v_or_b32_e32 v5, 0x300, v0
	v_or_b32_sdwa v3, v3, v11 dst_sel:WORD_1 dst_unused:UNUSED_PAD src0_sel:DWORD src1_sel:DWORD
	v_and_or_b32 v3, v2, s30, v3
	v_cmp_gt_i32_e64 s[20:21], s33, v5
	v_cndmask_b32_e64 v11, v2, v3, s[20:21]
	v_or_b32_e32 v2, 0x500, v0
	v_cmp_gt_i32_e64 s[16:17], s33, v2
	v_or_b32_e32 v2, 0x600, v0
	v_cmp_gt_i32_e64 s[14:15], s33, v2
	;; [unrolled: 2-line block ×4, first 2 shown]
	v_or_b32_e32 v2, 0xa00, v0
	v_or_b32_e32 v12, 0xd00, v0
	v_cmp_gt_i32_e64 s[8:9], s33, v2
	v_or_b32_e32 v2, 0xb00, v0
	v_cmp_gt_i32_e64 s[4:5], s33, v12
	v_or_b32_e32 v12, 0xe00, v0
	v_or_b32_e32 v5, 0x400, v0
	;; [unrolled: 1-line block ×3, first 2 shown]
	v_cmp_gt_i32_e64 s[6:7], s33, v2
	v_or_b32_e32 v2, 0xc00, v0
	v_cmp_gt_i32_e64 s[2:3], s33, v12
	v_or_b32_e32 v12, 0xf00, v0
	v_cmp_gt_i32_e64 s[28:29], s33, v5
	v_cmp_gt_i32_e64 s[26:27], s33, v3
	;; [unrolled: 1-line block ×4, first 2 shown]
	global_store_byte v4, v11, s[36:37]
	s_and_b64 exec, exec, vcc
	s_cbranch_execz .LBB0_52
; %bb.37:
	v_cndmask_b32_e64 v4, v1, v6, s[18:19]
	s_mov_b32 s35, 0x3020104
	s_mov_b64 vcc, s[18:19]
	v_perm_b32 v4, v4, 0, s35
	v_cndmask_b32_e64 v4, 0, v4, s[28:29]
	v_cndmask_b32_sdwa v6, v1, v7, vcc dst_sel:BYTE_1 dst_unused:UNUSED_PAD src0_sel:DWORD src1_sel:DWORD
	v_or_b32_sdwa v6, v4, v6 dst_sel:DWORD dst_unused:UNUSED_PAD src0_sel:BYTE_0 src1_sel:DWORD
	v_and_b32_e32 v6, 0xffff, v6
	s_mov_b32 s28, 0xffff0000
	v_and_or_b32 v6, v4, s28, v6
	v_cndmask_b32_e64 v4, v4, v6, s[16:17]
	v_cndmask_b32_e64 v6, v1, v8, s[18:19]
	s_mov_b32 s29, 0x7000504
	v_perm_b32 v6, v4, v6, s29
	v_cndmask_b32_e64 v4, v4, v6, s[14:15]
	v_cndmask_b32_e64 v7, v1, v9, s[18:19]
	v_and_b32_sdwa v6, v4, s31 dst_sel:DWORD dst_unused:UNUSED_PAD src0_sel:WORD_1 src1_sel:DWORD
	v_lshlrev_b16_e32 v7, 8, v7
	v_or_b32_sdwa v6, v6, v7 dst_sel:WORD_1 dst_unused:UNUSED_PAD src0_sel:DWORD src1_sel:DWORD
	v_and_or_b32 v6, v4, s30, v6
	v_cndmask_b32_e64 v7, v4, v6, s[12:13]
	v_cndmask_b32_e64 v4, v1, v10, s[18:19]
	v_and_b32_sdwa v4, s30, v4 dst_sel:DWORD dst_unused:UNUSED_PAD src0_sel:DWORD src1_sel:BYTE_0
	v_cndmask_b32_e64 v6, v1, v15, s[18:19]
	v_cndmask_b32_e64 v4, 0, v4, s[26:27]
	v_lshlrev_b16_e32 v6, 8, v6
	v_or_b32_e32 v6, v4, v6
	v_and_b32_e32 v6, 0xffff, v6
	v_cndmask_b32_e64 v4, v4, v6, s[10:11]
	v_cndmask_b32_e64 v6, v1, v16, s[18:19]
	v_perm_b32 v6, v6, v4, s34
	v_lshl_or_b32 v6, v6, 16, v4
	v_cndmask_b32_e64 v4, v4, v6, s[8:9]
	v_cndmask_b32_e64 v8, v1, v17, s[18:19]
	v_and_b32_sdwa v6, v4, s31 dst_sel:DWORD dst_unused:UNUSED_PAD src0_sel:WORD_1 src1_sel:DWORD
	v_lshlrev_b16_e32 v8, 8, v8
	v_or_b32_sdwa v6, v6, v8 dst_sel:WORD_1 dst_unused:UNUSED_PAD src0_sel:DWORD src1_sel:DWORD
	v_and_or_b32 v6, v4, s30, v6
	v_cndmask_b32_e64 v6, v4, v6, s[6:7]
	v_cndmask_b32_e64 v4, v1, v18, s[18:19]
	v_perm_b32 v4, v4, 0, s35
	v_cndmask_b32_e64 v8, v1, v19, s[18:19]
	v_cndmask_b32_e64 v4, 0, v4, s[24:25]
	v_lshlrev_b16_e32 v8, 8, v8
	v_or_b32_sdwa v8, v4, v8 dst_sel:DWORD dst_unused:UNUSED_PAD src0_sel:BYTE_0 src1_sel:DWORD
	v_and_b32_e32 v8, 0xffff, v8
	v_and_or_b32 v8, v4, s28, v8
	v_cndmask_b32_e64 v4, v4, v8, s[4:5]
	v_cndmask_b32_e64 v8, v1, v20, s[18:19]
	v_perm_b32 v8, v4, v8, s29
	v_cndmask_b32_e64 v4, v4, v8, s[2:3]
	v_and_b32_sdwa v8, v4, s31 dst_sel:DWORD dst_unused:UNUSED_PAD src0_sel:WORD_1 src1_sel:DWORD
	v_cndmask_b32_sdwa v1, v1, v21, vcc dst_sel:BYTE_1 dst_unused:UNUSED_PAD src0_sel:DWORD src1_sel:DWORD
	v_or_b32_sdwa v1, v8, v1 dst_sel:WORD_1 dst_unused:UNUSED_PAD src0_sel:DWORD src1_sel:DWORD
	v_and_or_b32 v1, v4, s30, v1
	v_cndmask_b32_e64 v4, v4, v1, s[0:1]
	v_lshrrev_b32_e32 v1, 8, v11
	v_add_u32_e32 v0, s40, v0
	global_store_byte v0, v1, s[36:37] offset:256
	s_and_b64 exec, exec, s[22:23]
	s_cbranch_execz .LBB0_52
; %bb.38:
	v_mov_b32_e32 v1, s37
	v_add_co_u32_e32 v0, vcc, s36, v0
	v_addc_co_u32_e32 v1, vcc, 0, v1, vcc
	global_store_byte_d16_hi v[0:1], v11, off offset:512
	s_and_b64 exec, exec, s[20:21]
	s_cbranch_execz .LBB0_52
; %bb.39:
	v_lshrrev_b32_e32 v8, 24, v11
	v_cmp_gt_u32_e32 vcc, s33, v5
	global_store_byte v[0:1], v8, off offset:768
	s_and_b64 exec, exec, vcc
	s_cbranch_execz .LBB0_52
; %bb.40:
	global_store_byte v[0:1], v7, off offset:1024
	s_and_b64 exec, exec, s[16:17]
	s_cbranch_execz .LBB0_52
; %bb.41:
	v_lshrrev_b32_e32 v5, 8, v7
	global_store_byte v[0:1], v5, off offset:1280
	s_and_b64 exec, exec, s[14:15]
	s_cbranch_execz .LBB0_52
; %bb.42:
	global_store_byte_d16_hi v[0:1], v7, off offset:1536
	s_and_b64 exec, exec, s[12:13]
	s_cbranch_execz .LBB0_52
; %bb.43:
	v_lshrrev_b32_e32 v5, 24, v7
	v_cmp_gt_u32_e32 vcc, s33, v3
	global_store_byte v[0:1], v5, off offset:1792
	s_and_b64 exec, exec, vcc
	s_cbranch_execz .LBB0_52
; %bb.44:
	global_store_byte v[0:1], v6, off offset:2048
	s_and_b64 exec, exec, s[10:11]
	s_cbranch_execz .LBB0_52
; %bb.45:
	v_lshrrev_b32_e32 v3, 8, v6
	global_store_byte v[0:1], v3, off offset:2304
	s_and_b64 exec, exec, s[8:9]
	s_cbranch_execz .LBB0_52
; %bb.46:
	;; [unrolled: 19-line block ×3, first 2 shown]
	global_store_byte_d16_hi v[0:1], v4, off offset:3584
	s_and_b64 exec, exec, s[0:1]
	s_cbranch_execz .LBB0_52
; %bb.51:
	v_lshrrev_b32_e32 v2, 24, v4
	global_store_byte v[0:1], v2, off offset:3840
.LBB0_52:
	s_endpgm
	.section	.rodata,"a",@progbits
	.p2align	6, 0x0
	.amdhsa_kernel _ZN2at6native29vectorized_elementwise_kernelILi16ENS0_13AUnaryFunctorIhhhZNS0_12_GLOBAL__N_121threshold_kernel_implIhEEvRNS_18TensorIteratorBaseET_S7_EUlhhE_EESt5arrayIPcLm2EEEEviT0_T1_
		.amdhsa_group_segment_fixed_size 0
		.amdhsa_private_segment_fixed_size 0
		.amdhsa_kernarg_size 24
		.amdhsa_user_sgpr_count 6
		.amdhsa_user_sgpr_private_segment_buffer 1
		.amdhsa_user_sgpr_dispatch_ptr 0
		.amdhsa_user_sgpr_queue_ptr 0
		.amdhsa_user_sgpr_kernarg_segment_ptr 1
		.amdhsa_user_sgpr_dispatch_id 0
		.amdhsa_user_sgpr_flat_scratch_init 0
		.amdhsa_user_sgpr_private_segment_size 0
		.amdhsa_uses_dynamic_stack 0
		.amdhsa_system_sgpr_private_segment_wavefront_offset 0
		.amdhsa_system_sgpr_workgroup_id_x 1
		.amdhsa_system_sgpr_workgroup_id_y 0
		.amdhsa_system_sgpr_workgroup_id_z 0
		.amdhsa_system_sgpr_workgroup_info 0
		.amdhsa_system_vgpr_workitem_id 0
		.amdhsa_next_free_vgpr 22
		.amdhsa_next_free_sgpr 41
		.amdhsa_reserve_vcc 1
		.amdhsa_reserve_flat_scratch 0
		.amdhsa_float_round_mode_32 0
		.amdhsa_float_round_mode_16_64 0
		.amdhsa_float_denorm_mode_32 3
		.amdhsa_float_denorm_mode_16_64 3
		.amdhsa_dx10_clamp 1
		.amdhsa_ieee_mode 1
		.amdhsa_fp16_overflow 0
		.amdhsa_exception_fp_ieee_invalid_op 0
		.amdhsa_exception_fp_denorm_src 0
		.amdhsa_exception_fp_ieee_div_zero 0
		.amdhsa_exception_fp_ieee_overflow 0
		.amdhsa_exception_fp_ieee_underflow 0
		.amdhsa_exception_fp_ieee_inexact 0
		.amdhsa_exception_int_div_zero 0
	.end_amdhsa_kernel
	.section	.text._ZN2at6native29vectorized_elementwise_kernelILi16ENS0_13AUnaryFunctorIhhhZNS0_12_GLOBAL__N_121threshold_kernel_implIhEEvRNS_18TensorIteratorBaseET_S7_EUlhhE_EESt5arrayIPcLm2EEEEviT0_T1_,"axG",@progbits,_ZN2at6native29vectorized_elementwise_kernelILi16ENS0_13AUnaryFunctorIhhhZNS0_12_GLOBAL__N_121threshold_kernel_implIhEEvRNS_18TensorIteratorBaseET_S7_EUlhhE_EESt5arrayIPcLm2EEEEviT0_T1_,comdat
.Lfunc_end0:
	.size	_ZN2at6native29vectorized_elementwise_kernelILi16ENS0_13AUnaryFunctorIhhhZNS0_12_GLOBAL__N_121threshold_kernel_implIhEEvRNS_18TensorIteratorBaseET_S7_EUlhhE_EESt5arrayIPcLm2EEEEviT0_T1_, .Lfunc_end0-_ZN2at6native29vectorized_elementwise_kernelILi16ENS0_13AUnaryFunctorIhhhZNS0_12_GLOBAL__N_121threshold_kernel_implIhEEvRNS_18TensorIteratorBaseET_S7_EUlhhE_EESt5arrayIPcLm2EEEEviT0_T1_
                                        ; -- End function
	.set _ZN2at6native29vectorized_elementwise_kernelILi16ENS0_13AUnaryFunctorIhhhZNS0_12_GLOBAL__N_121threshold_kernel_implIhEEvRNS_18TensorIteratorBaseET_S7_EUlhhE_EESt5arrayIPcLm2EEEEviT0_T1_.num_vgpr, 22
	.set _ZN2at6native29vectorized_elementwise_kernelILi16ENS0_13AUnaryFunctorIhhhZNS0_12_GLOBAL__N_121threshold_kernel_implIhEEvRNS_18TensorIteratorBaseET_S7_EUlhhE_EESt5arrayIPcLm2EEEEviT0_T1_.num_agpr, 0
	.set _ZN2at6native29vectorized_elementwise_kernelILi16ENS0_13AUnaryFunctorIhhhZNS0_12_GLOBAL__N_121threshold_kernel_implIhEEvRNS_18TensorIteratorBaseET_S7_EUlhhE_EESt5arrayIPcLm2EEEEviT0_T1_.numbered_sgpr, 41
	.set _ZN2at6native29vectorized_elementwise_kernelILi16ENS0_13AUnaryFunctorIhhhZNS0_12_GLOBAL__N_121threshold_kernel_implIhEEvRNS_18TensorIteratorBaseET_S7_EUlhhE_EESt5arrayIPcLm2EEEEviT0_T1_.num_named_barrier, 0
	.set _ZN2at6native29vectorized_elementwise_kernelILi16ENS0_13AUnaryFunctorIhhhZNS0_12_GLOBAL__N_121threshold_kernel_implIhEEvRNS_18TensorIteratorBaseET_S7_EUlhhE_EESt5arrayIPcLm2EEEEviT0_T1_.private_seg_size, 0
	.set _ZN2at6native29vectorized_elementwise_kernelILi16ENS0_13AUnaryFunctorIhhhZNS0_12_GLOBAL__N_121threshold_kernel_implIhEEvRNS_18TensorIteratorBaseET_S7_EUlhhE_EESt5arrayIPcLm2EEEEviT0_T1_.uses_vcc, 1
	.set _ZN2at6native29vectorized_elementwise_kernelILi16ENS0_13AUnaryFunctorIhhhZNS0_12_GLOBAL__N_121threshold_kernel_implIhEEvRNS_18TensorIteratorBaseET_S7_EUlhhE_EESt5arrayIPcLm2EEEEviT0_T1_.uses_flat_scratch, 0
	.set _ZN2at6native29vectorized_elementwise_kernelILi16ENS0_13AUnaryFunctorIhhhZNS0_12_GLOBAL__N_121threshold_kernel_implIhEEvRNS_18TensorIteratorBaseET_S7_EUlhhE_EESt5arrayIPcLm2EEEEviT0_T1_.has_dyn_sized_stack, 0
	.set _ZN2at6native29vectorized_elementwise_kernelILi16ENS0_13AUnaryFunctorIhhhZNS0_12_GLOBAL__N_121threshold_kernel_implIhEEvRNS_18TensorIteratorBaseET_S7_EUlhhE_EESt5arrayIPcLm2EEEEviT0_T1_.has_recursion, 0
	.set _ZN2at6native29vectorized_elementwise_kernelILi16ENS0_13AUnaryFunctorIhhhZNS0_12_GLOBAL__N_121threshold_kernel_implIhEEvRNS_18TensorIteratorBaseET_S7_EUlhhE_EESt5arrayIPcLm2EEEEviT0_T1_.has_indirect_call, 0
	.section	.AMDGPU.csdata,"",@progbits
; Kernel info:
; codeLenInByte = 2652
; TotalNumSgprs: 45
; NumVgprs: 22
; ScratchSize: 0
; MemoryBound: 0
; FloatMode: 240
; IeeeMode: 1
; LDSByteSize: 0 bytes/workgroup (compile time only)
; SGPRBlocks: 5
; VGPRBlocks: 5
; NumSGPRsForWavesPerEU: 45
; NumVGPRsForWavesPerEU: 22
; Occupancy: 10
; WaveLimiterHint : 0
; COMPUTE_PGM_RSRC2:SCRATCH_EN: 0
; COMPUTE_PGM_RSRC2:USER_SGPR: 6
; COMPUTE_PGM_RSRC2:TRAP_HANDLER: 0
; COMPUTE_PGM_RSRC2:TGID_X_EN: 1
; COMPUTE_PGM_RSRC2:TGID_Y_EN: 0
; COMPUTE_PGM_RSRC2:TGID_Z_EN: 0
; COMPUTE_PGM_RSRC2:TIDIG_COMP_CNT: 0
	.section	.text._ZN2at6native29vectorized_elementwise_kernelILi8ENS0_13AUnaryFunctorIhhhZNS0_12_GLOBAL__N_121threshold_kernel_implIhEEvRNS_18TensorIteratorBaseET_S7_EUlhhE_EESt5arrayIPcLm2EEEEviT0_T1_,"axG",@progbits,_ZN2at6native29vectorized_elementwise_kernelILi8ENS0_13AUnaryFunctorIhhhZNS0_12_GLOBAL__N_121threshold_kernel_implIhEEvRNS_18TensorIteratorBaseET_S7_EUlhhE_EESt5arrayIPcLm2EEEEviT0_T1_,comdat
	.globl	_ZN2at6native29vectorized_elementwise_kernelILi8ENS0_13AUnaryFunctorIhhhZNS0_12_GLOBAL__N_121threshold_kernel_implIhEEvRNS_18TensorIteratorBaseET_S7_EUlhhE_EESt5arrayIPcLm2EEEEviT0_T1_ ; -- Begin function _ZN2at6native29vectorized_elementwise_kernelILi8ENS0_13AUnaryFunctorIhhhZNS0_12_GLOBAL__N_121threshold_kernel_implIhEEvRNS_18TensorIteratorBaseET_S7_EUlhhE_EESt5arrayIPcLm2EEEEviT0_T1_
	.p2align	8
	.type	_ZN2at6native29vectorized_elementwise_kernelILi8ENS0_13AUnaryFunctorIhhhZNS0_12_GLOBAL__N_121threshold_kernel_implIhEEvRNS_18TensorIteratorBaseET_S7_EUlhhE_EESt5arrayIPcLm2EEEEviT0_T1_,@function
_ZN2at6native29vectorized_elementwise_kernelILi8ENS0_13AUnaryFunctorIhhhZNS0_12_GLOBAL__N_121threshold_kernel_implIhEEvRNS_18TensorIteratorBaseET_S7_EUlhhE_EESt5arrayIPcLm2EEEEviT0_T1_: ; @_ZN2at6native29vectorized_elementwise_kernelILi8ENS0_13AUnaryFunctorIhhhZNS0_12_GLOBAL__N_121threshold_kernel_implIhEEvRNS_18TensorIteratorBaseET_S7_EUlhhE_EESt5arrayIPcLm2EEEEviT0_T1_
; %bb.0:
	v_mov_b32_e32 v1, 0
	global_load_ubyte v2, v1, s[4:5] offset:6
	global_load_ushort v3, v1, s[4:5] offset:4
	s_load_dword s0, s[4:5], 0x0
	s_load_dwordx4 s[36:39], s[4:5], 0x8
	s_lshl_b32 s40, s6, 12
	s_waitcnt lgkmcnt(0)
	s_sub_i32 s33, s0, s40
	s_cmpk_gt_i32 s33, 0xfff
	s_mov_b64 s[0:1], -1
	s_waitcnt vmcnt(1)
	v_lshlrev_b32_e32 v1, 16, v2
	s_waitcnt vmcnt(0)
	v_or_b32_e32 v3, v3, v1
	s_cbranch_scc0 .LBB1_2
; %bb.1:
	s_ashr_i32 s2, s40, 31
	s_add_u32 s0, s38, s40
	s_addc_u32 s1, s39, s2
	v_lshlrev_b32_e32 v6, 3, v0
	global_load_dwordx2 v[1:2], v6, s[0:1]
	global_load_dwordx2 v[4:5], v6, s[0:1] offset:2048
	v_lshrrev_b32_e32 v7, 8, v3
	v_cmp_gt_u32_sdwa vcc, v3, v3 src0_sel:WORD_1 src1_sel:BYTE_0
	s_add_u32 s0, s36, s40
	s_addc_u32 s1, s37, s2
	s_waitcnt vmcnt(1)
	v_cndmask_b32_e32 v8, v7, v1, vcc
	v_lshrrev_b32_e32 v9, 8, v1
	v_lshrrev_b32_e32 v10, 16, v1
	;; [unrolled: 1-line block ×3, first 2 shown]
	v_cndmask_b32_e32 v11, v7, v2, vcc
	v_lshrrev_b32_e32 v12, 8, v2
	v_lshrrev_b32_e32 v13, 16, v2
	v_lshrrev_b32_e32 v2, 24, v2
	s_waitcnt vmcnt(0)
	v_cndmask_b32_e32 v14, v7, v4, vcc
	v_lshrrev_b32_e32 v15, 8, v4
	v_lshrrev_b32_e32 v16, 16, v4
	;; [unrolled: 1-line block ×3, first 2 shown]
	v_cndmask_b32_e32 v17, v7, v5, vcc
	v_lshrrev_b32_e32 v18, 8, v5
	v_lshrrev_b32_e32 v19, 16, v5
	v_lshrrev_b32_e32 v5, 24, v5
	v_cndmask_b32_e32 v9, v7, v9, vcc
	v_cndmask_b32_e32 v1, v7, v1, vcc
	;; [unrolled: 1-line block ×12, first 2 shown]
	v_lshlrev_b16_e32 v7, 8, v18
	v_lshlrev_b16_e32 v5, 8, v5
	;; [unrolled: 1-line block ×8, first 2 shown]
	v_or_b32_sdwa v7, v17, v7 dst_sel:DWORD dst_unused:UNUSED_PAD src0_sel:BYTE_0 src1_sel:DWORD
	v_or_b32_sdwa v5, v19, v5 dst_sel:WORD_1 dst_unused:UNUSED_PAD src0_sel:BYTE_0 src1_sel:DWORD
	v_or_b32_sdwa v14, v14, v15 dst_sel:DWORD dst_unused:UNUSED_PAD src0_sel:BYTE_0 src1_sel:DWORD
	v_or_b32_sdwa v4, v16, v4 dst_sel:WORD_1 dst_unused:UNUSED_PAD src0_sel:BYTE_0 src1_sel:DWORD
	;; [unrolled: 2-line block ×4, first 2 shown]
	v_or_b32_sdwa v2, v7, v5 dst_sel:DWORD dst_unused:UNUSED_PAD src0_sel:WORD_0 src1_sel:DWORD
	v_or_b32_sdwa v1, v14, v4 dst_sel:DWORD dst_unused:UNUSED_PAD src0_sel:WORD_0 src1_sel:DWORD
	;; [unrolled: 1-line block ×4, first 2 shown]
	global_store_dwordx2 v6, v[4:5], s[0:1]
	global_store_dwordx2 v6, v[1:2], s[0:1] offset:2048
	s_mov_b64 s[0:1], 0
.LBB1_2:
	s_andn2_b64 vcc, exec, s[0:1]
	s_cbranch_vccnz .LBB1_52
; %bb.3:
	v_cmp_gt_i32_e32 vcc, s33, v0
	v_or_b32_e32 v5, 0x100, v0
	v_mov_b32_e32 v21, 0
	v_or_b32_e32 v4, s40, v0
	v_mov_b32_e32 v20, 0
	v_mov_b32_e32 v19, 0
	v_mov_b32_e32 v18, 0
	v_mov_b32_e32 v17, 0
	v_mov_b32_e32 v16, 0
	v_mov_b32_e32 v15, 0
	v_mov_b32_e32 v10, 0
	v_mov_b32_e32 v9, 0
	v_mov_b32_e32 v8, 0
	v_mov_b32_e32 v7, 0
	v_mov_b32_e32 v6, 0
	v_mov_b32_e32 v13, 0
	v_mov_b32_e32 v14, 0
	v_mov_b32_e32 v12, 0
	v_mov_b32_e32 v11, 0
	s_and_saveexec_b64 s[2:3], vcc
	s_cbranch_execz .LBB1_35
; %bb.4:
	global_load_ubyte v11, v4, s[38:39]
	v_cmp_gt_u32_e64 s[0:1], s33, v5
	v_mov_b32_e32 v12, 0
	v_mov_b32_e32 v14, 0
	;; [unrolled: 1-line block ×15, first 2 shown]
	s_and_saveexec_b64 s[4:5], s[0:1]
	s_cbranch_execz .LBB1_34
; %bb.5:
	v_add_u32_e32 v1, s40, v0
	global_load_ubyte v12, v1, s[38:39] offset:256
	v_or_b32_e32 v2, 0x200, v0
	v_mov_b32_e32 v14, 0
	v_cmp_gt_u32_e64 s[0:1], s33, v2
	v_mov_b32_e32 v13, 0
	v_mov_b32_e32 v6, 0
	;; [unrolled: 1-line block ×13, first 2 shown]
	s_and_saveexec_b64 s[6:7], s[0:1]
	s_cbranch_execz .LBB1_33
; %bb.6:
	v_mov_b32_e32 v2, s39
	v_add_co_u32_e64 v1, s[0:1], s38, v1
	v_addc_co_u32_e64 v2, s[0:1], 0, v2, s[0:1]
	global_load_ubyte v14, v[1:2], off offset:512
	v_or_b32_e32 v6, 0x300, v0
	v_cmp_gt_u32_e64 s[0:1], s33, v6
	v_mov_b32_e32 v13, 0
	v_mov_b32_e32 v6, 0
	;; [unrolled: 1-line block ×13, first 2 shown]
	s_and_saveexec_b64 s[8:9], s[0:1]
	s_cbranch_execz .LBB1_32
; %bb.7:
	global_load_ubyte v13, v[1:2], off offset:768
	v_or_b32_e32 v6, 0x400, v0
	v_cmp_gt_u32_e64 s[0:1], s33, v6
	v_mov_b32_e32 v6, 0
	v_mov_b32_e32 v7, 0
	;; [unrolled: 1-line block ×12, first 2 shown]
	s_and_saveexec_b64 s[10:11], s[0:1]
	s_cbranch_execz .LBB1_31
; %bb.8:
	global_load_ubyte v6, v[1:2], off offset:1024
	v_or_b32_e32 v7, 0x500, v0
	v_cmp_gt_u32_e64 s[0:1], s33, v7
	v_mov_b32_e32 v7, 0
	v_mov_b32_e32 v8, 0
	;; [unrolled: 1-line block ×11, first 2 shown]
	s_and_saveexec_b64 s[12:13], s[0:1]
	s_cbranch_execz .LBB1_30
; %bb.9:
	global_load_ubyte v7, v[1:2], off offset:1280
	v_or_b32_e32 v8, 0x600, v0
	v_cmp_gt_u32_e64 s[0:1], s33, v8
	v_mov_b32_e32 v8, 0
	v_mov_b32_e32 v9, 0
	;; [unrolled: 1-line block ×10, first 2 shown]
	s_and_saveexec_b64 s[14:15], s[0:1]
	s_cbranch_execz .LBB1_29
; %bb.10:
	global_load_ubyte v8, v[1:2], off offset:1536
	v_or_b32_e32 v9, 0x700, v0
	v_cmp_gt_u32_e64 s[0:1], s33, v9
	v_mov_b32_e32 v9, 0
	v_mov_b32_e32 v10, 0
	;; [unrolled: 1-line block ×9, first 2 shown]
	s_and_saveexec_b64 s[16:17], s[0:1]
	s_cbranch_execz .LBB1_28
; %bb.11:
	global_load_ubyte v9, v[1:2], off offset:1792
	v_or_b32_e32 v10, 0x800, v0
	v_cmp_gt_u32_e64 s[0:1], s33, v10
	v_mov_b32_e32 v10, 0
	v_mov_b32_e32 v15, 0
	;; [unrolled: 1-line block ×8, first 2 shown]
	s_and_saveexec_b64 s[18:19], s[0:1]
	s_cbranch_execz .LBB1_27
; %bb.12:
	global_load_ubyte v10, v[1:2], off offset:2048
	v_or_b32_e32 v15, 0x900, v0
	v_cmp_gt_u32_e64 s[0:1], s33, v15
	v_mov_b32_e32 v15, 0
	v_mov_b32_e32 v16, 0
	;; [unrolled: 1-line block ×7, first 2 shown]
	s_and_saveexec_b64 s[20:21], s[0:1]
	s_cbranch_execz .LBB1_26
; %bb.13:
	global_load_ubyte v15, v[1:2], off offset:2304
	v_or_b32_e32 v16, 0xa00, v0
	v_cmp_gt_u32_e64 s[0:1], s33, v16
	v_mov_b32_e32 v16, 0
	v_mov_b32_e32 v17, 0
	;; [unrolled: 1-line block ×6, first 2 shown]
	s_and_saveexec_b64 s[22:23], s[0:1]
	s_cbranch_execz .LBB1_25
; %bb.14:
	global_load_ubyte v16, v[1:2], off offset:2560
	v_or_b32_e32 v17, 0xb00, v0
	v_cmp_gt_u32_e64 s[0:1], s33, v17
	v_mov_b32_e32 v17, 0
	v_mov_b32_e32 v18, 0
	;; [unrolled: 1-line block ×5, first 2 shown]
	s_and_saveexec_b64 s[24:25], s[0:1]
	s_cbranch_execz .LBB1_24
; %bb.15:
	global_load_ubyte v17, v[1:2], off offset:2816
	v_or_b32_e32 v18, 0xc00, v0
	v_cmp_gt_u32_e64 s[0:1], s33, v18
	v_mov_b32_e32 v18, 0
	v_mov_b32_e32 v19, 0
	;; [unrolled: 1-line block ×4, first 2 shown]
	s_and_saveexec_b64 s[26:27], s[0:1]
	s_cbranch_execz .LBB1_23
; %bb.16:
	global_load_ubyte v18, v[1:2], off offset:3072
	v_or_b32_e32 v19, 0xd00, v0
	v_cmp_gt_u32_e64 s[0:1], s33, v19
	v_mov_b32_e32 v19, 0
	v_mov_b32_e32 v20, 0
	;; [unrolled: 1-line block ×3, first 2 shown]
	s_and_saveexec_b64 s[28:29], s[0:1]
	s_cbranch_execz .LBB1_22
; %bb.17:
	global_load_ubyte v19, v[1:2], off offset:3328
	v_or_b32_e32 v20, 0xe00, v0
	v_cmp_gt_u32_e64 s[0:1], s33, v20
	v_mov_b32_e32 v20, 0
	v_mov_b32_e32 v21, 0
	s_and_saveexec_b64 s[30:31], s[0:1]
	s_cbranch_execz .LBB1_21
; %bb.18:
	global_load_ubyte v20, v[1:2], off offset:3584
	v_or_b32_e32 v21, 0xf00, v0
	v_cmp_gt_u32_e64 s[0:1], s33, v21
	v_mov_b32_e32 v21, 0
	s_and_saveexec_b64 s[34:35], s[0:1]
	s_cbranch_execz .LBB1_20
; %bb.19:
	global_load_ubyte v21, v[1:2], off offset:3840
.LBB1_20:
	s_or_b64 exec, exec, s[34:35]
.LBB1_21:
	s_or_b64 exec, exec, s[30:31]
.LBB1_22:
	s_or_b64 exec, exec, s[28:29]
.LBB1_23:
	s_or_b64 exec, exec, s[26:27]
.LBB1_24:
	s_or_b64 exec, exec, s[24:25]
.LBB1_25:
	s_or_b64 exec, exec, s[22:23]
.LBB1_26:
	s_or_b64 exec, exec, s[20:21]
.LBB1_27:
	s_or_b64 exec, exec, s[18:19]
.LBB1_28:
	s_or_b64 exec, exec, s[16:17]
.LBB1_29:
	s_or_b64 exec, exec, s[14:15]
.LBB1_30:
	s_or_b64 exec, exec, s[12:13]
.LBB1_31:
	s_or_b64 exec, exec, s[10:11]
.LBB1_32:
	s_or_b64 exec, exec, s[8:9]
.LBB1_33:
	s_or_b64 exec, exec, s[6:7]
.LBB1_34:
	s_or_b64 exec, exec, s[4:5]
.LBB1_35:
	s_or_b64 exec, exec, s[2:3]
	s_and_saveexec_b64 s[0:1], vcc
	s_cbranch_execz .LBB1_52
; %bb.36:
	v_lshrrev_b32_e32 v1, 8, v3
	v_cmp_gt_u32_sdwa s[18:19], v3, v3 src0_sel:WORD_1 src1_sel:BYTE_0
	s_waitcnt vmcnt(0)
	v_cndmask_b32_e64 v2, v1, v11, s[18:19]
	s_mov_b32 s30, 0xffff
	v_and_b32_sdwa v2, s30, v2 dst_sel:DWORD dst_unused:UNUSED_PAD src0_sel:DWORD src1_sel:BYTE_0
	v_cndmask_b32_e64 v3, v1, v12, s[18:19]
	v_cndmask_b32_e32 v2, 0, v2, vcc
	v_lshlrev_b16_e32 v3, 8, v3
	v_or_b32_e32 v3, v2, v3
	v_and_b32_e32 v3, 0xffff, v3
	v_cmp_gt_i32_e32 vcc, s33, v5
	v_cndmask_b32_e32 v2, v2, v3, vcc
	v_cndmask_b32_e64 v5, v1, v14, s[18:19]
	s_mov_b32 s34, 0xc0c0304
	v_or_b32_e32 v3, 0x200, v0
	v_perm_b32 v5, v5, v2, s34
	v_lshl_or_b32 v5, v5, 16, v2
	v_cmp_gt_i32_e64 s[22:23], s33, v3
	s_movk_i32 s31, 0xff
	v_cndmask_b32_e64 v2, v2, v5, s[22:23]
	v_cndmask_b32_e64 v11, v1, v13, s[18:19]
	v_and_b32_sdwa v3, v2, s31 dst_sel:DWORD dst_unused:UNUSED_PAD src0_sel:WORD_1 src1_sel:DWORD
	v_lshlrev_b16_e32 v11, 8, v11
	v_or_b32_e32 v5, 0x300, v0
	v_or_b32_sdwa v3, v3, v11 dst_sel:WORD_1 dst_unused:UNUSED_PAD src0_sel:DWORD src1_sel:DWORD
	v_and_or_b32 v3, v2, s30, v3
	v_cmp_gt_i32_e64 s[20:21], s33, v5
	v_cndmask_b32_e64 v11, v2, v3, s[20:21]
	v_or_b32_e32 v2, 0x500, v0
	v_cmp_gt_i32_e64 s[16:17], s33, v2
	v_or_b32_e32 v2, 0x600, v0
	v_cmp_gt_i32_e64 s[14:15], s33, v2
	;; [unrolled: 2-line block ×4, first 2 shown]
	v_or_b32_e32 v2, 0xa00, v0
	v_or_b32_e32 v12, 0xd00, v0
	v_cmp_gt_i32_e64 s[8:9], s33, v2
	v_or_b32_e32 v2, 0xb00, v0
	v_cmp_gt_i32_e64 s[4:5], s33, v12
	v_or_b32_e32 v12, 0xe00, v0
	v_or_b32_e32 v5, 0x400, v0
	;; [unrolled: 1-line block ×3, first 2 shown]
	v_cmp_gt_i32_e64 s[6:7], s33, v2
	v_or_b32_e32 v2, 0xc00, v0
	v_cmp_gt_i32_e64 s[2:3], s33, v12
	v_or_b32_e32 v12, 0xf00, v0
	v_cmp_gt_i32_e64 s[28:29], s33, v5
	v_cmp_gt_i32_e64 s[26:27], s33, v3
	;; [unrolled: 1-line block ×4, first 2 shown]
	global_store_byte v4, v11, s[36:37]
	s_and_b64 exec, exec, vcc
	s_cbranch_execz .LBB1_52
; %bb.37:
	v_cndmask_b32_e64 v4, v1, v6, s[18:19]
	s_mov_b32 s35, 0x3020104
	s_mov_b64 vcc, s[18:19]
	v_perm_b32 v4, v4, 0, s35
	v_cndmask_b32_e64 v4, 0, v4, s[28:29]
	v_cndmask_b32_sdwa v6, v1, v7, vcc dst_sel:BYTE_1 dst_unused:UNUSED_PAD src0_sel:DWORD src1_sel:DWORD
	v_or_b32_sdwa v6, v4, v6 dst_sel:DWORD dst_unused:UNUSED_PAD src0_sel:BYTE_0 src1_sel:DWORD
	v_and_b32_e32 v6, 0xffff, v6
	s_mov_b32 s28, 0xffff0000
	v_and_or_b32 v6, v4, s28, v6
	v_cndmask_b32_e64 v4, v4, v6, s[16:17]
	v_cndmask_b32_e64 v6, v1, v8, s[18:19]
	s_mov_b32 s29, 0x7000504
	v_perm_b32 v6, v4, v6, s29
	v_cndmask_b32_e64 v4, v4, v6, s[14:15]
	v_cndmask_b32_e64 v7, v1, v9, s[18:19]
	v_and_b32_sdwa v6, v4, s31 dst_sel:DWORD dst_unused:UNUSED_PAD src0_sel:WORD_1 src1_sel:DWORD
	v_lshlrev_b16_e32 v7, 8, v7
	v_or_b32_sdwa v6, v6, v7 dst_sel:WORD_1 dst_unused:UNUSED_PAD src0_sel:DWORD src1_sel:DWORD
	v_and_or_b32 v6, v4, s30, v6
	v_cndmask_b32_e64 v7, v4, v6, s[12:13]
	v_cndmask_b32_e64 v4, v1, v10, s[18:19]
	v_and_b32_sdwa v4, s30, v4 dst_sel:DWORD dst_unused:UNUSED_PAD src0_sel:DWORD src1_sel:BYTE_0
	v_cndmask_b32_e64 v6, v1, v15, s[18:19]
	v_cndmask_b32_e64 v4, 0, v4, s[26:27]
	v_lshlrev_b16_e32 v6, 8, v6
	v_or_b32_e32 v6, v4, v6
	v_and_b32_e32 v6, 0xffff, v6
	v_cndmask_b32_e64 v4, v4, v6, s[10:11]
	v_cndmask_b32_e64 v6, v1, v16, s[18:19]
	v_perm_b32 v6, v6, v4, s34
	v_lshl_or_b32 v6, v6, 16, v4
	v_cndmask_b32_e64 v4, v4, v6, s[8:9]
	v_cndmask_b32_e64 v8, v1, v17, s[18:19]
	v_and_b32_sdwa v6, v4, s31 dst_sel:DWORD dst_unused:UNUSED_PAD src0_sel:WORD_1 src1_sel:DWORD
	v_lshlrev_b16_e32 v8, 8, v8
	v_or_b32_sdwa v6, v6, v8 dst_sel:WORD_1 dst_unused:UNUSED_PAD src0_sel:DWORD src1_sel:DWORD
	v_and_or_b32 v6, v4, s30, v6
	v_cndmask_b32_e64 v6, v4, v6, s[6:7]
	v_cndmask_b32_e64 v4, v1, v18, s[18:19]
	v_perm_b32 v4, v4, 0, s35
	v_cndmask_b32_e64 v8, v1, v19, s[18:19]
	v_cndmask_b32_e64 v4, 0, v4, s[24:25]
	v_lshlrev_b16_e32 v8, 8, v8
	v_or_b32_sdwa v8, v4, v8 dst_sel:DWORD dst_unused:UNUSED_PAD src0_sel:BYTE_0 src1_sel:DWORD
	v_and_b32_e32 v8, 0xffff, v8
	v_and_or_b32 v8, v4, s28, v8
	v_cndmask_b32_e64 v4, v4, v8, s[4:5]
	v_cndmask_b32_e64 v8, v1, v20, s[18:19]
	v_perm_b32 v8, v4, v8, s29
	v_cndmask_b32_e64 v4, v4, v8, s[2:3]
	v_and_b32_sdwa v8, v4, s31 dst_sel:DWORD dst_unused:UNUSED_PAD src0_sel:WORD_1 src1_sel:DWORD
	v_cndmask_b32_sdwa v1, v1, v21, vcc dst_sel:BYTE_1 dst_unused:UNUSED_PAD src0_sel:DWORD src1_sel:DWORD
	v_or_b32_sdwa v1, v8, v1 dst_sel:WORD_1 dst_unused:UNUSED_PAD src0_sel:DWORD src1_sel:DWORD
	v_and_or_b32 v1, v4, s30, v1
	v_cndmask_b32_e64 v4, v4, v1, s[0:1]
	v_lshrrev_b32_e32 v1, 8, v11
	v_add_u32_e32 v0, s40, v0
	global_store_byte v0, v1, s[36:37] offset:256
	s_and_b64 exec, exec, s[22:23]
	s_cbranch_execz .LBB1_52
; %bb.38:
	v_mov_b32_e32 v1, s37
	v_add_co_u32_e32 v0, vcc, s36, v0
	v_addc_co_u32_e32 v1, vcc, 0, v1, vcc
	global_store_byte_d16_hi v[0:1], v11, off offset:512
	s_and_b64 exec, exec, s[20:21]
	s_cbranch_execz .LBB1_52
; %bb.39:
	v_lshrrev_b32_e32 v8, 24, v11
	v_cmp_gt_u32_e32 vcc, s33, v5
	global_store_byte v[0:1], v8, off offset:768
	s_and_b64 exec, exec, vcc
	s_cbranch_execz .LBB1_52
; %bb.40:
	global_store_byte v[0:1], v7, off offset:1024
	s_and_b64 exec, exec, s[16:17]
	s_cbranch_execz .LBB1_52
; %bb.41:
	v_lshrrev_b32_e32 v5, 8, v7
	global_store_byte v[0:1], v5, off offset:1280
	s_and_b64 exec, exec, s[14:15]
	s_cbranch_execz .LBB1_52
; %bb.42:
	global_store_byte_d16_hi v[0:1], v7, off offset:1536
	s_and_b64 exec, exec, s[12:13]
	s_cbranch_execz .LBB1_52
; %bb.43:
	v_lshrrev_b32_e32 v5, 24, v7
	v_cmp_gt_u32_e32 vcc, s33, v3
	global_store_byte v[0:1], v5, off offset:1792
	s_and_b64 exec, exec, vcc
	s_cbranch_execz .LBB1_52
; %bb.44:
	global_store_byte v[0:1], v6, off offset:2048
	s_and_b64 exec, exec, s[10:11]
	s_cbranch_execz .LBB1_52
; %bb.45:
	v_lshrrev_b32_e32 v3, 8, v6
	global_store_byte v[0:1], v3, off offset:2304
	s_and_b64 exec, exec, s[8:9]
	s_cbranch_execz .LBB1_52
; %bb.46:
	;; [unrolled: 19-line block ×3, first 2 shown]
	global_store_byte_d16_hi v[0:1], v4, off offset:3584
	s_and_b64 exec, exec, s[0:1]
	s_cbranch_execz .LBB1_52
; %bb.51:
	v_lshrrev_b32_e32 v2, 24, v4
	global_store_byte v[0:1], v2, off offset:3840
.LBB1_52:
	s_endpgm
	.section	.rodata,"a",@progbits
	.p2align	6, 0x0
	.amdhsa_kernel _ZN2at6native29vectorized_elementwise_kernelILi8ENS0_13AUnaryFunctorIhhhZNS0_12_GLOBAL__N_121threshold_kernel_implIhEEvRNS_18TensorIteratorBaseET_S7_EUlhhE_EESt5arrayIPcLm2EEEEviT0_T1_
		.amdhsa_group_segment_fixed_size 0
		.amdhsa_private_segment_fixed_size 0
		.amdhsa_kernarg_size 24
		.amdhsa_user_sgpr_count 6
		.amdhsa_user_sgpr_private_segment_buffer 1
		.amdhsa_user_sgpr_dispatch_ptr 0
		.amdhsa_user_sgpr_queue_ptr 0
		.amdhsa_user_sgpr_kernarg_segment_ptr 1
		.amdhsa_user_sgpr_dispatch_id 0
		.amdhsa_user_sgpr_flat_scratch_init 0
		.amdhsa_user_sgpr_private_segment_size 0
		.amdhsa_uses_dynamic_stack 0
		.amdhsa_system_sgpr_private_segment_wavefront_offset 0
		.amdhsa_system_sgpr_workgroup_id_x 1
		.amdhsa_system_sgpr_workgroup_id_y 0
		.amdhsa_system_sgpr_workgroup_id_z 0
		.amdhsa_system_sgpr_workgroup_info 0
		.amdhsa_system_vgpr_workitem_id 0
		.amdhsa_next_free_vgpr 22
		.amdhsa_next_free_sgpr 41
		.amdhsa_reserve_vcc 1
		.amdhsa_reserve_flat_scratch 0
		.amdhsa_float_round_mode_32 0
		.amdhsa_float_round_mode_16_64 0
		.amdhsa_float_denorm_mode_32 3
		.amdhsa_float_denorm_mode_16_64 3
		.amdhsa_dx10_clamp 1
		.amdhsa_ieee_mode 1
		.amdhsa_fp16_overflow 0
		.amdhsa_exception_fp_ieee_invalid_op 0
		.amdhsa_exception_fp_denorm_src 0
		.amdhsa_exception_fp_ieee_div_zero 0
		.amdhsa_exception_fp_ieee_overflow 0
		.amdhsa_exception_fp_ieee_underflow 0
		.amdhsa_exception_fp_ieee_inexact 0
		.amdhsa_exception_int_div_zero 0
	.end_amdhsa_kernel
	.section	.text._ZN2at6native29vectorized_elementwise_kernelILi8ENS0_13AUnaryFunctorIhhhZNS0_12_GLOBAL__N_121threshold_kernel_implIhEEvRNS_18TensorIteratorBaseET_S7_EUlhhE_EESt5arrayIPcLm2EEEEviT0_T1_,"axG",@progbits,_ZN2at6native29vectorized_elementwise_kernelILi8ENS0_13AUnaryFunctorIhhhZNS0_12_GLOBAL__N_121threshold_kernel_implIhEEvRNS_18TensorIteratorBaseET_S7_EUlhhE_EESt5arrayIPcLm2EEEEviT0_T1_,comdat
.Lfunc_end1:
	.size	_ZN2at6native29vectorized_elementwise_kernelILi8ENS0_13AUnaryFunctorIhhhZNS0_12_GLOBAL__N_121threshold_kernel_implIhEEvRNS_18TensorIteratorBaseET_S7_EUlhhE_EESt5arrayIPcLm2EEEEviT0_T1_, .Lfunc_end1-_ZN2at6native29vectorized_elementwise_kernelILi8ENS0_13AUnaryFunctorIhhhZNS0_12_GLOBAL__N_121threshold_kernel_implIhEEvRNS_18TensorIteratorBaseET_S7_EUlhhE_EESt5arrayIPcLm2EEEEviT0_T1_
                                        ; -- End function
	.set _ZN2at6native29vectorized_elementwise_kernelILi8ENS0_13AUnaryFunctorIhhhZNS0_12_GLOBAL__N_121threshold_kernel_implIhEEvRNS_18TensorIteratorBaseET_S7_EUlhhE_EESt5arrayIPcLm2EEEEviT0_T1_.num_vgpr, 22
	.set _ZN2at6native29vectorized_elementwise_kernelILi8ENS0_13AUnaryFunctorIhhhZNS0_12_GLOBAL__N_121threshold_kernel_implIhEEvRNS_18TensorIteratorBaseET_S7_EUlhhE_EESt5arrayIPcLm2EEEEviT0_T1_.num_agpr, 0
	.set _ZN2at6native29vectorized_elementwise_kernelILi8ENS0_13AUnaryFunctorIhhhZNS0_12_GLOBAL__N_121threshold_kernel_implIhEEvRNS_18TensorIteratorBaseET_S7_EUlhhE_EESt5arrayIPcLm2EEEEviT0_T1_.numbered_sgpr, 41
	.set _ZN2at6native29vectorized_elementwise_kernelILi8ENS0_13AUnaryFunctorIhhhZNS0_12_GLOBAL__N_121threshold_kernel_implIhEEvRNS_18TensorIteratorBaseET_S7_EUlhhE_EESt5arrayIPcLm2EEEEviT0_T1_.num_named_barrier, 0
	.set _ZN2at6native29vectorized_elementwise_kernelILi8ENS0_13AUnaryFunctorIhhhZNS0_12_GLOBAL__N_121threshold_kernel_implIhEEvRNS_18TensorIteratorBaseET_S7_EUlhhE_EESt5arrayIPcLm2EEEEviT0_T1_.private_seg_size, 0
	.set _ZN2at6native29vectorized_elementwise_kernelILi8ENS0_13AUnaryFunctorIhhhZNS0_12_GLOBAL__N_121threshold_kernel_implIhEEvRNS_18TensorIteratorBaseET_S7_EUlhhE_EESt5arrayIPcLm2EEEEviT0_T1_.uses_vcc, 1
	.set _ZN2at6native29vectorized_elementwise_kernelILi8ENS0_13AUnaryFunctorIhhhZNS0_12_GLOBAL__N_121threshold_kernel_implIhEEvRNS_18TensorIteratorBaseET_S7_EUlhhE_EESt5arrayIPcLm2EEEEviT0_T1_.uses_flat_scratch, 0
	.set _ZN2at6native29vectorized_elementwise_kernelILi8ENS0_13AUnaryFunctorIhhhZNS0_12_GLOBAL__N_121threshold_kernel_implIhEEvRNS_18TensorIteratorBaseET_S7_EUlhhE_EESt5arrayIPcLm2EEEEviT0_T1_.has_dyn_sized_stack, 0
	.set _ZN2at6native29vectorized_elementwise_kernelILi8ENS0_13AUnaryFunctorIhhhZNS0_12_GLOBAL__N_121threshold_kernel_implIhEEvRNS_18TensorIteratorBaseET_S7_EUlhhE_EESt5arrayIPcLm2EEEEviT0_T1_.has_recursion, 0
	.set _ZN2at6native29vectorized_elementwise_kernelILi8ENS0_13AUnaryFunctorIhhhZNS0_12_GLOBAL__N_121threshold_kernel_implIhEEvRNS_18TensorIteratorBaseET_S7_EUlhhE_EESt5arrayIPcLm2EEEEviT0_T1_.has_indirect_call, 0
	.section	.AMDGPU.csdata,"",@progbits
; Kernel info:
; codeLenInByte = 2672
; TotalNumSgprs: 45
; NumVgprs: 22
; ScratchSize: 0
; MemoryBound: 0
; FloatMode: 240
; IeeeMode: 1
; LDSByteSize: 0 bytes/workgroup (compile time only)
; SGPRBlocks: 5
; VGPRBlocks: 5
; NumSGPRsForWavesPerEU: 45
; NumVGPRsForWavesPerEU: 22
; Occupancy: 10
; WaveLimiterHint : 1
; COMPUTE_PGM_RSRC2:SCRATCH_EN: 0
; COMPUTE_PGM_RSRC2:USER_SGPR: 6
; COMPUTE_PGM_RSRC2:TRAP_HANDLER: 0
; COMPUTE_PGM_RSRC2:TGID_X_EN: 1
; COMPUTE_PGM_RSRC2:TGID_Y_EN: 0
; COMPUTE_PGM_RSRC2:TGID_Z_EN: 0
; COMPUTE_PGM_RSRC2:TIDIG_COMP_CNT: 0
	.section	.text._ZN2at6native29vectorized_elementwise_kernelILi4ENS0_13AUnaryFunctorIhhhZNS0_12_GLOBAL__N_121threshold_kernel_implIhEEvRNS_18TensorIteratorBaseET_S7_EUlhhE_EESt5arrayIPcLm2EEEEviT0_T1_,"axG",@progbits,_ZN2at6native29vectorized_elementwise_kernelILi4ENS0_13AUnaryFunctorIhhhZNS0_12_GLOBAL__N_121threshold_kernel_implIhEEvRNS_18TensorIteratorBaseET_S7_EUlhhE_EESt5arrayIPcLm2EEEEviT0_T1_,comdat
	.globl	_ZN2at6native29vectorized_elementwise_kernelILi4ENS0_13AUnaryFunctorIhhhZNS0_12_GLOBAL__N_121threshold_kernel_implIhEEvRNS_18TensorIteratorBaseET_S7_EUlhhE_EESt5arrayIPcLm2EEEEviT0_T1_ ; -- Begin function _ZN2at6native29vectorized_elementwise_kernelILi4ENS0_13AUnaryFunctorIhhhZNS0_12_GLOBAL__N_121threshold_kernel_implIhEEvRNS_18TensorIteratorBaseET_S7_EUlhhE_EESt5arrayIPcLm2EEEEviT0_T1_
	.p2align	8
	.type	_ZN2at6native29vectorized_elementwise_kernelILi4ENS0_13AUnaryFunctorIhhhZNS0_12_GLOBAL__N_121threshold_kernel_implIhEEvRNS_18TensorIteratorBaseET_S7_EUlhhE_EESt5arrayIPcLm2EEEEviT0_T1_,@function
_ZN2at6native29vectorized_elementwise_kernelILi4ENS0_13AUnaryFunctorIhhhZNS0_12_GLOBAL__N_121threshold_kernel_implIhEEvRNS_18TensorIteratorBaseET_S7_EUlhhE_EESt5arrayIPcLm2EEEEviT0_T1_: ; @_ZN2at6native29vectorized_elementwise_kernelILi4ENS0_13AUnaryFunctorIhhhZNS0_12_GLOBAL__N_121threshold_kernel_implIhEEvRNS_18TensorIteratorBaseET_S7_EUlhhE_EESt5arrayIPcLm2EEEEviT0_T1_
; %bb.0:
	v_mov_b32_e32 v1, 0
	global_load_ubyte v2, v1, s[4:5] offset:6
	global_load_ushort v3, v1, s[4:5] offset:4
	s_load_dword s0, s[4:5], 0x0
	s_load_dwordx4 s[36:39], s[4:5], 0x8
	s_lshl_b32 s40, s6, 12
	s_waitcnt lgkmcnt(0)
	s_sub_i32 s33, s0, s40
	s_cmpk_gt_i32 s33, 0xfff
	s_mov_b64 s[0:1], -1
	s_waitcnt vmcnt(1)
	v_lshlrev_b32_e32 v1, 16, v2
	s_waitcnt vmcnt(0)
	v_or_b32_e32 v3, v3, v1
	s_cbranch_scc0 .LBB2_2
; %bb.1:
	s_ashr_i32 s2, s40, 31
	s_add_u32 s0, s38, s40
	s_addc_u32 s1, s39, s2
	v_lshlrev_b32_e32 v1, 2, v0
	global_load_dword v2, v1, s[0:1]
	global_load_dword v4, v1, s[0:1] offset:1024
	global_load_dword v5, v1, s[0:1] offset:2048
	;; [unrolled: 1-line block ×3, first 2 shown]
	v_lshrrev_b32_e32 v7, 8, v3
	v_cmp_gt_u32_sdwa vcc, v3, v3 src0_sel:WORD_1 src1_sel:BYTE_0
	s_add_u32 s0, s36, s40
	s_addc_u32 s1, s37, s2
	s_waitcnt vmcnt(3)
	v_cndmask_b32_e32 v8, v7, v2, vcc
	v_lshrrev_b32_e32 v9, 8, v2
	v_lshrrev_b32_e32 v10, 16, v2
	v_lshrrev_b32_e32 v2, 24, v2
	s_waitcnt vmcnt(2)
	v_cndmask_b32_e32 v11, v7, v4, vcc
	v_lshrrev_b32_e32 v12, 8, v4
	v_lshrrev_b32_e32 v13, 16, v4
	v_lshrrev_b32_e32 v4, 24, v4
	;; [unrolled: 5-line block ×4, first 2 shown]
	v_cndmask_b32_e32 v9, v7, v9, vcc
	v_cndmask_b32_e32 v2, v7, v2, vcc
	;; [unrolled: 1-line block ×9, first 2 shown]
	v_lshlrev_b16_e32 v9, 8, v9
	v_lshlrev_b16_e32 v2, 8, v2
	v_cndmask_b32_e32 v13, v7, v13, vcc
	v_cndmask_b32_e32 v16, v7, v16, vcc
	;; [unrolled: 1-line block ×3, first 2 shown]
	v_lshlrev_b16_e32 v7, 8, v18
	v_lshlrev_b16_e32 v6, 8, v6
	;; [unrolled: 1-line block ×6, first 2 shown]
	v_or_b32_sdwa v8, v8, v9 dst_sel:DWORD dst_unused:UNUSED_PAD src0_sel:BYTE_0 src1_sel:DWORD
	v_or_b32_sdwa v2, v10, v2 dst_sel:WORD_1 dst_unused:UNUSED_PAD src0_sel:BYTE_0 src1_sel:DWORD
	v_or_b32_sdwa v7, v17, v7 dst_sel:DWORD dst_unused:UNUSED_PAD src0_sel:BYTE_0 src1_sel:DWORD
	v_or_b32_sdwa v6, v19, v6 dst_sel:WORD_1 dst_unused:UNUSED_PAD src0_sel:BYTE_0 src1_sel:DWORD
	;; [unrolled: 2-line block ×4, first 2 shown]
	v_or_b32_sdwa v2, v8, v2 dst_sel:DWORD dst_unused:UNUSED_PAD src0_sel:WORD_0 src1_sel:DWORD
	v_or_b32_sdwa v6, v7, v6 dst_sel:DWORD dst_unused:UNUSED_PAD src0_sel:WORD_0 src1_sel:DWORD
	;; [unrolled: 1-line block ×4, first 2 shown]
	global_store_dword v1, v2, s[0:1]
	global_store_dword v1, v4, s[0:1] offset:1024
	global_store_dword v1, v5, s[0:1] offset:2048
	;; [unrolled: 1-line block ×3, first 2 shown]
	s_mov_b64 s[0:1], 0
.LBB2_2:
	s_andn2_b64 vcc, exec, s[0:1]
	s_cbranch_vccnz .LBB2_52
; %bb.3:
	v_cmp_gt_i32_e32 vcc, s33, v0
	v_or_b32_e32 v5, 0x100, v0
	v_mov_b32_e32 v21, 0
	v_or_b32_e32 v4, s40, v0
	v_mov_b32_e32 v20, 0
	v_mov_b32_e32 v19, 0
	;; [unrolled: 1-line block ×15, first 2 shown]
	s_and_saveexec_b64 s[2:3], vcc
	s_cbranch_execz .LBB2_35
; %bb.4:
	global_load_ubyte v11, v4, s[38:39]
	v_cmp_gt_u32_e64 s[0:1], s33, v5
	v_mov_b32_e32 v12, 0
	v_mov_b32_e32 v14, 0
	;; [unrolled: 1-line block ×15, first 2 shown]
	s_and_saveexec_b64 s[4:5], s[0:1]
	s_cbranch_execz .LBB2_34
; %bb.5:
	v_add_u32_e32 v1, s40, v0
	global_load_ubyte v12, v1, s[38:39] offset:256
	v_or_b32_e32 v2, 0x200, v0
	v_mov_b32_e32 v14, 0
	v_cmp_gt_u32_e64 s[0:1], s33, v2
	v_mov_b32_e32 v13, 0
	v_mov_b32_e32 v6, 0
	v_mov_b32_e32 v7, 0
	v_mov_b32_e32 v8, 0
	v_mov_b32_e32 v9, 0
	v_mov_b32_e32 v10, 0
	v_mov_b32_e32 v15, 0
	v_mov_b32_e32 v16, 0
	v_mov_b32_e32 v17, 0
	v_mov_b32_e32 v18, 0
	v_mov_b32_e32 v19, 0
	v_mov_b32_e32 v20, 0
	v_mov_b32_e32 v21, 0
	s_and_saveexec_b64 s[6:7], s[0:1]
	s_cbranch_execz .LBB2_33
; %bb.6:
	v_mov_b32_e32 v2, s39
	v_add_co_u32_e64 v1, s[0:1], s38, v1
	v_addc_co_u32_e64 v2, s[0:1], 0, v2, s[0:1]
	global_load_ubyte v14, v[1:2], off offset:512
	v_or_b32_e32 v6, 0x300, v0
	v_cmp_gt_u32_e64 s[0:1], s33, v6
	v_mov_b32_e32 v13, 0
	v_mov_b32_e32 v6, 0
	;; [unrolled: 1-line block ×13, first 2 shown]
	s_and_saveexec_b64 s[8:9], s[0:1]
	s_cbranch_execz .LBB2_32
; %bb.7:
	global_load_ubyte v13, v[1:2], off offset:768
	v_or_b32_e32 v6, 0x400, v0
	v_cmp_gt_u32_e64 s[0:1], s33, v6
	v_mov_b32_e32 v6, 0
	v_mov_b32_e32 v7, 0
	;; [unrolled: 1-line block ×12, first 2 shown]
	s_and_saveexec_b64 s[10:11], s[0:1]
	s_cbranch_execz .LBB2_31
; %bb.8:
	global_load_ubyte v6, v[1:2], off offset:1024
	v_or_b32_e32 v7, 0x500, v0
	v_cmp_gt_u32_e64 s[0:1], s33, v7
	v_mov_b32_e32 v7, 0
	v_mov_b32_e32 v8, 0
	;; [unrolled: 1-line block ×11, first 2 shown]
	s_and_saveexec_b64 s[12:13], s[0:1]
	s_cbranch_execz .LBB2_30
; %bb.9:
	global_load_ubyte v7, v[1:2], off offset:1280
	v_or_b32_e32 v8, 0x600, v0
	v_cmp_gt_u32_e64 s[0:1], s33, v8
	v_mov_b32_e32 v8, 0
	v_mov_b32_e32 v9, 0
	;; [unrolled: 1-line block ×10, first 2 shown]
	s_and_saveexec_b64 s[14:15], s[0:1]
	s_cbranch_execz .LBB2_29
; %bb.10:
	global_load_ubyte v8, v[1:2], off offset:1536
	v_or_b32_e32 v9, 0x700, v0
	v_cmp_gt_u32_e64 s[0:1], s33, v9
	v_mov_b32_e32 v9, 0
	v_mov_b32_e32 v10, 0
	;; [unrolled: 1-line block ×9, first 2 shown]
	s_and_saveexec_b64 s[16:17], s[0:1]
	s_cbranch_execz .LBB2_28
; %bb.11:
	global_load_ubyte v9, v[1:2], off offset:1792
	v_or_b32_e32 v10, 0x800, v0
	v_cmp_gt_u32_e64 s[0:1], s33, v10
	v_mov_b32_e32 v10, 0
	v_mov_b32_e32 v15, 0
	;; [unrolled: 1-line block ×8, first 2 shown]
	s_and_saveexec_b64 s[18:19], s[0:1]
	s_cbranch_execz .LBB2_27
; %bb.12:
	global_load_ubyte v10, v[1:2], off offset:2048
	v_or_b32_e32 v15, 0x900, v0
	v_cmp_gt_u32_e64 s[0:1], s33, v15
	v_mov_b32_e32 v15, 0
	v_mov_b32_e32 v16, 0
	;; [unrolled: 1-line block ×7, first 2 shown]
	s_and_saveexec_b64 s[20:21], s[0:1]
	s_cbranch_execz .LBB2_26
; %bb.13:
	global_load_ubyte v15, v[1:2], off offset:2304
	v_or_b32_e32 v16, 0xa00, v0
	v_cmp_gt_u32_e64 s[0:1], s33, v16
	v_mov_b32_e32 v16, 0
	v_mov_b32_e32 v17, 0
	;; [unrolled: 1-line block ×6, first 2 shown]
	s_and_saveexec_b64 s[22:23], s[0:1]
	s_cbranch_execz .LBB2_25
; %bb.14:
	global_load_ubyte v16, v[1:2], off offset:2560
	v_or_b32_e32 v17, 0xb00, v0
	v_cmp_gt_u32_e64 s[0:1], s33, v17
	v_mov_b32_e32 v17, 0
	v_mov_b32_e32 v18, 0
	;; [unrolled: 1-line block ×5, first 2 shown]
	s_and_saveexec_b64 s[24:25], s[0:1]
	s_cbranch_execz .LBB2_24
; %bb.15:
	global_load_ubyte v17, v[1:2], off offset:2816
	v_or_b32_e32 v18, 0xc00, v0
	v_cmp_gt_u32_e64 s[0:1], s33, v18
	v_mov_b32_e32 v18, 0
	v_mov_b32_e32 v19, 0
	;; [unrolled: 1-line block ×4, first 2 shown]
	s_and_saveexec_b64 s[26:27], s[0:1]
	s_cbranch_execz .LBB2_23
; %bb.16:
	global_load_ubyte v18, v[1:2], off offset:3072
	v_or_b32_e32 v19, 0xd00, v0
	v_cmp_gt_u32_e64 s[0:1], s33, v19
	v_mov_b32_e32 v19, 0
	v_mov_b32_e32 v20, 0
	;; [unrolled: 1-line block ×3, first 2 shown]
	s_and_saveexec_b64 s[28:29], s[0:1]
	s_cbranch_execz .LBB2_22
; %bb.17:
	global_load_ubyte v19, v[1:2], off offset:3328
	v_or_b32_e32 v20, 0xe00, v0
	v_cmp_gt_u32_e64 s[0:1], s33, v20
	v_mov_b32_e32 v20, 0
	v_mov_b32_e32 v21, 0
	s_and_saveexec_b64 s[30:31], s[0:1]
	s_cbranch_execz .LBB2_21
; %bb.18:
	global_load_ubyte v20, v[1:2], off offset:3584
	v_or_b32_e32 v21, 0xf00, v0
	v_cmp_gt_u32_e64 s[0:1], s33, v21
	v_mov_b32_e32 v21, 0
	s_and_saveexec_b64 s[34:35], s[0:1]
	s_cbranch_execz .LBB2_20
; %bb.19:
	global_load_ubyte v21, v[1:2], off offset:3840
.LBB2_20:
	s_or_b64 exec, exec, s[34:35]
.LBB2_21:
	s_or_b64 exec, exec, s[30:31]
.LBB2_22:
	s_or_b64 exec, exec, s[28:29]
.LBB2_23:
	s_or_b64 exec, exec, s[26:27]
.LBB2_24:
	s_or_b64 exec, exec, s[24:25]
.LBB2_25:
	s_or_b64 exec, exec, s[22:23]
.LBB2_26:
	s_or_b64 exec, exec, s[20:21]
.LBB2_27:
	s_or_b64 exec, exec, s[18:19]
.LBB2_28:
	s_or_b64 exec, exec, s[16:17]
.LBB2_29:
	s_or_b64 exec, exec, s[14:15]
.LBB2_30:
	s_or_b64 exec, exec, s[12:13]
.LBB2_31:
	s_or_b64 exec, exec, s[10:11]
.LBB2_32:
	s_or_b64 exec, exec, s[8:9]
.LBB2_33:
	s_or_b64 exec, exec, s[6:7]
.LBB2_34:
	s_or_b64 exec, exec, s[4:5]
.LBB2_35:
	s_or_b64 exec, exec, s[2:3]
	s_and_saveexec_b64 s[0:1], vcc
	s_cbranch_execz .LBB2_52
; %bb.36:
	v_lshrrev_b32_e32 v1, 8, v3
	v_cmp_gt_u32_sdwa s[18:19], v3, v3 src0_sel:WORD_1 src1_sel:BYTE_0
	s_waitcnt vmcnt(0)
	v_cndmask_b32_e64 v2, v1, v11, s[18:19]
	s_mov_b32 s30, 0xffff
	v_and_b32_sdwa v2, s30, v2 dst_sel:DWORD dst_unused:UNUSED_PAD src0_sel:DWORD src1_sel:BYTE_0
	v_cndmask_b32_e64 v3, v1, v12, s[18:19]
	v_cndmask_b32_e32 v2, 0, v2, vcc
	v_lshlrev_b16_e32 v3, 8, v3
	v_or_b32_e32 v3, v2, v3
	v_and_b32_e32 v3, 0xffff, v3
	v_cmp_gt_i32_e32 vcc, s33, v5
	v_cndmask_b32_e32 v2, v2, v3, vcc
	v_cndmask_b32_e64 v5, v1, v14, s[18:19]
	s_mov_b32 s34, 0xc0c0304
	v_or_b32_e32 v3, 0x200, v0
	v_perm_b32 v5, v5, v2, s34
	v_lshl_or_b32 v5, v5, 16, v2
	v_cmp_gt_i32_e64 s[22:23], s33, v3
	s_movk_i32 s31, 0xff
	v_cndmask_b32_e64 v2, v2, v5, s[22:23]
	v_cndmask_b32_e64 v11, v1, v13, s[18:19]
	v_and_b32_sdwa v3, v2, s31 dst_sel:DWORD dst_unused:UNUSED_PAD src0_sel:WORD_1 src1_sel:DWORD
	v_lshlrev_b16_e32 v11, 8, v11
	v_or_b32_e32 v5, 0x300, v0
	v_or_b32_sdwa v3, v3, v11 dst_sel:WORD_1 dst_unused:UNUSED_PAD src0_sel:DWORD src1_sel:DWORD
	v_and_or_b32 v3, v2, s30, v3
	v_cmp_gt_i32_e64 s[20:21], s33, v5
	v_cndmask_b32_e64 v11, v2, v3, s[20:21]
	v_or_b32_e32 v2, 0x500, v0
	v_cmp_gt_i32_e64 s[16:17], s33, v2
	v_or_b32_e32 v2, 0x600, v0
	v_cmp_gt_i32_e64 s[14:15], s33, v2
	;; [unrolled: 2-line block ×4, first 2 shown]
	v_or_b32_e32 v2, 0xa00, v0
	v_or_b32_e32 v12, 0xd00, v0
	v_cmp_gt_i32_e64 s[8:9], s33, v2
	v_or_b32_e32 v2, 0xb00, v0
	v_cmp_gt_i32_e64 s[4:5], s33, v12
	v_or_b32_e32 v12, 0xe00, v0
	v_or_b32_e32 v5, 0x400, v0
	;; [unrolled: 1-line block ×3, first 2 shown]
	v_cmp_gt_i32_e64 s[6:7], s33, v2
	v_or_b32_e32 v2, 0xc00, v0
	v_cmp_gt_i32_e64 s[2:3], s33, v12
	v_or_b32_e32 v12, 0xf00, v0
	v_cmp_gt_i32_e64 s[28:29], s33, v5
	v_cmp_gt_i32_e64 s[26:27], s33, v3
	;; [unrolled: 1-line block ×4, first 2 shown]
	global_store_byte v4, v11, s[36:37]
	s_and_b64 exec, exec, vcc
	s_cbranch_execz .LBB2_52
; %bb.37:
	v_cndmask_b32_e64 v4, v1, v6, s[18:19]
	s_mov_b32 s35, 0x3020104
	s_mov_b64 vcc, s[18:19]
	v_perm_b32 v4, v4, 0, s35
	v_cndmask_b32_e64 v4, 0, v4, s[28:29]
	v_cndmask_b32_sdwa v6, v1, v7, vcc dst_sel:BYTE_1 dst_unused:UNUSED_PAD src0_sel:DWORD src1_sel:DWORD
	v_or_b32_sdwa v6, v4, v6 dst_sel:DWORD dst_unused:UNUSED_PAD src0_sel:BYTE_0 src1_sel:DWORD
	v_and_b32_e32 v6, 0xffff, v6
	s_mov_b32 s28, 0xffff0000
	v_and_or_b32 v6, v4, s28, v6
	v_cndmask_b32_e64 v4, v4, v6, s[16:17]
	v_cndmask_b32_e64 v6, v1, v8, s[18:19]
	s_mov_b32 s29, 0x7000504
	v_perm_b32 v6, v4, v6, s29
	v_cndmask_b32_e64 v4, v4, v6, s[14:15]
	v_cndmask_b32_e64 v7, v1, v9, s[18:19]
	v_and_b32_sdwa v6, v4, s31 dst_sel:DWORD dst_unused:UNUSED_PAD src0_sel:WORD_1 src1_sel:DWORD
	v_lshlrev_b16_e32 v7, 8, v7
	v_or_b32_sdwa v6, v6, v7 dst_sel:WORD_1 dst_unused:UNUSED_PAD src0_sel:DWORD src1_sel:DWORD
	v_and_or_b32 v6, v4, s30, v6
	v_cndmask_b32_e64 v7, v4, v6, s[12:13]
	v_cndmask_b32_e64 v4, v1, v10, s[18:19]
	v_and_b32_sdwa v4, s30, v4 dst_sel:DWORD dst_unused:UNUSED_PAD src0_sel:DWORD src1_sel:BYTE_0
	v_cndmask_b32_e64 v6, v1, v15, s[18:19]
	v_cndmask_b32_e64 v4, 0, v4, s[26:27]
	v_lshlrev_b16_e32 v6, 8, v6
	v_or_b32_e32 v6, v4, v6
	v_and_b32_e32 v6, 0xffff, v6
	v_cndmask_b32_e64 v4, v4, v6, s[10:11]
	v_cndmask_b32_e64 v6, v1, v16, s[18:19]
	v_perm_b32 v6, v6, v4, s34
	v_lshl_or_b32 v6, v6, 16, v4
	v_cndmask_b32_e64 v4, v4, v6, s[8:9]
	v_cndmask_b32_e64 v8, v1, v17, s[18:19]
	v_and_b32_sdwa v6, v4, s31 dst_sel:DWORD dst_unused:UNUSED_PAD src0_sel:WORD_1 src1_sel:DWORD
	v_lshlrev_b16_e32 v8, 8, v8
	v_or_b32_sdwa v6, v6, v8 dst_sel:WORD_1 dst_unused:UNUSED_PAD src0_sel:DWORD src1_sel:DWORD
	v_and_or_b32 v6, v4, s30, v6
	v_cndmask_b32_e64 v6, v4, v6, s[6:7]
	v_cndmask_b32_e64 v4, v1, v18, s[18:19]
	v_perm_b32 v4, v4, 0, s35
	v_cndmask_b32_e64 v8, v1, v19, s[18:19]
	v_cndmask_b32_e64 v4, 0, v4, s[24:25]
	v_lshlrev_b16_e32 v8, 8, v8
	v_or_b32_sdwa v8, v4, v8 dst_sel:DWORD dst_unused:UNUSED_PAD src0_sel:BYTE_0 src1_sel:DWORD
	v_and_b32_e32 v8, 0xffff, v8
	v_and_or_b32 v8, v4, s28, v8
	v_cndmask_b32_e64 v4, v4, v8, s[4:5]
	v_cndmask_b32_e64 v8, v1, v20, s[18:19]
	v_perm_b32 v8, v4, v8, s29
	v_cndmask_b32_e64 v4, v4, v8, s[2:3]
	v_and_b32_sdwa v8, v4, s31 dst_sel:DWORD dst_unused:UNUSED_PAD src0_sel:WORD_1 src1_sel:DWORD
	v_cndmask_b32_sdwa v1, v1, v21, vcc dst_sel:BYTE_1 dst_unused:UNUSED_PAD src0_sel:DWORD src1_sel:DWORD
	v_or_b32_sdwa v1, v8, v1 dst_sel:WORD_1 dst_unused:UNUSED_PAD src0_sel:DWORD src1_sel:DWORD
	v_and_or_b32 v1, v4, s30, v1
	v_cndmask_b32_e64 v4, v4, v1, s[0:1]
	v_lshrrev_b32_e32 v1, 8, v11
	v_add_u32_e32 v0, s40, v0
	global_store_byte v0, v1, s[36:37] offset:256
	s_and_b64 exec, exec, s[22:23]
	s_cbranch_execz .LBB2_52
; %bb.38:
	v_mov_b32_e32 v1, s37
	v_add_co_u32_e32 v0, vcc, s36, v0
	v_addc_co_u32_e32 v1, vcc, 0, v1, vcc
	global_store_byte_d16_hi v[0:1], v11, off offset:512
	s_and_b64 exec, exec, s[20:21]
	s_cbranch_execz .LBB2_52
; %bb.39:
	v_lshrrev_b32_e32 v8, 24, v11
	v_cmp_gt_u32_e32 vcc, s33, v5
	global_store_byte v[0:1], v8, off offset:768
	s_and_b64 exec, exec, vcc
	s_cbranch_execz .LBB2_52
; %bb.40:
	global_store_byte v[0:1], v7, off offset:1024
	s_and_b64 exec, exec, s[16:17]
	s_cbranch_execz .LBB2_52
; %bb.41:
	v_lshrrev_b32_e32 v5, 8, v7
	global_store_byte v[0:1], v5, off offset:1280
	s_and_b64 exec, exec, s[14:15]
	s_cbranch_execz .LBB2_52
; %bb.42:
	global_store_byte_d16_hi v[0:1], v7, off offset:1536
	s_and_b64 exec, exec, s[12:13]
	s_cbranch_execz .LBB2_52
; %bb.43:
	v_lshrrev_b32_e32 v5, 24, v7
	v_cmp_gt_u32_e32 vcc, s33, v3
	global_store_byte v[0:1], v5, off offset:1792
	s_and_b64 exec, exec, vcc
	s_cbranch_execz .LBB2_52
; %bb.44:
	global_store_byte v[0:1], v6, off offset:2048
	s_and_b64 exec, exec, s[10:11]
	s_cbranch_execz .LBB2_52
; %bb.45:
	v_lshrrev_b32_e32 v3, 8, v6
	global_store_byte v[0:1], v3, off offset:2304
	s_and_b64 exec, exec, s[8:9]
	s_cbranch_execz .LBB2_52
; %bb.46:
	;; [unrolled: 19-line block ×3, first 2 shown]
	global_store_byte_d16_hi v[0:1], v4, off offset:3584
	s_and_b64 exec, exec, s[0:1]
	s_cbranch_execz .LBB2_52
; %bb.51:
	v_lshrrev_b32_e32 v2, 24, v4
	global_store_byte v[0:1], v2, off offset:3840
.LBB2_52:
	s_endpgm
	.section	.rodata,"a",@progbits
	.p2align	6, 0x0
	.amdhsa_kernel _ZN2at6native29vectorized_elementwise_kernelILi4ENS0_13AUnaryFunctorIhhhZNS0_12_GLOBAL__N_121threshold_kernel_implIhEEvRNS_18TensorIteratorBaseET_S7_EUlhhE_EESt5arrayIPcLm2EEEEviT0_T1_
		.amdhsa_group_segment_fixed_size 0
		.amdhsa_private_segment_fixed_size 0
		.amdhsa_kernarg_size 24
		.amdhsa_user_sgpr_count 6
		.amdhsa_user_sgpr_private_segment_buffer 1
		.amdhsa_user_sgpr_dispatch_ptr 0
		.amdhsa_user_sgpr_queue_ptr 0
		.amdhsa_user_sgpr_kernarg_segment_ptr 1
		.amdhsa_user_sgpr_dispatch_id 0
		.amdhsa_user_sgpr_flat_scratch_init 0
		.amdhsa_user_sgpr_private_segment_size 0
		.amdhsa_uses_dynamic_stack 0
		.amdhsa_system_sgpr_private_segment_wavefront_offset 0
		.amdhsa_system_sgpr_workgroup_id_x 1
		.amdhsa_system_sgpr_workgroup_id_y 0
		.amdhsa_system_sgpr_workgroup_id_z 0
		.amdhsa_system_sgpr_workgroup_info 0
		.amdhsa_system_vgpr_workitem_id 0
		.amdhsa_next_free_vgpr 22
		.amdhsa_next_free_sgpr 41
		.amdhsa_reserve_vcc 1
		.amdhsa_reserve_flat_scratch 0
		.amdhsa_float_round_mode_32 0
		.amdhsa_float_round_mode_16_64 0
		.amdhsa_float_denorm_mode_32 3
		.amdhsa_float_denorm_mode_16_64 3
		.amdhsa_dx10_clamp 1
		.amdhsa_ieee_mode 1
		.amdhsa_fp16_overflow 0
		.amdhsa_exception_fp_ieee_invalid_op 0
		.amdhsa_exception_fp_denorm_src 0
		.amdhsa_exception_fp_ieee_div_zero 0
		.amdhsa_exception_fp_ieee_overflow 0
		.amdhsa_exception_fp_ieee_underflow 0
		.amdhsa_exception_fp_ieee_inexact 0
		.amdhsa_exception_int_div_zero 0
	.end_amdhsa_kernel
	.section	.text._ZN2at6native29vectorized_elementwise_kernelILi4ENS0_13AUnaryFunctorIhhhZNS0_12_GLOBAL__N_121threshold_kernel_implIhEEvRNS_18TensorIteratorBaseET_S7_EUlhhE_EESt5arrayIPcLm2EEEEviT0_T1_,"axG",@progbits,_ZN2at6native29vectorized_elementwise_kernelILi4ENS0_13AUnaryFunctorIhhhZNS0_12_GLOBAL__N_121threshold_kernel_implIhEEvRNS_18TensorIteratorBaseET_S7_EUlhhE_EESt5arrayIPcLm2EEEEviT0_T1_,comdat
.Lfunc_end2:
	.size	_ZN2at6native29vectorized_elementwise_kernelILi4ENS0_13AUnaryFunctorIhhhZNS0_12_GLOBAL__N_121threshold_kernel_implIhEEvRNS_18TensorIteratorBaseET_S7_EUlhhE_EESt5arrayIPcLm2EEEEviT0_T1_, .Lfunc_end2-_ZN2at6native29vectorized_elementwise_kernelILi4ENS0_13AUnaryFunctorIhhhZNS0_12_GLOBAL__N_121threshold_kernel_implIhEEvRNS_18TensorIteratorBaseET_S7_EUlhhE_EESt5arrayIPcLm2EEEEviT0_T1_
                                        ; -- End function
	.set _ZN2at6native29vectorized_elementwise_kernelILi4ENS0_13AUnaryFunctorIhhhZNS0_12_GLOBAL__N_121threshold_kernel_implIhEEvRNS_18TensorIteratorBaseET_S7_EUlhhE_EESt5arrayIPcLm2EEEEviT0_T1_.num_vgpr, 22
	.set _ZN2at6native29vectorized_elementwise_kernelILi4ENS0_13AUnaryFunctorIhhhZNS0_12_GLOBAL__N_121threshold_kernel_implIhEEvRNS_18TensorIteratorBaseET_S7_EUlhhE_EESt5arrayIPcLm2EEEEviT0_T1_.num_agpr, 0
	.set _ZN2at6native29vectorized_elementwise_kernelILi4ENS0_13AUnaryFunctorIhhhZNS0_12_GLOBAL__N_121threshold_kernel_implIhEEvRNS_18TensorIteratorBaseET_S7_EUlhhE_EESt5arrayIPcLm2EEEEviT0_T1_.numbered_sgpr, 41
	.set _ZN2at6native29vectorized_elementwise_kernelILi4ENS0_13AUnaryFunctorIhhhZNS0_12_GLOBAL__N_121threshold_kernel_implIhEEvRNS_18TensorIteratorBaseET_S7_EUlhhE_EESt5arrayIPcLm2EEEEviT0_T1_.num_named_barrier, 0
	.set _ZN2at6native29vectorized_elementwise_kernelILi4ENS0_13AUnaryFunctorIhhhZNS0_12_GLOBAL__N_121threshold_kernel_implIhEEvRNS_18TensorIteratorBaseET_S7_EUlhhE_EESt5arrayIPcLm2EEEEviT0_T1_.private_seg_size, 0
	.set _ZN2at6native29vectorized_elementwise_kernelILi4ENS0_13AUnaryFunctorIhhhZNS0_12_GLOBAL__N_121threshold_kernel_implIhEEvRNS_18TensorIteratorBaseET_S7_EUlhhE_EESt5arrayIPcLm2EEEEviT0_T1_.uses_vcc, 1
	.set _ZN2at6native29vectorized_elementwise_kernelILi4ENS0_13AUnaryFunctorIhhhZNS0_12_GLOBAL__N_121threshold_kernel_implIhEEvRNS_18TensorIteratorBaseET_S7_EUlhhE_EESt5arrayIPcLm2EEEEviT0_T1_.uses_flat_scratch, 0
	.set _ZN2at6native29vectorized_elementwise_kernelILi4ENS0_13AUnaryFunctorIhhhZNS0_12_GLOBAL__N_121threshold_kernel_implIhEEvRNS_18TensorIteratorBaseET_S7_EUlhhE_EESt5arrayIPcLm2EEEEviT0_T1_.has_dyn_sized_stack, 0
	.set _ZN2at6native29vectorized_elementwise_kernelILi4ENS0_13AUnaryFunctorIhhhZNS0_12_GLOBAL__N_121threshold_kernel_implIhEEvRNS_18TensorIteratorBaseET_S7_EUlhhE_EESt5arrayIPcLm2EEEEviT0_T1_.has_recursion, 0
	.set _ZN2at6native29vectorized_elementwise_kernelILi4ENS0_13AUnaryFunctorIhhhZNS0_12_GLOBAL__N_121threshold_kernel_implIhEEvRNS_18TensorIteratorBaseET_S7_EUlhhE_EESt5arrayIPcLm2EEEEviT0_T1_.has_indirect_call, 0
	.section	.AMDGPU.csdata,"",@progbits
; Kernel info:
; codeLenInByte = 2712
; TotalNumSgprs: 45
; NumVgprs: 22
; ScratchSize: 0
; MemoryBound: 0
; FloatMode: 240
; IeeeMode: 1
; LDSByteSize: 0 bytes/workgroup (compile time only)
; SGPRBlocks: 5
; VGPRBlocks: 5
; NumSGPRsForWavesPerEU: 45
; NumVGPRsForWavesPerEU: 22
; Occupancy: 10
; WaveLimiterHint : 1
; COMPUTE_PGM_RSRC2:SCRATCH_EN: 0
; COMPUTE_PGM_RSRC2:USER_SGPR: 6
; COMPUTE_PGM_RSRC2:TRAP_HANDLER: 0
; COMPUTE_PGM_RSRC2:TGID_X_EN: 1
; COMPUTE_PGM_RSRC2:TGID_Y_EN: 0
; COMPUTE_PGM_RSRC2:TGID_Z_EN: 0
; COMPUTE_PGM_RSRC2:TIDIG_COMP_CNT: 0
	.section	.text._ZN2at6native29vectorized_elementwise_kernelILi2ENS0_13AUnaryFunctorIhhhZNS0_12_GLOBAL__N_121threshold_kernel_implIhEEvRNS_18TensorIteratorBaseET_S7_EUlhhE_EESt5arrayIPcLm2EEEEviT0_T1_,"axG",@progbits,_ZN2at6native29vectorized_elementwise_kernelILi2ENS0_13AUnaryFunctorIhhhZNS0_12_GLOBAL__N_121threshold_kernel_implIhEEvRNS_18TensorIteratorBaseET_S7_EUlhhE_EESt5arrayIPcLm2EEEEviT0_T1_,comdat
	.globl	_ZN2at6native29vectorized_elementwise_kernelILi2ENS0_13AUnaryFunctorIhhhZNS0_12_GLOBAL__N_121threshold_kernel_implIhEEvRNS_18TensorIteratorBaseET_S7_EUlhhE_EESt5arrayIPcLm2EEEEviT0_T1_ ; -- Begin function _ZN2at6native29vectorized_elementwise_kernelILi2ENS0_13AUnaryFunctorIhhhZNS0_12_GLOBAL__N_121threshold_kernel_implIhEEvRNS_18TensorIteratorBaseET_S7_EUlhhE_EESt5arrayIPcLm2EEEEviT0_T1_
	.p2align	8
	.type	_ZN2at6native29vectorized_elementwise_kernelILi2ENS0_13AUnaryFunctorIhhhZNS0_12_GLOBAL__N_121threshold_kernel_implIhEEvRNS_18TensorIteratorBaseET_S7_EUlhhE_EESt5arrayIPcLm2EEEEviT0_T1_,@function
_ZN2at6native29vectorized_elementwise_kernelILi2ENS0_13AUnaryFunctorIhhhZNS0_12_GLOBAL__N_121threshold_kernel_implIhEEvRNS_18TensorIteratorBaseET_S7_EUlhhE_EESt5arrayIPcLm2EEEEviT0_T1_: ; @_ZN2at6native29vectorized_elementwise_kernelILi2ENS0_13AUnaryFunctorIhhhZNS0_12_GLOBAL__N_121threshold_kernel_implIhEEvRNS_18TensorIteratorBaseET_S7_EUlhhE_EESt5arrayIPcLm2EEEEviT0_T1_
; %bb.0:
	v_mov_b32_e32 v1, 0
	global_load_ubyte v2, v1, s[4:5] offset:6
	global_load_ushort v3, v1, s[4:5] offset:4
	s_load_dword s0, s[4:5], 0x0
	s_load_dwordx4 s[36:39], s[4:5], 0x8
	s_lshl_b32 s40, s6, 12
	s_waitcnt lgkmcnt(0)
	s_sub_i32 s33, s0, s40
	s_cmpk_gt_i32 s33, 0xfff
	s_mov_b64 s[0:1], -1
	s_waitcnt vmcnt(1)
	v_lshlrev_b32_e32 v1, 16, v2
	s_waitcnt vmcnt(0)
	v_or_b32_e32 v3, v3, v1
	s_cbranch_scc0 .LBB3_2
; %bb.1:
	s_ashr_i32 s2, s40, 31
	s_add_u32 s0, s38, s40
	s_addc_u32 s1, s39, s2
	v_lshlrev_b32_e32 v1, 1, v0
	global_load_ushort v2, v1, s[0:1]
	global_load_ushort v4, v1, s[0:1] offset:512
	global_load_ushort v5, v1, s[0:1] offset:1024
	;; [unrolled: 1-line block ×7, first 2 shown]
	v_lshrrev_b32_e32 v11, 8, v3
	v_cmp_gt_u32_sdwa vcc, v3, v3 src0_sel:WORD_1 src1_sel:BYTE_0
	s_add_u32 s0, s36, s40
	s_addc_u32 s1, s37, s2
	s_waitcnt vmcnt(7)
	v_cndmask_b32_e32 v12, v11, v2, vcc
	v_lshrrev_b16_e32 v2, 8, v2
	s_waitcnt vmcnt(6)
	v_cndmask_b32_e32 v13, v11, v4, vcc
	v_lshrrev_b16_e32 v4, 8, v4
	;; [unrolled: 3-line block ×8, first 2 shown]
	v_cndmask_b32_e32 v2, v11, v2, vcc
	v_cndmask_b32_e32 v4, v11, v4, vcc
	;; [unrolled: 1-line block ×8, first 2 shown]
	v_lshlrev_b16_e32 v2, 8, v2
	v_lshlrev_b16_e32 v10, 8, v10
	;; [unrolled: 1-line block ×8, first 2 shown]
	v_or_b32_sdwa v2, v12, v2 dst_sel:DWORD dst_unused:UNUSED_PAD src0_sel:BYTE_0 src1_sel:DWORD
	v_or_b32_sdwa v10, v19, v10 dst_sel:DWORD dst_unused:UNUSED_PAD src0_sel:BYTE_0 src1_sel:DWORD
	;; [unrolled: 1-line block ×8, first 2 shown]
	global_store_short v1, v2, s[0:1]
	global_store_short v1, v4, s[0:1] offset:512
	global_store_short v1, v5, s[0:1] offset:1024
	;; [unrolled: 1-line block ×7, first 2 shown]
	s_mov_b64 s[0:1], 0
.LBB3_2:
	s_andn2_b64 vcc, exec, s[0:1]
	s_cbranch_vccnz .LBB3_52
; %bb.3:
	v_cmp_gt_i32_e32 vcc, s33, v0
	v_or_b32_e32 v5, 0x100, v0
	v_mov_b32_e32 v21, 0
	v_or_b32_e32 v4, s40, v0
	v_mov_b32_e32 v20, 0
	v_mov_b32_e32 v19, 0
	v_mov_b32_e32 v18, 0
	v_mov_b32_e32 v17, 0
	v_mov_b32_e32 v16, 0
	v_mov_b32_e32 v15, 0
	v_mov_b32_e32 v10, 0
	v_mov_b32_e32 v9, 0
	v_mov_b32_e32 v8, 0
	v_mov_b32_e32 v7, 0
	v_mov_b32_e32 v6, 0
	v_mov_b32_e32 v13, 0
	v_mov_b32_e32 v14, 0
	v_mov_b32_e32 v12, 0
	v_mov_b32_e32 v11, 0
	s_and_saveexec_b64 s[2:3], vcc
	s_cbranch_execz .LBB3_35
; %bb.4:
	global_load_ubyte v11, v4, s[38:39]
	v_cmp_gt_u32_e64 s[0:1], s33, v5
	v_mov_b32_e32 v12, 0
	v_mov_b32_e32 v14, 0
	;; [unrolled: 1-line block ×15, first 2 shown]
	s_and_saveexec_b64 s[4:5], s[0:1]
	s_cbranch_execz .LBB3_34
; %bb.5:
	v_add_u32_e32 v1, s40, v0
	global_load_ubyte v12, v1, s[38:39] offset:256
	v_or_b32_e32 v2, 0x200, v0
	v_mov_b32_e32 v14, 0
	v_cmp_gt_u32_e64 s[0:1], s33, v2
	v_mov_b32_e32 v13, 0
	v_mov_b32_e32 v6, 0
	;; [unrolled: 1-line block ×13, first 2 shown]
	s_and_saveexec_b64 s[6:7], s[0:1]
	s_cbranch_execz .LBB3_33
; %bb.6:
	v_mov_b32_e32 v2, s39
	v_add_co_u32_e64 v1, s[0:1], s38, v1
	v_addc_co_u32_e64 v2, s[0:1], 0, v2, s[0:1]
	global_load_ubyte v14, v[1:2], off offset:512
	v_or_b32_e32 v6, 0x300, v0
	v_cmp_gt_u32_e64 s[0:1], s33, v6
	v_mov_b32_e32 v13, 0
	v_mov_b32_e32 v6, 0
	;; [unrolled: 1-line block ×13, first 2 shown]
	s_and_saveexec_b64 s[8:9], s[0:1]
	s_cbranch_execz .LBB3_32
; %bb.7:
	global_load_ubyte v13, v[1:2], off offset:768
	v_or_b32_e32 v6, 0x400, v0
	v_cmp_gt_u32_e64 s[0:1], s33, v6
	v_mov_b32_e32 v6, 0
	v_mov_b32_e32 v7, 0
	;; [unrolled: 1-line block ×12, first 2 shown]
	s_and_saveexec_b64 s[10:11], s[0:1]
	s_cbranch_execz .LBB3_31
; %bb.8:
	global_load_ubyte v6, v[1:2], off offset:1024
	v_or_b32_e32 v7, 0x500, v0
	v_cmp_gt_u32_e64 s[0:1], s33, v7
	v_mov_b32_e32 v7, 0
	v_mov_b32_e32 v8, 0
	;; [unrolled: 1-line block ×11, first 2 shown]
	s_and_saveexec_b64 s[12:13], s[0:1]
	s_cbranch_execz .LBB3_30
; %bb.9:
	global_load_ubyte v7, v[1:2], off offset:1280
	v_or_b32_e32 v8, 0x600, v0
	v_cmp_gt_u32_e64 s[0:1], s33, v8
	v_mov_b32_e32 v8, 0
	v_mov_b32_e32 v9, 0
	;; [unrolled: 1-line block ×10, first 2 shown]
	s_and_saveexec_b64 s[14:15], s[0:1]
	s_cbranch_execz .LBB3_29
; %bb.10:
	global_load_ubyte v8, v[1:2], off offset:1536
	v_or_b32_e32 v9, 0x700, v0
	v_cmp_gt_u32_e64 s[0:1], s33, v9
	v_mov_b32_e32 v9, 0
	v_mov_b32_e32 v10, 0
	;; [unrolled: 1-line block ×9, first 2 shown]
	s_and_saveexec_b64 s[16:17], s[0:1]
	s_cbranch_execz .LBB3_28
; %bb.11:
	global_load_ubyte v9, v[1:2], off offset:1792
	v_or_b32_e32 v10, 0x800, v0
	v_cmp_gt_u32_e64 s[0:1], s33, v10
	v_mov_b32_e32 v10, 0
	v_mov_b32_e32 v15, 0
	;; [unrolled: 1-line block ×8, first 2 shown]
	s_and_saveexec_b64 s[18:19], s[0:1]
	s_cbranch_execz .LBB3_27
; %bb.12:
	global_load_ubyte v10, v[1:2], off offset:2048
	v_or_b32_e32 v15, 0x900, v0
	v_cmp_gt_u32_e64 s[0:1], s33, v15
	v_mov_b32_e32 v15, 0
	v_mov_b32_e32 v16, 0
	;; [unrolled: 1-line block ×7, first 2 shown]
	s_and_saveexec_b64 s[20:21], s[0:1]
	s_cbranch_execz .LBB3_26
; %bb.13:
	global_load_ubyte v15, v[1:2], off offset:2304
	v_or_b32_e32 v16, 0xa00, v0
	v_cmp_gt_u32_e64 s[0:1], s33, v16
	v_mov_b32_e32 v16, 0
	v_mov_b32_e32 v17, 0
	;; [unrolled: 1-line block ×6, first 2 shown]
	s_and_saveexec_b64 s[22:23], s[0:1]
	s_cbranch_execz .LBB3_25
; %bb.14:
	global_load_ubyte v16, v[1:2], off offset:2560
	v_or_b32_e32 v17, 0xb00, v0
	v_cmp_gt_u32_e64 s[0:1], s33, v17
	v_mov_b32_e32 v17, 0
	v_mov_b32_e32 v18, 0
	;; [unrolled: 1-line block ×5, first 2 shown]
	s_and_saveexec_b64 s[24:25], s[0:1]
	s_cbranch_execz .LBB3_24
; %bb.15:
	global_load_ubyte v17, v[1:2], off offset:2816
	v_or_b32_e32 v18, 0xc00, v0
	v_cmp_gt_u32_e64 s[0:1], s33, v18
	v_mov_b32_e32 v18, 0
	v_mov_b32_e32 v19, 0
	;; [unrolled: 1-line block ×4, first 2 shown]
	s_and_saveexec_b64 s[26:27], s[0:1]
	s_cbranch_execz .LBB3_23
; %bb.16:
	global_load_ubyte v18, v[1:2], off offset:3072
	v_or_b32_e32 v19, 0xd00, v0
	v_cmp_gt_u32_e64 s[0:1], s33, v19
	v_mov_b32_e32 v19, 0
	v_mov_b32_e32 v20, 0
	;; [unrolled: 1-line block ×3, first 2 shown]
	s_and_saveexec_b64 s[28:29], s[0:1]
	s_cbranch_execz .LBB3_22
; %bb.17:
	global_load_ubyte v19, v[1:2], off offset:3328
	v_or_b32_e32 v20, 0xe00, v0
	v_cmp_gt_u32_e64 s[0:1], s33, v20
	v_mov_b32_e32 v20, 0
	v_mov_b32_e32 v21, 0
	s_and_saveexec_b64 s[30:31], s[0:1]
	s_cbranch_execz .LBB3_21
; %bb.18:
	global_load_ubyte v20, v[1:2], off offset:3584
	v_or_b32_e32 v21, 0xf00, v0
	v_cmp_gt_u32_e64 s[0:1], s33, v21
	v_mov_b32_e32 v21, 0
	s_and_saveexec_b64 s[34:35], s[0:1]
	s_cbranch_execz .LBB3_20
; %bb.19:
	global_load_ubyte v21, v[1:2], off offset:3840
.LBB3_20:
	s_or_b64 exec, exec, s[34:35]
.LBB3_21:
	s_or_b64 exec, exec, s[30:31]
.LBB3_22:
	s_or_b64 exec, exec, s[28:29]
.LBB3_23:
	s_or_b64 exec, exec, s[26:27]
.LBB3_24:
	s_or_b64 exec, exec, s[24:25]
.LBB3_25:
	s_or_b64 exec, exec, s[22:23]
.LBB3_26:
	s_or_b64 exec, exec, s[20:21]
.LBB3_27:
	s_or_b64 exec, exec, s[18:19]
.LBB3_28:
	s_or_b64 exec, exec, s[16:17]
.LBB3_29:
	s_or_b64 exec, exec, s[14:15]
.LBB3_30:
	s_or_b64 exec, exec, s[12:13]
.LBB3_31:
	s_or_b64 exec, exec, s[10:11]
.LBB3_32:
	s_or_b64 exec, exec, s[8:9]
.LBB3_33:
	s_or_b64 exec, exec, s[6:7]
.LBB3_34:
	s_or_b64 exec, exec, s[4:5]
.LBB3_35:
	s_or_b64 exec, exec, s[2:3]
	s_and_saveexec_b64 s[0:1], vcc
	s_cbranch_execz .LBB3_52
; %bb.36:
	v_lshrrev_b32_e32 v1, 8, v3
	v_cmp_gt_u32_sdwa s[18:19], v3, v3 src0_sel:WORD_1 src1_sel:BYTE_0
	s_waitcnt vmcnt(0)
	v_cndmask_b32_e64 v2, v1, v11, s[18:19]
	s_mov_b32 s30, 0xffff
	v_and_b32_sdwa v2, s30, v2 dst_sel:DWORD dst_unused:UNUSED_PAD src0_sel:DWORD src1_sel:BYTE_0
	v_cndmask_b32_e64 v3, v1, v12, s[18:19]
	v_cndmask_b32_e32 v2, 0, v2, vcc
	v_lshlrev_b16_e32 v3, 8, v3
	v_or_b32_e32 v3, v2, v3
	v_and_b32_e32 v3, 0xffff, v3
	v_cmp_gt_i32_e32 vcc, s33, v5
	v_cndmask_b32_e32 v2, v2, v3, vcc
	v_cndmask_b32_e64 v5, v1, v14, s[18:19]
	s_mov_b32 s34, 0xc0c0304
	v_or_b32_e32 v3, 0x200, v0
	v_perm_b32 v5, v5, v2, s34
	v_lshl_or_b32 v5, v5, 16, v2
	v_cmp_gt_i32_e64 s[22:23], s33, v3
	s_movk_i32 s31, 0xff
	v_cndmask_b32_e64 v2, v2, v5, s[22:23]
	v_cndmask_b32_e64 v11, v1, v13, s[18:19]
	v_and_b32_sdwa v3, v2, s31 dst_sel:DWORD dst_unused:UNUSED_PAD src0_sel:WORD_1 src1_sel:DWORD
	v_lshlrev_b16_e32 v11, 8, v11
	v_or_b32_e32 v5, 0x300, v0
	v_or_b32_sdwa v3, v3, v11 dst_sel:WORD_1 dst_unused:UNUSED_PAD src0_sel:DWORD src1_sel:DWORD
	v_and_or_b32 v3, v2, s30, v3
	v_cmp_gt_i32_e64 s[20:21], s33, v5
	v_cndmask_b32_e64 v11, v2, v3, s[20:21]
	v_or_b32_e32 v2, 0x500, v0
	v_cmp_gt_i32_e64 s[16:17], s33, v2
	v_or_b32_e32 v2, 0x600, v0
	v_cmp_gt_i32_e64 s[14:15], s33, v2
	;; [unrolled: 2-line block ×4, first 2 shown]
	v_or_b32_e32 v2, 0xa00, v0
	v_or_b32_e32 v12, 0xd00, v0
	v_cmp_gt_i32_e64 s[8:9], s33, v2
	v_or_b32_e32 v2, 0xb00, v0
	v_cmp_gt_i32_e64 s[4:5], s33, v12
	v_or_b32_e32 v12, 0xe00, v0
	v_or_b32_e32 v5, 0x400, v0
	v_or_b32_e32 v3, 0x800, v0
	v_cmp_gt_i32_e64 s[6:7], s33, v2
	v_or_b32_e32 v2, 0xc00, v0
	v_cmp_gt_i32_e64 s[2:3], s33, v12
	v_or_b32_e32 v12, 0xf00, v0
	v_cmp_gt_i32_e64 s[28:29], s33, v5
	v_cmp_gt_i32_e64 s[26:27], s33, v3
	;; [unrolled: 1-line block ×4, first 2 shown]
	global_store_byte v4, v11, s[36:37]
	s_and_b64 exec, exec, vcc
	s_cbranch_execz .LBB3_52
; %bb.37:
	v_cndmask_b32_e64 v4, v1, v6, s[18:19]
	s_mov_b32 s35, 0x3020104
	s_mov_b64 vcc, s[18:19]
	v_perm_b32 v4, v4, 0, s35
	v_cndmask_b32_e64 v4, 0, v4, s[28:29]
	v_cndmask_b32_sdwa v6, v1, v7, vcc dst_sel:BYTE_1 dst_unused:UNUSED_PAD src0_sel:DWORD src1_sel:DWORD
	v_or_b32_sdwa v6, v4, v6 dst_sel:DWORD dst_unused:UNUSED_PAD src0_sel:BYTE_0 src1_sel:DWORD
	v_and_b32_e32 v6, 0xffff, v6
	s_mov_b32 s28, 0xffff0000
	v_and_or_b32 v6, v4, s28, v6
	v_cndmask_b32_e64 v4, v4, v6, s[16:17]
	v_cndmask_b32_e64 v6, v1, v8, s[18:19]
	s_mov_b32 s29, 0x7000504
	v_perm_b32 v6, v4, v6, s29
	v_cndmask_b32_e64 v4, v4, v6, s[14:15]
	v_cndmask_b32_e64 v7, v1, v9, s[18:19]
	v_and_b32_sdwa v6, v4, s31 dst_sel:DWORD dst_unused:UNUSED_PAD src0_sel:WORD_1 src1_sel:DWORD
	v_lshlrev_b16_e32 v7, 8, v7
	v_or_b32_sdwa v6, v6, v7 dst_sel:WORD_1 dst_unused:UNUSED_PAD src0_sel:DWORD src1_sel:DWORD
	v_and_or_b32 v6, v4, s30, v6
	v_cndmask_b32_e64 v7, v4, v6, s[12:13]
	v_cndmask_b32_e64 v4, v1, v10, s[18:19]
	v_and_b32_sdwa v4, s30, v4 dst_sel:DWORD dst_unused:UNUSED_PAD src0_sel:DWORD src1_sel:BYTE_0
	v_cndmask_b32_e64 v6, v1, v15, s[18:19]
	v_cndmask_b32_e64 v4, 0, v4, s[26:27]
	v_lshlrev_b16_e32 v6, 8, v6
	v_or_b32_e32 v6, v4, v6
	v_and_b32_e32 v6, 0xffff, v6
	v_cndmask_b32_e64 v4, v4, v6, s[10:11]
	v_cndmask_b32_e64 v6, v1, v16, s[18:19]
	v_perm_b32 v6, v6, v4, s34
	v_lshl_or_b32 v6, v6, 16, v4
	v_cndmask_b32_e64 v4, v4, v6, s[8:9]
	v_cndmask_b32_e64 v8, v1, v17, s[18:19]
	v_and_b32_sdwa v6, v4, s31 dst_sel:DWORD dst_unused:UNUSED_PAD src0_sel:WORD_1 src1_sel:DWORD
	v_lshlrev_b16_e32 v8, 8, v8
	v_or_b32_sdwa v6, v6, v8 dst_sel:WORD_1 dst_unused:UNUSED_PAD src0_sel:DWORD src1_sel:DWORD
	v_and_or_b32 v6, v4, s30, v6
	v_cndmask_b32_e64 v6, v4, v6, s[6:7]
	v_cndmask_b32_e64 v4, v1, v18, s[18:19]
	v_perm_b32 v4, v4, 0, s35
	v_cndmask_b32_e64 v8, v1, v19, s[18:19]
	v_cndmask_b32_e64 v4, 0, v4, s[24:25]
	v_lshlrev_b16_e32 v8, 8, v8
	v_or_b32_sdwa v8, v4, v8 dst_sel:DWORD dst_unused:UNUSED_PAD src0_sel:BYTE_0 src1_sel:DWORD
	v_and_b32_e32 v8, 0xffff, v8
	v_and_or_b32 v8, v4, s28, v8
	v_cndmask_b32_e64 v4, v4, v8, s[4:5]
	v_cndmask_b32_e64 v8, v1, v20, s[18:19]
	v_perm_b32 v8, v4, v8, s29
	v_cndmask_b32_e64 v4, v4, v8, s[2:3]
	v_and_b32_sdwa v8, v4, s31 dst_sel:DWORD dst_unused:UNUSED_PAD src0_sel:WORD_1 src1_sel:DWORD
	v_cndmask_b32_sdwa v1, v1, v21, vcc dst_sel:BYTE_1 dst_unused:UNUSED_PAD src0_sel:DWORD src1_sel:DWORD
	v_or_b32_sdwa v1, v8, v1 dst_sel:WORD_1 dst_unused:UNUSED_PAD src0_sel:DWORD src1_sel:DWORD
	v_and_or_b32 v1, v4, s30, v1
	v_cndmask_b32_e64 v4, v4, v1, s[0:1]
	v_lshrrev_b32_e32 v1, 8, v11
	v_add_u32_e32 v0, s40, v0
	global_store_byte v0, v1, s[36:37] offset:256
	s_and_b64 exec, exec, s[22:23]
	s_cbranch_execz .LBB3_52
; %bb.38:
	v_mov_b32_e32 v1, s37
	v_add_co_u32_e32 v0, vcc, s36, v0
	v_addc_co_u32_e32 v1, vcc, 0, v1, vcc
	global_store_byte_d16_hi v[0:1], v11, off offset:512
	s_and_b64 exec, exec, s[20:21]
	s_cbranch_execz .LBB3_52
; %bb.39:
	v_lshrrev_b32_e32 v8, 24, v11
	v_cmp_gt_u32_e32 vcc, s33, v5
	global_store_byte v[0:1], v8, off offset:768
	s_and_b64 exec, exec, vcc
	s_cbranch_execz .LBB3_52
; %bb.40:
	global_store_byte v[0:1], v7, off offset:1024
	s_and_b64 exec, exec, s[16:17]
	s_cbranch_execz .LBB3_52
; %bb.41:
	v_lshrrev_b32_e32 v5, 8, v7
	global_store_byte v[0:1], v5, off offset:1280
	s_and_b64 exec, exec, s[14:15]
	s_cbranch_execz .LBB3_52
; %bb.42:
	global_store_byte_d16_hi v[0:1], v7, off offset:1536
	s_and_b64 exec, exec, s[12:13]
	s_cbranch_execz .LBB3_52
; %bb.43:
	v_lshrrev_b32_e32 v5, 24, v7
	v_cmp_gt_u32_e32 vcc, s33, v3
	global_store_byte v[0:1], v5, off offset:1792
	s_and_b64 exec, exec, vcc
	s_cbranch_execz .LBB3_52
; %bb.44:
	global_store_byte v[0:1], v6, off offset:2048
	s_and_b64 exec, exec, s[10:11]
	s_cbranch_execz .LBB3_52
; %bb.45:
	v_lshrrev_b32_e32 v3, 8, v6
	global_store_byte v[0:1], v3, off offset:2304
	s_and_b64 exec, exec, s[8:9]
	s_cbranch_execz .LBB3_52
; %bb.46:
	;; [unrolled: 19-line block ×3, first 2 shown]
	global_store_byte_d16_hi v[0:1], v4, off offset:3584
	s_and_b64 exec, exec, s[0:1]
	s_cbranch_execz .LBB3_52
; %bb.51:
	v_lshrrev_b32_e32 v2, 24, v4
	global_store_byte v[0:1], v2, off offset:3840
.LBB3_52:
	s_endpgm
	.section	.rodata,"a",@progbits
	.p2align	6, 0x0
	.amdhsa_kernel _ZN2at6native29vectorized_elementwise_kernelILi2ENS0_13AUnaryFunctorIhhhZNS0_12_GLOBAL__N_121threshold_kernel_implIhEEvRNS_18TensorIteratorBaseET_S7_EUlhhE_EESt5arrayIPcLm2EEEEviT0_T1_
		.amdhsa_group_segment_fixed_size 0
		.amdhsa_private_segment_fixed_size 0
		.amdhsa_kernarg_size 24
		.amdhsa_user_sgpr_count 6
		.amdhsa_user_sgpr_private_segment_buffer 1
		.amdhsa_user_sgpr_dispatch_ptr 0
		.amdhsa_user_sgpr_queue_ptr 0
		.amdhsa_user_sgpr_kernarg_segment_ptr 1
		.amdhsa_user_sgpr_dispatch_id 0
		.amdhsa_user_sgpr_flat_scratch_init 0
		.amdhsa_user_sgpr_private_segment_size 0
		.amdhsa_uses_dynamic_stack 0
		.amdhsa_system_sgpr_private_segment_wavefront_offset 0
		.amdhsa_system_sgpr_workgroup_id_x 1
		.amdhsa_system_sgpr_workgroup_id_y 0
		.amdhsa_system_sgpr_workgroup_id_z 0
		.amdhsa_system_sgpr_workgroup_info 0
		.amdhsa_system_vgpr_workitem_id 0
		.amdhsa_next_free_vgpr 22
		.amdhsa_next_free_sgpr 41
		.amdhsa_reserve_vcc 1
		.amdhsa_reserve_flat_scratch 0
		.amdhsa_float_round_mode_32 0
		.amdhsa_float_round_mode_16_64 0
		.amdhsa_float_denorm_mode_32 3
		.amdhsa_float_denorm_mode_16_64 3
		.amdhsa_dx10_clamp 1
		.amdhsa_ieee_mode 1
		.amdhsa_fp16_overflow 0
		.amdhsa_exception_fp_ieee_invalid_op 0
		.amdhsa_exception_fp_denorm_src 0
		.amdhsa_exception_fp_ieee_div_zero 0
		.amdhsa_exception_fp_ieee_overflow 0
		.amdhsa_exception_fp_ieee_underflow 0
		.amdhsa_exception_fp_ieee_inexact 0
		.amdhsa_exception_int_div_zero 0
	.end_amdhsa_kernel
	.section	.text._ZN2at6native29vectorized_elementwise_kernelILi2ENS0_13AUnaryFunctorIhhhZNS0_12_GLOBAL__N_121threshold_kernel_implIhEEvRNS_18TensorIteratorBaseET_S7_EUlhhE_EESt5arrayIPcLm2EEEEviT0_T1_,"axG",@progbits,_ZN2at6native29vectorized_elementwise_kernelILi2ENS0_13AUnaryFunctorIhhhZNS0_12_GLOBAL__N_121threshold_kernel_implIhEEvRNS_18TensorIteratorBaseET_S7_EUlhhE_EESt5arrayIPcLm2EEEEviT0_T1_,comdat
.Lfunc_end3:
	.size	_ZN2at6native29vectorized_elementwise_kernelILi2ENS0_13AUnaryFunctorIhhhZNS0_12_GLOBAL__N_121threshold_kernel_implIhEEvRNS_18TensorIteratorBaseET_S7_EUlhhE_EESt5arrayIPcLm2EEEEviT0_T1_, .Lfunc_end3-_ZN2at6native29vectorized_elementwise_kernelILi2ENS0_13AUnaryFunctorIhhhZNS0_12_GLOBAL__N_121threshold_kernel_implIhEEvRNS_18TensorIteratorBaseET_S7_EUlhhE_EESt5arrayIPcLm2EEEEviT0_T1_
                                        ; -- End function
	.set _ZN2at6native29vectorized_elementwise_kernelILi2ENS0_13AUnaryFunctorIhhhZNS0_12_GLOBAL__N_121threshold_kernel_implIhEEvRNS_18TensorIteratorBaseET_S7_EUlhhE_EESt5arrayIPcLm2EEEEviT0_T1_.num_vgpr, 22
	.set _ZN2at6native29vectorized_elementwise_kernelILi2ENS0_13AUnaryFunctorIhhhZNS0_12_GLOBAL__N_121threshold_kernel_implIhEEvRNS_18TensorIteratorBaseET_S7_EUlhhE_EESt5arrayIPcLm2EEEEviT0_T1_.num_agpr, 0
	.set _ZN2at6native29vectorized_elementwise_kernelILi2ENS0_13AUnaryFunctorIhhhZNS0_12_GLOBAL__N_121threshold_kernel_implIhEEvRNS_18TensorIteratorBaseET_S7_EUlhhE_EESt5arrayIPcLm2EEEEviT0_T1_.numbered_sgpr, 41
	.set _ZN2at6native29vectorized_elementwise_kernelILi2ENS0_13AUnaryFunctorIhhhZNS0_12_GLOBAL__N_121threshold_kernel_implIhEEvRNS_18TensorIteratorBaseET_S7_EUlhhE_EESt5arrayIPcLm2EEEEviT0_T1_.num_named_barrier, 0
	.set _ZN2at6native29vectorized_elementwise_kernelILi2ENS0_13AUnaryFunctorIhhhZNS0_12_GLOBAL__N_121threshold_kernel_implIhEEvRNS_18TensorIteratorBaseET_S7_EUlhhE_EESt5arrayIPcLm2EEEEviT0_T1_.private_seg_size, 0
	.set _ZN2at6native29vectorized_elementwise_kernelILi2ENS0_13AUnaryFunctorIhhhZNS0_12_GLOBAL__N_121threshold_kernel_implIhEEvRNS_18TensorIteratorBaseET_S7_EUlhhE_EESt5arrayIPcLm2EEEEviT0_T1_.uses_vcc, 1
	.set _ZN2at6native29vectorized_elementwise_kernelILi2ENS0_13AUnaryFunctorIhhhZNS0_12_GLOBAL__N_121threshold_kernel_implIhEEvRNS_18TensorIteratorBaseET_S7_EUlhhE_EESt5arrayIPcLm2EEEEviT0_T1_.uses_flat_scratch, 0
	.set _ZN2at6native29vectorized_elementwise_kernelILi2ENS0_13AUnaryFunctorIhhhZNS0_12_GLOBAL__N_121threshold_kernel_implIhEEvRNS_18TensorIteratorBaseET_S7_EUlhhE_EESt5arrayIPcLm2EEEEviT0_T1_.has_dyn_sized_stack, 0
	.set _ZN2at6native29vectorized_elementwise_kernelILi2ENS0_13AUnaryFunctorIhhhZNS0_12_GLOBAL__N_121threshold_kernel_implIhEEvRNS_18TensorIteratorBaseET_S7_EUlhhE_EESt5arrayIPcLm2EEEEviT0_T1_.has_recursion, 0
	.set _ZN2at6native29vectorized_elementwise_kernelILi2ENS0_13AUnaryFunctorIhhhZNS0_12_GLOBAL__N_121threshold_kernel_implIhEEvRNS_18TensorIteratorBaseET_S7_EUlhhE_EESt5arrayIPcLm2EEEEviT0_T1_.has_indirect_call, 0
	.section	.AMDGPU.csdata,"",@progbits
; Kernel info:
; codeLenInByte = 2744
; TotalNumSgprs: 45
; NumVgprs: 22
; ScratchSize: 0
; MemoryBound: 0
; FloatMode: 240
; IeeeMode: 1
; LDSByteSize: 0 bytes/workgroup (compile time only)
; SGPRBlocks: 5
; VGPRBlocks: 5
; NumSGPRsForWavesPerEU: 45
; NumVGPRsForWavesPerEU: 22
; Occupancy: 10
; WaveLimiterHint : 1
; COMPUTE_PGM_RSRC2:SCRATCH_EN: 0
; COMPUTE_PGM_RSRC2:USER_SGPR: 6
; COMPUTE_PGM_RSRC2:TRAP_HANDLER: 0
; COMPUTE_PGM_RSRC2:TGID_X_EN: 1
; COMPUTE_PGM_RSRC2:TGID_Y_EN: 0
; COMPUTE_PGM_RSRC2:TGID_Z_EN: 0
; COMPUTE_PGM_RSRC2:TIDIG_COMP_CNT: 0
	.section	.text._ZN2at6native27unrolled_elementwise_kernelINS0_13AUnaryFunctorIhhhZNS0_12_GLOBAL__N_121threshold_kernel_implIhEEvRNS_18TensorIteratorBaseET_S7_EUlhhE_EESt5arrayIPcLm2EELi4E23TrivialOffsetCalculatorILi1EjESE_NS0_6memory15LoadWithoutCastENSF_16StoreWithoutCastEEEviS7_T0_T2_T3_T4_T5_,"axG",@progbits,_ZN2at6native27unrolled_elementwise_kernelINS0_13AUnaryFunctorIhhhZNS0_12_GLOBAL__N_121threshold_kernel_implIhEEvRNS_18TensorIteratorBaseET_S7_EUlhhE_EESt5arrayIPcLm2EELi4E23TrivialOffsetCalculatorILi1EjESE_NS0_6memory15LoadWithoutCastENSF_16StoreWithoutCastEEEviS7_T0_T2_T3_T4_T5_,comdat
	.globl	_ZN2at6native27unrolled_elementwise_kernelINS0_13AUnaryFunctorIhhhZNS0_12_GLOBAL__N_121threshold_kernel_implIhEEvRNS_18TensorIteratorBaseET_S7_EUlhhE_EESt5arrayIPcLm2EELi4E23TrivialOffsetCalculatorILi1EjESE_NS0_6memory15LoadWithoutCastENSF_16StoreWithoutCastEEEviS7_T0_T2_T3_T4_T5_ ; -- Begin function _ZN2at6native27unrolled_elementwise_kernelINS0_13AUnaryFunctorIhhhZNS0_12_GLOBAL__N_121threshold_kernel_implIhEEvRNS_18TensorIteratorBaseET_S7_EUlhhE_EESt5arrayIPcLm2EELi4E23TrivialOffsetCalculatorILi1EjESE_NS0_6memory15LoadWithoutCastENSF_16StoreWithoutCastEEEviS7_T0_T2_T3_T4_T5_
	.p2align	8
	.type	_ZN2at6native27unrolled_elementwise_kernelINS0_13AUnaryFunctorIhhhZNS0_12_GLOBAL__N_121threshold_kernel_implIhEEvRNS_18TensorIteratorBaseET_S7_EUlhhE_EESt5arrayIPcLm2EELi4E23TrivialOffsetCalculatorILi1EjESE_NS0_6memory15LoadWithoutCastENSF_16StoreWithoutCastEEEviS7_T0_T2_T3_T4_T5_,@function
_ZN2at6native27unrolled_elementwise_kernelINS0_13AUnaryFunctorIhhhZNS0_12_GLOBAL__N_121threshold_kernel_implIhEEvRNS_18TensorIteratorBaseET_S7_EUlhhE_EESt5arrayIPcLm2EELi4E23TrivialOffsetCalculatorILi1EjESE_NS0_6memory15LoadWithoutCastENSF_16StoreWithoutCastEEEviS7_T0_T2_T3_T4_T5_: ; @_ZN2at6native27unrolled_elementwise_kernelINS0_13AUnaryFunctorIhhhZNS0_12_GLOBAL__N_121threshold_kernel_implIhEEvRNS_18TensorIteratorBaseET_S7_EUlhhE_EESt5arrayIPcLm2EELi4E23TrivialOffsetCalculatorILi1EjESE_NS0_6memory15LoadWithoutCastENSF_16StoreWithoutCastEEEviS7_T0_T2_T3_T4_T5_
; %bb.0:
	v_mov_b32_e32 v3, 0
	global_load_ushort v4, v3, s[4:5] offset:4
	global_load_ubyte v5, v3, s[4:5] offset:6
	s_load_dword s0, s[4:5], 0x0
	s_load_dwordx4 s[8:11], s[4:5], 0x8
	s_lshl_b32 s14, s6, 10
	v_or_b32_e32 v1, 0x100, v0
	v_or_b32_e32 v2, s14, v0
	s_waitcnt lgkmcnt(0)
	s_sub_i32 s15, s0, s14
	v_cmp_gt_i32_e32 vcc, s15, v0
	v_mov_b32_e32 v6, 0
	v_mov_b32_e32 v7, 0
	;; [unrolled: 1-line block ×3, first 2 shown]
	s_and_saveexec_b64 s[2:3], vcc
	s_cbranch_execz .LBB4_8
; %bb.1:
	global_load_ubyte v8, v2, s[10:11]
	v_cmp_gt_u32_e64 s[0:1], s15, v1
	v_mov_b32_e32 v7, 0
	v_mov_b32_e32 v6, 0
	;; [unrolled: 1-line block ×3, first 2 shown]
	s_and_saveexec_b64 s[4:5], s[0:1]
	s_cbranch_execz .LBB4_7
; %bb.2:
	v_add_u32_e32 v3, s14, v1
	global_load_ubyte v7, v3, s[10:11]
	v_or_b32_e32 v9, 0x200, v0
	v_cmp_gt_u32_e64 s[0:1], s15, v9
	v_mov_b32_e32 v6, 0
	v_mov_b32_e32 v3, 0
	s_and_saveexec_b64 s[6:7], s[0:1]
	s_cbranch_execz .LBB4_6
; %bb.3:
	v_add_u32_e32 v3, s14, v9
	global_load_ubyte v6, v3, s[10:11]
	v_or_b32_e32 v9, 0x300, v0
	v_cmp_gt_u32_e64 s[0:1], s15, v9
	v_mov_b32_e32 v3, 0
	s_and_saveexec_b64 s[12:13], s[0:1]
	s_cbranch_execz .LBB4_5
; %bb.4:
	v_add_u32_e32 v3, s14, v9
	global_load_ubyte v3, v3, s[10:11]
.LBB4_5:
	s_or_b64 exec, exec, s[12:13]
.LBB4_6:
	s_or_b64 exec, exec, s[6:7]
.LBB4_7:
	s_or_b64 exec, exec, s[4:5]
.LBB4_8:
	s_or_b64 exec, exec, s[2:3]
	s_and_saveexec_b64 s[0:1], vcc
	s_cbranch_execz .LBB4_13
; %bb.9:
	s_waitcnt vmcnt(0)
	v_lshlrev_b32_e32 v5, 16, v5
	v_or_b32_e32 v4, v4, v5
	v_lshrrev_b32_e32 v5, 8, v4
	v_cmp_gt_u32_sdwa s[2:3], v4, v4 src0_sel:WORD_1 src1_sel:BYTE_0
	v_cndmask_b32_e64 v4, v5, v8, s[2:3]
	s_mov_b32 s7, 0xffff
	v_and_b32_sdwa v4, s7, v4 dst_sel:DWORD dst_unused:UNUSED_PAD src0_sel:DWORD src1_sel:BYTE_0
	v_cndmask_b32_e64 v7, v5, v7, s[2:3]
	v_cndmask_b32_e32 v4, 0, v4, vcc
	v_lshlrev_b16_e32 v7, 8, v7
	v_or_b32_e32 v7, v4, v7
	v_and_b32_e32 v7, 0xffff, v7
	v_cmp_gt_i32_e64 s[4:5], s15, v1
	v_cndmask_b32_e64 v7, v4, v7, s[4:5]
	v_cndmask_b32_e64 v6, v5, v6, s[2:3]
	s_mov_b32 s0, 0xc0c0304
	v_or_b32_e32 v4, 0x200, v0
	v_perm_b32 v6, v6, v7, s0
	v_lshl_or_b32 v6, v6, 16, v7
	v_cmp_gt_i32_e64 s[0:1], s15, v4
	s_movk_i32 s6, 0xff
	v_cndmask_b32_e64 v6, v7, v6, s[0:1]
	s_mov_b64 vcc, s[2:3]
	v_and_b32_sdwa v7, v6, s6 dst_sel:DWORD dst_unused:UNUSED_PAD src0_sel:WORD_1 src1_sel:DWORD
	v_cndmask_b32_sdwa v3, v5, v3, vcc dst_sel:BYTE_1 dst_unused:UNUSED_PAD src0_sel:DWORD src1_sel:DWORD
	v_or_b32_e32 v0, 0x300, v0
	v_or_b32_sdwa v3, v7, v3 dst_sel:WORD_1 dst_unused:UNUSED_PAD src0_sel:DWORD src1_sel:DWORD
	v_and_or_b32 v3, v6, s7, v3
	v_cmp_gt_i32_e32 vcc, s15, v0
	v_cndmask_b32_e32 v3, v6, v3, vcc
	global_store_byte v2, v3, s[8:9]
	s_and_b64 exec, exec, s[4:5]
	s_cbranch_execz .LBB4_13
; %bb.10:
	v_add_u32_e32 v1, s14, v1
	v_lshrrev_b32_e32 v2, 8, v3
	global_store_byte v1, v2, s[8:9]
	s_and_b64 exec, exec, s[0:1]
	s_cbranch_execz .LBB4_13
; %bb.11:
	v_add_u32_e32 v1, s14, v4
	global_store_byte_d16_hi v1, v3, s[8:9]
	s_and_b64 exec, exec, vcc
	s_cbranch_execz .LBB4_13
; %bb.12:
	v_lshrrev_b32_e32 v1, 24, v3
	v_add_u32_e32 v0, s14, v0
	global_store_byte v0, v1, s[8:9]
.LBB4_13:
	s_endpgm
	.section	.rodata,"a",@progbits
	.p2align	6, 0x0
	.amdhsa_kernel _ZN2at6native27unrolled_elementwise_kernelINS0_13AUnaryFunctorIhhhZNS0_12_GLOBAL__N_121threshold_kernel_implIhEEvRNS_18TensorIteratorBaseET_S7_EUlhhE_EESt5arrayIPcLm2EELi4E23TrivialOffsetCalculatorILi1EjESE_NS0_6memory15LoadWithoutCastENSF_16StoreWithoutCastEEEviS7_T0_T2_T3_T4_T5_
		.amdhsa_group_segment_fixed_size 0
		.amdhsa_private_segment_fixed_size 0
		.amdhsa_kernarg_size 28
		.amdhsa_user_sgpr_count 6
		.amdhsa_user_sgpr_private_segment_buffer 1
		.amdhsa_user_sgpr_dispatch_ptr 0
		.amdhsa_user_sgpr_queue_ptr 0
		.amdhsa_user_sgpr_kernarg_segment_ptr 1
		.amdhsa_user_sgpr_dispatch_id 0
		.amdhsa_user_sgpr_flat_scratch_init 0
		.amdhsa_user_sgpr_private_segment_size 0
		.amdhsa_uses_dynamic_stack 0
		.amdhsa_system_sgpr_private_segment_wavefront_offset 0
		.amdhsa_system_sgpr_workgroup_id_x 1
		.amdhsa_system_sgpr_workgroup_id_y 0
		.amdhsa_system_sgpr_workgroup_id_z 0
		.amdhsa_system_sgpr_workgroup_info 0
		.amdhsa_system_vgpr_workitem_id 0
		.amdhsa_next_free_vgpr 10
		.amdhsa_next_free_sgpr 16
		.amdhsa_reserve_vcc 1
		.amdhsa_reserve_flat_scratch 0
		.amdhsa_float_round_mode_32 0
		.amdhsa_float_round_mode_16_64 0
		.amdhsa_float_denorm_mode_32 3
		.amdhsa_float_denorm_mode_16_64 3
		.amdhsa_dx10_clamp 1
		.amdhsa_ieee_mode 1
		.amdhsa_fp16_overflow 0
		.amdhsa_exception_fp_ieee_invalid_op 0
		.amdhsa_exception_fp_denorm_src 0
		.amdhsa_exception_fp_ieee_div_zero 0
		.amdhsa_exception_fp_ieee_overflow 0
		.amdhsa_exception_fp_ieee_underflow 0
		.amdhsa_exception_fp_ieee_inexact 0
		.amdhsa_exception_int_div_zero 0
	.end_amdhsa_kernel
	.section	.text._ZN2at6native27unrolled_elementwise_kernelINS0_13AUnaryFunctorIhhhZNS0_12_GLOBAL__N_121threshold_kernel_implIhEEvRNS_18TensorIteratorBaseET_S7_EUlhhE_EESt5arrayIPcLm2EELi4E23TrivialOffsetCalculatorILi1EjESE_NS0_6memory15LoadWithoutCastENSF_16StoreWithoutCastEEEviS7_T0_T2_T3_T4_T5_,"axG",@progbits,_ZN2at6native27unrolled_elementwise_kernelINS0_13AUnaryFunctorIhhhZNS0_12_GLOBAL__N_121threshold_kernel_implIhEEvRNS_18TensorIteratorBaseET_S7_EUlhhE_EESt5arrayIPcLm2EELi4E23TrivialOffsetCalculatorILi1EjESE_NS0_6memory15LoadWithoutCastENSF_16StoreWithoutCastEEEviS7_T0_T2_T3_T4_T5_,comdat
.Lfunc_end4:
	.size	_ZN2at6native27unrolled_elementwise_kernelINS0_13AUnaryFunctorIhhhZNS0_12_GLOBAL__N_121threshold_kernel_implIhEEvRNS_18TensorIteratorBaseET_S7_EUlhhE_EESt5arrayIPcLm2EELi4E23TrivialOffsetCalculatorILi1EjESE_NS0_6memory15LoadWithoutCastENSF_16StoreWithoutCastEEEviS7_T0_T2_T3_T4_T5_, .Lfunc_end4-_ZN2at6native27unrolled_elementwise_kernelINS0_13AUnaryFunctorIhhhZNS0_12_GLOBAL__N_121threshold_kernel_implIhEEvRNS_18TensorIteratorBaseET_S7_EUlhhE_EESt5arrayIPcLm2EELi4E23TrivialOffsetCalculatorILi1EjESE_NS0_6memory15LoadWithoutCastENSF_16StoreWithoutCastEEEviS7_T0_T2_T3_T4_T5_
                                        ; -- End function
	.set _ZN2at6native27unrolled_elementwise_kernelINS0_13AUnaryFunctorIhhhZNS0_12_GLOBAL__N_121threshold_kernel_implIhEEvRNS_18TensorIteratorBaseET_S7_EUlhhE_EESt5arrayIPcLm2EELi4E23TrivialOffsetCalculatorILi1EjESE_NS0_6memory15LoadWithoutCastENSF_16StoreWithoutCastEEEviS7_T0_T2_T3_T4_T5_.num_vgpr, 10
	.set _ZN2at6native27unrolled_elementwise_kernelINS0_13AUnaryFunctorIhhhZNS0_12_GLOBAL__N_121threshold_kernel_implIhEEvRNS_18TensorIteratorBaseET_S7_EUlhhE_EESt5arrayIPcLm2EELi4E23TrivialOffsetCalculatorILi1EjESE_NS0_6memory15LoadWithoutCastENSF_16StoreWithoutCastEEEviS7_T0_T2_T3_T4_T5_.num_agpr, 0
	.set _ZN2at6native27unrolled_elementwise_kernelINS0_13AUnaryFunctorIhhhZNS0_12_GLOBAL__N_121threshold_kernel_implIhEEvRNS_18TensorIteratorBaseET_S7_EUlhhE_EESt5arrayIPcLm2EELi4E23TrivialOffsetCalculatorILi1EjESE_NS0_6memory15LoadWithoutCastENSF_16StoreWithoutCastEEEviS7_T0_T2_T3_T4_T5_.numbered_sgpr, 16
	.set _ZN2at6native27unrolled_elementwise_kernelINS0_13AUnaryFunctorIhhhZNS0_12_GLOBAL__N_121threshold_kernel_implIhEEvRNS_18TensorIteratorBaseET_S7_EUlhhE_EESt5arrayIPcLm2EELi4E23TrivialOffsetCalculatorILi1EjESE_NS0_6memory15LoadWithoutCastENSF_16StoreWithoutCastEEEviS7_T0_T2_T3_T4_T5_.num_named_barrier, 0
	.set _ZN2at6native27unrolled_elementwise_kernelINS0_13AUnaryFunctorIhhhZNS0_12_GLOBAL__N_121threshold_kernel_implIhEEvRNS_18TensorIteratorBaseET_S7_EUlhhE_EESt5arrayIPcLm2EELi4E23TrivialOffsetCalculatorILi1EjESE_NS0_6memory15LoadWithoutCastENSF_16StoreWithoutCastEEEviS7_T0_T2_T3_T4_T5_.private_seg_size, 0
	.set _ZN2at6native27unrolled_elementwise_kernelINS0_13AUnaryFunctorIhhhZNS0_12_GLOBAL__N_121threshold_kernel_implIhEEvRNS_18TensorIteratorBaseET_S7_EUlhhE_EESt5arrayIPcLm2EELi4E23TrivialOffsetCalculatorILi1EjESE_NS0_6memory15LoadWithoutCastENSF_16StoreWithoutCastEEEviS7_T0_T2_T3_T4_T5_.uses_vcc, 1
	.set _ZN2at6native27unrolled_elementwise_kernelINS0_13AUnaryFunctorIhhhZNS0_12_GLOBAL__N_121threshold_kernel_implIhEEvRNS_18TensorIteratorBaseET_S7_EUlhhE_EESt5arrayIPcLm2EELi4E23TrivialOffsetCalculatorILi1EjESE_NS0_6memory15LoadWithoutCastENSF_16StoreWithoutCastEEEviS7_T0_T2_T3_T4_T5_.uses_flat_scratch, 0
	.set _ZN2at6native27unrolled_elementwise_kernelINS0_13AUnaryFunctorIhhhZNS0_12_GLOBAL__N_121threshold_kernel_implIhEEvRNS_18TensorIteratorBaseET_S7_EUlhhE_EESt5arrayIPcLm2EELi4E23TrivialOffsetCalculatorILi1EjESE_NS0_6memory15LoadWithoutCastENSF_16StoreWithoutCastEEEviS7_T0_T2_T3_T4_T5_.has_dyn_sized_stack, 0
	.set _ZN2at6native27unrolled_elementwise_kernelINS0_13AUnaryFunctorIhhhZNS0_12_GLOBAL__N_121threshold_kernel_implIhEEvRNS_18TensorIteratorBaseET_S7_EUlhhE_EESt5arrayIPcLm2EELi4E23TrivialOffsetCalculatorILi1EjESE_NS0_6memory15LoadWithoutCastENSF_16StoreWithoutCastEEEviS7_T0_T2_T3_T4_T5_.has_recursion, 0
	.set _ZN2at6native27unrolled_elementwise_kernelINS0_13AUnaryFunctorIhhhZNS0_12_GLOBAL__N_121threshold_kernel_implIhEEvRNS_18TensorIteratorBaseET_S7_EUlhhE_EESt5arrayIPcLm2EELi4E23TrivialOffsetCalculatorILi1EjESE_NS0_6memory15LoadWithoutCastENSF_16StoreWithoutCastEEEviS7_T0_T2_T3_T4_T5_.has_indirect_call, 0
	.section	.AMDGPU.csdata,"",@progbits
; Kernel info:
; codeLenInByte = 524
; TotalNumSgprs: 20
; NumVgprs: 10
; ScratchSize: 0
; MemoryBound: 0
; FloatMode: 240
; IeeeMode: 1
; LDSByteSize: 0 bytes/workgroup (compile time only)
; SGPRBlocks: 2
; VGPRBlocks: 2
; NumSGPRsForWavesPerEU: 20
; NumVGPRsForWavesPerEU: 10
; Occupancy: 10
; WaveLimiterHint : 0
; COMPUTE_PGM_RSRC2:SCRATCH_EN: 0
; COMPUTE_PGM_RSRC2:USER_SGPR: 6
; COMPUTE_PGM_RSRC2:TRAP_HANDLER: 0
; COMPUTE_PGM_RSRC2:TGID_X_EN: 1
; COMPUTE_PGM_RSRC2:TGID_Y_EN: 0
; COMPUTE_PGM_RSRC2:TGID_Z_EN: 0
; COMPUTE_PGM_RSRC2:TIDIG_COMP_CNT: 0
	.section	.text._ZN2at6native32elementwise_kernel_manual_unrollILi128ELi8EZNS0_22gpu_kernel_impl_nocastINS0_13AUnaryFunctorIhhhZNS0_12_GLOBAL__N_121threshold_kernel_implIhEEvRNS_18TensorIteratorBaseET_S8_EUlhhE_EEEEvS7_RKS8_EUlibE_EEviT1_,"axG",@progbits,_ZN2at6native32elementwise_kernel_manual_unrollILi128ELi8EZNS0_22gpu_kernel_impl_nocastINS0_13AUnaryFunctorIhhhZNS0_12_GLOBAL__N_121threshold_kernel_implIhEEvRNS_18TensorIteratorBaseET_S8_EUlhhE_EEEEvS7_RKS8_EUlibE_EEviT1_,comdat
	.globl	_ZN2at6native32elementwise_kernel_manual_unrollILi128ELi8EZNS0_22gpu_kernel_impl_nocastINS0_13AUnaryFunctorIhhhZNS0_12_GLOBAL__N_121threshold_kernel_implIhEEvRNS_18TensorIteratorBaseET_S8_EUlhhE_EEEEvS7_RKS8_EUlibE_EEviT1_ ; -- Begin function _ZN2at6native32elementwise_kernel_manual_unrollILi128ELi8EZNS0_22gpu_kernel_impl_nocastINS0_13AUnaryFunctorIhhhZNS0_12_GLOBAL__N_121threshold_kernel_implIhEEvRNS_18TensorIteratorBaseET_S8_EUlhhE_EEEEvS7_RKS8_EUlibE_EEviT1_
	.p2align	8
	.type	_ZN2at6native32elementwise_kernel_manual_unrollILi128ELi8EZNS0_22gpu_kernel_impl_nocastINS0_13AUnaryFunctorIhhhZNS0_12_GLOBAL__N_121threshold_kernel_implIhEEvRNS_18TensorIteratorBaseET_S8_EUlhhE_EEEEvS7_RKS8_EUlibE_EEviT1_,@function
_ZN2at6native32elementwise_kernel_manual_unrollILi128ELi8EZNS0_22gpu_kernel_impl_nocastINS0_13AUnaryFunctorIhhhZNS0_12_GLOBAL__N_121threshold_kernel_implIhEEvRNS_18TensorIteratorBaseET_S8_EUlhhE_EEEEvS7_RKS8_EUlibE_EEviT1_: ; @_ZN2at6native32elementwise_kernel_manual_unrollILi128ELi8EZNS0_22gpu_kernel_impl_nocastINS0_13AUnaryFunctorIhhhZNS0_12_GLOBAL__N_121threshold_kernel_implIhEEvRNS_18TensorIteratorBaseET_S8_EUlhhE_EEEEvS7_RKS8_EUlibE_EEviT1_
; %bb.0:
	s_load_dword s58, s[4:5], 0x0
	s_load_dword s33, s[4:5], 0x8
	s_add_u32 s34, s4, 8
	s_addc_u32 s35, s5, 0
	v_lshl_or_b32 v19, s6, 10, v0
	v_or_b32_e32 v25, 0x380, v19
	s_waitcnt lgkmcnt(0)
	s_add_i32 s56, s33, -1
	s_cmp_gt_u32 s56, 1
	v_cmp_le_i32_e32 vcc, s58, v25
	s_cselect_b64 s[2:3], -1, 0
	s_and_saveexec_b64 s[0:1], vcc
	s_xor_b64 s[40:41], exec, s[0:1]
	s_cbranch_execz .LBB5_7
; %bb.1:
	s_load_dwordx4 s[24:27], s[34:35], 0x4
	s_load_dwordx2 s[42:43], s[34:35], 0x14
	s_load_dword s0, s[34:35], 0x158
	s_cmp_lg_u32 s33, 0
	s_cselect_b64 s[48:49], -1, 0
	s_add_u32 s46, s34, 0xc4
	s_addc_u32 s47, s35, 0
	s_min_u32 s59, s56, 15
	s_load_dwordx4 s[28:31], s[34:35], 0xc4
	s_load_dwordx4 s[20:23], s[34:35], 0x148
	s_cmp_gt_u32 s33, 1
	s_cselect_b64 s[44:45], -1, 0
	s_waitcnt lgkmcnt(0)
	s_lshr_b32 s57, s0, 8
	s_and_b32 s1, s0, 0xff
	s_bfe_u32 s0, s0, 0x80010
	s_cmp_gt_u32 s0, s1
	s_cselect_b64 s[0:1], -1, 0
	v_cmp_gt_i32_e32 vcc, s58, v19
	s_and_saveexec_b64 s[50:51], vcc
	s_cbranch_execz .LBB5_14
; %bb.2:
	s_andn2_b64 vcc, exec, s[2:3]
	s_cbranch_vccnz .LBB5_21
; %bb.3:
	s_andn2_b64 vcc, exec, s[48:49]
	s_cbranch_vccnz .LBB5_129
; %bb.4:
	s_add_i32 s61, s59, 1
	s_cmp_eq_u32 s56, 2
	s_cbranch_scc1 .LBB5_131
; %bb.5:
	s_and_b32 s60, s61, 28
	v_mov_b32_e32 v2, 0
	s_mov_b32 s62, 0
	s_mov_b64 s[52:53], s[34:35]
	s_mov_b64 s[54:55], s[46:47]
	v_mov_b32_e32 v0, 0
	v_mov_b32_e32 v1, v19
.LBB5_6:                                ; =>This Inner Loop Header: Depth=1
	s_load_dwordx8 s[12:19], s[52:53], 0x4
	s_load_dwordx4 s[36:39], s[52:53], 0x24
	s_load_dwordx8 s[4:11], s[54:55], 0x0
	s_add_u32 s52, s52, 48
	s_addc_u32 s53, s53, 0
	s_waitcnt lgkmcnt(0)
	v_mul_hi_u32 v3, s13, v1
	s_add_i32 s62, s62, 4
	s_add_u32 s54, s54, 32
	s_addc_u32 s55, s55, 0
	v_add_u32_e32 v3, v1, v3
	v_lshrrev_b32_e32 v3, s14, v3
	v_mul_lo_u32 v4, v3, s12
	v_mul_hi_u32 v5, s16, v3
	s_cmp_lg_u32 s60, s62
	v_sub_u32_e32 v1, v1, v4
	v_add_u32_e32 v4, v3, v5
	v_mul_lo_u32 v5, v1, s4
	v_mul_lo_u32 v6, v1, s5
	v_lshrrev_b32_e32 v1, s17, v4
	v_mul_lo_u32 v4, v1, s15
	v_mul_hi_u32 v7, s19, v1
	v_sub_u32_e32 v3, v3, v4
	v_add_u32_e32 v4, v1, v7
	v_lshrrev_b32_e32 v4, s36, v4
	v_mul_hi_u32 v8, s38, v4
	v_mul_lo_u32 v9, v4, s18
	v_mul_lo_u32 v7, v3, s6
	;; [unrolled: 1-line block ×3, first 2 shown]
	v_sub_u32_e32 v9, v1, v9
	v_add_u32_e32 v1, v4, v8
	v_lshrrev_b32_e32 v1, s39, v1
	v_mul_lo_u32 v8, v1, s37
	v_mul_lo_u32 v10, v9, s8
	;; [unrolled: 1-line block ×3, first 2 shown]
	v_add3_u32 v0, v5, v0, v7
	v_sub_u32_e32 v4, v4, v8
	v_mul_lo_u32 v8, v4, s10
	v_mul_lo_u32 v4, v4, s11
	v_add3_u32 v2, v6, v2, v3
	v_add3_u32 v0, v10, v0, v8
	;; [unrolled: 1-line block ×3, first 2 shown]
	s_cbranch_scc1 .LBB5_6
	s_branch .LBB5_132
.LBB5_7:
	s_andn2_saveexec_b64 s[0:1], s[40:41]
	s_cbranch_execz .LBB5_221
.LBB5_8:
	v_cndmask_b32_e64 v0, 0, 1, s[2:3]
	v_cmp_ne_u32_e64 s[0:1], 1, v0
	s_andn2_b64 vcc, exec, s[2:3]
	s_cbranch_vccnz .LBB5_20
; %bb.9:
	s_cmp_lg_u32 s33, 0
	s_mov_b32 s26, 0
	s_cbranch_scc0 .LBB5_23
; %bb.10:
	s_min_u32 s27, s56, 15
	s_add_i32 s27, s27, 1
	s_cmp_eq_u32 s56, 2
	s_cbranch_scc1 .LBB5_24
; %bb.11:
	s_and_b32 s26, s27, 28
	s_add_u32 s2, s34, 0xc4
	s_addc_u32 s3, s35, 0
	v_mov_b32_e32 v2, 0
	s_mov_b32 s28, 0
	s_mov_b64 s[24:25], s[34:35]
	v_mov_b32_e32 v0, 0
	v_mov_b32_e32 v1, v19
.LBB5_12:                               ; =>This Inner Loop Header: Depth=1
	s_load_dwordx8 s[12:19], s[24:25], 0x4
	s_load_dwordx4 s[20:23], s[24:25], 0x24
	s_load_dwordx8 s[4:11], s[2:3], 0x0
	s_add_u32 s24, s24, 48
	s_addc_u32 s25, s25, 0
	s_waitcnt lgkmcnt(0)
	v_mul_hi_u32 v3, s13, v1
	s_add_i32 s28, s28, 4
	s_add_u32 s2, s2, 32
	s_addc_u32 s3, s3, 0
	v_add_u32_e32 v3, v1, v3
	v_lshrrev_b32_e32 v3, s14, v3
	v_mul_lo_u32 v4, v3, s12
	v_mul_hi_u32 v5, s16, v3
	s_cmp_lg_u32 s26, s28
	v_sub_u32_e32 v1, v1, v4
	v_add_u32_e32 v4, v3, v5
	v_mul_lo_u32 v5, v1, s4
	v_mul_lo_u32 v6, v1, s5
	v_lshrrev_b32_e32 v1, s17, v4
	v_mul_lo_u32 v4, v1, s15
	v_mul_hi_u32 v7, s19, v1
	v_sub_u32_e32 v3, v3, v4
	v_add_u32_e32 v4, v1, v7
	v_lshrrev_b32_e32 v4, s20, v4
	v_mul_hi_u32 v8, s22, v4
	v_mul_lo_u32 v9, v4, s18
	v_mul_lo_u32 v7, v3, s6
	;; [unrolled: 1-line block ×3, first 2 shown]
	v_sub_u32_e32 v9, v1, v9
	v_add_u32_e32 v1, v4, v8
	v_lshrrev_b32_e32 v1, s23, v1
	v_mul_lo_u32 v8, v1, s21
	v_mul_lo_u32 v10, v9, s8
	;; [unrolled: 1-line block ×3, first 2 shown]
	v_add3_u32 v0, v5, v0, v7
	v_sub_u32_e32 v4, v4, v8
	v_mul_lo_u32 v8, v4, s10
	v_mul_lo_u32 v4, v4, s11
	v_add3_u32 v2, v6, v2, v3
	v_add3_u32 v0, v10, v0, v8
	;; [unrolled: 1-line block ×3, first 2 shown]
	s_cbranch_scc1 .LBB5_12
; %bb.13:
	s_and_b32 s6, s27, 3
	s_cmp_eq_u32 s6, 0
	s_cbranch_scc0 .LBB5_25
	s_branch .LBB5_27
.LBB5_14:
	s_or_b64 exec, exec, s[50:51]
	v_cmp_gt_i32_e32 vcc, s58, v19
	s_and_saveexec_b64 s[50:51], vcc
	s_cbranch_execz .LBB5_139
.LBB5_15:
	s_andn2_b64 vcc, exec, s[2:3]
	s_cbranch_vccnz .LBB5_22
; %bb.16:
	s_andn2_b64 vcc, exec, s[48:49]
	s_cbranch_vccnz .LBB5_130
; %bb.17:
	s_add_i32 s61, s59, 1
	s_cmp_eq_u32 s56, 2
	s_cbranch_scc1 .LBB5_147
; %bb.18:
	s_and_b32 s60, s61, 28
	v_mov_b32_e32 v2, 0
	s_mov_b32 s62, 0
	s_mov_b64 s[52:53], s[34:35]
	s_mov_b64 s[54:55], s[46:47]
	v_mov_b32_e32 v0, 0
	v_mov_b32_e32 v1, v19
.LBB5_19:                               ; =>This Inner Loop Header: Depth=1
	s_load_dwordx8 s[12:19], s[52:53], 0x4
	s_load_dwordx4 s[36:39], s[52:53], 0x24
	s_load_dwordx8 s[4:11], s[54:55], 0x0
	s_add_u32 s52, s52, 48
	s_addc_u32 s53, s53, 0
	s_waitcnt lgkmcnt(0)
	v_mul_hi_u32 v3, s13, v1
	s_add_i32 s62, s62, 4
	s_add_u32 s54, s54, 32
	s_addc_u32 s55, s55, 0
	v_add_u32_e32 v3, v1, v3
	v_lshrrev_b32_e32 v3, s14, v3
	v_mul_lo_u32 v4, v3, s12
	v_mul_hi_u32 v5, s16, v3
	s_cmp_eq_u32 s60, s62
	v_sub_u32_e32 v1, v1, v4
	v_add_u32_e32 v4, v3, v5
	v_mul_lo_u32 v5, v1, s4
	v_mul_lo_u32 v6, v1, s5
	v_lshrrev_b32_e32 v1, s17, v4
	v_mul_lo_u32 v4, v1, s15
	v_mul_hi_u32 v7, s19, v1
	v_sub_u32_e32 v3, v3, v4
	v_add_u32_e32 v4, v1, v7
	v_lshrrev_b32_e32 v4, s36, v4
	v_mul_hi_u32 v8, s38, v4
	v_mul_lo_u32 v9, v4, s18
	v_mul_lo_u32 v7, v3, s6
	;; [unrolled: 1-line block ×3, first 2 shown]
	v_sub_u32_e32 v9, v1, v9
	v_add_u32_e32 v1, v4, v8
	v_lshrrev_b32_e32 v1, s39, v1
	v_mul_lo_u32 v8, v1, s37
	v_mul_lo_u32 v10, v9, s8
	;; [unrolled: 1-line block ×3, first 2 shown]
	v_add3_u32 v0, v5, v0, v7
	v_sub_u32_e32 v4, v4, v8
	v_mul_lo_u32 v8, v4, s10
	v_mul_lo_u32 v4, v4, s11
	v_add3_u32 v2, v6, v2, v3
	v_add3_u32 v0, v10, v0, v8
	;; [unrolled: 1-line block ×3, first 2 shown]
	s_cbranch_scc0 .LBB5_19
	s_branch .LBB5_148
.LBB5_20:
                                        ; implicit-def: $vgpr0
                                        ; implicit-def: $vgpr2
	s_branch .LBB5_28
.LBB5_21:
                                        ; implicit-def: $vgpr0
                                        ; implicit-def: $vgpr2
	s_branch .LBB5_136
.LBB5_22:
                                        ; implicit-def: $vgpr0
                                        ; implicit-def: $vgpr2
	s_branch .LBB5_152
.LBB5_23:
	v_mov_b32_e32 v0, 0
	v_mov_b32_e32 v2, 0
	s_branch .LBB5_27
.LBB5_24:
	v_mov_b32_e32 v0, 0
	v_mov_b32_e32 v2, 0
	;; [unrolled: 1-line block ×3, first 2 shown]
	s_and_b32 s6, s27, 3
	s_cmp_eq_u32 s6, 0
	s_cbranch_scc1 .LBB5_27
.LBB5_25:
	s_lshl_b32 s2, s26, 3
	s_add_u32 s2, s34, s2
	s_addc_u32 s3, s35, 0
	s_add_u32 s2, s2, 0xc4
	s_addc_u32 s3, s3, 0
	s_mul_i32 s4, s26, 12
	s_add_u32 s4, s34, s4
	s_addc_u32 s5, s35, 0
.LBB5_26:                               ; =>This Inner Loop Header: Depth=1
	s_load_dwordx2 s[8:9], s[4:5], 0x4
	s_load_dword s7, s[4:5], 0xc
	s_load_dwordx2 s[10:11], s[2:3], 0x0
	s_add_u32 s4, s4, 12
	s_addc_u32 s5, s5, 0
	s_waitcnt lgkmcnt(0)
	v_mul_hi_u32 v4, s9, v1
	s_add_u32 s2, s2, 8
	s_addc_u32 s3, s3, 0
	s_add_i32 s6, s6, -1
	v_add_u32_e32 v4, v1, v4
	v_lshrrev_b32_e32 v4, s7, v4
	v_mul_lo_u32 v5, v4, s8
	s_cmp_lg_u32 s6, 0
	v_sub_u32_e32 v5, v1, v5
	v_mad_u64_u32 v[0:1], s[8:9], v5, s10, v[0:1]
	v_mad_u64_u32 v[2:3], s[8:9], v5, s11, v[2:3]
	v_mov_b32_e32 v1, v4
	s_cbranch_scc1 .LBB5_26
.LBB5_27:
	s_cbranch_execnz .LBB5_30
.LBB5_28:
	s_load_dwordx4 s[4:7], s[34:35], 0x4
	s_load_dwordx2 s[2:3], s[34:35], 0xc4
	s_cmp_lt_u32 s33, 2
	s_waitcnt lgkmcnt(0)
	v_mul_hi_u32 v0, s5, v19
	v_add_u32_e32 v0, v19, v0
	v_lshrrev_b32_e32 v1, s6, v0
	v_mul_lo_u32 v0, v1, s4
	v_sub_u32_e32 v2, v19, v0
	v_mul_lo_u32 v0, v2, s2
	v_mul_lo_u32 v2, v2, s3
	s_cbranch_scc1 .LBB5_30
; %bb.29:
	s_load_dwordx4 s[4:7], s[34:35], 0x10
	s_load_dwordx2 s[2:3], s[34:35], 0xcc
	s_waitcnt lgkmcnt(0)
	v_mul_hi_u32 v3, s5, v1
	v_add_u32_e32 v3, v1, v3
	v_lshrrev_b32_e32 v3, s6, v3
	v_mul_lo_u32 v3, v3, s4
	v_sub_u32_e32 v3, v1, v3
	v_mad_u64_u32 v[0:1], s[4:5], v3, s2, v[0:1]
	v_mad_u64_u32 v[2:3], s[2:3], v3, s3, v[2:3]
.LBB5_30:
	s_and_b64 vcc, exec, s[0:1]
	v_add_u32_e32 v1, 0x80, v19
	s_cbranch_vccnz .LBB5_36
; %bb.31:
	s_cmp_lg_u32 s33, 0
	s_mov_b32 s26, 0
	s_cbranch_scc0 .LBB5_37
; %bb.32:
	s_min_u32 s27, s56, 15
	s_add_i32 s27, s27, 1
	s_cmp_eq_u32 s56, 2
	s_cbranch_scc1 .LBB5_38
; %bb.33:
	s_and_b32 s26, s27, 28
	s_add_u32 s2, s34, 0xc4
	s_addc_u32 s3, s35, 0
	v_mov_b32_e32 v5, 0
	s_mov_b32 s28, 0
	s_mov_b64 s[24:25], s[34:35]
	v_mov_b32_e32 v3, 0
	v_mov_b32_e32 v4, v1
.LBB5_34:                               ; =>This Inner Loop Header: Depth=1
	s_load_dwordx8 s[12:19], s[24:25], 0x4
	s_load_dwordx4 s[20:23], s[24:25], 0x24
	s_load_dwordx8 s[4:11], s[2:3], 0x0
	s_add_u32 s24, s24, 48
	s_addc_u32 s25, s25, 0
	s_waitcnt lgkmcnt(0)
	v_mul_hi_u32 v6, s13, v4
	s_add_i32 s28, s28, 4
	s_add_u32 s2, s2, 32
	s_addc_u32 s3, s3, 0
	v_add_u32_e32 v6, v4, v6
	v_lshrrev_b32_e32 v6, s14, v6
	v_mul_lo_u32 v7, v6, s12
	v_mul_hi_u32 v8, s16, v6
	s_cmp_lg_u32 s26, s28
	v_sub_u32_e32 v4, v4, v7
	v_add_u32_e32 v7, v6, v8
	v_mul_lo_u32 v8, v4, s4
	v_mul_lo_u32 v9, v4, s5
	v_lshrrev_b32_e32 v4, s17, v7
	v_mul_lo_u32 v7, v4, s15
	v_mul_hi_u32 v10, s19, v4
	v_sub_u32_e32 v6, v6, v7
	v_add_u32_e32 v7, v4, v10
	v_lshrrev_b32_e32 v7, s20, v7
	v_mul_hi_u32 v11, s22, v7
	v_mul_lo_u32 v12, v7, s18
	v_mul_lo_u32 v10, v6, s6
	v_mul_lo_u32 v6, v6, s7
	v_sub_u32_e32 v12, v4, v12
	v_add_u32_e32 v4, v7, v11
	v_lshrrev_b32_e32 v4, s23, v4
	v_mul_lo_u32 v11, v4, s21
	v_mul_lo_u32 v13, v12, s8
	;; [unrolled: 1-line block ×3, first 2 shown]
	v_add3_u32 v3, v8, v3, v10
	v_sub_u32_e32 v7, v7, v11
	v_mul_lo_u32 v11, v7, s10
	v_mul_lo_u32 v7, v7, s11
	v_add3_u32 v5, v9, v5, v6
	v_add3_u32 v3, v13, v3, v11
	;; [unrolled: 1-line block ×3, first 2 shown]
	s_cbranch_scc1 .LBB5_34
; %bb.35:
	s_and_b32 s6, s27, 3
	s_cmp_eq_u32 s6, 0
	s_cbranch_scc0 .LBB5_39
	s_branch .LBB5_41
.LBB5_36:
                                        ; implicit-def: $vgpr3
                                        ; implicit-def: $vgpr5
	s_branch .LBB5_42
.LBB5_37:
	v_mov_b32_e32 v3, 0
	v_mov_b32_e32 v5, 0
	s_branch .LBB5_41
.LBB5_38:
	v_mov_b32_e32 v3, 0
	v_mov_b32_e32 v5, 0
	;; [unrolled: 1-line block ×3, first 2 shown]
	s_and_b32 s6, s27, 3
	s_cmp_eq_u32 s6, 0
	s_cbranch_scc1 .LBB5_41
.LBB5_39:
	s_lshl_b32 s2, s26, 3
	s_add_u32 s2, s34, s2
	s_addc_u32 s3, s35, 0
	s_add_u32 s2, s2, 0xc4
	s_addc_u32 s3, s3, 0
	s_mul_i32 s4, s26, 12
	s_add_u32 s4, s34, s4
	s_addc_u32 s5, s35, 0
.LBB5_40:                               ; =>This Inner Loop Header: Depth=1
	s_load_dwordx2 s[8:9], s[4:5], 0x4
	s_load_dword s7, s[4:5], 0xc
	s_load_dwordx2 s[10:11], s[2:3], 0x0
	s_add_u32 s4, s4, 12
	s_addc_u32 s5, s5, 0
	s_waitcnt lgkmcnt(0)
	v_mul_hi_u32 v7, s9, v4
	s_add_u32 s2, s2, 8
	s_addc_u32 s3, s3, 0
	s_add_i32 s6, s6, -1
	v_add_u32_e32 v7, v4, v7
	v_lshrrev_b32_e32 v7, s7, v7
	v_mul_lo_u32 v8, v7, s8
	s_cmp_lg_u32 s6, 0
	v_sub_u32_e32 v8, v4, v8
	v_mad_u64_u32 v[3:4], s[8:9], v8, s10, v[3:4]
	v_mad_u64_u32 v[5:6], s[8:9], v8, s11, v[5:6]
	v_mov_b32_e32 v4, v7
	s_cbranch_scc1 .LBB5_40
.LBB5_41:
	s_cbranch_execnz .LBB5_44
.LBB5_42:
	s_load_dwordx4 s[4:7], s[34:35], 0x4
	s_load_dwordx2 s[2:3], s[34:35], 0xc4
	s_cmp_lt_u32 s33, 2
	s_waitcnt lgkmcnt(0)
	v_mul_hi_u32 v3, s5, v1
	v_add_u32_e32 v3, v1, v3
	v_lshrrev_b32_e32 v4, s6, v3
	v_mul_lo_u32 v3, v4, s4
	v_sub_u32_e32 v1, v1, v3
	v_mul_lo_u32 v3, v1, s2
	v_mul_lo_u32 v5, v1, s3
	s_cbranch_scc1 .LBB5_44
; %bb.43:
	s_load_dwordx4 s[4:7], s[34:35], 0x10
	s_load_dwordx2 s[2:3], s[34:35], 0xcc
	s_waitcnt lgkmcnt(0)
	v_mul_hi_u32 v1, s5, v4
	v_add_u32_e32 v1, v4, v1
	v_lshrrev_b32_e32 v1, s6, v1
	v_mul_lo_u32 v1, v1, s4
	v_sub_u32_e32 v1, v4, v1
	v_mad_u64_u32 v[3:4], s[4:5], v1, s2, v[3:4]
	v_mad_u64_u32 v[5:6], s[2:3], v1, s3, v[5:6]
.LBB5_44:
	s_and_b64 vcc, exec, s[0:1]
	v_add_u32_e32 v1, 0x100, v19
	s_cbranch_vccnz .LBB5_50
; %bb.45:
	s_cmp_lg_u32 s33, 0
	s_mov_b32 s26, 0
	s_cbranch_scc0 .LBB5_51
; %bb.46:
	s_min_u32 s27, s56, 15
	s_add_i32 s27, s27, 1
	s_cmp_eq_u32 s56, 2
	s_cbranch_scc1 .LBB5_52
; %bb.47:
	s_and_b32 s26, s27, 28
	s_add_u32 s2, s34, 0xc4
	s_addc_u32 s3, s35, 0
	v_mov_b32_e32 v8, 0
	s_mov_b32 s28, 0
	s_mov_b64 s[24:25], s[34:35]
	v_mov_b32_e32 v6, 0
	v_mov_b32_e32 v4, v1
.LBB5_48:                               ; =>This Inner Loop Header: Depth=1
	s_load_dwordx8 s[12:19], s[24:25], 0x4
	s_load_dwordx4 s[20:23], s[24:25], 0x24
	s_load_dwordx8 s[4:11], s[2:3], 0x0
	s_add_u32 s24, s24, 48
	s_addc_u32 s25, s25, 0
	s_waitcnt lgkmcnt(0)
	v_mul_hi_u32 v7, s13, v4
	s_add_i32 s28, s28, 4
	s_add_u32 s2, s2, 32
	s_addc_u32 s3, s3, 0
	v_add_u32_e32 v7, v4, v7
	v_lshrrev_b32_e32 v7, s14, v7
	v_mul_lo_u32 v9, v7, s12
	v_mul_hi_u32 v10, s16, v7
	s_cmp_lg_u32 s26, s28
	v_sub_u32_e32 v4, v4, v9
	v_add_u32_e32 v9, v7, v10
	v_mul_lo_u32 v10, v4, s4
	v_mul_lo_u32 v11, v4, s5
	v_lshrrev_b32_e32 v4, s17, v9
	v_mul_lo_u32 v9, v4, s15
	v_mul_hi_u32 v12, s19, v4
	v_sub_u32_e32 v7, v7, v9
	v_add_u32_e32 v9, v4, v12
	v_lshrrev_b32_e32 v9, s20, v9
	v_mul_hi_u32 v13, s22, v9
	v_mul_lo_u32 v14, v9, s18
	v_mul_lo_u32 v12, v7, s6
	v_mul_lo_u32 v7, v7, s7
	v_sub_u32_e32 v14, v4, v14
	v_add_u32_e32 v4, v9, v13
	v_lshrrev_b32_e32 v4, s23, v4
	v_mul_lo_u32 v13, v4, s21
	v_mul_lo_u32 v15, v14, s8
	;; [unrolled: 1-line block ×3, first 2 shown]
	v_add3_u32 v6, v10, v6, v12
	v_sub_u32_e32 v9, v9, v13
	v_mul_lo_u32 v13, v9, s10
	v_mul_lo_u32 v9, v9, s11
	v_add3_u32 v7, v11, v8, v7
	v_add3_u32 v6, v15, v6, v13
	;; [unrolled: 1-line block ×3, first 2 shown]
	s_cbranch_scc1 .LBB5_48
; %bb.49:
	s_and_b32 s6, s27, 3
	s_cmp_eq_u32 s6, 0
	s_cbranch_scc0 .LBB5_53
	s_branch .LBB5_55
.LBB5_50:
                                        ; implicit-def: $vgpr6
                                        ; implicit-def: $vgpr8
	s_branch .LBB5_56
.LBB5_51:
	v_mov_b32_e32 v6, 0
	v_mov_b32_e32 v8, 0
	s_branch .LBB5_55
.LBB5_52:
	v_mov_b32_e32 v6, 0
	v_mov_b32_e32 v8, 0
	;; [unrolled: 1-line block ×3, first 2 shown]
	s_and_b32 s6, s27, 3
	s_cmp_eq_u32 s6, 0
	s_cbranch_scc1 .LBB5_55
.LBB5_53:
	s_lshl_b32 s2, s26, 3
	s_add_u32 s2, s34, s2
	s_addc_u32 s3, s35, 0
	s_add_u32 s2, s2, 0xc4
	s_addc_u32 s3, s3, 0
	s_mul_i32 s4, s26, 12
	s_add_u32 s4, s34, s4
	s_addc_u32 s5, s35, 0
.LBB5_54:                               ; =>This Inner Loop Header: Depth=1
	s_load_dwordx2 s[8:9], s[4:5], 0x4
	s_load_dword s7, s[4:5], 0xc
	s_load_dwordx2 s[10:11], s[2:3], 0x0
	s_add_u32 s4, s4, 12
	s_addc_u32 s5, s5, 0
	s_waitcnt lgkmcnt(0)
	v_mul_hi_u32 v7, s9, v4
	s_add_u32 s2, s2, 8
	s_addc_u32 s3, s3, 0
	s_add_i32 s6, s6, -1
	v_add_u32_e32 v7, v4, v7
	v_lshrrev_b32_e32 v10, s7, v7
	v_mul_lo_u32 v7, v10, s8
	s_cmp_lg_u32 s6, 0
	v_sub_u32_e32 v4, v4, v7
	v_mad_u64_u32 v[6:7], s[8:9], v4, s10, v[6:7]
	v_mad_u64_u32 v[8:9], s[8:9], v4, s11, v[8:9]
	v_mov_b32_e32 v4, v10
	s_cbranch_scc1 .LBB5_54
.LBB5_55:
	s_cbranch_execnz .LBB5_58
.LBB5_56:
	s_load_dwordx4 s[4:7], s[34:35], 0x4
	s_load_dwordx2 s[2:3], s[34:35], 0xc4
	s_cmp_lt_u32 s33, 2
	s_waitcnt lgkmcnt(0)
	v_mul_hi_u32 v4, s5, v1
	v_add_u32_e32 v4, v1, v4
	v_lshrrev_b32_e32 v4, s6, v4
	v_mul_lo_u32 v6, v4, s4
	v_sub_u32_e32 v1, v1, v6
	v_mul_lo_u32 v6, v1, s2
	v_mul_lo_u32 v8, v1, s3
	s_cbranch_scc1 .LBB5_58
; %bb.57:
	s_load_dwordx4 s[4:7], s[34:35], 0x10
	s_load_dwordx2 s[2:3], s[34:35], 0xcc
	s_waitcnt lgkmcnt(0)
	v_mul_hi_u32 v1, s5, v4
	v_add_u32_e32 v1, v4, v1
	v_lshrrev_b32_e32 v1, s6, v1
	v_mul_lo_u32 v1, v1, s4
	v_sub_u32_e32 v1, v4, v1
	v_mad_u64_u32 v[6:7], s[4:5], v1, s2, v[6:7]
	v_mad_u64_u32 v[8:9], s[2:3], v1, s3, v[8:9]
.LBB5_58:
	s_and_b64 vcc, exec, s[0:1]
	v_add_u32_e32 v1, 0x180, v19
	s_cbranch_vccnz .LBB5_64
; %bb.59:
	s_cmp_lg_u32 s33, 0
	s_mov_b32 s26, 0
	s_cbranch_scc0 .LBB5_65
; %bb.60:
	s_min_u32 s27, s56, 15
	s_add_i32 s27, s27, 1
	s_cmp_eq_u32 s56, 2
	s_cbranch_scc1 .LBB5_66
; %bb.61:
	s_and_b32 s26, s27, 28
	s_add_u32 s2, s34, 0xc4
	s_addc_u32 s3, s35, 0
	v_mov_b32_e32 v11, 0
	s_mov_b32 s28, 0
	s_mov_b64 s[24:25], s[34:35]
	v_mov_b32_e32 v9, 0
	v_mov_b32_e32 v4, v1
.LBB5_62:                               ; =>This Inner Loop Header: Depth=1
	s_load_dwordx8 s[12:19], s[24:25], 0x4
	s_load_dwordx4 s[20:23], s[24:25], 0x24
	s_load_dwordx8 s[4:11], s[2:3], 0x0
	s_add_u32 s24, s24, 48
	s_addc_u32 s25, s25, 0
	s_waitcnt lgkmcnt(0)
	v_mul_hi_u32 v7, s13, v4
	s_add_i32 s28, s28, 4
	s_add_u32 s2, s2, 32
	s_addc_u32 s3, s3, 0
	v_add_u32_e32 v7, v4, v7
	v_lshrrev_b32_e32 v7, s14, v7
	v_mul_lo_u32 v10, v7, s12
	v_mul_hi_u32 v12, s16, v7
	s_cmp_lg_u32 s26, s28
	v_sub_u32_e32 v4, v4, v10
	v_add_u32_e32 v10, v7, v12
	v_mul_lo_u32 v12, v4, s4
	v_mul_lo_u32 v13, v4, s5
	v_lshrrev_b32_e32 v4, s17, v10
	v_mul_lo_u32 v10, v4, s15
	v_mul_hi_u32 v14, s19, v4
	v_sub_u32_e32 v7, v7, v10
	v_add_u32_e32 v10, v4, v14
	v_lshrrev_b32_e32 v10, s20, v10
	v_mul_hi_u32 v15, s22, v10
	v_mul_lo_u32 v16, v10, s18
	v_mul_lo_u32 v14, v7, s6
	;; [unrolled: 1-line block ×3, first 2 shown]
	v_sub_u32_e32 v16, v4, v16
	v_add_u32_e32 v4, v10, v15
	v_lshrrev_b32_e32 v4, s23, v4
	v_mul_lo_u32 v15, v4, s21
	v_mul_lo_u32 v17, v16, s8
	;; [unrolled: 1-line block ×3, first 2 shown]
	v_add3_u32 v9, v12, v9, v14
	v_sub_u32_e32 v10, v10, v15
	v_mul_lo_u32 v15, v10, s10
	v_mul_lo_u32 v10, v10, s11
	v_add3_u32 v7, v13, v11, v7
	v_add3_u32 v9, v17, v9, v15
	;; [unrolled: 1-line block ×3, first 2 shown]
	s_cbranch_scc1 .LBB5_62
; %bb.63:
	s_and_b32 s6, s27, 3
	s_cmp_eq_u32 s6, 0
	s_cbranch_scc0 .LBB5_67
	s_branch .LBB5_69
.LBB5_64:
                                        ; implicit-def: $vgpr9
                                        ; implicit-def: $vgpr11
	s_branch .LBB5_70
.LBB5_65:
	v_mov_b32_e32 v9, 0
	v_mov_b32_e32 v11, 0
	s_branch .LBB5_69
.LBB5_66:
	v_mov_b32_e32 v9, 0
	v_mov_b32_e32 v11, 0
	;; [unrolled: 1-line block ×3, first 2 shown]
	s_and_b32 s6, s27, 3
	s_cmp_eq_u32 s6, 0
	s_cbranch_scc1 .LBB5_69
.LBB5_67:
	s_lshl_b32 s2, s26, 3
	s_add_u32 s2, s34, s2
	s_addc_u32 s3, s35, 0
	s_add_u32 s2, s2, 0xc4
	s_addc_u32 s3, s3, 0
	s_mul_i32 s4, s26, 12
	s_add_u32 s4, s34, s4
	s_addc_u32 s5, s35, 0
.LBB5_68:                               ; =>This Inner Loop Header: Depth=1
	s_load_dwordx2 s[8:9], s[4:5], 0x4
	s_load_dword s7, s[4:5], 0xc
	s_load_dwordx2 s[10:11], s[2:3], 0x0
	s_add_u32 s4, s4, 12
	s_addc_u32 s5, s5, 0
	s_waitcnt lgkmcnt(0)
	v_mul_hi_u32 v7, s9, v4
	s_add_u32 s2, s2, 8
	s_addc_u32 s3, s3, 0
	s_add_i32 s6, s6, -1
	v_add_u32_e32 v7, v4, v7
	v_lshrrev_b32_e32 v7, s7, v7
	v_mul_lo_u32 v10, v7, s8
	s_cmp_lg_u32 s6, 0
	v_sub_u32_e32 v4, v4, v10
	v_mad_u64_u32 v[9:10], s[8:9], v4, s10, v[9:10]
	v_mad_u64_u32 v[11:12], s[8:9], v4, s11, v[11:12]
	v_mov_b32_e32 v4, v7
	s_cbranch_scc1 .LBB5_68
.LBB5_69:
	s_cbranch_execnz .LBB5_72
.LBB5_70:
	s_load_dwordx4 s[4:7], s[34:35], 0x4
	s_load_dwordx2 s[2:3], s[34:35], 0xc4
	s_cmp_lt_u32 s33, 2
	s_waitcnt lgkmcnt(0)
	v_mul_hi_u32 v4, s5, v1
	v_add_u32_e32 v4, v1, v4
	v_lshrrev_b32_e32 v4, s6, v4
	v_mul_lo_u32 v7, v4, s4
	v_sub_u32_e32 v1, v1, v7
	v_mul_lo_u32 v9, v1, s2
	v_mul_lo_u32 v11, v1, s3
	s_cbranch_scc1 .LBB5_72
; %bb.71:
	s_load_dwordx4 s[4:7], s[34:35], 0x10
	s_load_dwordx2 s[2:3], s[34:35], 0xcc
	s_waitcnt lgkmcnt(0)
	v_mul_hi_u32 v1, s5, v4
	v_add_u32_e32 v1, v4, v1
	v_lshrrev_b32_e32 v1, s6, v1
	v_mul_lo_u32 v1, v1, s4
	v_sub_u32_e32 v1, v4, v1
	v_mad_u64_u32 v[9:10], s[4:5], v1, s2, v[9:10]
	v_mad_u64_u32 v[11:12], s[2:3], v1, s3, v[11:12]
.LBB5_72:
	s_and_b64 vcc, exec, s[0:1]
	v_add_u32_e32 v1, 0x200, v19
	s_cbranch_vccnz .LBB5_78
; %bb.73:
	s_cmp_lg_u32 s33, 0
	s_mov_b32 s26, 0
	s_cbranch_scc0 .LBB5_79
; %bb.74:
	s_min_u32 s27, s56, 15
	s_add_i32 s27, s27, 1
	s_cmp_eq_u32 s56, 2
	s_cbranch_scc1 .LBB5_80
; %bb.75:
	s_and_b32 s26, s27, 28
	s_add_u32 s2, s34, 0xc4
	s_addc_u32 s3, s35, 0
	v_mov_b32_e32 v14, 0
	s_mov_b32 s28, 0
	s_mov_b64 s[24:25], s[34:35]
	v_mov_b32_e32 v12, 0
	v_mov_b32_e32 v4, v1
.LBB5_76:                               ; =>This Inner Loop Header: Depth=1
	s_load_dwordx8 s[12:19], s[24:25], 0x4
	s_load_dwordx4 s[20:23], s[24:25], 0x24
	s_load_dwordx8 s[4:11], s[2:3], 0x0
	s_add_u32 s24, s24, 48
	s_addc_u32 s25, s25, 0
	s_waitcnt lgkmcnt(0)
	v_mul_hi_u32 v7, s13, v4
	s_add_i32 s28, s28, 4
	s_add_u32 s2, s2, 32
	s_addc_u32 s3, s3, 0
	v_add_u32_e32 v7, v4, v7
	v_lshrrev_b32_e32 v7, s14, v7
	v_mul_lo_u32 v10, v7, s12
	v_mul_hi_u32 v13, s16, v7
	s_cmp_lg_u32 s26, s28
	v_sub_u32_e32 v4, v4, v10
	v_add_u32_e32 v10, v7, v13
	v_mul_lo_u32 v13, v4, s4
	v_mul_lo_u32 v15, v4, s5
	v_lshrrev_b32_e32 v4, s17, v10
	v_mul_lo_u32 v10, v4, s15
	v_mul_hi_u32 v16, s19, v4
	v_sub_u32_e32 v7, v7, v10
	v_add_u32_e32 v10, v4, v16
	v_lshrrev_b32_e32 v10, s20, v10
	v_mul_hi_u32 v17, s22, v10
	v_mul_lo_u32 v18, v10, s18
	v_mul_lo_u32 v16, v7, s6
	;; [unrolled: 1-line block ×3, first 2 shown]
	v_sub_u32_e32 v18, v4, v18
	v_add_u32_e32 v4, v10, v17
	v_lshrrev_b32_e32 v4, s23, v4
	v_mul_lo_u32 v17, v4, s21
	v_mul_lo_u32 v20, v18, s8
	;; [unrolled: 1-line block ×3, first 2 shown]
	v_add3_u32 v12, v13, v12, v16
	v_sub_u32_e32 v10, v10, v17
	v_mul_lo_u32 v17, v10, s10
	v_mul_lo_u32 v10, v10, s11
	v_add3_u32 v7, v15, v14, v7
	v_add3_u32 v12, v20, v12, v17
	;; [unrolled: 1-line block ×3, first 2 shown]
	s_cbranch_scc1 .LBB5_76
; %bb.77:
	s_and_b32 s6, s27, 3
	s_cmp_eq_u32 s6, 0
	s_cbranch_scc0 .LBB5_81
	s_branch .LBB5_83
.LBB5_78:
                                        ; implicit-def: $vgpr12
                                        ; implicit-def: $vgpr14
	s_branch .LBB5_84
.LBB5_79:
	v_mov_b32_e32 v12, 0
	v_mov_b32_e32 v14, 0
	s_branch .LBB5_83
.LBB5_80:
	v_mov_b32_e32 v12, 0
	v_mov_b32_e32 v14, 0
	;; [unrolled: 1-line block ×3, first 2 shown]
	s_and_b32 s6, s27, 3
	s_cmp_eq_u32 s6, 0
	s_cbranch_scc1 .LBB5_83
.LBB5_81:
	s_lshl_b32 s2, s26, 3
	s_add_u32 s2, s34, s2
	s_addc_u32 s3, s35, 0
	s_add_u32 s2, s2, 0xc4
	s_addc_u32 s3, s3, 0
	s_mul_i32 s4, s26, 12
	s_add_u32 s4, s34, s4
	s_addc_u32 s5, s35, 0
.LBB5_82:                               ; =>This Inner Loop Header: Depth=1
	s_load_dwordx2 s[8:9], s[4:5], 0x4
	s_load_dword s7, s[4:5], 0xc
	s_load_dwordx2 s[10:11], s[2:3], 0x0
	s_add_u32 s4, s4, 12
	s_addc_u32 s5, s5, 0
	s_waitcnt lgkmcnt(0)
	v_mul_hi_u32 v7, s9, v4
	s_add_u32 s2, s2, 8
	s_addc_u32 s3, s3, 0
	s_add_i32 s6, s6, -1
	v_add_u32_e32 v7, v4, v7
	v_lshrrev_b32_e32 v7, s7, v7
	v_mul_lo_u32 v10, v7, s8
	s_cmp_lg_u32 s6, 0
	v_sub_u32_e32 v4, v4, v10
	v_mad_u64_u32 v[12:13], s[8:9], v4, s10, v[12:13]
	v_mad_u64_u32 v[14:15], s[8:9], v4, s11, v[14:15]
	v_mov_b32_e32 v4, v7
	s_cbranch_scc1 .LBB5_82
.LBB5_83:
	s_cbranch_execnz .LBB5_86
.LBB5_84:
	s_load_dwordx4 s[4:7], s[34:35], 0x4
	s_load_dwordx2 s[2:3], s[34:35], 0xc4
	s_cmp_lt_u32 s33, 2
	s_waitcnt lgkmcnt(0)
	v_mul_hi_u32 v4, s5, v1
	v_add_u32_e32 v4, v1, v4
	v_lshrrev_b32_e32 v4, s6, v4
	v_mul_lo_u32 v7, v4, s4
	v_sub_u32_e32 v1, v1, v7
	v_mul_lo_u32 v12, v1, s2
	v_mul_lo_u32 v14, v1, s3
	s_cbranch_scc1 .LBB5_86
; %bb.85:
	s_load_dwordx4 s[4:7], s[34:35], 0x10
	s_load_dwordx2 s[2:3], s[34:35], 0xcc
	s_waitcnt lgkmcnt(0)
	v_mul_hi_u32 v1, s5, v4
	v_add_u32_e32 v1, v4, v1
	v_lshrrev_b32_e32 v1, s6, v1
	v_mul_lo_u32 v1, v1, s4
	v_sub_u32_e32 v1, v4, v1
	v_mad_u64_u32 v[12:13], s[4:5], v1, s2, v[12:13]
	v_mad_u64_u32 v[14:15], s[2:3], v1, s3, v[14:15]
.LBB5_86:
	s_and_b64 vcc, exec, s[0:1]
	v_add_u32_e32 v1, 0x280, v19
	s_cbranch_vccnz .LBB5_92
; %bb.87:
	s_cmp_lg_u32 s33, 0
	s_mov_b32 s26, 0
	s_cbranch_scc0 .LBB5_93
; %bb.88:
	s_min_u32 s27, s56, 15
	s_add_i32 s27, s27, 1
	s_cmp_eq_u32 s56, 2
	s_cbranch_scc1 .LBB5_94
; %bb.89:
	s_and_b32 s26, s27, 28
	s_add_u32 s2, s34, 0xc4
	s_addc_u32 s3, s35, 0
	v_mov_b32_e32 v17, 0
	s_mov_b32 s28, 0
	s_mov_b64 s[24:25], s[34:35]
	v_mov_b32_e32 v15, 0
	v_mov_b32_e32 v4, v1
.LBB5_90:                               ; =>This Inner Loop Header: Depth=1
	s_load_dwordx8 s[12:19], s[24:25], 0x4
	s_load_dwordx4 s[20:23], s[24:25], 0x24
	s_load_dwordx8 s[4:11], s[2:3], 0x0
	s_add_u32 s24, s24, 48
	s_addc_u32 s25, s25, 0
	s_waitcnt lgkmcnt(0)
	v_mul_hi_u32 v7, s13, v4
	s_add_i32 s28, s28, 4
	s_add_u32 s2, s2, 32
	s_addc_u32 s3, s3, 0
	v_add_u32_e32 v7, v4, v7
	v_lshrrev_b32_e32 v7, s14, v7
	v_mul_lo_u32 v10, v7, s12
	v_mul_hi_u32 v13, s16, v7
	s_cmp_lg_u32 s26, s28
	v_sub_u32_e32 v4, v4, v10
	v_add_u32_e32 v10, v7, v13
	v_mul_lo_u32 v13, v4, s4
	v_mul_lo_u32 v16, v4, s5
	v_lshrrev_b32_e32 v4, s17, v10
	v_mul_lo_u32 v10, v4, s15
	v_mul_hi_u32 v18, s19, v4
	v_sub_u32_e32 v7, v7, v10
	v_add_u32_e32 v10, v4, v18
	v_lshrrev_b32_e32 v10, s20, v10
	v_mul_hi_u32 v20, s22, v10
	v_mul_lo_u32 v21, v10, s18
	v_mul_lo_u32 v18, v7, s6
	;; [unrolled: 1-line block ×3, first 2 shown]
	v_sub_u32_e32 v21, v4, v21
	v_add_u32_e32 v4, v10, v20
	v_lshrrev_b32_e32 v4, s23, v4
	v_mul_lo_u32 v20, v4, s21
	v_mul_lo_u32 v22, v21, s8
	;; [unrolled: 1-line block ×3, first 2 shown]
	v_add3_u32 v13, v13, v15, v18
	v_sub_u32_e32 v10, v10, v20
	v_mul_lo_u32 v20, v10, s10
	v_mul_lo_u32 v10, v10, s11
	v_add3_u32 v7, v16, v17, v7
	v_add3_u32 v15, v22, v13, v20
	;; [unrolled: 1-line block ×3, first 2 shown]
	s_cbranch_scc1 .LBB5_90
; %bb.91:
	s_and_b32 s6, s27, 3
	s_cmp_eq_u32 s6, 0
	s_cbranch_scc0 .LBB5_95
	s_branch .LBB5_97
.LBB5_92:
                                        ; implicit-def: $vgpr15
                                        ; implicit-def: $vgpr17
	s_branch .LBB5_98
.LBB5_93:
	v_mov_b32_e32 v15, 0
	v_mov_b32_e32 v17, 0
	s_branch .LBB5_97
.LBB5_94:
	v_mov_b32_e32 v15, 0
	v_mov_b32_e32 v17, 0
	;; [unrolled: 1-line block ×3, first 2 shown]
	s_and_b32 s6, s27, 3
	s_cmp_eq_u32 s6, 0
	s_cbranch_scc1 .LBB5_97
.LBB5_95:
	s_lshl_b32 s2, s26, 3
	s_add_u32 s2, s34, s2
	s_addc_u32 s3, s35, 0
	s_add_u32 s2, s2, 0xc4
	s_addc_u32 s3, s3, 0
	s_mul_i32 s4, s26, 12
	s_add_u32 s4, s34, s4
	s_addc_u32 s5, s35, 0
.LBB5_96:                               ; =>This Inner Loop Header: Depth=1
	s_load_dwordx2 s[8:9], s[4:5], 0x4
	s_load_dword s7, s[4:5], 0xc
	s_load_dwordx2 s[10:11], s[2:3], 0x0
	s_add_u32 s4, s4, 12
	s_addc_u32 s5, s5, 0
	s_waitcnt lgkmcnt(0)
	v_mul_hi_u32 v7, s9, v4
	s_add_u32 s2, s2, 8
	s_addc_u32 s3, s3, 0
	s_add_i32 s6, s6, -1
	v_add_u32_e32 v7, v4, v7
	v_lshrrev_b32_e32 v7, s7, v7
	v_mul_lo_u32 v10, v7, s8
	s_cmp_lg_u32 s6, 0
	v_sub_u32_e32 v4, v4, v10
	v_mad_u64_u32 v[15:16], s[8:9], v4, s10, v[15:16]
	v_mad_u64_u32 v[17:18], s[8:9], v4, s11, v[17:18]
	v_mov_b32_e32 v4, v7
	s_cbranch_scc1 .LBB5_96
.LBB5_97:
	s_cbranch_execnz .LBB5_100
.LBB5_98:
	s_load_dwordx4 s[4:7], s[34:35], 0x4
	s_load_dwordx2 s[2:3], s[34:35], 0xc4
	s_cmp_lt_u32 s33, 2
	s_waitcnt lgkmcnt(0)
	v_mul_hi_u32 v4, s5, v1
	v_add_u32_e32 v4, v1, v4
	v_lshrrev_b32_e32 v4, s6, v4
	v_mul_lo_u32 v7, v4, s4
	v_sub_u32_e32 v1, v1, v7
	v_mul_lo_u32 v15, v1, s2
	v_mul_lo_u32 v17, v1, s3
	s_cbranch_scc1 .LBB5_100
; %bb.99:
	s_load_dwordx4 s[4:7], s[34:35], 0x10
	s_load_dwordx2 s[2:3], s[34:35], 0xcc
	s_waitcnt lgkmcnt(0)
	v_mul_hi_u32 v1, s5, v4
	v_add_u32_e32 v1, v4, v1
	v_lshrrev_b32_e32 v1, s6, v1
	v_mul_lo_u32 v1, v1, s4
	v_sub_u32_e32 v1, v4, v1
	v_mad_u64_u32 v[15:16], s[4:5], v1, s2, v[15:16]
	v_mad_u64_u32 v[17:18], s[2:3], v1, s3, v[17:18]
.LBB5_100:
	s_and_b64 vcc, exec, s[0:1]
	v_add_u32_e32 v1, 0x300, v19
	s_cbranch_vccnz .LBB5_106
; %bb.101:
	s_cmp_lg_u32 s33, 0
	s_mov_b32 s26, 0
	s_cbranch_scc0 .LBB5_107
; %bb.102:
	s_min_u32 s27, s56, 15
	s_add_i32 s27, s27, 1
	s_cmp_eq_u32 s56, 2
	s_cbranch_scc1 .LBB5_108
; %bb.103:
	s_and_b32 s26, s27, 28
	s_add_u32 s2, s34, 0xc4
	s_addc_u32 s3, s35, 0
	v_mov_b32_e32 v20, 0
	s_mov_b32 s28, 0
	s_mov_b64 s[24:25], s[34:35]
	v_mov_b32_e32 v18, 0
	v_mov_b32_e32 v4, v1
.LBB5_104:                              ; =>This Inner Loop Header: Depth=1
	s_load_dwordx8 s[12:19], s[24:25], 0x4
	s_load_dwordx4 s[20:23], s[24:25], 0x24
	s_load_dwordx8 s[4:11], s[2:3], 0x0
	s_add_u32 s24, s24, 48
	s_addc_u32 s25, s25, 0
	s_waitcnt lgkmcnt(0)
	v_mul_hi_u32 v7, s13, v4
	s_add_i32 s28, s28, 4
	s_add_u32 s2, s2, 32
	s_addc_u32 s3, s3, 0
	v_add_u32_e32 v7, v4, v7
	v_lshrrev_b32_e32 v7, s14, v7
	v_mul_lo_u32 v10, v7, s12
	v_mul_hi_u32 v13, s16, v7
	s_cmp_lg_u32 s26, s28
	v_sub_u32_e32 v4, v4, v10
	v_add_u32_e32 v10, v7, v13
	v_mul_lo_u32 v13, v4, s4
	v_mul_lo_u32 v16, v4, s5
	v_lshrrev_b32_e32 v4, s17, v10
	v_mul_lo_u32 v10, v4, s15
	v_mul_hi_u32 v19, s19, v4
	v_sub_u32_e32 v7, v7, v10
	v_add_u32_e32 v10, v4, v19
	v_lshrrev_b32_e32 v10, s20, v10
	v_mul_hi_u32 v21, s22, v10
	v_mul_lo_u32 v22, v10, s18
	v_mul_lo_u32 v19, v7, s6
	;; [unrolled: 1-line block ×3, first 2 shown]
	v_sub_u32_e32 v22, v4, v22
	v_add_u32_e32 v4, v10, v21
	v_lshrrev_b32_e32 v4, s23, v4
	v_mul_lo_u32 v21, v4, s21
	v_mul_lo_u32 v23, v22, s8
	;; [unrolled: 1-line block ×3, first 2 shown]
	v_add3_u32 v13, v13, v18, v19
	v_sub_u32_e32 v10, v10, v21
	v_mul_lo_u32 v21, v10, s10
	v_mul_lo_u32 v10, v10, s11
	v_add3_u32 v7, v16, v20, v7
	v_add3_u32 v18, v23, v13, v21
	v_add3_u32 v20, v22, v7, v10
	s_cbranch_scc1 .LBB5_104
; %bb.105:
	s_and_b32 s6, s27, 3
	s_cmp_eq_u32 s6, 0
	s_cbranch_scc0 .LBB5_109
	s_branch .LBB5_111
.LBB5_106:
                                        ; implicit-def: $vgpr18
                                        ; implicit-def: $vgpr20
	s_branch .LBB5_112
.LBB5_107:
	v_mov_b32_e32 v18, 0
	v_mov_b32_e32 v20, 0
	s_branch .LBB5_111
.LBB5_108:
	v_mov_b32_e32 v18, 0
	v_mov_b32_e32 v20, 0
	;; [unrolled: 1-line block ×3, first 2 shown]
	s_and_b32 s6, s27, 3
	s_cmp_eq_u32 s6, 0
	s_cbranch_scc1 .LBB5_111
.LBB5_109:
	s_lshl_b32 s2, s26, 3
	s_add_u32 s2, s34, s2
	s_addc_u32 s3, s35, 0
	s_add_u32 s2, s2, 0xc4
	s_addc_u32 s3, s3, 0
	s_mul_i32 s4, s26, 12
	s_add_u32 s4, s34, s4
	s_addc_u32 s5, s35, 0
.LBB5_110:                              ; =>This Inner Loop Header: Depth=1
	s_load_dwordx2 s[8:9], s[4:5], 0x4
	s_load_dword s7, s[4:5], 0xc
	s_load_dwordx2 s[10:11], s[2:3], 0x0
	s_add_u32 s4, s4, 12
	s_addc_u32 s5, s5, 0
	s_waitcnt lgkmcnt(0)
	v_mul_hi_u32 v7, s9, v4
	s_add_u32 s2, s2, 8
	s_addc_u32 s3, s3, 0
	s_add_i32 s6, s6, -1
	v_add_u32_e32 v7, v4, v7
	v_lshrrev_b32_e32 v7, s7, v7
	v_mul_lo_u32 v10, v7, s8
	s_cmp_lg_u32 s6, 0
	v_sub_u32_e32 v4, v4, v10
	v_mad_u64_u32 v[18:19], s[8:9], v4, s10, v[18:19]
	v_mad_u64_u32 v[20:21], s[8:9], v4, s11, v[20:21]
	v_mov_b32_e32 v4, v7
	s_cbranch_scc1 .LBB5_110
.LBB5_111:
	s_cbranch_execnz .LBB5_114
.LBB5_112:
	s_load_dwordx4 s[4:7], s[34:35], 0x4
	s_load_dwordx2 s[2:3], s[34:35], 0xc4
	s_cmp_lt_u32 s33, 2
	s_waitcnt lgkmcnt(0)
	v_mul_hi_u32 v4, s5, v1
	v_add_u32_e32 v4, v1, v4
	v_lshrrev_b32_e32 v4, s6, v4
	v_mul_lo_u32 v7, v4, s4
	v_sub_u32_e32 v1, v1, v7
	v_mul_lo_u32 v18, v1, s2
	v_mul_lo_u32 v20, v1, s3
	s_cbranch_scc1 .LBB5_114
; %bb.113:
	s_load_dwordx4 s[4:7], s[34:35], 0x10
	s_load_dwordx2 s[2:3], s[34:35], 0xcc
	s_waitcnt lgkmcnt(0)
	v_mul_hi_u32 v1, s5, v4
	v_add_u32_e32 v1, v4, v1
	v_lshrrev_b32_e32 v1, s6, v1
	v_mul_lo_u32 v1, v1, s4
	v_sub_u32_e32 v1, v4, v1
	v_mad_u64_u32 v[18:19], s[4:5], v1, s2, v[18:19]
	v_mad_u64_u32 v[20:21], s[2:3], v1, s3, v[20:21]
.LBB5_114:
	s_and_b64 vcc, exec, s[0:1]
	s_cbranch_vccnz .LBB5_120
; %bb.115:
	s_cmp_lg_u32 s33, 0
	s_mov_b32 s24, 0
	s_cbranch_scc0 .LBB5_121
; %bb.116:
	s_min_u32 s25, s56, 15
	s_add_i32 s25, s25, 1
	s_cmp_eq_u32 s56, 2
	s_cbranch_scc1 .LBB5_122
; %bb.117:
	s_and_b32 s24, s25, 28
	s_add_u32 s20, s34, 0xc4
	s_addc_u32 s21, s35, 0
	v_mov_b32_e32 v23, 0
	s_mov_b32 s26, 0
	s_mov_b64 s[22:23], s[34:35]
	v_mov_b32_e32 v21, 0
	v_mov_b32_e32 v1, v25
.LBB5_118:                              ; =>This Inner Loop Header: Depth=1
	s_load_dwordx8 s[8:15], s[22:23], 0x4
	s_load_dwordx4 s[16:19], s[22:23], 0x24
	s_load_dwordx8 s[0:7], s[20:21], 0x0
	s_add_u32 s22, s22, 48
	s_addc_u32 s23, s23, 0
	s_waitcnt lgkmcnt(0)
	v_mul_hi_u32 v4, s9, v1
	s_add_i32 s26, s26, 4
	s_add_u32 s20, s20, 32
	s_addc_u32 s21, s21, 0
	v_add_u32_e32 v4, v1, v4
	v_lshrrev_b32_e32 v4, s10, v4
	v_mul_lo_u32 v7, v4, s8
	v_mul_hi_u32 v10, s12, v4
	s_cmp_lg_u32 s24, s26
	v_sub_u32_e32 v1, v1, v7
	v_add_u32_e32 v7, v4, v10
	v_mul_lo_u32 v10, v1, s0
	v_mul_lo_u32 v13, v1, s1
	v_lshrrev_b32_e32 v1, s13, v7
	v_mul_lo_u32 v7, v1, s11
	v_mul_hi_u32 v16, s15, v1
	v_sub_u32_e32 v4, v4, v7
	v_add_u32_e32 v7, v1, v16
	v_lshrrev_b32_e32 v7, s16, v7
	v_mul_hi_u32 v19, s18, v7
	v_mul_lo_u32 v22, v7, s14
	v_mul_lo_u32 v16, v4, s2
	v_mul_lo_u32 v4, v4, s3
	v_sub_u32_e32 v22, v1, v22
	v_add_u32_e32 v1, v7, v19
	v_lshrrev_b32_e32 v1, s19, v1
	v_mul_lo_u32 v19, v1, s17
	v_mul_lo_u32 v24, v22, s4
	;; [unrolled: 1-line block ×3, first 2 shown]
	v_add3_u32 v10, v10, v21, v16
	v_sub_u32_e32 v7, v7, v19
	v_mul_lo_u32 v19, v7, s6
	v_mul_lo_u32 v7, v7, s7
	v_add3_u32 v4, v13, v23, v4
	v_add3_u32 v21, v24, v10, v19
	;; [unrolled: 1-line block ×3, first 2 shown]
	s_cbranch_scc1 .LBB5_118
; %bb.119:
	s_and_b32 s4, s25, 3
	s_cmp_eq_u32 s4, 0
	s_cbranch_scc0 .LBB5_123
	s_branch .LBB5_125
.LBB5_120:
                                        ; implicit-def: $vgpr21
                                        ; implicit-def: $vgpr23
	s_branch .LBB5_126
.LBB5_121:
	v_mov_b32_e32 v21, 0
	v_mov_b32_e32 v23, 0
	s_branch .LBB5_125
.LBB5_122:
	v_mov_b32_e32 v21, 0
	v_mov_b32_e32 v23, 0
	;; [unrolled: 1-line block ×3, first 2 shown]
	s_and_b32 s4, s25, 3
	s_cmp_eq_u32 s4, 0
	s_cbranch_scc1 .LBB5_125
.LBB5_123:
	s_lshl_b32 s0, s24, 3
	s_add_u32 s0, s34, s0
	s_addc_u32 s1, s35, 0
	s_add_u32 s0, s0, 0xc4
	s_addc_u32 s1, s1, 0
	s_mul_i32 s2, s24, 12
	s_add_u32 s2, s34, s2
	s_addc_u32 s3, s35, 0
.LBB5_124:                              ; =>This Inner Loop Header: Depth=1
	s_load_dwordx2 s[6:7], s[2:3], 0x4
	s_load_dword s5, s[2:3], 0xc
	s_load_dwordx2 s[8:9], s[0:1], 0x0
	s_add_u32 s2, s2, 12
	s_addc_u32 s3, s3, 0
	s_waitcnt lgkmcnt(0)
	v_mul_hi_u32 v4, s7, v1
	s_add_u32 s0, s0, 8
	s_addc_u32 s1, s1, 0
	s_add_i32 s4, s4, -1
	v_add_u32_e32 v4, v1, v4
	v_lshrrev_b32_e32 v4, s5, v4
	v_mul_lo_u32 v7, v4, s6
	s_cmp_lg_u32 s4, 0
	v_sub_u32_e32 v1, v1, v7
	v_mad_u64_u32 v[21:22], s[6:7], v1, s8, v[21:22]
	v_mad_u64_u32 v[23:24], s[6:7], v1, s9, v[23:24]
	v_mov_b32_e32 v1, v4
	s_cbranch_scc1 .LBB5_124
.LBB5_125:
	s_cbranch_execnz .LBB5_128
.LBB5_126:
	s_load_dwordx4 s[0:3], s[34:35], 0x4
	s_load_dwordx2 s[4:5], s[34:35], 0xc4
	s_cmp_lt_u32 s33, 2
	s_waitcnt lgkmcnt(0)
	v_mul_hi_u32 v1, s1, v25
	v_add_u32_e32 v1, v25, v1
	v_lshrrev_b32_e32 v1, s2, v1
	v_mul_lo_u32 v4, v1, s0
	v_sub_u32_e32 v4, v25, v4
	v_mul_lo_u32 v21, v4, s4
	v_mul_lo_u32 v23, v4, s5
	s_cbranch_scc1 .LBB5_128
; %bb.127:
	s_load_dwordx4 s[0:3], s[34:35], 0x10
	s_load_dwordx2 s[4:5], s[34:35], 0xcc
	s_waitcnt lgkmcnt(0)
	v_mul_hi_u32 v4, s1, v1
	v_add_u32_e32 v4, v1, v4
	v_lshrrev_b32_e32 v4, s2, v4
	v_mul_lo_u32 v4, v4, s0
	v_sub_u32_e32 v1, v1, v4
	v_mad_u64_u32 v[21:22], s[0:1], v1, s4, v[21:22]
	v_mad_u64_u32 v[23:24], s[0:1], v1, s5, v[23:24]
.LBB5_128:
	s_load_dwordx4 s[0:3], s[34:35], 0x148
	s_load_dword s4, s[34:35], 0x158
	s_waitcnt lgkmcnt(0)
	global_load_ubyte v1, v2, s[2:3]
	global_load_ubyte v4, v5, s[2:3]
	;; [unrolled: 1-line block ×8, first 2 shown]
	s_lshr_b32 s2, s4, 8
	s_and_b32 s3, s4, 0xff
	s_bfe_u32 s4, s4, 0x80010
	s_cmp_gt_u32 s4, s3
	v_mov_b32_e32 v2, s2
	s_cselect_b64 vcc, -1, 0
	s_waitcnt vmcnt(7)
	v_cndmask_b32_e32 v1, v2, v1, vcc
	s_waitcnt vmcnt(6)
	v_cndmask_b32_e32 v4, v2, v4, vcc
	;; [unrolled: 2-line block ×8, first 2 shown]
	global_store_byte v0, v1, s[0:1]
	global_store_byte v3, v4, s[0:1]
	;; [unrolled: 1-line block ×8, first 2 shown]
	s_endpgm
.LBB5_129:
	v_mov_b32_e32 v0, 0
	v_mov_b32_e32 v2, 0
	s_branch .LBB5_135
.LBB5_130:
	v_mov_b32_e32 v0, 0
	v_mov_b32_e32 v2, 0
	s_branch .LBB5_151
.LBB5_131:
	s_mov_b32 s60, 0
	v_mov_b32_e32 v0, 0
	v_mov_b32_e32 v2, 0
	v_mov_b32_e32 v1, v19
.LBB5_132:
	s_and_b32 s8, s61, 3
	s_cmp_eq_u32 s8, 0
	s_cbranch_scc1 .LBB5_135
; %bb.133:
	s_lshl_b32 s4, s60, 3
	s_add_u32 s4, s34, s4
	s_addc_u32 s5, s35, 0
	s_add_u32 s4, s4, 0xc4
	s_addc_u32 s5, s5, 0
	s_mul_i32 s6, s60, 12
	s_add_u32 s6, s34, s6
	s_addc_u32 s7, s35, 0
.LBB5_134:                              ; =>This Inner Loop Header: Depth=1
	s_load_dwordx2 s[10:11], s[6:7], 0x4
	s_load_dword s9, s[6:7], 0xc
	s_load_dwordx2 s[12:13], s[4:5], 0x0
	s_add_u32 s6, s6, 12
	s_addc_u32 s7, s7, 0
	s_waitcnt lgkmcnt(0)
	v_mul_hi_u32 v3, s11, v1
	s_add_u32 s4, s4, 8
	s_addc_u32 s5, s5, 0
	s_add_i32 s8, s8, -1
	v_add_u32_e32 v3, v1, v3
	v_lshrrev_b32_e32 v4, s9, v3
	v_mul_lo_u32 v3, v4, s10
	s_cmp_lg_u32 s8, 0
	v_sub_u32_e32 v3, v1, v3
	v_mad_u64_u32 v[0:1], s[10:11], v3, s12, v[0:1]
	v_mad_u64_u32 v[2:3], s[10:11], v3, s13, v[2:3]
	v_mov_b32_e32 v1, v4
	s_cbranch_scc1 .LBB5_134
.LBB5_135:
	s_cbranch_execnz .LBB5_138
.LBB5_136:
	v_mul_hi_u32 v0, s25, v19
	s_andn2_b64 vcc, exec, s[44:45]
	v_add_u32_e32 v0, v19, v0
	v_lshrrev_b32_e32 v1, s26, v0
	v_mul_lo_u32 v0, v1, s24
	v_sub_u32_e32 v2, v19, v0
	v_mul_lo_u32 v0, v2, s28
	v_mul_lo_u32 v2, v2, s29
	s_cbranch_vccnz .LBB5_138
; %bb.137:
	v_mul_hi_u32 v3, s42, v1
	v_add_u32_e32 v3, v1, v3
	v_lshrrev_b32_e32 v3, s43, v3
	v_mul_lo_u32 v3, v3, s27
	v_sub_u32_e32 v3, v1, v3
	v_mad_u64_u32 v[0:1], s[4:5], v3, s30, v[0:1]
	v_mad_u64_u32 v[2:3], s[4:5], v3, s31, v[2:3]
.LBB5_138:
	global_load_ubyte v1, v2, s[22:23]
	v_mov_b32_e32 v2, s57
	v_add_u32_e32 v19, 0x80, v19
	s_waitcnt vmcnt(0)
	v_cndmask_b32_e64 v1, v2, v1, s[0:1]
	global_store_byte v0, v1, s[20:21]
	s_or_b64 exec, exec, s[50:51]
	v_cmp_gt_i32_e32 vcc, s58, v19
	s_and_saveexec_b64 s[50:51], vcc
	s_cbranch_execnz .LBB5_15
.LBB5_139:
	s_or_b64 exec, exec, s[50:51]
	v_cmp_gt_i32_e32 vcc, s58, v19
	s_and_saveexec_b64 s[50:51], vcc
	s_cbranch_execz .LBB5_155
.LBB5_140:
	s_andn2_b64 vcc, exec, s[2:3]
	s_cbranch_vccnz .LBB5_145
; %bb.141:
	s_andn2_b64 vcc, exec, s[48:49]
	s_cbranch_vccnz .LBB5_146
; %bb.142:
	s_add_i32 s61, s59, 1
	s_cmp_eq_u32 s56, 2
	s_cbranch_scc1 .LBB5_163
; %bb.143:
	s_and_b32 s60, s61, 28
	v_mov_b32_e32 v2, 0
	s_mov_b32 s62, 0
	s_mov_b64 s[52:53], s[34:35]
	s_mov_b64 s[54:55], s[46:47]
	v_mov_b32_e32 v0, 0
	v_mov_b32_e32 v1, v19
.LBB5_144:                              ; =>This Inner Loop Header: Depth=1
	s_load_dwordx8 s[12:19], s[52:53], 0x4
	s_load_dwordx4 s[36:39], s[52:53], 0x24
	s_load_dwordx8 s[4:11], s[54:55], 0x0
	s_add_u32 s52, s52, 48
	s_addc_u32 s53, s53, 0
	s_waitcnt lgkmcnt(0)
	v_mul_hi_u32 v3, s13, v1
	s_add_i32 s62, s62, 4
	s_add_u32 s54, s54, 32
	s_addc_u32 s55, s55, 0
	v_add_u32_e32 v3, v1, v3
	v_lshrrev_b32_e32 v3, s14, v3
	v_mul_lo_u32 v4, v3, s12
	v_mul_hi_u32 v5, s16, v3
	s_cmp_eq_u32 s60, s62
	v_sub_u32_e32 v1, v1, v4
	v_add_u32_e32 v4, v3, v5
	v_mul_lo_u32 v5, v1, s4
	v_mul_lo_u32 v6, v1, s5
	v_lshrrev_b32_e32 v1, s17, v4
	v_mul_lo_u32 v4, v1, s15
	v_mul_hi_u32 v7, s19, v1
	v_sub_u32_e32 v3, v3, v4
	v_add_u32_e32 v4, v1, v7
	v_lshrrev_b32_e32 v4, s36, v4
	v_mul_hi_u32 v8, s38, v4
	v_mul_lo_u32 v9, v4, s18
	v_mul_lo_u32 v7, v3, s6
	;; [unrolled: 1-line block ×3, first 2 shown]
	v_sub_u32_e32 v9, v1, v9
	v_add_u32_e32 v1, v4, v8
	v_lshrrev_b32_e32 v1, s39, v1
	v_mul_lo_u32 v8, v1, s37
	v_mul_lo_u32 v10, v9, s8
	;; [unrolled: 1-line block ×3, first 2 shown]
	v_add3_u32 v0, v5, v0, v7
	v_sub_u32_e32 v4, v4, v8
	v_mul_lo_u32 v8, v4, s10
	v_mul_lo_u32 v4, v4, s11
	v_add3_u32 v2, v6, v2, v3
	v_add3_u32 v0, v10, v0, v8
	;; [unrolled: 1-line block ×3, first 2 shown]
	s_cbranch_scc0 .LBB5_144
	s_branch .LBB5_164
.LBB5_145:
                                        ; implicit-def: $vgpr0
                                        ; implicit-def: $vgpr2
	s_branch .LBB5_168
.LBB5_146:
	v_mov_b32_e32 v0, 0
	v_mov_b32_e32 v2, 0
	s_branch .LBB5_167
.LBB5_147:
	s_mov_b32 s60, 0
	v_mov_b32_e32 v0, 0
	v_mov_b32_e32 v2, 0
	;; [unrolled: 1-line block ×3, first 2 shown]
.LBB5_148:
	s_and_b32 s8, s61, 3
	s_cmp_eq_u32 s8, 0
	s_cbranch_scc1 .LBB5_151
; %bb.149:
	s_lshl_b32 s4, s60, 3
	s_add_u32 s4, s34, s4
	s_addc_u32 s5, s35, 0
	s_add_u32 s4, s4, 0xc4
	s_addc_u32 s5, s5, 0
	s_mul_i32 s6, s60, 12
	s_add_u32 s6, s34, s6
	s_addc_u32 s7, s35, 0
.LBB5_150:                              ; =>This Inner Loop Header: Depth=1
	s_load_dwordx2 s[10:11], s[6:7], 0x4
	s_load_dword s9, s[6:7], 0xc
	s_load_dwordx2 s[12:13], s[4:5], 0x0
	s_add_u32 s6, s6, 12
	s_addc_u32 s7, s7, 0
	s_waitcnt lgkmcnt(0)
	v_mul_hi_u32 v3, s11, v1
	s_add_u32 s4, s4, 8
	s_addc_u32 s5, s5, 0
	s_add_i32 s8, s8, -1
	v_add_u32_e32 v3, v1, v3
	v_lshrrev_b32_e32 v4, s9, v3
	v_mul_lo_u32 v3, v4, s10
	s_cmp_lg_u32 s8, 0
	v_sub_u32_e32 v3, v1, v3
	v_mad_u64_u32 v[0:1], s[10:11], v3, s12, v[0:1]
	v_mad_u64_u32 v[2:3], s[10:11], v3, s13, v[2:3]
	v_mov_b32_e32 v1, v4
	s_cbranch_scc1 .LBB5_150
.LBB5_151:
	s_cbranch_execnz .LBB5_154
.LBB5_152:
	v_mul_hi_u32 v0, s25, v19
	s_andn2_b64 vcc, exec, s[44:45]
	v_add_u32_e32 v0, v19, v0
	v_lshrrev_b32_e32 v1, s26, v0
	v_mul_lo_u32 v0, v1, s24
	v_sub_u32_e32 v2, v19, v0
	v_mul_lo_u32 v0, v2, s28
	v_mul_lo_u32 v2, v2, s29
	s_cbranch_vccnz .LBB5_154
; %bb.153:
	v_mul_hi_u32 v3, s42, v1
	v_add_u32_e32 v3, v1, v3
	v_lshrrev_b32_e32 v3, s43, v3
	v_mul_lo_u32 v3, v3, s27
	v_sub_u32_e32 v3, v1, v3
	v_mad_u64_u32 v[0:1], s[4:5], v3, s30, v[0:1]
	v_mad_u64_u32 v[2:3], s[4:5], v3, s31, v[2:3]
.LBB5_154:
	global_load_ubyte v1, v2, s[22:23]
	v_mov_b32_e32 v2, s57
	v_add_u32_e32 v19, 0x80, v19
	s_waitcnt vmcnt(0)
	v_cndmask_b32_e64 v1, v2, v1, s[0:1]
	global_store_byte v0, v1, s[20:21]
	s_or_b64 exec, exec, s[50:51]
	v_cmp_gt_i32_e32 vcc, s58, v19
	s_and_saveexec_b64 s[50:51], vcc
	s_cbranch_execnz .LBB5_140
.LBB5_155:
	s_or_b64 exec, exec, s[50:51]
	v_cmp_gt_i32_e32 vcc, s58, v19
	s_and_saveexec_b64 s[50:51], vcc
	s_cbranch_execz .LBB5_171
.LBB5_156:
	s_andn2_b64 vcc, exec, s[2:3]
	s_cbranch_vccnz .LBB5_161
; %bb.157:
	s_andn2_b64 vcc, exec, s[48:49]
	s_cbranch_vccnz .LBB5_162
; %bb.158:
	s_add_i32 s61, s59, 1
	s_cmp_eq_u32 s56, 2
	s_cbranch_scc1 .LBB5_179
; %bb.159:
	s_and_b32 s60, s61, 28
	v_mov_b32_e32 v2, 0
	s_mov_b32 s62, 0
	s_mov_b64 s[52:53], s[34:35]
	s_mov_b64 s[54:55], s[46:47]
	v_mov_b32_e32 v0, 0
	v_mov_b32_e32 v1, v19
.LBB5_160:                              ; =>This Inner Loop Header: Depth=1
	s_load_dwordx8 s[12:19], s[52:53], 0x4
	s_load_dwordx4 s[36:39], s[52:53], 0x24
	s_load_dwordx8 s[4:11], s[54:55], 0x0
	s_add_u32 s52, s52, 48
	s_addc_u32 s53, s53, 0
	s_waitcnt lgkmcnt(0)
	v_mul_hi_u32 v3, s13, v1
	s_add_i32 s62, s62, 4
	s_add_u32 s54, s54, 32
	s_addc_u32 s55, s55, 0
	v_add_u32_e32 v3, v1, v3
	v_lshrrev_b32_e32 v3, s14, v3
	v_mul_lo_u32 v4, v3, s12
	v_mul_hi_u32 v5, s16, v3
	s_cmp_eq_u32 s60, s62
	v_sub_u32_e32 v1, v1, v4
	v_add_u32_e32 v4, v3, v5
	v_mul_lo_u32 v5, v1, s4
	v_mul_lo_u32 v6, v1, s5
	v_lshrrev_b32_e32 v1, s17, v4
	v_mul_lo_u32 v4, v1, s15
	v_mul_hi_u32 v7, s19, v1
	v_sub_u32_e32 v3, v3, v4
	v_add_u32_e32 v4, v1, v7
	v_lshrrev_b32_e32 v4, s36, v4
	v_mul_hi_u32 v8, s38, v4
	v_mul_lo_u32 v9, v4, s18
	v_mul_lo_u32 v7, v3, s6
	;; [unrolled: 1-line block ×3, first 2 shown]
	v_sub_u32_e32 v9, v1, v9
	v_add_u32_e32 v1, v4, v8
	v_lshrrev_b32_e32 v1, s39, v1
	v_mul_lo_u32 v8, v1, s37
	v_mul_lo_u32 v10, v9, s8
	;; [unrolled: 1-line block ×3, first 2 shown]
	v_add3_u32 v0, v5, v0, v7
	v_sub_u32_e32 v4, v4, v8
	v_mul_lo_u32 v8, v4, s10
	v_mul_lo_u32 v4, v4, s11
	v_add3_u32 v2, v6, v2, v3
	v_add3_u32 v0, v10, v0, v8
	;; [unrolled: 1-line block ×3, first 2 shown]
	s_cbranch_scc0 .LBB5_160
	s_branch .LBB5_180
.LBB5_161:
                                        ; implicit-def: $vgpr0
                                        ; implicit-def: $vgpr2
	s_branch .LBB5_184
.LBB5_162:
	v_mov_b32_e32 v0, 0
	v_mov_b32_e32 v2, 0
	s_branch .LBB5_183
.LBB5_163:
	s_mov_b32 s60, 0
	v_mov_b32_e32 v0, 0
	v_mov_b32_e32 v2, 0
	;; [unrolled: 1-line block ×3, first 2 shown]
.LBB5_164:
	s_and_b32 s8, s61, 3
	s_cmp_eq_u32 s8, 0
	s_cbranch_scc1 .LBB5_167
; %bb.165:
	s_lshl_b32 s4, s60, 3
	s_add_u32 s4, s34, s4
	s_addc_u32 s5, s35, 0
	s_add_u32 s4, s4, 0xc4
	s_addc_u32 s5, s5, 0
	s_mul_i32 s6, s60, 12
	s_add_u32 s6, s34, s6
	s_addc_u32 s7, s35, 0
.LBB5_166:                              ; =>This Inner Loop Header: Depth=1
	s_load_dwordx2 s[10:11], s[6:7], 0x4
	s_load_dword s9, s[6:7], 0xc
	s_load_dwordx2 s[12:13], s[4:5], 0x0
	s_add_u32 s6, s6, 12
	s_addc_u32 s7, s7, 0
	s_waitcnt lgkmcnt(0)
	v_mul_hi_u32 v3, s11, v1
	s_add_u32 s4, s4, 8
	s_addc_u32 s5, s5, 0
	s_add_i32 s8, s8, -1
	v_add_u32_e32 v3, v1, v3
	v_lshrrev_b32_e32 v4, s9, v3
	v_mul_lo_u32 v3, v4, s10
	s_cmp_lg_u32 s8, 0
	v_sub_u32_e32 v3, v1, v3
	v_mad_u64_u32 v[0:1], s[10:11], v3, s12, v[0:1]
	v_mad_u64_u32 v[2:3], s[10:11], v3, s13, v[2:3]
	v_mov_b32_e32 v1, v4
	s_cbranch_scc1 .LBB5_166
.LBB5_167:
	s_cbranch_execnz .LBB5_170
.LBB5_168:
	v_mul_hi_u32 v0, s25, v19
	s_andn2_b64 vcc, exec, s[44:45]
	v_add_u32_e32 v0, v19, v0
	v_lshrrev_b32_e32 v1, s26, v0
	v_mul_lo_u32 v0, v1, s24
	v_sub_u32_e32 v2, v19, v0
	v_mul_lo_u32 v0, v2, s28
	v_mul_lo_u32 v2, v2, s29
	s_cbranch_vccnz .LBB5_170
; %bb.169:
	v_mul_hi_u32 v3, s42, v1
	v_add_u32_e32 v3, v1, v3
	v_lshrrev_b32_e32 v3, s43, v3
	v_mul_lo_u32 v3, v3, s27
	v_sub_u32_e32 v3, v1, v3
	v_mad_u64_u32 v[0:1], s[4:5], v3, s30, v[0:1]
	v_mad_u64_u32 v[2:3], s[4:5], v3, s31, v[2:3]
.LBB5_170:
	global_load_ubyte v1, v2, s[22:23]
	v_mov_b32_e32 v2, s57
	v_add_u32_e32 v19, 0x80, v19
	s_waitcnt vmcnt(0)
	v_cndmask_b32_e64 v1, v2, v1, s[0:1]
	global_store_byte v0, v1, s[20:21]
	s_or_b64 exec, exec, s[50:51]
	v_cmp_gt_i32_e32 vcc, s58, v19
	s_and_saveexec_b64 s[50:51], vcc
	s_cbranch_execnz .LBB5_156
.LBB5_171:
	s_or_b64 exec, exec, s[50:51]
	v_cmp_gt_i32_e32 vcc, s58, v19
	s_and_saveexec_b64 s[50:51], vcc
	s_cbranch_execz .LBB5_187
.LBB5_172:
	s_andn2_b64 vcc, exec, s[2:3]
	s_cbranch_vccnz .LBB5_177
; %bb.173:
	s_andn2_b64 vcc, exec, s[48:49]
	s_cbranch_vccnz .LBB5_178
; %bb.174:
	s_add_i32 s61, s59, 1
	s_cmp_eq_u32 s56, 2
	s_cbranch_scc1 .LBB5_195
; %bb.175:
	s_and_b32 s60, s61, 28
	v_mov_b32_e32 v2, 0
	s_mov_b32 s62, 0
	s_mov_b64 s[52:53], s[34:35]
	s_mov_b64 s[54:55], s[46:47]
	v_mov_b32_e32 v0, 0
	v_mov_b32_e32 v1, v19
.LBB5_176:                              ; =>This Inner Loop Header: Depth=1
	s_load_dwordx8 s[12:19], s[52:53], 0x4
	s_load_dwordx4 s[36:39], s[52:53], 0x24
	s_load_dwordx8 s[4:11], s[54:55], 0x0
	s_add_u32 s52, s52, 48
	s_addc_u32 s53, s53, 0
	s_waitcnt lgkmcnt(0)
	v_mul_hi_u32 v3, s13, v1
	s_add_i32 s62, s62, 4
	s_add_u32 s54, s54, 32
	s_addc_u32 s55, s55, 0
	v_add_u32_e32 v3, v1, v3
	v_lshrrev_b32_e32 v3, s14, v3
	v_mul_lo_u32 v4, v3, s12
	v_mul_hi_u32 v5, s16, v3
	s_cmp_eq_u32 s60, s62
	v_sub_u32_e32 v1, v1, v4
	v_add_u32_e32 v4, v3, v5
	v_mul_lo_u32 v5, v1, s4
	v_mul_lo_u32 v6, v1, s5
	v_lshrrev_b32_e32 v1, s17, v4
	v_mul_lo_u32 v4, v1, s15
	v_mul_hi_u32 v7, s19, v1
	v_sub_u32_e32 v3, v3, v4
	v_add_u32_e32 v4, v1, v7
	v_lshrrev_b32_e32 v4, s36, v4
	v_mul_hi_u32 v8, s38, v4
	v_mul_lo_u32 v9, v4, s18
	v_mul_lo_u32 v7, v3, s6
	;; [unrolled: 1-line block ×3, first 2 shown]
	v_sub_u32_e32 v9, v1, v9
	v_add_u32_e32 v1, v4, v8
	v_lshrrev_b32_e32 v1, s39, v1
	v_mul_lo_u32 v8, v1, s37
	v_mul_lo_u32 v10, v9, s8
	;; [unrolled: 1-line block ×3, first 2 shown]
	v_add3_u32 v0, v5, v0, v7
	v_sub_u32_e32 v4, v4, v8
	v_mul_lo_u32 v8, v4, s10
	v_mul_lo_u32 v4, v4, s11
	v_add3_u32 v2, v6, v2, v3
	v_add3_u32 v0, v10, v0, v8
	;; [unrolled: 1-line block ×3, first 2 shown]
	s_cbranch_scc0 .LBB5_176
	s_branch .LBB5_196
.LBB5_177:
                                        ; implicit-def: $vgpr0
                                        ; implicit-def: $vgpr2
	s_branch .LBB5_200
.LBB5_178:
	v_mov_b32_e32 v0, 0
	v_mov_b32_e32 v2, 0
	s_branch .LBB5_199
.LBB5_179:
	s_mov_b32 s60, 0
	v_mov_b32_e32 v0, 0
	v_mov_b32_e32 v2, 0
	;; [unrolled: 1-line block ×3, first 2 shown]
.LBB5_180:
	s_and_b32 s8, s61, 3
	s_cmp_eq_u32 s8, 0
	s_cbranch_scc1 .LBB5_183
; %bb.181:
	s_lshl_b32 s4, s60, 3
	s_add_u32 s4, s34, s4
	s_addc_u32 s5, s35, 0
	s_add_u32 s4, s4, 0xc4
	s_addc_u32 s5, s5, 0
	s_mul_i32 s6, s60, 12
	s_add_u32 s6, s34, s6
	s_addc_u32 s7, s35, 0
.LBB5_182:                              ; =>This Inner Loop Header: Depth=1
	s_load_dwordx2 s[10:11], s[6:7], 0x4
	s_load_dword s9, s[6:7], 0xc
	s_load_dwordx2 s[12:13], s[4:5], 0x0
	s_add_u32 s6, s6, 12
	s_addc_u32 s7, s7, 0
	s_waitcnt lgkmcnt(0)
	v_mul_hi_u32 v3, s11, v1
	s_add_u32 s4, s4, 8
	s_addc_u32 s5, s5, 0
	s_add_i32 s8, s8, -1
	v_add_u32_e32 v3, v1, v3
	v_lshrrev_b32_e32 v4, s9, v3
	v_mul_lo_u32 v3, v4, s10
	s_cmp_lg_u32 s8, 0
	v_sub_u32_e32 v3, v1, v3
	v_mad_u64_u32 v[0:1], s[10:11], v3, s12, v[0:1]
	v_mad_u64_u32 v[2:3], s[10:11], v3, s13, v[2:3]
	v_mov_b32_e32 v1, v4
	s_cbranch_scc1 .LBB5_182
.LBB5_183:
	s_cbranch_execnz .LBB5_186
.LBB5_184:
	v_mul_hi_u32 v0, s25, v19
	s_andn2_b64 vcc, exec, s[44:45]
	v_add_u32_e32 v0, v19, v0
	v_lshrrev_b32_e32 v1, s26, v0
	v_mul_lo_u32 v0, v1, s24
	v_sub_u32_e32 v2, v19, v0
	v_mul_lo_u32 v0, v2, s28
	v_mul_lo_u32 v2, v2, s29
	s_cbranch_vccnz .LBB5_186
; %bb.185:
	v_mul_hi_u32 v3, s42, v1
	v_add_u32_e32 v3, v1, v3
	v_lshrrev_b32_e32 v3, s43, v3
	v_mul_lo_u32 v3, v3, s27
	v_sub_u32_e32 v3, v1, v3
	v_mad_u64_u32 v[0:1], s[4:5], v3, s30, v[0:1]
	v_mad_u64_u32 v[2:3], s[4:5], v3, s31, v[2:3]
.LBB5_186:
	global_load_ubyte v1, v2, s[22:23]
	v_mov_b32_e32 v2, s57
	v_add_u32_e32 v19, 0x80, v19
	s_waitcnt vmcnt(0)
	v_cndmask_b32_e64 v1, v2, v1, s[0:1]
	global_store_byte v0, v1, s[20:21]
	s_or_b64 exec, exec, s[50:51]
	v_cmp_gt_i32_e32 vcc, s58, v19
	s_and_saveexec_b64 s[50:51], vcc
	s_cbranch_execnz .LBB5_172
.LBB5_187:
	s_or_b64 exec, exec, s[50:51]
	v_cmp_gt_i32_e32 vcc, s58, v19
	s_and_saveexec_b64 s[50:51], vcc
	s_cbranch_execz .LBB5_203
.LBB5_188:
	s_andn2_b64 vcc, exec, s[2:3]
	s_cbranch_vccnz .LBB5_193
; %bb.189:
	s_andn2_b64 vcc, exec, s[48:49]
	s_cbranch_vccnz .LBB5_194
; %bb.190:
	s_add_i32 s61, s59, 1
	s_cmp_eq_u32 s56, 2
	s_cbranch_scc1 .LBB5_211
; %bb.191:
	s_and_b32 s60, s61, 28
	v_mov_b32_e32 v2, 0
	s_mov_b32 s62, 0
	s_mov_b64 s[52:53], s[34:35]
	s_mov_b64 s[54:55], s[46:47]
	v_mov_b32_e32 v0, 0
	v_mov_b32_e32 v1, v19
.LBB5_192:                              ; =>This Inner Loop Header: Depth=1
	s_load_dwordx8 s[12:19], s[52:53], 0x4
	s_load_dwordx4 s[36:39], s[52:53], 0x24
	s_load_dwordx8 s[4:11], s[54:55], 0x0
	s_add_u32 s52, s52, 48
	s_addc_u32 s53, s53, 0
	s_waitcnt lgkmcnt(0)
	v_mul_hi_u32 v3, s13, v1
	s_add_i32 s62, s62, 4
	s_add_u32 s54, s54, 32
	s_addc_u32 s55, s55, 0
	v_add_u32_e32 v3, v1, v3
	v_lshrrev_b32_e32 v3, s14, v3
	v_mul_lo_u32 v4, v3, s12
	v_mul_hi_u32 v5, s16, v3
	s_cmp_eq_u32 s60, s62
	v_sub_u32_e32 v1, v1, v4
	v_add_u32_e32 v4, v3, v5
	v_mul_lo_u32 v5, v1, s4
	v_mul_lo_u32 v6, v1, s5
	v_lshrrev_b32_e32 v1, s17, v4
	v_mul_lo_u32 v4, v1, s15
	v_mul_hi_u32 v7, s19, v1
	v_sub_u32_e32 v3, v3, v4
	v_add_u32_e32 v4, v1, v7
	v_lshrrev_b32_e32 v4, s36, v4
	v_mul_hi_u32 v8, s38, v4
	v_mul_lo_u32 v9, v4, s18
	v_mul_lo_u32 v7, v3, s6
	;; [unrolled: 1-line block ×3, first 2 shown]
	v_sub_u32_e32 v9, v1, v9
	v_add_u32_e32 v1, v4, v8
	v_lshrrev_b32_e32 v1, s39, v1
	v_mul_lo_u32 v8, v1, s37
	v_mul_lo_u32 v10, v9, s8
	;; [unrolled: 1-line block ×3, first 2 shown]
	v_add3_u32 v0, v5, v0, v7
	v_sub_u32_e32 v4, v4, v8
	v_mul_lo_u32 v8, v4, s10
	v_mul_lo_u32 v4, v4, s11
	v_add3_u32 v2, v6, v2, v3
	v_add3_u32 v0, v10, v0, v8
	;; [unrolled: 1-line block ×3, first 2 shown]
	s_cbranch_scc0 .LBB5_192
	s_branch .LBB5_212
.LBB5_193:
                                        ; implicit-def: $vgpr0
                                        ; implicit-def: $vgpr2
	s_branch .LBB5_216
.LBB5_194:
	v_mov_b32_e32 v0, 0
	v_mov_b32_e32 v2, 0
	s_branch .LBB5_215
.LBB5_195:
	s_mov_b32 s60, 0
	v_mov_b32_e32 v0, 0
	v_mov_b32_e32 v2, 0
	;; [unrolled: 1-line block ×3, first 2 shown]
.LBB5_196:
	s_and_b32 s8, s61, 3
	s_cmp_eq_u32 s8, 0
	s_cbranch_scc1 .LBB5_199
; %bb.197:
	s_lshl_b32 s4, s60, 3
	s_add_u32 s4, s34, s4
	s_addc_u32 s5, s35, 0
	s_add_u32 s4, s4, 0xc4
	s_addc_u32 s5, s5, 0
	s_mul_i32 s6, s60, 12
	s_add_u32 s6, s34, s6
	s_addc_u32 s7, s35, 0
.LBB5_198:                              ; =>This Inner Loop Header: Depth=1
	s_load_dwordx2 s[10:11], s[6:7], 0x4
	s_load_dword s9, s[6:7], 0xc
	s_load_dwordx2 s[12:13], s[4:5], 0x0
	s_add_u32 s6, s6, 12
	s_addc_u32 s7, s7, 0
	s_waitcnt lgkmcnt(0)
	v_mul_hi_u32 v3, s11, v1
	s_add_u32 s4, s4, 8
	s_addc_u32 s5, s5, 0
	s_add_i32 s8, s8, -1
	v_add_u32_e32 v3, v1, v3
	v_lshrrev_b32_e32 v4, s9, v3
	v_mul_lo_u32 v3, v4, s10
	s_cmp_lg_u32 s8, 0
	v_sub_u32_e32 v3, v1, v3
	v_mad_u64_u32 v[0:1], s[10:11], v3, s12, v[0:1]
	v_mad_u64_u32 v[2:3], s[10:11], v3, s13, v[2:3]
	v_mov_b32_e32 v1, v4
	s_cbranch_scc1 .LBB5_198
.LBB5_199:
	s_cbranch_execnz .LBB5_202
.LBB5_200:
	v_mul_hi_u32 v0, s25, v19
	s_andn2_b64 vcc, exec, s[44:45]
	v_add_u32_e32 v0, v19, v0
	v_lshrrev_b32_e32 v1, s26, v0
	v_mul_lo_u32 v0, v1, s24
	v_sub_u32_e32 v2, v19, v0
	v_mul_lo_u32 v0, v2, s28
	v_mul_lo_u32 v2, v2, s29
	s_cbranch_vccnz .LBB5_202
; %bb.201:
	v_mul_hi_u32 v3, s42, v1
	v_add_u32_e32 v3, v1, v3
	v_lshrrev_b32_e32 v3, s43, v3
	v_mul_lo_u32 v3, v3, s27
	v_sub_u32_e32 v3, v1, v3
	v_mad_u64_u32 v[0:1], s[4:5], v3, s30, v[0:1]
	v_mad_u64_u32 v[2:3], s[4:5], v3, s31, v[2:3]
.LBB5_202:
	global_load_ubyte v1, v2, s[22:23]
	v_mov_b32_e32 v2, s57
	v_add_u32_e32 v19, 0x80, v19
	s_waitcnt vmcnt(0)
	v_cndmask_b32_e64 v1, v2, v1, s[0:1]
	global_store_byte v0, v1, s[20:21]
	s_or_b64 exec, exec, s[50:51]
	v_cmp_gt_i32_e32 vcc, s58, v19
	s_and_saveexec_b64 s[50:51], vcc
	s_cbranch_execnz .LBB5_188
.LBB5_203:
	s_or_b64 exec, exec, s[50:51]
	v_cmp_gt_i32_e32 vcc, s58, v19
	s_and_saveexec_b64 s[50:51], vcc
	s_cbranch_execz .LBB5_219
.LBB5_204:
	s_andn2_b64 vcc, exec, s[2:3]
	s_cbranch_vccnz .LBB5_209
; %bb.205:
	s_andn2_b64 vcc, exec, s[48:49]
	s_cbranch_vccnz .LBB5_210
; %bb.206:
	s_add_i32 s61, s59, 1
	s_cmp_eq_u32 s56, 2
	s_cbranch_scc1 .LBB5_222
; %bb.207:
	s_and_b32 s60, s61, 28
	v_mov_b32_e32 v2, 0
	s_mov_b32 s62, 0
	s_mov_b64 s[52:53], s[34:35]
	s_mov_b64 s[54:55], s[46:47]
	v_mov_b32_e32 v0, 0
	v_mov_b32_e32 v1, v19
.LBB5_208:                              ; =>This Inner Loop Header: Depth=1
	s_load_dwordx8 s[12:19], s[52:53], 0x4
	s_load_dwordx4 s[36:39], s[52:53], 0x24
	s_load_dwordx8 s[4:11], s[54:55], 0x0
	s_add_u32 s52, s52, 48
	s_addc_u32 s53, s53, 0
	s_waitcnt lgkmcnt(0)
	v_mul_hi_u32 v3, s13, v1
	s_add_i32 s62, s62, 4
	s_add_u32 s54, s54, 32
	s_addc_u32 s55, s55, 0
	v_add_u32_e32 v3, v1, v3
	v_lshrrev_b32_e32 v3, s14, v3
	v_mul_lo_u32 v4, v3, s12
	v_mul_hi_u32 v5, s16, v3
	s_cmp_eq_u32 s60, s62
	v_sub_u32_e32 v1, v1, v4
	v_add_u32_e32 v4, v3, v5
	v_mul_lo_u32 v5, v1, s4
	v_mul_lo_u32 v6, v1, s5
	v_lshrrev_b32_e32 v1, s17, v4
	v_mul_lo_u32 v4, v1, s15
	v_mul_hi_u32 v7, s19, v1
	v_sub_u32_e32 v3, v3, v4
	v_add_u32_e32 v4, v1, v7
	v_lshrrev_b32_e32 v4, s36, v4
	v_mul_hi_u32 v8, s38, v4
	v_mul_lo_u32 v9, v4, s18
	v_mul_lo_u32 v7, v3, s6
	;; [unrolled: 1-line block ×3, first 2 shown]
	v_sub_u32_e32 v9, v1, v9
	v_add_u32_e32 v1, v4, v8
	v_lshrrev_b32_e32 v1, s39, v1
	v_mul_lo_u32 v8, v1, s37
	v_mul_lo_u32 v10, v9, s8
	;; [unrolled: 1-line block ×3, first 2 shown]
	v_add3_u32 v0, v5, v0, v7
	v_sub_u32_e32 v4, v4, v8
	v_mul_lo_u32 v8, v4, s10
	v_mul_lo_u32 v4, v4, s11
	v_add3_u32 v2, v6, v2, v3
	v_add3_u32 v0, v10, v0, v8
	;; [unrolled: 1-line block ×3, first 2 shown]
	s_cbranch_scc0 .LBB5_208
	s_branch .LBB5_223
.LBB5_209:
                                        ; implicit-def: $vgpr0
                                        ; implicit-def: $vgpr2
	s_branch .LBB5_227
.LBB5_210:
	v_mov_b32_e32 v0, 0
	v_mov_b32_e32 v2, 0
	s_branch .LBB5_226
.LBB5_211:
	s_mov_b32 s60, 0
	v_mov_b32_e32 v0, 0
	v_mov_b32_e32 v2, 0
	;; [unrolled: 1-line block ×3, first 2 shown]
.LBB5_212:
	s_and_b32 s8, s61, 3
	s_cmp_eq_u32 s8, 0
	s_cbranch_scc1 .LBB5_215
; %bb.213:
	s_lshl_b32 s4, s60, 3
	s_add_u32 s4, s34, s4
	s_addc_u32 s5, s35, 0
	s_add_u32 s4, s4, 0xc4
	s_addc_u32 s5, s5, 0
	s_mul_i32 s6, s60, 12
	s_add_u32 s6, s34, s6
	s_addc_u32 s7, s35, 0
.LBB5_214:                              ; =>This Inner Loop Header: Depth=1
	s_load_dwordx2 s[10:11], s[6:7], 0x4
	s_load_dword s9, s[6:7], 0xc
	s_load_dwordx2 s[12:13], s[4:5], 0x0
	s_add_u32 s6, s6, 12
	s_addc_u32 s7, s7, 0
	s_waitcnt lgkmcnt(0)
	v_mul_hi_u32 v3, s11, v1
	s_add_u32 s4, s4, 8
	s_addc_u32 s5, s5, 0
	s_add_i32 s8, s8, -1
	v_add_u32_e32 v3, v1, v3
	v_lshrrev_b32_e32 v4, s9, v3
	v_mul_lo_u32 v3, v4, s10
	s_cmp_lg_u32 s8, 0
	v_sub_u32_e32 v3, v1, v3
	v_mad_u64_u32 v[0:1], s[10:11], v3, s12, v[0:1]
	v_mad_u64_u32 v[2:3], s[10:11], v3, s13, v[2:3]
	v_mov_b32_e32 v1, v4
	s_cbranch_scc1 .LBB5_214
.LBB5_215:
	s_cbranch_execnz .LBB5_218
.LBB5_216:
	v_mul_hi_u32 v0, s25, v19
	s_andn2_b64 vcc, exec, s[44:45]
	v_add_u32_e32 v0, v19, v0
	v_lshrrev_b32_e32 v1, s26, v0
	v_mul_lo_u32 v0, v1, s24
	v_sub_u32_e32 v2, v19, v0
	v_mul_lo_u32 v0, v2, s28
	v_mul_lo_u32 v2, v2, s29
	s_cbranch_vccnz .LBB5_218
; %bb.217:
	v_mul_hi_u32 v3, s42, v1
	v_add_u32_e32 v3, v1, v3
	v_lshrrev_b32_e32 v3, s43, v3
	v_mul_lo_u32 v3, v3, s27
	v_sub_u32_e32 v3, v1, v3
	v_mad_u64_u32 v[0:1], s[4:5], v3, s30, v[0:1]
	v_mad_u64_u32 v[2:3], s[4:5], v3, s31, v[2:3]
.LBB5_218:
	global_load_ubyte v1, v2, s[22:23]
	v_mov_b32_e32 v2, s57
	v_add_u32_e32 v19, 0x80, v19
	s_waitcnt vmcnt(0)
	v_cndmask_b32_e64 v1, v2, v1, s[0:1]
	global_store_byte v0, v1, s[20:21]
	s_or_b64 exec, exec, s[50:51]
	v_cmp_gt_i32_e32 vcc, s58, v19
	s_and_saveexec_b64 s[50:51], vcc
	s_cbranch_execnz .LBB5_204
.LBB5_219:
	s_or_b64 exec, exec, s[50:51]
	v_cmp_gt_i32_e32 vcc, s58, v19
	s_and_saveexec_b64 s[50:51], vcc
	s_cbranch_execnz .LBB5_230
.LBB5_220:
	s_or_b64 exec, exec, s[50:51]
                                        ; implicit-def: $vgpr25
                                        ; implicit-def: $vgpr19
	s_andn2_saveexec_b64 s[0:1], s[40:41]
	s_cbranch_execnz .LBB5_8
.LBB5_221:
	s_endpgm
.LBB5_222:
	s_mov_b32 s60, 0
	v_mov_b32_e32 v0, 0
	v_mov_b32_e32 v2, 0
	;; [unrolled: 1-line block ×3, first 2 shown]
.LBB5_223:
	s_and_b32 s8, s61, 3
	s_cmp_eq_u32 s8, 0
	s_cbranch_scc1 .LBB5_226
; %bb.224:
	s_lshl_b32 s4, s60, 3
	s_add_u32 s4, s34, s4
	s_addc_u32 s5, s35, 0
	s_add_u32 s4, s4, 0xc4
	s_addc_u32 s5, s5, 0
	s_mul_i32 s6, s60, 12
	s_add_u32 s6, s34, s6
	s_addc_u32 s7, s35, 0
.LBB5_225:                              ; =>This Inner Loop Header: Depth=1
	s_load_dwordx2 s[10:11], s[6:7], 0x4
	s_load_dword s9, s[6:7], 0xc
	s_load_dwordx2 s[12:13], s[4:5], 0x0
	s_add_u32 s6, s6, 12
	s_addc_u32 s7, s7, 0
	s_waitcnt lgkmcnt(0)
	v_mul_hi_u32 v3, s11, v1
	s_add_u32 s4, s4, 8
	s_addc_u32 s5, s5, 0
	s_add_i32 s8, s8, -1
	v_add_u32_e32 v3, v1, v3
	v_lshrrev_b32_e32 v4, s9, v3
	v_mul_lo_u32 v3, v4, s10
	s_cmp_lg_u32 s8, 0
	v_sub_u32_e32 v3, v1, v3
	v_mad_u64_u32 v[0:1], s[10:11], v3, s12, v[0:1]
	v_mad_u64_u32 v[2:3], s[10:11], v3, s13, v[2:3]
	v_mov_b32_e32 v1, v4
	s_cbranch_scc1 .LBB5_225
.LBB5_226:
	s_cbranch_execnz .LBB5_229
.LBB5_227:
	v_mul_hi_u32 v0, s25, v19
	s_andn2_b64 vcc, exec, s[44:45]
	v_add_u32_e32 v0, v19, v0
	v_lshrrev_b32_e32 v1, s26, v0
	v_mul_lo_u32 v0, v1, s24
	v_sub_u32_e32 v2, v19, v0
	v_mul_lo_u32 v0, v2, s28
	v_mul_lo_u32 v2, v2, s29
	s_cbranch_vccnz .LBB5_229
; %bb.228:
	v_mul_hi_u32 v3, s42, v1
	v_add_u32_e32 v3, v1, v3
	v_lshrrev_b32_e32 v3, s43, v3
	v_mul_lo_u32 v3, v3, s27
	v_sub_u32_e32 v3, v1, v3
	v_mad_u64_u32 v[0:1], s[4:5], v3, s30, v[0:1]
	v_mad_u64_u32 v[2:3], s[4:5], v3, s31, v[2:3]
.LBB5_229:
	global_load_ubyte v1, v2, s[22:23]
	v_mov_b32_e32 v2, s57
	v_add_u32_e32 v19, 0x80, v19
	s_waitcnt vmcnt(0)
	v_cndmask_b32_e64 v1, v2, v1, s[0:1]
	global_store_byte v0, v1, s[20:21]
	s_or_b64 exec, exec, s[50:51]
	v_cmp_gt_i32_e32 vcc, s58, v19
	s_and_saveexec_b64 s[50:51], vcc
	s_cbranch_execz .LBB5_220
.LBB5_230:
	s_andn2_b64 vcc, exec, s[2:3]
	s_cbranch_vccnz .LBB5_235
; %bb.231:
	s_andn2_b64 vcc, exec, s[48:49]
	s_cbranch_vccnz .LBB5_236
; %bb.232:
	s_add_i32 s59, s59, 1
	s_cmp_eq_u32 s56, 2
	s_cbranch_scc1 .LBB5_237
; %bb.233:
	s_and_b32 s52, s59, 28
	v_mov_b32_e32 v2, 0
	s_mov_b32 s53, 0
	s_mov_b64 s[48:49], s[34:35]
	v_mov_b32_e32 v0, 0
	v_mov_b32_e32 v1, v19
.LBB5_234:                              ; =>This Inner Loop Header: Depth=1
	s_load_dwordx8 s[12:19], s[48:49], 0x4
	s_load_dwordx4 s[36:39], s[48:49], 0x24
	s_load_dwordx8 s[4:11], s[46:47], 0x0
	s_add_u32 s48, s48, 48
	s_addc_u32 s49, s49, 0
	s_waitcnt lgkmcnt(0)
	v_mul_hi_u32 v3, s13, v1
	s_add_i32 s53, s53, 4
	s_add_u32 s46, s46, 32
	s_addc_u32 s47, s47, 0
	v_add_u32_e32 v3, v1, v3
	v_lshrrev_b32_e32 v3, s14, v3
	v_mul_lo_u32 v4, v3, s12
	v_mul_hi_u32 v5, s16, v3
	s_cmp_eq_u32 s52, s53
	v_sub_u32_e32 v1, v1, v4
	v_add_u32_e32 v4, v3, v5
	v_mul_lo_u32 v5, v1, s4
	v_mul_lo_u32 v6, v1, s5
	v_lshrrev_b32_e32 v1, s17, v4
	v_mul_lo_u32 v4, v1, s15
	v_mul_hi_u32 v7, s19, v1
	v_sub_u32_e32 v3, v3, v4
	v_add_u32_e32 v4, v1, v7
	v_lshrrev_b32_e32 v4, s36, v4
	v_mul_hi_u32 v8, s38, v4
	v_mul_lo_u32 v9, v4, s18
	v_mul_lo_u32 v7, v3, s6
	;; [unrolled: 1-line block ×3, first 2 shown]
	v_sub_u32_e32 v9, v1, v9
	v_add_u32_e32 v1, v4, v8
	v_lshrrev_b32_e32 v1, s39, v1
	v_mul_lo_u32 v8, v1, s37
	v_mul_lo_u32 v10, v9, s8
	;; [unrolled: 1-line block ×3, first 2 shown]
	v_add3_u32 v0, v5, v0, v7
	v_sub_u32_e32 v4, v4, v8
	v_mul_lo_u32 v8, v4, s10
	v_mul_lo_u32 v4, v4, s11
	v_add3_u32 v2, v6, v2, v3
	v_add3_u32 v0, v10, v0, v8
	;; [unrolled: 1-line block ×3, first 2 shown]
	s_cbranch_scc0 .LBB5_234
	s_branch .LBB5_238
.LBB5_235:
                                        ; implicit-def: $vgpr0
                                        ; implicit-def: $vgpr2
	s_branch .LBB5_242
.LBB5_236:
	v_mov_b32_e32 v0, 0
	v_mov_b32_e32 v2, 0
	s_branch .LBB5_241
.LBB5_237:
	s_mov_b32 s52, 0
	v_mov_b32_e32 v0, 0
	v_mov_b32_e32 v2, 0
	;; [unrolled: 1-line block ×3, first 2 shown]
.LBB5_238:
	s_and_b32 s8, s59, 3
	s_cmp_eq_u32 s8, 0
	s_cbranch_scc1 .LBB5_241
; %bb.239:
	s_lshl_b32 s4, s52, 3
	s_add_u32 s4, s34, s4
	s_addc_u32 s5, s35, 0
	s_add_u32 s4, s4, 0xc4
	s_addc_u32 s5, s5, 0
	s_mul_i32 s6, s52, 12
	s_add_u32 s6, s34, s6
	s_addc_u32 s7, s35, 0
.LBB5_240:                              ; =>This Inner Loop Header: Depth=1
	s_load_dwordx2 s[10:11], s[6:7], 0x4
	s_load_dword s9, s[6:7], 0xc
	s_load_dwordx2 s[12:13], s[4:5], 0x0
	s_add_u32 s6, s6, 12
	s_addc_u32 s7, s7, 0
	s_waitcnt lgkmcnt(0)
	v_mul_hi_u32 v3, s11, v1
	s_add_u32 s4, s4, 8
	s_addc_u32 s5, s5, 0
	s_add_i32 s8, s8, -1
	v_add_u32_e32 v3, v1, v3
	v_lshrrev_b32_e32 v4, s9, v3
	v_mul_lo_u32 v3, v4, s10
	s_cmp_lg_u32 s8, 0
	v_sub_u32_e32 v3, v1, v3
	v_mad_u64_u32 v[0:1], s[10:11], v3, s12, v[0:1]
	v_mad_u64_u32 v[2:3], s[10:11], v3, s13, v[2:3]
	v_mov_b32_e32 v1, v4
	s_cbranch_scc1 .LBB5_240
.LBB5_241:
	s_cbranch_execnz .LBB5_244
.LBB5_242:
	v_mul_hi_u32 v0, s25, v19
	s_andn2_b64 vcc, exec, s[44:45]
	v_add_u32_e32 v0, v19, v0
	v_lshrrev_b32_e32 v1, s26, v0
	v_mul_lo_u32 v0, v1, s24
	v_sub_u32_e32 v2, v19, v0
	v_mul_lo_u32 v0, v2, s28
	v_mul_lo_u32 v2, v2, s29
	s_cbranch_vccnz .LBB5_244
; %bb.243:
	v_mul_hi_u32 v3, s42, v1
	v_add_u32_e32 v3, v1, v3
	v_lshrrev_b32_e32 v3, s43, v3
	v_mul_lo_u32 v3, v3, s27
	v_sub_u32_e32 v3, v1, v3
	v_mad_u64_u32 v[0:1], s[4:5], v3, s30, v[0:1]
	v_mad_u64_u32 v[2:3], s[4:5], v3, s31, v[2:3]
.LBB5_244:
	global_load_ubyte v1, v2, s[22:23]
	v_mov_b32_e32 v2, s57
	s_waitcnt vmcnt(0)
	v_cndmask_b32_e64 v1, v2, v1, s[0:1]
	global_store_byte v0, v1, s[20:21]
	s_or_b64 exec, exec, s[50:51]
                                        ; implicit-def: $vgpr25
                                        ; implicit-def: $vgpr19
	s_andn2_saveexec_b64 s[0:1], s[40:41]
	s_cbranch_execz .LBB5_221
	s_branch .LBB5_8
	.section	.rodata,"a",@progbits
	.p2align	6, 0x0
	.amdhsa_kernel _ZN2at6native32elementwise_kernel_manual_unrollILi128ELi8EZNS0_22gpu_kernel_impl_nocastINS0_13AUnaryFunctorIhhhZNS0_12_GLOBAL__N_121threshold_kernel_implIhEEvRNS_18TensorIteratorBaseET_S8_EUlhhE_EEEEvS7_RKS8_EUlibE_EEviT1_
		.amdhsa_group_segment_fixed_size 0
		.amdhsa_private_segment_fixed_size 0
		.amdhsa_kernarg_size 360
		.amdhsa_user_sgpr_count 6
		.amdhsa_user_sgpr_private_segment_buffer 1
		.amdhsa_user_sgpr_dispatch_ptr 0
		.amdhsa_user_sgpr_queue_ptr 0
		.amdhsa_user_sgpr_kernarg_segment_ptr 1
		.amdhsa_user_sgpr_dispatch_id 0
		.amdhsa_user_sgpr_flat_scratch_init 0
		.amdhsa_user_sgpr_private_segment_size 0
		.amdhsa_uses_dynamic_stack 0
		.amdhsa_system_sgpr_private_segment_wavefront_offset 0
		.amdhsa_system_sgpr_workgroup_id_x 1
		.amdhsa_system_sgpr_workgroup_id_y 0
		.amdhsa_system_sgpr_workgroup_id_z 0
		.amdhsa_system_sgpr_workgroup_info 0
		.amdhsa_system_vgpr_workitem_id 0
		.amdhsa_next_free_vgpr 26
		.amdhsa_next_free_sgpr 63
		.amdhsa_reserve_vcc 1
		.amdhsa_reserve_flat_scratch 0
		.amdhsa_float_round_mode_32 0
		.amdhsa_float_round_mode_16_64 0
		.amdhsa_float_denorm_mode_32 3
		.amdhsa_float_denorm_mode_16_64 3
		.amdhsa_dx10_clamp 1
		.amdhsa_ieee_mode 1
		.amdhsa_fp16_overflow 0
		.amdhsa_exception_fp_ieee_invalid_op 0
		.amdhsa_exception_fp_denorm_src 0
		.amdhsa_exception_fp_ieee_div_zero 0
		.amdhsa_exception_fp_ieee_overflow 0
		.amdhsa_exception_fp_ieee_underflow 0
		.amdhsa_exception_fp_ieee_inexact 0
		.amdhsa_exception_int_div_zero 0
	.end_amdhsa_kernel
	.section	.text._ZN2at6native32elementwise_kernel_manual_unrollILi128ELi8EZNS0_22gpu_kernel_impl_nocastINS0_13AUnaryFunctorIhhhZNS0_12_GLOBAL__N_121threshold_kernel_implIhEEvRNS_18TensorIteratorBaseET_S8_EUlhhE_EEEEvS7_RKS8_EUlibE_EEviT1_,"axG",@progbits,_ZN2at6native32elementwise_kernel_manual_unrollILi128ELi8EZNS0_22gpu_kernel_impl_nocastINS0_13AUnaryFunctorIhhhZNS0_12_GLOBAL__N_121threshold_kernel_implIhEEvRNS_18TensorIteratorBaseET_S8_EUlhhE_EEEEvS7_RKS8_EUlibE_EEviT1_,comdat
.Lfunc_end5:
	.size	_ZN2at6native32elementwise_kernel_manual_unrollILi128ELi8EZNS0_22gpu_kernel_impl_nocastINS0_13AUnaryFunctorIhhhZNS0_12_GLOBAL__N_121threshold_kernel_implIhEEvRNS_18TensorIteratorBaseET_S8_EUlhhE_EEEEvS7_RKS8_EUlibE_EEviT1_, .Lfunc_end5-_ZN2at6native32elementwise_kernel_manual_unrollILi128ELi8EZNS0_22gpu_kernel_impl_nocastINS0_13AUnaryFunctorIhhhZNS0_12_GLOBAL__N_121threshold_kernel_implIhEEvRNS_18TensorIteratorBaseET_S8_EUlhhE_EEEEvS7_RKS8_EUlibE_EEviT1_
                                        ; -- End function
	.set _ZN2at6native32elementwise_kernel_manual_unrollILi128ELi8EZNS0_22gpu_kernel_impl_nocastINS0_13AUnaryFunctorIhhhZNS0_12_GLOBAL__N_121threshold_kernel_implIhEEvRNS_18TensorIteratorBaseET_S8_EUlhhE_EEEEvS7_RKS8_EUlibE_EEviT1_.num_vgpr, 26
	.set _ZN2at6native32elementwise_kernel_manual_unrollILi128ELi8EZNS0_22gpu_kernel_impl_nocastINS0_13AUnaryFunctorIhhhZNS0_12_GLOBAL__N_121threshold_kernel_implIhEEvRNS_18TensorIteratorBaseET_S8_EUlhhE_EEEEvS7_RKS8_EUlibE_EEviT1_.num_agpr, 0
	.set _ZN2at6native32elementwise_kernel_manual_unrollILi128ELi8EZNS0_22gpu_kernel_impl_nocastINS0_13AUnaryFunctorIhhhZNS0_12_GLOBAL__N_121threshold_kernel_implIhEEvRNS_18TensorIteratorBaseET_S8_EUlhhE_EEEEvS7_RKS8_EUlibE_EEviT1_.numbered_sgpr, 63
	.set _ZN2at6native32elementwise_kernel_manual_unrollILi128ELi8EZNS0_22gpu_kernel_impl_nocastINS0_13AUnaryFunctorIhhhZNS0_12_GLOBAL__N_121threshold_kernel_implIhEEvRNS_18TensorIteratorBaseET_S8_EUlhhE_EEEEvS7_RKS8_EUlibE_EEviT1_.num_named_barrier, 0
	.set _ZN2at6native32elementwise_kernel_manual_unrollILi128ELi8EZNS0_22gpu_kernel_impl_nocastINS0_13AUnaryFunctorIhhhZNS0_12_GLOBAL__N_121threshold_kernel_implIhEEvRNS_18TensorIteratorBaseET_S8_EUlhhE_EEEEvS7_RKS8_EUlibE_EEviT1_.private_seg_size, 0
	.set _ZN2at6native32elementwise_kernel_manual_unrollILi128ELi8EZNS0_22gpu_kernel_impl_nocastINS0_13AUnaryFunctorIhhhZNS0_12_GLOBAL__N_121threshold_kernel_implIhEEvRNS_18TensorIteratorBaseET_S8_EUlhhE_EEEEvS7_RKS8_EUlibE_EEviT1_.uses_vcc, 1
	.set _ZN2at6native32elementwise_kernel_manual_unrollILi128ELi8EZNS0_22gpu_kernel_impl_nocastINS0_13AUnaryFunctorIhhhZNS0_12_GLOBAL__N_121threshold_kernel_implIhEEvRNS_18TensorIteratorBaseET_S8_EUlhhE_EEEEvS7_RKS8_EUlibE_EEviT1_.uses_flat_scratch, 0
	.set _ZN2at6native32elementwise_kernel_manual_unrollILi128ELi8EZNS0_22gpu_kernel_impl_nocastINS0_13AUnaryFunctorIhhhZNS0_12_GLOBAL__N_121threshold_kernel_implIhEEvRNS_18TensorIteratorBaseET_S8_EUlhhE_EEEEvS7_RKS8_EUlibE_EEviT1_.has_dyn_sized_stack, 0
	.set _ZN2at6native32elementwise_kernel_manual_unrollILi128ELi8EZNS0_22gpu_kernel_impl_nocastINS0_13AUnaryFunctorIhhhZNS0_12_GLOBAL__N_121threshold_kernel_implIhEEvRNS_18TensorIteratorBaseET_S8_EUlhhE_EEEEvS7_RKS8_EUlibE_EEviT1_.has_recursion, 0
	.set _ZN2at6native32elementwise_kernel_manual_unrollILi128ELi8EZNS0_22gpu_kernel_impl_nocastINS0_13AUnaryFunctorIhhhZNS0_12_GLOBAL__N_121threshold_kernel_implIhEEvRNS_18TensorIteratorBaseET_S8_EUlhhE_EEEEvS7_RKS8_EUlibE_EEviT1_.has_indirect_call, 0
	.section	.AMDGPU.csdata,"",@progbits
; Kernel info:
; codeLenInByte = 11312
; TotalNumSgprs: 67
; NumVgprs: 26
; ScratchSize: 0
; MemoryBound: 0
; FloatMode: 240
; IeeeMode: 1
; LDSByteSize: 0 bytes/workgroup (compile time only)
; SGPRBlocks: 8
; VGPRBlocks: 6
; NumSGPRsForWavesPerEU: 67
; NumVGPRsForWavesPerEU: 26
; Occupancy: 9
; WaveLimiterHint : 1
; COMPUTE_PGM_RSRC2:SCRATCH_EN: 0
; COMPUTE_PGM_RSRC2:USER_SGPR: 6
; COMPUTE_PGM_RSRC2:TRAP_HANDLER: 0
; COMPUTE_PGM_RSRC2:TGID_X_EN: 1
; COMPUTE_PGM_RSRC2:TGID_Y_EN: 0
; COMPUTE_PGM_RSRC2:TGID_Z_EN: 0
; COMPUTE_PGM_RSRC2:TIDIG_COMP_CNT: 0
	.section	.text._ZN2at6native32elementwise_kernel_manual_unrollILi128ELi4EZNS0_15gpu_kernel_implINS0_13AUnaryFunctorIhhhZNS0_12_GLOBAL__N_121threshold_kernel_implIhEEvRNS_18TensorIteratorBaseET_S8_EUlhhE_EEEEvS7_RKS8_EUlibE_EEviT1_,"axG",@progbits,_ZN2at6native32elementwise_kernel_manual_unrollILi128ELi4EZNS0_15gpu_kernel_implINS0_13AUnaryFunctorIhhhZNS0_12_GLOBAL__N_121threshold_kernel_implIhEEvRNS_18TensorIteratorBaseET_S8_EUlhhE_EEEEvS7_RKS8_EUlibE_EEviT1_,comdat
	.globl	_ZN2at6native32elementwise_kernel_manual_unrollILi128ELi4EZNS0_15gpu_kernel_implINS0_13AUnaryFunctorIhhhZNS0_12_GLOBAL__N_121threshold_kernel_implIhEEvRNS_18TensorIteratorBaseET_S8_EUlhhE_EEEEvS7_RKS8_EUlibE_EEviT1_ ; -- Begin function _ZN2at6native32elementwise_kernel_manual_unrollILi128ELi4EZNS0_15gpu_kernel_implINS0_13AUnaryFunctorIhhhZNS0_12_GLOBAL__N_121threshold_kernel_implIhEEvRNS_18TensorIteratorBaseET_S8_EUlhhE_EEEEvS7_RKS8_EUlibE_EEviT1_
	.p2align	8
	.type	_ZN2at6native32elementwise_kernel_manual_unrollILi128ELi4EZNS0_15gpu_kernel_implINS0_13AUnaryFunctorIhhhZNS0_12_GLOBAL__N_121threshold_kernel_implIhEEvRNS_18TensorIteratorBaseET_S8_EUlhhE_EEEEvS7_RKS8_EUlibE_EEviT1_,@function
_ZN2at6native32elementwise_kernel_manual_unrollILi128ELi4EZNS0_15gpu_kernel_implINS0_13AUnaryFunctorIhhhZNS0_12_GLOBAL__N_121threshold_kernel_implIhEEvRNS_18TensorIteratorBaseET_S8_EUlhhE_EEEEvS7_RKS8_EUlibE_EEviT1_: ; @_ZN2at6native32elementwise_kernel_manual_unrollILi128ELi4EZNS0_15gpu_kernel_implINS0_13AUnaryFunctorIhhhZNS0_12_GLOBAL__N_121threshold_kernel_implIhEEvRNS_18TensorIteratorBaseET_S8_EUlhhE_EEEEvS7_RKS8_EUlibE_EEviT1_
; %bb.0:
	s_load_dwordx8 s[8:15], s[4:5], 0x8
	s_load_dword s44, s[4:5], 0x0
	v_lshl_or_b32 v7, s6, 9, v0
	v_or_b32_e32 v0, 0x180, v7
	s_mov_b64 s[6:7], 0
	s_waitcnt lgkmcnt(0)
	s_lshr_b32 s33, s14, 8
	s_lshr_b32 s48, s14, 16
	s_lshr_b64 s[4:5], s[14:15], 24
	v_cmp_le_i32_e32 vcc, s44, v0
	s_mov_b64 s[18:19], 0
	s_and_saveexec_b64 s[0:1], vcc
	s_xor_b64 s[16:17], exec, s[0:1]
	s_cbranch_execz .LBB6_1011
; %bb.1:
	s_and_b32 s0, s14, 0xff
	s_and_b32 s1, s48, 0xff
	s_cmp_gt_u32 s1, s0
	s_cselect_b64 s[0:1], -1, 0
	v_cmp_gt_i32_e32 vcc, s44, v7
	s_mov_b64 s[2:3], -1
	s_mov_b64 s[26:27], 0
	s_mov_b64 s[20:21], 0
	s_and_saveexec_b64 s[22:23], vcc
	s_cbranch_execz .LBB6_248
; %bb.2:
	v_mul_lo_u32 v0, v7, s13
	v_mov_b32_e32 v1, s11
	s_and_b32 s5, s15, 0xff
	s_cmp_lt_i32 s5, 11
	v_ashrrev_i32_e32 v2, 31, v0
	v_add_co_u32_e32 v0, vcc, s10, v0
	v_addc_co_u32_e32 v1, vcc, v1, v2, vcc
	s_cbranch_scc1 .LBB6_9
; %bb.3:
	s_and_b32 s24, 0xffff, s5
	s_cmp_gt_i32 s24, 25
	s_cbranch_scc0 .LBB6_18
; %bb.4:
	s_cmp_gt_i32 s24, 28
	s_cbranch_scc0 .LBB6_22
; %bb.5:
	;; [unrolled: 3-line block ×4, first 2 shown]
	s_cmp_eq_u32 s24, 46
	s_cbranch_scc0 .LBB6_28
; %bb.8:
	global_load_dword v2, v[0:1], off
	s_mov_b32 s2, 0x2f800000
	s_mov_b32 s3, 0xcf800000
	s_waitcnt vmcnt(0)
	v_lshlrev_b32_e32 v2, 16, v2
	v_trunc_f32_e32 v2, v2
	v_mul_f32_e64 v3, |v2|, s2
	v_floor_f32_e32 v3, v3
	v_fma_f32 v3, v3, s3, |v2|
	v_cvt_u32_f32_e32 v3, v3
	v_ashrrev_i32_e32 v2, 31, v2
	s_mov_b64 s[2:3], -1
	v_xor_b32_e32 v3, v3, v2
	v_sub_u32_e32 v2, v3, v2
	s_branch .LBB6_30
.LBB6_9:
                                        ; implicit-def: $vgpr2
	s_mov_b64 s[2:3], 0
	s_cbranch_execnz .LBB6_199
.LBB6_10:
	s_andn2_b64 vcc, exec, s[2:3]
	s_cbranch_vccnz .LBB6_246
.LBB6_11:
	v_mul_lo_u32 v0, v7, s12
	v_mov_b32_e32 v1, s33
	s_waitcnt vmcnt(0)
	v_mov_b32_e32 v3, s9
	v_cndmask_b32_e64 v2, v1, v2, s[0:1]
	v_ashrrev_i32_e32 v1, 31, v0
	s_and_b32 s5, s4, 0xff
	v_add_co_u32_e32 v0, vcc, s8, v0
	s_cmp_lt_i32 s5, 11
	v_addc_co_u32_e32 v1, vcc, v3, v1, vcc
	s_cbranch_scc1 .LBB6_19
; %bb.12:
	s_and_b32 s30, 0xffff, s5
	s_cmp_gt_i32 s30, 25
	s_cbranch_scc0 .LBB6_23
; %bb.13:
	s_cmp_gt_i32 s30, 28
	s_cbranch_scc0 .LBB6_25
; %bb.14:
	;; [unrolled: 3-line block ×4, first 2 shown]
	s_mov_b64 s[24:25], 0
	s_mov_b64 s[2:3], -1
	s_cmp_eq_u32 s30, 46
	s_mov_b64 s[18:19], 0
	s_cbranch_scc0 .LBB6_34
; %bb.17:
	v_cvt_f32_ubyte0_e32 v3, v2
	v_bfe_u32 v4, v3, 16, 1
	s_movk_i32 s2, 0x7fff
	v_add3_u32 v3, v3, v4, s2
	v_lshrrev_b32_e32 v3, 16, v3
	global_store_dword v[0:1], v3, off
	s_mov_b64 s[18:19], -1
	s_mov_b64 s[2:3], 0
	s_branch .LBB6_34
.LBB6_18:
	s_mov_b64 s[2:3], 0
                                        ; implicit-def: $vgpr2
	s_cbranch_execnz .LBB6_166
	s_branch .LBB6_198
.LBB6_19:
	s_mov_b64 s[2:3], 0
	s_mov_b64 s[18:19], 0
	s_cbranch_execnz .LBB6_103
.LBB6_20:
	s_andn2_b64 vcc, exec, s[18:19]
	s_cbranch_vccnz .LBB6_141
.LBB6_21:
	v_add_u32_e32 v7, 0x80, v7
	s_mov_b64 s[24:25], -1
	s_branch .LBB6_247
.LBB6_22:
	s_mov_b64 s[18:19], -1
	s_mov_b64 s[2:3], 0
                                        ; implicit-def: $vgpr2
	s_branch .LBB6_149
.LBB6_23:
	s_mov_b64 s[24:25], -1
	s_mov_b64 s[2:3], 0
	s_mov_b64 s[18:19], 0
	s_branch .LBB6_61
.LBB6_24:
	s_mov_b64 s[18:19], -1
	s_mov_b64 s[2:3], 0
                                        ; implicit-def: $vgpr2
	s_branch .LBB6_144
.LBB6_25:
	s_mov_b64 s[24:25], -1
	s_mov_b64 s[2:3], 0
	s_mov_b64 s[18:19], 0
	s_branch .LBB6_44
.LBB6_26:
	s_mov_b64 s[18:19], -1
	s_branch .LBB6_29
.LBB6_27:
	s_mov_b64 s[24:25], -1
	s_mov_b64 s[2:3], 0
	s_mov_b64 s[18:19], 0
	s_branch .LBB6_40
.LBB6_28:
	s_mov_b64 s[20:21], -1
.LBB6_29:
	s_mov_b64 s[2:3], 0
                                        ; implicit-def: $vgpr2
.LBB6_30:
	s_and_b64 vcc, exec, s[18:19]
	s_cbranch_vccz .LBB6_143
; %bb.31:
	s_cmp_eq_u32 s24, 44
	s_cbranch_scc0 .LBB6_142
; %bb.32:
	global_load_ubyte v2, v[0:1], off
	s_mov_b32 s2, 0x2f800000
	s_mov_b32 s3, 0xcf800000
	s_mov_b64 s[20:21], 0
	s_waitcnt vmcnt(0)
	v_lshlrev_b32_e32 v3, 23, v2
	v_trunc_f32_e32 v3, v3
	v_mul_f32_e64 v4, |v3|, s2
	v_floor_f32_e32 v4, v4
	v_fma_f32 v4, v4, s3, |v3|
	v_cvt_u32_f32_e32 v4, v4
	v_ashrrev_i32_e32 v3, 31, v3
	v_cmp_ne_u32_e32 vcc, 0, v2
	s_mov_b64 s[2:3], -1
	v_xor_b32_e32 v4, v4, v3
	v_sub_u32_e32 v3, v4, v3
	v_cndmask_b32_e32 v2, 0, v3, vcc
	s_branch .LBB6_143
.LBB6_33:
	s_mov_b64 s[24:25], -1
	s_mov_b64 s[2:3], 0
	s_mov_b64 s[18:19], 0
.LBB6_34:
	s_and_b64 vcc, exec, s[24:25]
	s_cbranch_vccz .LBB6_39
; %bb.35:
	s_cmp_eq_u32 s30, 44
	s_mov_b64 s[2:3], -1
	s_cbranch_scc0 .LBB6_39
; %bb.36:
	v_cvt_f32_ubyte0_e32 v4, v2
	v_lshrrev_b32_e32 v3, 23, v4
	s_movk_i32 s2, 0xff
	v_cmp_ne_u32_e32 vcc, s2, v3
	v_mov_b32_e32 v5, 0xff
	s_and_saveexec_b64 s[18:19], vcc
; %bb.37:
	s_mov_b32 s2, 0x3fffff
	v_and_b32_e32 v5, 0x400000, v4
	v_and_or_b32 v4, v4, s2, v3
	v_cmp_ne_u32_e32 vcc, 0, v5
	v_cmp_ne_u32_e64 s[2:3], 0, v4
	s_and_b64 s[2:3], vcc, s[2:3]
	v_cndmask_b32_e64 v4, 0, 1, s[2:3]
	v_add_u32_e32 v5, v3, v4
; %bb.38:
	s_or_b64 exec, exec, s[18:19]
	s_mov_b64 s[18:19], -1
	s_mov_b64 s[2:3], 0
	global_store_byte v[0:1], v5, off
.LBB6_39:
	s_mov_b64 s[24:25], 0
.LBB6_40:
	s_and_b64 vcc, exec, s[24:25]
	s_cbranch_vccz .LBB6_43
; %bb.41:
	s_cmp_eq_u32 s30, 29
	s_mov_b64 s[2:3], -1
	s_cbranch_scc0 .LBB6_43
; %bb.42:
	v_and_b32_e32 v3, 0xff, v2
	v_mov_b32_e32 v4, 0
	global_store_dwordx2 v[0:1], v[3:4], off
	s_mov_b64 s[18:19], -1
	s_mov_b64 s[2:3], 0
.LBB6_43:
	s_mov_b64 s[24:25], 0
.LBB6_44:
	s_and_b64 vcc, exec, s[24:25]
	s_cbranch_vccz .LBB6_60
; %bb.45:
	s_cmp_lt_i32 s30, 27
	s_mov_b64 s[18:19], -1
	s_cbranch_scc1 .LBB6_51
; %bb.46:
	s_cmp_gt_i32 s30, 27
	s_cbranch_scc0 .LBB6_48
; %bb.47:
	v_and_b32_e32 v3, 0xff, v2
	s_mov_b64 s[18:19], 0
	global_store_dword v[0:1], v3, off
.LBB6_48:
	s_andn2_b64 vcc, exec, s[18:19]
	s_cbranch_vccnz .LBB6_50
; %bb.49:
	v_and_b32_e32 v3, 0xff, v2
	global_store_short v[0:1], v3, off
.LBB6_50:
	s_mov_b64 s[18:19], 0
.LBB6_51:
	s_andn2_b64 vcc, exec, s[18:19]
	s_cbranch_vccnz .LBB6_59
; %bb.52:
	v_cvt_f32_ubyte0_e32 v4, v2
	s_mov_b32 s18, 0x43800000
	v_cmp_gt_u32_e32 vcc, s18, v4
	v_mov_b32_e32 v5, 0x80
	s_and_saveexec_b64 s[18:19], vcc
	s_cbranch_execz .LBB6_58
; %bb.53:
	s_mov_b32 s24, 0x3bffffff
	v_cmp_lt_u32_e32 vcc, s24, v4
	s_mov_b64 s[24:25], 0
                                        ; implicit-def: $vgpr3
	s_and_saveexec_b64 s[28:29], vcc
	s_xor_b64 s[28:29], exec, s[28:29]
	s_cbranch_execz .LBB6_275
; %bb.54:
	v_bfe_u32 v3, v4, 20, 1
	s_mov_b32 s31, 0x487ffff
	v_add3_u32 v3, v4, v3, s31
	s_mov_b64 s[24:25], exec
	v_lshrrev_b32_e32 v3, 20, v3
                                        ; implicit-def: $vgpr4
	s_andn2_saveexec_b64 s[28:29], s[28:29]
	s_cbranch_execnz .LBB6_276
.LBB6_55:
	s_or_b64 exec, exec, s[28:29]
	v_mov_b32_e32 v5, 0
	s_and_saveexec_b64 s[28:29], s[24:25]
.LBB6_56:
	v_mov_b32_e32 v5, v3
.LBB6_57:
	s_or_b64 exec, exec, s[28:29]
.LBB6_58:
	s_or_b64 exec, exec, s[18:19]
	global_store_byte v[0:1], v5, off
.LBB6_59:
	s_mov_b64 s[18:19], -1
.LBB6_60:
	s_mov_b64 s[24:25], 0
.LBB6_61:
	s_and_b64 vcc, exec, s[24:25]
	s_cbranch_vccz .LBB6_102
; %bb.62:
	s_cmp_gt_i32 s30, 22
	s_mov_b64 s[24:25], -1
	s_cbranch_scc0 .LBB6_94
; %bb.63:
	s_cmp_lt_i32 s30, 24
	s_mov_b64 s[18:19], -1
	s_cbranch_scc1 .LBB6_83
; %bb.64:
	s_cmp_gt_i32 s30, 24
	s_cbranch_scc0 .LBB6_72
; %bb.65:
	v_cvt_f32_ubyte0_e32 v4, v2
	s_mov_b32 s18, 0x47800000
	v_cmp_gt_u32_e32 vcc, s18, v4
	v_mov_b32_e32 v5, 0x80
	s_and_saveexec_b64 s[18:19], vcc
	s_cbranch_execz .LBB6_71
; %bb.66:
	s_mov_b32 s24, 0x37ffffff
	v_cmp_lt_u32_e32 vcc, s24, v4
	s_mov_b64 s[24:25], 0
                                        ; implicit-def: $vgpr3
	s_and_saveexec_b64 s[28:29], vcc
	s_xor_b64 s[28:29], exec, s[28:29]
	s_cbranch_execz .LBB6_279
; %bb.67:
	v_bfe_u32 v3, v4, 21, 1
	s_mov_b32 s31, 0x88fffff
	v_add3_u32 v3, v4, v3, s31
	s_mov_b64 s[24:25], exec
	v_lshrrev_b32_e32 v3, 21, v3
                                        ; implicit-def: $vgpr4
	s_andn2_saveexec_b64 s[28:29], s[28:29]
	s_cbranch_execnz .LBB6_280
.LBB6_68:
	s_or_b64 exec, exec, s[28:29]
	v_mov_b32_e32 v5, 0
	s_and_saveexec_b64 s[28:29], s[24:25]
.LBB6_69:
	v_mov_b32_e32 v5, v3
.LBB6_70:
	s_or_b64 exec, exec, s[28:29]
.LBB6_71:
	s_or_b64 exec, exec, s[18:19]
	s_mov_b64 s[18:19], 0
	global_store_byte v[0:1], v5, off
.LBB6_72:
	s_and_b64 vcc, exec, s[18:19]
	s_cbranch_vccz .LBB6_82
; %bb.73:
	v_cvt_f32_ubyte0_e32 v3, v2
	s_mov_b32 s18, 0x43f00000
	v_cmp_gt_u32_e32 vcc, s18, v3
                                        ; implicit-def: $vgpr4
	s_and_saveexec_b64 s[18:19], vcc
	s_xor_b64 s[18:19], exec, s[18:19]
	s_cbranch_execz .LBB6_79
; %bb.74:
	s_mov_b32 s24, 0x3c7fffff
	v_cmp_lt_u32_e32 vcc, s24, v3
                                        ; implicit-def: $vgpr4
	s_and_saveexec_b64 s[24:25], vcc
	s_xor_b64 s[24:25], exec, s[24:25]
; %bb.75:
	v_bfe_u32 v4, v3, 20, 1
	s_mov_b32 s28, 0x407ffff
	v_add3_u32 v3, v3, v4, s28
	v_lshrrev_b32_e32 v4, 20, v3
	v_and_b32_e32 v3, 0xff00000, v3
	s_mov_b32 s28, 0x7f00000
	v_mov_b32_e32 v5, 0x7e
	v_cmp_ne_u32_e32 vcc, s28, v3
	v_cndmask_b32_e32 v4, v5, v4, vcc
                                        ; implicit-def: $vgpr3
; %bb.76:
	s_andn2_saveexec_b64 s[24:25], s[24:25]
; %bb.77:
	v_add_f32_e32 v4, 0x46800000, v3
; %bb.78:
	s_or_b64 exec, exec, s[24:25]
                                        ; implicit-def: $vgpr3
.LBB6_79:
	s_andn2_saveexec_b64 s[18:19], s[18:19]
; %bb.80:
	s_mov_b32 s24, 0x7f800000
	v_mov_b32_e32 v4, 0x7e
	v_mov_b32_e32 v5, 0x7f
	v_cmp_lt_u32_e32 vcc, s24, v3
	v_cndmask_b32_e32 v4, v4, v5, vcc
; %bb.81:
	s_or_b64 exec, exec, s[18:19]
	global_store_byte v[0:1], v4, off
.LBB6_82:
	s_mov_b64 s[18:19], 0
.LBB6_83:
	s_andn2_b64 vcc, exec, s[18:19]
	s_cbranch_vccnz .LBB6_93
; %bb.84:
	v_cvt_f32_ubyte0_e32 v3, v2
	s_mov_b32 s18, 0x47800000
	v_cmp_gt_u32_e32 vcc, s18, v3
                                        ; implicit-def: $vgpr4
	s_and_saveexec_b64 s[18:19], vcc
	s_xor_b64 s[18:19], exec, s[18:19]
	s_cbranch_execz .LBB6_90
; %bb.85:
	s_mov_b32 s24, 0x387fffff
	v_cmp_lt_u32_e32 vcc, s24, v3
                                        ; implicit-def: $vgpr4
	s_and_saveexec_b64 s[24:25], vcc
	s_xor_b64 s[24:25], exec, s[24:25]
; %bb.86:
	v_bfe_u32 v4, v3, 21, 1
	s_mov_b32 s28, 0x80fffff
	v_add3_u32 v3, v3, v4, s28
	v_lshrrev_b32_e32 v4, 21, v3
                                        ; implicit-def: $vgpr3
; %bb.87:
	s_andn2_saveexec_b64 s[24:25], s[24:25]
; %bb.88:
	v_add_f32_e32 v4, 0x43000000, v3
; %bb.89:
	s_or_b64 exec, exec, s[24:25]
                                        ; implicit-def: $vgpr3
.LBB6_90:
	s_andn2_saveexec_b64 s[18:19], s[18:19]
; %bb.91:
	s_mov_b32 s24, 0x7f800000
	v_mov_b32_e32 v4, 0x7c
	v_mov_b32_e32 v5, 0x7f
	v_cmp_lt_u32_e32 vcc, s24, v3
	v_cndmask_b32_e32 v4, v4, v5, vcc
; %bb.92:
	s_or_b64 exec, exec, s[18:19]
	global_store_byte v[0:1], v4, off
.LBB6_93:
	s_mov_b64 s[24:25], 0
	s_mov_b64 s[18:19], -1
.LBB6_94:
	s_andn2_b64 vcc, exec, s[24:25]
	s_cbranch_vccnz .LBB6_102
; %bb.95:
	s_cmp_gt_i32 s30, 14
	s_mov_b64 s[24:25], -1
	s_cbranch_scc0 .LBB6_99
; %bb.96:
	s_cmp_eq_u32 s30, 15
	s_mov_b64 s[2:3], -1
	s_cbranch_scc0 .LBB6_98
; %bb.97:
	v_cvt_f32_ubyte0_e32 v3, v2
	v_bfe_u32 v4, v3, 16, 1
	s_movk_i32 s2, 0x7fff
	v_add3_u32 v3, v3, v4, s2
	global_store_short_d16_hi v[0:1], v3, off
	s_mov_b64 s[18:19], -1
	s_mov_b64 s[2:3], 0
.LBB6_98:
	s_mov_b64 s[24:25], 0
.LBB6_99:
	s_and_b64 vcc, exec, s[24:25]
	s_cbranch_vccz .LBB6_102
; %bb.100:
	s_cmp_eq_u32 s30, 11
	s_mov_b64 s[2:3], -1
	s_cbranch_scc0 .LBB6_102
; %bb.101:
	v_mov_b32_e32 v3, 0
	v_cmp_ne_u16_sdwa s[2:3], v2, v3 src0_sel:BYTE_0 src1_sel:DWORD
	v_cndmask_b32_e64 v3, 0, 1, s[2:3]
	s_mov_b64 s[18:19], -1
	s_mov_b64 s[2:3], 0
	global_store_byte v[0:1], v3, off
.LBB6_102:
	s_branch .LBB6_20
.LBB6_103:
	s_and_b32 s5, 0xffff, s5
	s_cmp_lt_i32 s5, 5
	s_mov_b64 s[18:19], -1
	s_cbranch_scc1 .LBB6_124
; %bb.104:
	s_cmp_lt_i32 s5, 8
	s_cbranch_scc1 .LBB6_114
; %bb.105:
	s_cmp_lt_i32 s5, 9
	s_cbranch_scc1 .LBB6_111
; %bb.106:
	s_cmp_gt_i32 s5, 9
	s_cbranch_scc0 .LBB6_108
; %bb.107:
	s_mov_b32 s18, 0xffff
	v_and_b32_sdwa v3, s18, v2 dst_sel:DWORD dst_unused:UNUSED_PAD src0_sel:DWORD src1_sel:BYTE_0
	v_cvt_f64_u32_e32 v[3:4], v3
	v_mov_b32_e32 v5, 0
	v_mov_b32_e32 v6, v5
	s_mov_b64 s[18:19], 0
	global_store_dwordx4 v[0:1], v[3:6], off
.LBB6_108:
	s_andn2_b64 vcc, exec, s[18:19]
	s_cbranch_vccnz .LBB6_110
; %bb.109:
	v_cvt_f32_ubyte0_e32 v3, v2
	v_mov_b32_e32 v4, 0
	global_store_dwordx2 v[0:1], v[3:4], off
.LBB6_110:
	s_mov_b64 s[18:19], 0
.LBB6_111:
	s_andn2_b64 vcc, exec, s[18:19]
	s_cbranch_vccnz .LBB6_113
; %bb.112:
	v_cvt_f16_u16_sdwa v3, v2 dst_sel:DWORD dst_unused:UNUSED_PAD src0_sel:BYTE_0
	global_store_dword v[0:1], v3, off
.LBB6_113:
	s_mov_b64 s[18:19], 0
.LBB6_114:
	s_andn2_b64 vcc, exec, s[18:19]
	s_cbranch_vccnz .LBB6_123
; %bb.115:
	s_cmp_lt_i32 s5, 6
	s_mov_b64 s[18:19], -1
	s_cbranch_scc1 .LBB6_121
; %bb.116:
	s_cmp_gt_i32 s5, 6
	s_cbranch_scc0 .LBB6_118
; %bb.117:
	s_mov_b32 s18, 0xffff
	v_and_b32_sdwa v3, s18, v2 dst_sel:DWORD dst_unused:UNUSED_PAD src0_sel:DWORD src1_sel:BYTE_0
	v_cvt_f64_u32_e32 v[3:4], v3
	s_mov_b64 s[18:19], 0
	global_store_dwordx2 v[0:1], v[3:4], off
.LBB6_118:
	s_andn2_b64 vcc, exec, s[18:19]
	s_cbranch_vccnz .LBB6_120
; %bb.119:
	v_cvt_f32_ubyte0_e32 v3, v2
	global_store_dword v[0:1], v3, off
.LBB6_120:
	s_mov_b64 s[18:19], 0
.LBB6_121:
	s_andn2_b64 vcc, exec, s[18:19]
	s_cbranch_vccnz .LBB6_123
; %bb.122:
	v_cvt_f16_u16_sdwa v3, v2 dst_sel:DWORD dst_unused:UNUSED_PAD src0_sel:BYTE_0
	global_store_short v[0:1], v3, off
.LBB6_123:
	s_mov_b64 s[18:19], 0
.LBB6_124:
	s_andn2_b64 vcc, exec, s[18:19]
	s_cbranch_vccnz .LBB6_140
; %bb.125:
	s_cmp_lt_i32 s5, 2
	s_mov_b64 s[18:19], -1
	s_cbranch_scc1 .LBB6_135
; %bb.126:
	s_cmp_lt_i32 s5, 3
	s_cbranch_scc1 .LBB6_132
; %bb.127:
	s_cmp_gt_i32 s5, 3
	s_cbranch_scc0 .LBB6_129
; %bb.128:
	v_and_b32_e32 v3, 0xff, v2
	v_mov_b32_e32 v4, 0
	global_store_dwordx2 v[0:1], v[3:4], off
	s_mov_b64 s[18:19], 0
.LBB6_129:
	s_andn2_b64 vcc, exec, s[18:19]
	s_cbranch_vccnz .LBB6_131
; %bb.130:
	v_and_b32_e32 v3, 0xff, v2
	global_store_dword v[0:1], v3, off
.LBB6_131:
	s_mov_b64 s[18:19], 0
.LBB6_132:
	s_andn2_b64 vcc, exec, s[18:19]
	s_cbranch_vccnz .LBB6_134
; %bb.133:
	v_and_b32_e32 v3, 0xff, v2
	global_store_short v[0:1], v3, off
.LBB6_134:
	s_mov_b64 s[18:19], 0
.LBB6_135:
	s_andn2_b64 vcc, exec, s[18:19]
	s_cbranch_vccnz .LBB6_140
; %bb.136:
	s_cmp_gt_i32 s5, 0
	s_mov_b64 s[18:19], -1
	s_cbranch_scc0 .LBB6_138
; %bb.137:
	global_store_byte v[0:1], v2, off
	s_mov_b64 s[18:19], 0
.LBB6_138:
	s_andn2_b64 vcc, exec, s[18:19]
	s_cbranch_vccnz .LBB6_140
; %bb.139:
	global_store_byte v[0:1], v2, off
.LBB6_140:
	s_branch .LBB6_21
.LBB6_141:
	s_mov_b64 s[24:25], 0
                                        ; implicit-def: $vgpr7
	s_branch .LBB6_247
.LBB6_142:
	s_mov_b64 s[20:21], -1
                                        ; implicit-def: $vgpr2
.LBB6_143:
	s_mov_b64 s[18:19], 0
.LBB6_144:
	s_and_b64 vcc, exec, s[18:19]
	s_cbranch_vccz .LBB6_148
; %bb.145:
	s_cmp_eq_u32 s24, 29
	s_cbranch_scc0 .LBB6_147
; %bb.146:
	global_load_dwordx2 v[2:3], v[0:1], off
	s_mov_b64 s[2:3], -1
	s_mov_b64 s[20:21], 0
	s_branch .LBB6_148
.LBB6_147:
	s_mov_b64 s[20:21], -1
                                        ; implicit-def: $vgpr2
.LBB6_148:
	s_mov_b64 s[18:19], 0
.LBB6_149:
	s_and_b64 vcc, exec, s[18:19]
	s_cbranch_vccz .LBB6_165
; %bb.150:
	s_cmp_lt_i32 s24, 27
	s_cbranch_scc1 .LBB6_153
; %bb.151:
	s_cmp_gt_i32 s24, 27
	s_cbranch_scc0 .LBB6_154
; %bb.152:
	global_load_dword v2, v[0:1], off
	s_mov_b64 s[2:3], 0
	s_branch .LBB6_155
.LBB6_153:
	s_mov_b64 s[2:3], -1
                                        ; implicit-def: $vgpr2
	s_branch .LBB6_158
.LBB6_154:
	s_mov_b64 s[2:3], -1
                                        ; implicit-def: $vgpr2
.LBB6_155:
	s_andn2_b64 vcc, exec, s[2:3]
	s_cbranch_vccnz .LBB6_157
; %bb.156:
	global_load_ushort v2, v[0:1], off
.LBB6_157:
	s_mov_b64 s[2:3], 0
.LBB6_158:
	s_andn2_b64 vcc, exec, s[2:3]
	s_cbranch_vccnz .LBB6_164
; %bb.159:
	global_load_ubyte v3, v[0:1], off
	s_movk_i32 s2, 0x7f
	s_mov_b64 s[18:19], 0
	s_waitcnt vmcnt(0)
	v_cmp_lt_i16_e32 vcc, s2, v3
	s_and_saveexec_b64 s[2:3], vcc
	s_xor_b64 s[2:3], exec, s[2:3]
	s_cbranch_execz .LBB6_175
; %bb.160:
	s_movk_i32 s18, 0x80
	v_cmp_ne_u16_e32 vcc, s18, v3
	s_and_b64 s[18:19], vcc, exec
	s_andn2_saveexec_b64 s[2:3], s[2:3]
	s_cbranch_execnz .LBB6_176
.LBB6_161:
	s_or_b64 exec, exec, s[2:3]
	v_mov_b32_e32 v2, 0
	s_and_saveexec_b64 s[2:3], s[18:19]
	s_cbranch_execz .LBB6_163
.LBB6_162:
	v_lshlrev_b32_e32 v2, 24, v3
	v_and_b32_e32 v3, 0xffff, v3
	v_and_b32_e32 v4, 7, v3
	v_ffbh_u32_e32 v6, v4
	v_min_u32_e32 v6, 32, v6
	v_subrev_u32_e32 v8, 28, v6
	v_bfe_u32 v5, v3, 3, 4
	v_lshlrev_b32_e32 v3, v8, v3
	v_sub_u32_e32 v6, 29, v6
	v_and_b32_e32 v3, 7, v3
	v_cmp_eq_u32_e32 vcc, 0, v5
	v_cndmask_b32_e32 v5, v5, v6, vcc
	v_cndmask_b32_e32 v3, v4, v3, vcc
	v_mov_b32_e32 v4, 0x3b800000
	v_lshlrev_b32_e32 v3, 20, v3
	v_and_b32_e32 v2, 0x80000000, v2
	v_lshl_add_u32 v4, v5, 23, v4
	v_or3_b32 v2, v2, v4, v3
	v_trunc_f32_e32 v2, v2
	s_mov_b32 s18, 0x2f800000
	v_mul_f32_e64 v3, |v2|, s18
	v_floor_f32_e32 v3, v3
	s_mov_b32 s18, 0xcf800000
	v_fma_f32 v3, v3, s18, |v2|
	v_cvt_u32_f32_e32 v3, v3
	v_ashrrev_i32_e32 v2, 31, v2
	v_xor_b32_e32 v3, v3, v2
	v_sub_u32_e32 v2, v3, v2
.LBB6_163:
	s_or_b64 exec, exec, s[2:3]
.LBB6_164:
	s_mov_b64 s[2:3], -1
.LBB6_165:
	s_branch .LBB6_198
.LBB6_166:
	s_cmp_gt_i32 s24, 22
	s_cbranch_scc0 .LBB6_174
; %bb.167:
	s_cmp_lt_i32 s24, 24
	s_cbranch_scc1 .LBB6_177
; %bb.168:
	s_cmp_gt_i32 s24, 24
	s_cbranch_scc0 .LBB6_178
; %bb.169:
	global_load_ubyte v3, v[0:1], off
	s_movk_i32 s2, 0x7f
	s_mov_b64 s[18:19], 0
	s_waitcnt vmcnt(0)
	v_cmp_lt_i16_e32 vcc, s2, v3
	s_and_saveexec_b64 s[2:3], vcc
	s_xor_b64 s[2:3], exec, s[2:3]
	s_cbranch_execz .LBB6_190
; %bb.170:
	s_movk_i32 s18, 0x80
	v_cmp_ne_u16_e32 vcc, s18, v3
	s_and_b64 s[18:19], vcc, exec
	s_andn2_saveexec_b64 s[2:3], s[2:3]
	s_cbranch_execnz .LBB6_191
.LBB6_171:
	s_or_b64 exec, exec, s[2:3]
	v_mov_b32_e32 v2, 0
	s_and_saveexec_b64 s[2:3], s[18:19]
	s_cbranch_execz .LBB6_173
.LBB6_172:
	v_lshlrev_b32_e32 v2, 24, v3
	v_and_b32_e32 v3, 0xffff, v3
	v_and_b32_e32 v4, 3, v3
	v_ffbh_u32_e32 v6, v4
	v_min_u32_e32 v6, 32, v6
	v_subrev_u32_e32 v8, 29, v6
	v_bfe_u32 v5, v3, 2, 5
	v_lshlrev_b32_e32 v3, v8, v3
	v_sub_u32_e32 v6, 30, v6
	v_and_b32_e32 v3, 3, v3
	v_cmp_eq_u32_e32 vcc, 0, v5
	v_cndmask_b32_e32 v5, v5, v6, vcc
	v_cndmask_b32_e32 v3, v4, v3, vcc
	v_mov_b32_e32 v4, 0x37800000
	v_lshlrev_b32_e32 v3, 21, v3
	v_and_b32_e32 v2, 0x80000000, v2
	v_lshl_add_u32 v4, v5, 23, v4
	v_or3_b32 v2, v2, v4, v3
	v_trunc_f32_e32 v2, v2
	s_mov_b32 s18, 0x2f800000
	v_mul_f32_e64 v3, |v2|, s18
	v_floor_f32_e32 v3, v3
	s_mov_b32 s18, 0xcf800000
	v_fma_f32 v3, v3, s18, |v2|
	v_cvt_u32_f32_e32 v3, v3
	v_ashrrev_i32_e32 v2, 31, v2
	v_xor_b32_e32 v3, v3, v2
	v_sub_u32_e32 v2, v3, v2
.LBB6_173:
	s_or_b64 exec, exec, s[2:3]
	s_mov_b64 s[2:3], 0
	s_branch .LBB6_179
.LBB6_174:
	s_mov_b64 s[18:19], -1
                                        ; implicit-def: $vgpr2
	s_branch .LBB6_185
.LBB6_175:
	s_andn2_saveexec_b64 s[2:3], s[2:3]
	s_cbranch_execz .LBB6_161
.LBB6_176:
	v_cmp_ne_u16_e32 vcc, 0, v3
	s_andn2_b64 s[18:19], s[18:19], exec
	s_and_b64 s[28:29], vcc, exec
	s_or_b64 s[18:19], s[18:19], s[28:29]
	s_or_b64 exec, exec, s[2:3]
	v_mov_b32_e32 v2, 0
	s_and_saveexec_b64 s[2:3], s[18:19]
	s_cbranch_execnz .LBB6_162
	s_branch .LBB6_163
.LBB6_177:
	s_mov_b64 s[2:3], -1
                                        ; implicit-def: $vgpr2
	s_branch .LBB6_182
.LBB6_178:
	s_mov_b64 s[2:3], -1
                                        ; implicit-def: $vgpr2
.LBB6_179:
	s_and_b64 vcc, exec, s[2:3]
	s_cbranch_vccz .LBB6_181
; %bb.180:
	global_load_ubyte v2, v[0:1], off
	s_mov_b32 s2, 0x7f800000
	s_brev_b32 s3, 1
	s_mov_b32 s18, 0x2f800000
	s_waitcnt vmcnt(0)
	v_lshlrev_b32_e32 v2, 24, v2
	v_and_b32_e32 v3, 0x7f000000, v2
	v_ffbh_u32_e32 v4, v3
	v_min_u32_e32 v4, 32, v4
	v_sub_u32_e64 v4, v4, 4 clamp
	v_lshlrev_b32_e32 v6, v4, v3
	v_lshlrev_b32_e32 v4, 23, v4
	v_lshrrev_b32_e32 v6, 4, v6
	v_add_u32_e32 v5, 0x1000000, v3
	v_sub_u32_e32 v4, v6, v4
	v_ashrrev_i32_e32 v5, 8, v5
	v_add_u32_e32 v4, 0x3c000000, v4
	v_and_or_b32 v4, v5, s2, v4
	v_cmp_ne_u32_e32 vcc, 0, v3
	v_cndmask_b32_e32 v3, 0, v4, vcc
	v_and_or_b32 v2, v2, s3, v3
	v_trunc_f32_e32 v2, v2
	v_mul_f32_e64 v3, |v2|, s18
	v_floor_f32_e32 v3, v3
	s_mov_b32 s2, 0xcf800000
	v_fma_f32 v3, v3, s2, |v2|
	v_cvt_u32_f32_e32 v3, v3
	v_ashrrev_i32_e32 v2, 31, v2
	v_xor_b32_e32 v3, v3, v2
	v_sub_u32_e32 v2, v3, v2
.LBB6_181:
	s_mov_b64 s[2:3], 0
.LBB6_182:
	s_andn2_b64 vcc, exec, s[2:3]
	s_cbranch_vccnz .LBB6_184
; %bb.183:
	global_load_ubyte v2, v[0:1], off
	s_movk_i32 s2, 0x7f00
	s_brev_b32 s3, 16
	s_brev_b32 s18, 1
	s_mov_b32 s19, 0x2f800000
	s_waitcnt vmcnt(0)
	v_lshlrev_b16_e32 v3, 8, v2
	v_lshlrev_b32_e32 v2, 25, v2
	v_lshrrev_b32_e32 v4, 4, v2
	v_and_or_b32 v5, v3, s2, 0.5
	v_or_b32_e32 v4, 0x70000000, v4
	v_add_f32_e32 v5, -0.5, v5
	v_mul_f32_e32 v4, 0x7800000, v4
	v_cmp_gt_u32_e32 vcc, s3, v2
	v_bfe_i32 v3, v3, 0, 16
	v_cndmask_b32_e32 v2, v4, v5, vcc
	v_and_or_b32 v2, v3, s18, v2
	v_trunc_f32_e32 v2, v2
	v_mul_f32_e64 v3, |v2|, s19
	v_floor_f32_e32 v3, v3
	s_mov_b32 s2, 0xcf800000
	v_fma_f32 v3, v3, s2, |v2|
	v_cvt_u32_f32_e32 v3, v3
	v_ashrrev_i32_e32 v2, 31, v2
	v_xor_b32_e32 v3, v3, v2
	v_sub_u32_e32 v2, v3, v2
.LBB6_184:
	s_mov_b64 s[18:19], 0
	s_mov_b64 s[2:3], -1
.LBB6_185:
	s_andn2_b64 vcc, exec, s[18:19]
	s_cbranch_vccnz .LBB6_198
; %bb.186:
	s_cmp_gt_i32 s24, 14
	s_cbranch_scc0 .LBB6_189
; %bb.187:
	s_cmp_eq_u32 s24, 15
	s_cbranch_scc0 .LBB6_192
; %bb.188:
	global_load_ushort v2, v[0:1], off
	s_mov_b32 s2, 0x2f800000
	s_mov_b32 s3, 0xcf800000
	s_mov_b64 s[20:21], 0
	s_waitcnt vmcnt(0)
	v_lshlrev_b32_e32 v2, 16, v2
	v_trunc_f32_e32 v2, v2
	v_mul_f32_e64 v3, |v2|, s2
	v_floor_f32_e32 v3, v3
	v_fma_f32 v3, v3, s3, |v2|
	v_cvt_u32_f32_e32 v3, v3
	v_ashrrev_i32_e32 v2, 31, v2
	s_mov_b64 s[2:3], -1
	v_xor_b32_e32 v3, v3, v2
	v_sub_u32_e32 v2, v3, v2
	s_branch .LBB6_193
.LBB6_189:
	s_mov_b64 s[18:19], -1
                                        ; implicit-def: $vgpr2
	s_branch .LBB6_194
.LBB6_190:
	s_andn2_saveexec_b64 s[2:3], s[2:3]
	s_cbranch_execz .LBB6_171
.LBB6_191:
	v_cmp_ne_u16_e32 vcc, 0, v3
	s_andn2_b64 s[18:19], s[18:19], exec
	s_and_b64 s[28:29], vcc, exec
	s_or_b64 s[18:19], s[18:19], s[28:29]
	s_or_b64 exec, exec, s[2:3]
	v_mov_b32_e32 v2, 0
	s_and_saveexec_b64 s[2:3], s[18:19]
	s_cbranch_execnz .LBB6_172
	s_branch .LBB6_173
.LBB6_192:
	s_mov_b64 s[20:21], -1
                                        ; implicit-def: $vgpr2
.LBB6_193:
	s_mov_b64 s[18:19], 0
.LBB6_194:
	s_and_b64 vcc, exec, s[18:19]
	s_cbranch_vccz .LBB6_198
; %bb.195:
	s_cmp_eq_u32 s24, 11
	s_cbranch_scc0 .LBB6_197
; %bb.196:
	global_load_ubyte v2, v[0:1], off
	s_mov_b64 s[2:3], -1
	s_mov_b64 s[20:21], 0
	s_waitcnt vmcnt(0)
	v_cmp_ne_u16_e32 vcc, 0, v2
	v_cndmask_b32_e64 v2, 0, 1, vcc
	s_branch .LBB6_198
.LBB6_197:
	s_mov_b64 s[20:21], -1
                                        ; implicit-def: $vgpr2
.LBB6_198:
	s_branch .LBB6_10
.LBB6_199:
	s_and_b32 s5, 0xffff, s5
	s_cmp_lt_i32 s5, 5
	s_cbranch_scc1 .LBB6_204
; %bb.200:
	s_cmp_lt_i32 s5, 8
	s_cbranch_scc1 .LBB6_205
; %bb.201:
	s_cmp_lt_i32 s5, 9
	s_cbranch_scc1 .LBB6_206
; %bb.202:
	s_cmp_gt_i32 s5, 9
	s_cbranch_scc0 .LBB6_207
; %bb.203:
	global_load_dwordx2 v[2:3], v[0:1], off
	s_movk_i32 s2, 0xffe0
	s_waitcnt vmcnt(0)
	v_trunc_f64_e32 v[2:3], v[2:3]
	v_ldexp_f64 v[4:5], v[2:3], s2
	s_mov_b32 s2, 0
	s_mov_b32 s3, 0xc1f00000
	v_floor_f64_e32 v[4:5], v[4:5]
	v_fma_f64 v[2:3], v[4:5], s[2:3], v[2:3]
	s_mov_b64 s[2:3], 0
	v_cvt_u32_f64_e32 v2, v[2:3]
	s_branch .LBB6_208
.LBB6_204:
                                        ; implicit-def: $vgpr2
	s_branch .LBB6_226
.LBB6_205:
	s_mov_b64 s[2:3], -1
                                        ; implicit-def: $vgpr2
	s_branch .LBB6_214
.LBB6_206:
	s_mov_b64 s[2:3], -1
                                        ; implicit-def: $vgpr2
	s_branch .LBB6_211
.LBB6_207:
	s_mov_b64 s[2:3], -1
                                        ; implicit-def: $vgpr2
.LBB6_208:
	s_andn2_b64 vcc, exec, s[2:3]
	s_cbranch_vccnz .LBB6_210
; %bb.209:
	global_load_dword v2, v[0:1], off
	s_mov_b32 s2, 0x2f800000
	s_waitcnt vmcnt(0)
	v_trunc_f32_e32 v2, v2
	v_mul_f32_e64 v3, |v2|, s2
	v_floor_f32_e32 v3, v3
	s_mov_b32 s2, 0xcf800000
	v_fma_f32 v3, v3, s2, |v2|
	v_cvt_u32_f32_e32 v3, v3
	v_ashrrev_i32_e32 v2, 31, v2
	v_xor_b32_e32 v3, v3, v2
	v_sub_u32_e32 v2, v3, v2
.LBB6_210:
	s_mov_b64 s[2:3], 0
.LBB6_211:
	s_andn2_b64 vcc, exec, s[2:3]
	s_cbranch_vccnz .LBB6_213
; %bb.212:
	global_load_dword v2, v[0:1], off
	s_waitcnt vmcnt(0)
	v_cvt_f32_f16_e32 v2, v2
	v_cvt_i32_f32_e32 v2, v2
.LBB6_213:
	s_mov_b64 s[2:3], 0
.LBB6_214:
	s_andn2_b64 vcc, exec, s[2:3]
	s_cbranch_vccnz .LBB6_225
; %bb.215:
	s_cmp_lt_i32 s5, 6
	s_cbranch_scc1 .LBB6_218
; %bb.216:
	s_cmp_gt_i32 s5, 6
	s_cbranch_scc0 .LBB6_219
; %bb.217:
	global_load_dwordx2 v[2:3], v[0:1], off
	s_movk_i32 s2, 0xffe0
	s_waitcnt vmcnt(0)
	v_trunc_f64_e32 v[2:3], v[2:3]
	v_ldexp_f64 v[4:5], v[2:3], s2
	s_mov_b32 s2, 0
	s_mov_b32 s3, 0xc1f00000
	v_floor_f64_e32 v[4:5], v[4:5]
	v_fma_f64 v[2:3], v[4:5], s[2:3], v[2:3]
	s_mov_b64 s[2:3], 0
	v_cvt_u32_f64_e32 v2, v[2:3]
	s_branch .LBB6_220
.LBB6_218:
	s_mov_b64 s[2:3], -1
                                        ; implicit-def: $vgpr2
	s_branch .LBB6_223
.LBB6_219:
	s_mov_b64 s[2:3], -1
                                        ; implicit-def: $vgpr2
.LBB6_220:
	s_andn2_b64 vcc, exec, s[2:3]
	s_cbranch_vccnz .LBB6_222
; %bb.221:
	global_load_dword v2, v[0:1], off
	s_mov_b32 s2, 0x2f800000
	s_waitcnt vmcnt(0)
	v_trunc_f32_e32 v2, v2
	v_mul_f32_e64 v3, |v2|, s2
	v_floor_f32_e32 v3, v3
	s_mov_b32 s2, 0xcf800000
	v_fma_f32 v3, v3, s2, |v2|
	v_cvt_u32_f32_e32 v3, v3
	v_ashrrev_i32_e32 v2, 31, v2
	v_xor_b32_e32 v3, v3, v2
	v_sub_u32_e32 v2, v3, v2
.LBB6_222:
	s_mov_b64 s[2:3], 0
.LBB6_223:
	s_andn2_b64 vcc, exec, s[2:3]
	s_cbranch_vccnz .LBB6_225
; %bb.224:
	global_load_ushort v2, v[0:1], off
	s_waitcnt vmcnt(0)
	v_cvt_f32_f16_e32 v2, v2
	v_cvt_i32_f32_e32 v2, v2
.LBB6_225:
	s_cbranch_execnz .LBB6_245
.LBB6_226:
	s_cmp_lt_i32 s5, 2
	s_cbranch_scc1 .LBB6_230
; %bb.227:
	s_cmp_lt_i32 s5, 3
	s_cbranch_scc1 .LBB6_231
; %bb.228:
	s_cmp_gt_i32 s5, 3
	s_cbranch_scc0 .LBB6_232
; %bb.229:
	global_load_dwordx2 v[2:3], v[0:1], off
	s_mov_b64 s[2:3], 0
	s_branch .LBB6_233
.LBB6_230:
	s_mov_b64 s[2:3], -1
                                        ; implicit-def: $vgpr2
	s_branch .LBB6_239
.LBB6_231:
	s_mov_b64 s[2:3], -1
                                        ; implicit-def: $vgpr2
	s_branch .LBB6_236
.LBB6_232:
	s_mov_b64 s[2:3], -1
                                        ; implicit-def: $vgpr2
.LBB6_233:
	s_andn2_b64 vcc, exec, s[2:3]
	s_cbranch_vccnz .LBB6_235
; %bb.234:
	global_load_dword v2, v[0:1], off
.LBB6_235:
	s_mov_b64 s[2:3], 0
.LBB6_236:
	s_andn2_b64 vcc, exec, s[2:3]
	s_cbranch_vccnz .LBB6_238
; %bb.237:
	global_load_ushort v2, v[0:1], off
.LBB6_238:
	s_mov_b64 s[2:3], 0
.LBB6_239:
	s_andn2_b64 vcc, exec, s[2:3]
	s_cbranch_vccnz .LBB6_245
; %bb.240:
	s_cmp_gt_i32 s5, 0
	s_cbranch_scc0 .LBB6_242
; %bb.241:
	global_load_ubyte v2, v[0:1], off
	s_mov_b64 s[2:3], 0
	s_branch .LBB6_243
.LBB6_242:
	s_mov_b64 s[2:3], -1
                                        ; implicit-def: $vgpr2
.LBB6_243:
	s_andn2_b64 vcc, exec, s[2:3]
	s_cbranch_vccnz .LBB6_245
; %bb.244:
	global_load_ubyte v2, v[0:1], off
.LBB6_245:
	s_branch .LBB6_11
.LBB6_246:
	s_mov_b64 s[2:3], 0
                                        ; implicit-def: $vgpr7
	s_mov_b64 s[24:25], 0
.LBB6_247:
	s_and_b64 s[18:19], s[2:3], exec
	s_and_b64 s[20:21], s[20:21], exec
	s_orn2_b64 s[2:3], s[24:25], exec
.LBB6_248:
	s_or_b64 exec, exec, s[22:23]
	s_mov_b64 s[30:31], 0
	s_mov_b64 s[28:29], 0
                                        ; implicit-def: $sgpr5
                                        ; implicit-def: $vgpr0_vgpr1
                                        ; implicit-def: $vgpr2
	s_and_saveexec_b64 s[22:23], s[2:3]
	s_cbranch_execz .LBB6_257
; %bb.249:
	v_cmp_gt_i32_e32 vcc, s44, v7
	s_mov_b64 s[2:3], -1
	s_mov_b64 s[24:25], s[20:21]
	s_mov_b64 s[26:27], s[18:19]
	s_and_saveexec_b64 s[28:29], vcc
	s_cbranch_execz .LBB6_505
; %bb.250:
	v_mul_lo_u32 v0, v7, s13
	v_mov_b32_e32 v1, s11
	s_and_b32 s5, s15, 0xff
	s_cmp_lt_i32 s5, 11
	s_waitcnt vmcnt(0)
	v_ashrrev_i32_e32 v2, 31, v0
	v_add_co_u32_e32 v0, vcc, s10, v0
	v_addc_co_u32_e32 v1, vcc, v1, v2, vcc
	s_cbranch_scc1 .LBB6_260
; %bb.251:
	s_and_b32 s30, 0xffff, s5
	s_cmp_gt_i32 s30, 25
	s_cbranch_scc0 .LBB6_269
; %bb.252:
	s_cmp_gt_i32 s30, 28
	s_cbranch_scc0 .LBB6_271
; %bb.253:
	s_cmp_gt_i32 s30, 43
	s_cbranch_scc0 .LBB6_273
; %bb.254:
	s_cmp_gt_i32 s30, 45
	s_cbranch_scc0 .LBB6_277
; %bb.255:
	s_cmp_eq_u32 s30, 46
	s_mov_b64 s[26:27], 0
	s_cbranch_scc0 .LBB6_281
; %bb.256:
	global_load_dword v2, v[0:1], off
	s_mov_b32 s2, 0x2f800000
	s_mov_b32 s3, 0xcf800000
	s_mov_b64 s[24:25], 0
	s_waitcnt vmcnt(0)
	v_lshlrev_b32_e32 v2, 16, v2
	v_trunc_f32_e32 v2, v2
	v_mul_f32_e64 v3, |v2|, s2
	v_floor_f32_e32 v3, v3
	v_fma_f32 v3, v3, s3, |v2|
	v_cvt_u32_f32_e32 v3, v3
	v_ashrrev_i32_e32 v2, 31, v2
	s_mov_b64 s[2:3], -1
	v_xor_b32_e32 v3, v3, v2
	v_sub_u32_e32 v2, v3, v2
	s_branch .LBB6_282
.LBB6_257:
	s_or_b64 exec, exec, s[22:23]
	s_mov_b64 s[2:3], 0
	s_and_saveexec_b64 s[22:23], s[20:21]
	s_cbranch_execnz .LBB6_843
.LBB6_258:
	s_or_b64 exec, exec, s[22:23]
	s_and_saveexec_b64 s[20:21], s[26:27]
	s_xor_b64 s[20:21], exec, s[20:21]
	s_cbranch_execz .LBB6_844
.LBB6_259:
	global_load_ubyte v2, v[0:1], off
	s_or_b64 s[28:29], s[28:29], exec
	s_waitcnt vmcnt(0)
	v_cmp_ne_u16_e32 vcc, 0, v2
	v_cndmask_b32_e64 v2, 0, 1, vcc
	s_or_b64 exec, exec, s[20:21]
	s_and_saveexec_b64 s[20:21], s[30:31]
	s_cbranch_execz .LBB6_890
	s_branch .LBB6_845
.LBB6_260:
	s_mov_b64 s[2:3], 0
                                        ; implicit-def: $vgpr2
	s_mov_b64 s[24:25], s[20:21]
	s_cbranch_execnz .LBB6_455
.LBB6_261:
	s_andn2_b64 vcc, exec, s[2:3]
	s_cbranch_vccnz .LBB6_503
.LBB6_262:
	v_mul_lo_u32 v0, v7, s12
	v_mov_b32_e32 v1, s33
	s_waitcnt vmcnt(0)
	v_mov_b32_e32 v3, s9
	v_cndmask_b32_e64 v2, v1, v2, s[0:1]
	v_ashrrev_i32_e32 v1, 31, v0
	s_and_b32 s5, s4, 0xff
	v_add_co_u32_e32 v0, vcc, s8, v0
	s_cmp_lt_i32 s5, 11
	v_addc_co_u32_e32 v1, vcc, v3, v1, vcc
	s_cbranch_scc1 .LBB6_270
; %bb.263:
	s_and_b32 s36, 0xffff, s5
	s_cmp_gt_i32 s36, 25
	s_cbranch_scc0 .LBB6_272
; %bb.264:
	s_cmp_gt_i32 s36, 28
	s_cbranch_scc0 .LBB6_274
; %bb.265:
	;; [unrolled: 3-line block ×4, first 2 shown]
	s_mov_b64 s[30:31], 0
	s_mov_b64 s[2:3], -1
	s_cmp_eq_u32 s36, 46
	s_mov_b64 s[26:27], 0
	s_cbranch_scc0 .LBB6_286
; %bb.268:
	v_cvt_f32_ubyte0_e32 v3, v2
	v_bfe_u32 v4, v3, 16, 1
	s_movk_i32 s2, 0x7fff
	v_add3_u32 v3, v3, v4, s2
	v_lshrrev_b32_e32 v3, 16, v3
	global_store_dword v[0:1], v3, off
	s_mov_b64 s[26:27], -1
	s_mov_b64 s[2:3], 0
	s_branch .LBB6_286
.LBB6_269:
	s_mov_b64 s[26:27], -1
	s_mov_b64 s[2:3], 0
	s_mov_b64 s[24:25], s[20:21]
                                        ; implicit-def: $vgpr2
	s_branch .LBB6_421
.LBB6_270:
	s_mov_b64 s[30:31], -1
	s_mov_b64 s[26:27], 0
	s_mov_b64 s[2:3], s[18:19]
	s_branch .LBB6_355
.LBB6_271:
	s_mov_b64 s[26:27], -1
	s_mov_b64 s[2:3], 0
	s_mov_b64 s[24:25], s[20:21]
                                        ; implicit-def: $vgpr2
	s_branch .LBB6_404
.LBB6_272:
	s_mov_b64 s[30:31], -1
	s_mov_b64 s[26:27], 0
	s_mov_b64 s[2:3], s[18:19]
	s_branch .LBB6_313
.LBB6_273:
	s_mov_b64 s[26:27], -1
	s_mov_b64 s[2:3], 0
	s_mov_b64 s[24:25], s[20:21]
                                        ; implicit-def: $vgpr2
	s_branch .LBB6_399
.LBB6_274:
	s_mov_b64 s[30:31], -1
	s_mov_b64 s[26:27], 0
	s_mov_b64 s[2:3], s[18:19]
	s_branch .LBB6_296
.LBB6_275:
	s_andn2_saveexec_b64 s[28:29], s[28:29]
	s_cbranch_execz .LBB6_55
.LBB6_276:
	v_add_f32_e32 v3, 0x46000000, v4
	v_and_b32_e32 v3, 0xff, v3
	v_cmp_ne_u32_e32 vcc, 0, v3
	s_andn2_b64 s[24:25], s[24:25], exec
	s_and_b64 s[34:35], vcc, exec
	s_or_b64 s[24:25], s[24:25], s[34:35]
	s_or_b64 exec, exec, s[28:29]
	v_mov_b32_e32 v5, 0
	s_and_saveexec_b64 s[28:29], s[24:25]
	s_cbranch_execnz .LBB6_56
	s_branch .LBB6_57
.LBB6_277:
	s_mov_b64 s[26:27], -1
	s_mov_b64 s[2:3], 0
	s_mov_b64 s[24:25], s[20:21]
                                        ; implicit-def: $vgpr2
	s_branch .LBB6_282
.LBB6_278:
	s_mov_b64 s[30:31], -1
	s_mov_b64 s[26:27], 0
	s_mov_b64 s[2:3], s[18:19]
	s_branch .LBB6_292
.LBB6_279:
	s_andn2_saveexec_b64 s[28:29], s[28:29]
	s_cbranch_execz .LBB6_68
.LBB6_280:
	v_add_f32_e32 v3, 0x42800000, v4
	v_and_b32_e32 v3, 0xff, v3
	v_cmp_ne_u32_e32 vcc, 0, v3
	s_andn2_b64 s[24:25], s[24:25], exec
	s_and_b64 s[34:35], vcc, exec
	s_or_b64 s[24:25], s[24:25], s[34:35]
	s_or_b64 exec, exec, s[28:29]
	v_mov_b32_e32 v5, 0
	s_and_saveexec_b64 s[28:29], s[24:25]
	s_cbranch_execnz .LBB6_69
	s_branch .LBB6_70
.LBB6_281:
	s_mov_b64 s[24:25], -1
                                        ; implicit-def: $vgpr2
	s_mov_b64 s[2:3], 0
.LBB6_282:
	s_and_b64 vcc, exec, s[26:27]
	s_cbranch_vccz .LBB6_398
; %bb.283:
	s_cmp_eq_u32 s30, 44
	s_cbranch_scc0 .LBB6_397
; %bb.284:
	global_load_ubyte v2, v[0:1], off
	s_mov_b32 s2, 0x2f800000
	s_mov_b32 s3, 0xcf800000
	s_mov_b64 s[24:25], 0
	s_waitcnt vmcnt(0)
	v_lshlrev_b32_e32 v3, 23, v2
	v_trunc_f32_e32 v3, v3
	v_mul_f32_e64 v4, |v3|, s2
	v_floor_f32_e32 v4, v4
	v_fma_f32 v4, v4, s3, |v3|
	v_cvt_u32_f32_e32 v4, v4
	v_ashrrev_i32_e32 v3, 31, v3
	v_cmp_ne_u32_e32 vcc, 0, v2
	s_mov_b64 s[2:3], -1
	v_xor_b32_e32 v4, v4, v3
	v_sub_u32_e32 v3, v4, v3
	v_cndmask_b32_e32 v2, 0, v3, vcc
	s_branch .LBB6_398
.LBB6_285:
	s_mov_b64 s[30:31], -1
	s_mov_b64 s[26:27], 0
	s_mov_b64 s[2:3], s[18:19]
.LBB6_286:
	s_and_b64 vcc, exec, s[30:31]
	s_cbranch_vccz .LBB6_291
; %bb.287:
	s_cmp_eq_u32 s36, 44
	s_mov_b64 s[2:3], -1
	s_cbranch_scc0 .LBB6_291
; %bb.288:
	v_cvt_f32_ubyte0_e32 v4, v2
	v_lshrrev_b32_e32 v3, 23, v4
	s_movk_i32 s2, 0xff
	v_cmp_ne_u32_e32 vcc, s2, v3
	v_mov_b32_e32 v5, 0xff
	s_and_saveexec_b64 s[26:27], vcc
; %bb.289:
	s_mov_b32 s2, 0x3fffff
	v_and_b32_e32 v5, 0x400000, v4
	v_and_or_b32 v4, v4, s2, v3
	v_cmp_ne_u32_e32 vcc, 0, v5
	v_cmp_ne_u32_e64 s[2:3], 0, v4
	s_and_b64 s[2:3], vcc, s[2:3]
	v_cndmask_b32_e64 v4, 0, 1, s[2:3]
	v_add_u32_e32 v5, v3, v4
; %bb.290:
	s_or_b64 exec, exec, s[26:27]
	s_mov_b64 s[26:27], -1
	s_mov_b64 s[2:3], 0
	global_store_byte v[0:1], v5, off
.LBB6_291:
	s_mov_b64 s[30:31], 0
.LBB6_292:
	s_and_b64 vcc, exec, s[30:31]
	s_cbranch_vccz .LBB6_295
; %bb.293:
	s_cmp_eq_u32 s36, 29
	s_mov_b64 s[2:3], -1
	s_cbranch_scc0 .LBB6_295
; %bb.294:
	v_and_b32_e32 v3, 0xff, v2
	v_mov_b32_e32 v4, 0
	global_store_dwordx2 v[0:1], v[3:4], off
	s_mov_b64 s[26:27], -1
	s_mov_b64 s[2:3], 0
.LBB6_295:
	s_mov_b64 s[30:31], 0
.LBB6_296:
	s_and_b64 vcc, exec, s[30:31]
	s_cbranch_vccz .LBB6_312
; %bb.297:
	s_cmp_lt_i32 s36, 27
	s_mov_b64 s[26:27], -1
	s_cbranch_scc1 .LBB6_303
; %bb.298:
	s_cmp_gt_i32 s36, 27
	s_cbranch_scc0 .LBB6_300
; %bb.299:
	v_and_b32_e32 v3, 0xff, v2
	s_mov_b64 s[26:27], 0
	global_store_dword v[0:1], v3, off
.LBB6_300:
	s_andn2_b64 vcc, exec, s[26:27]
	s_cbranch_vccnz .LBB6_302
; %bb.301:
	v_and_b32_e32 v3, 0xff, v2
	global_store_short v[0:1], v3, off
.LBB6_302:
	s_mov_b64 s[26:27], 0
.LBB6_303:
	s_andn2_b64 vcc, exec, s[26:27]
	s_cbranch_vccnz .LBB6_311
; %bb.304:
	v_cvt_f32_ubyte0_e32 v4, v2
	s_mov_b32 s26, 0x43800000
	v_cmp_gt_u32_e32 vcc, s26, v4
	v_mov_b32_e32 v5, 0x80
	s_and_saveexec_b64 s[26:27], vcc
	s_cbranch_execz .LBB6_310
; %bb.305:
	s_mov_b32 s30, 0x3bffffff
	v_cmp_lt_u32_e32 vcc, s30, v4
	s_mov_b64 s[30:31], 0
                                        ; implicit-def: $vgpr3
	s_and_saveexec_b64 s[34:35], vcc
	s_xor_b64 s[34:35], exec, s[34:35]
	s_cbranch_execz .LBB6_518
; %bb.306:
	v_bfe_u32 v3, v4, 20, 1
	s_mov_b32 s37, 0x487ffff
	v_add3_u32 v3, v4, v3, s37
	s_mov_b64 s[30:31], exec
	v_lshrrev_b32_e32 v3, 20, v3
                                        ; implicit-def: $vgpr4
	s_andn2_saveexec_b64 s[34:35], s[34:35]
	s_cbranch_execnz .LBB6_519
.LBB6_307:
	s_or_b64 exec, exec, s[34:35]
	v_mov_b32_e32 v5, 0
	s_and_saveexec_b64 s[34:35], s[30:31]
.LBB6_308:
	v_mov_b32_e32 v5, v3
.LBB6_309:
	s_or_b64 exec, exec, s[34:35]
.LBB6_310:
	s_or_b64 exec, exec, s[26:27]
	global_store_byte v[0:1], v5, off
.LBB6_311:
	s_mov_b64 s[26:27], -1
.LBB6_312:
	s_mov_b64 s[30:31], 0
.LBB6_313:
	s_and_b64 vcc, exec, s[30:31]
	s_cbranch_vccz .LBB6_354
; %bb.314:
	s_cmp_gt_i32 s36, 22
	s_mov_b64 s[30:31], -1
	s_cbranch_scc0 .LBB6_346
; %bb.315:
	s_cmp_lt_i32 s36, 24
	s_mov_b64 s[26:27], -1
	s_cbranch_scc1 .LBB6_335
; %bb.316:
	s_cmp_gt_i32 s36, 24
	s_cbranch_scc0 .LBB6_324
; %bb.317:
	v_cvt_f32_ubyte0_e32 v4, v2
	s_mov_b32 s26, 0x47800000
	v_cmp_gt_u32_e32 vcc, s26, v4
	v_mov_b32_e32 v5, 0x80
	s_and_saveexec_b64 s[26:27], vcc
	s_cbranch_execz .LBB6_323
; %bb.318:
	s_mov_b32 s30, 0x37ffffff
	v_cmp_lt_u32_e32 vcc, s30, v4
	s_mov_b64 s[30:31], 0
                                        ; implicit-def: $vgpr3
	s_and_saveexec_b64 s[34:35], vcc
	s_xor_b64 s[34:35], exec, s[34:35]
	s_cbranch_execz .LBB6_521
; %bb.319:
	v_bfe_u32 v3, v4, 21, 1
	s_mov_b32 s37, 0x88fffff
	v_add3_u32 v3, v4, v3, s37
	s_mov_b64 s[30:31], exec
	v_lshrrev_b32_e32 v3, 21, v3
                                        ; implicit-def: $vgpr4
	s_andn2_saveexec_b64 s[34:35], s[34:35]
	s_cbranch_execnz .LBB6_522
.LBB6_320:
	s_or_b64 exec, exec, s[34:35]
	v_mov_b32_e32 v5, 0
	s_and_saveexec_b64 s[34:35], s[30:31]
.LBB6_321:
	v_mov_b32_e32 v5, v3
.LBB6_322:
	s_or_b64 exec, exec, s[34:35]
.LBB6_323:
	s_or_b64 exec, exec, s[26:27]
	s_mov_b64 s[26:27], 0
	global_store_byte v[0:1], v5, off
.LBB6_324:
	s_and_b64 vcc, exec, s[26:27]
	s_cbranch_vccz .LBB6_334
; %bb.325:
	v_cvt_f32_ubyte0_e32 v3, v2
	s_mov_b32 s26, 0x43f00000
	v_cmp_gt_u32_e32 vcc, s26, v3
                                        ; implicit-def: $vgpr4
	s_and_saveexec_b64 s[26:27], vcc
	s_xor_b64 s[26:27], exec, s[26:27]
	s_cbranch_execz .LBB6_331
; %bb.326:
	s_mov_b32 s30, 0x3c7fffff
	v_cmp_lt_u32_e32 vcc, s30, v3
                                        ; implicit-def: $vgpr4
	s_and_saveexec_b64 s[30:31], vcc
	s_xor_b64 s[30:31], exec, s[30:31]
; %bb.327:
	v_bfe_u32 v4, v3, 20, 1
	s_mov_b32 s34, 0x407ffff
	v_add3_u32 v3, v3, v4, s34
	v_lshrrev_b32_e32 v4, 20, v3
	v_and_b32_e32 v3, 0xff00000, v3
	s_mov_b32 s34, 0x7f00000
	v_mov_b32_e32 v5, 0x7e
	v_cmp_ne_u32_e32 vcc, s34, v3
	v_cndmask_b32_e32 v4, v5, v4, vcc
                                        ; implicit-def: $vgpr3
; %bb.328:
	s_andn2_saveexec_b64 s[30:31], s[30:31]
; %bb.329:
	v_add_f32_e32 v4, 0x46800000, v3
; %bb.330:
	s_or_b64 exec, exec, s[30:31]
                                        ; implicit-def: $vgpr3
.LBB6_331:
	s_andn2_saveexec_b64 s[26:27], s[26:27]
; %bb.332:
	s_mov_b32 s30, 0x7f800000
	v_mov_b32_e32 v4, 0x7e
	v_mov_b32_e32 v5, 0x7f
	v_cmp_lt_u32_e32 vcc, s30, v3
	v_cndmask_b32_e32 v4, v4, v5, vcc
; %bb.333:
	s_or_b64 exec, exec, s[26:27]
	global_store_byte v[0:1], v4, off
.LBB6_334:
	s_mov_b64 s[26:27], 0
.LBB6_335:
	s_andn2_b64 vcc, exec, s[26:27]
	s_cbranch_vccnz .LBB6_345
; %bb.336:
	v_cvt_f32_ubyte0_e32 v3, v2
	s_mov_b32 s26, 0x47800000
	v_cmp_gt_u32_e32 vcc, s26, v3
                                        ; implicit-def: $vgpr4
	s_and_saveexec_b64 s[26:27], vcc
	s_xor_b64 s[26:27], exec, s[26:27]
	s_cbranch_execz .LBB6_342
; %bb.337:
	s_mov_b32 s30, 0x387fffff
	v_cmp_lt_u32_e32 vcc, s30, v3
                                        ; implicit-def: $vgpr4
	s_and_saveexec_b64 s[30:31], vcc
	s_xor_b64 s[30:31], exec, s[30:31]
; %bb.338:
	v_bfe_u32 v4, v3, 21, 1
	s_mov_b32 s34, 0x80fffff
	v_add3_u32 v3, v3, v4, s34
	v_lshrrev_b32_e32 v4, 21, v3
                                        ; implicit-def: $vgpr3
; %bb.339:
	s_andn2_saveexec_b64 s[30:31], s[30:31]
; %bb.340:
	v_add_f32_e32 v4, 0x43000000, v3
; %bb.341:
	s_or_b64 exec, exec, s[30:31]
                                        ; implicit-def: $vgpr3
.LBB6_342:
	s_andn2_saveexec_b64 s[26:27], s[26:27]
; %bb.343:
	s_mov_b32 s30, 0x7f800000
	v_mov_b32_e32 v4, 0x7c
	v_mov_b32_e32 v5, 0x7f
	v_cmp_lt_u32_e32 vcc, s30, v3
	v_cndmask_b32_e32 v4, v4, v5, vcc
; %bb.344:
	s_or_b64 exec, exec, s[26:27]
	global_store_byte v[0:1], v4, off
.LBB6_345:
	s_mov_b64 s[30:31], 0
	s_mov_b64 s[26:27], -1
.LBB6_346:
	s_andn2_b64 vcc, exec, s[30:31]
	s_cbranch_vccnz .LBB6_354
; %bb.347:
	s_cmp_gt_i32 s36, 14
	s_mov_b64 s[30:31], -1
	s_cbranch_scc0 .LBB6_351
; %bb.348:
	s_cmp_eq_u32 s36, 15
	s_mov_b64 s[2:3], -1
	s_cbranch_scc0 .LBB6_350
; %bb.349:
	v_cvt_f32_ubyte0_e32 v3, v2
	v_bfe_u32 v4, v3, 16, 1
	s_movk_i32 s2, 0x7fff
	v_add3_u32 v3, v3, v4, s2
	global_store_short_d16_hi v[0:1], v3, off
	s_mov_b64 s[26:27], -1
	s_mov_b64 s[2:3], 0
.LBB6_350:
	s_mov_b64 s[30:31], 0
.LBB6_351:
	s_and_b64 vcc, exec, s[30:31]
	s_cbranch_vccz .LBB6_354
; %bb.352:
	s_cmp_eq_u32 s36, 11
	s_mov_b64 s[2:3], -1
	s_cbranch_scc0 .LBB6_354
; %bb.353:
	v_mov_b32_e32 v3, 0
	v_cmp_ne_u16_sdwa s[2:3], v2, v3 src0_sel:BYTE_0 src1_sel:DWORD
	v_cndmask_b32_e64 v3, 0, 1, s[2:3]
	s_mov_b64 s[26:27], -1
	s_mov_b64 s[2:3], 0
	global_store_byte v[0:1], v3, off
.LBB6_354:
	s_mov_b64 s[30:31], 0
.LBB6_355:
	s_and_b64 vcc, exec, s[30:31]
	s_cbranch_vccz .LBB6_394
; %bb.356:
	s_and_b32 s5, 0xffff, s5
	s_cmp_lt_i32 s5, 5
	s_mov_b64 s[26:27], -1
	s_cbranch_scc1 .LBB6_377
; %bb.357:
	s_cmp_lt_i32 s5, 8
	s_cbranch_scc1 .LBB6_367
; %bb.358:
	s_cmp_lt_i32 s5, 9
	s_cbranch_scc1 .LBB6_364
; %bb.359:
	s_cmp_gt_i32 s5, 9
	s_cbranch_scc0 .LBB6_361
; %bb.360:
	s_mov_b32 s26, 0xffff
	v_and_b32_sdwa v3, s26, v2 dst_sel:DWORD dst_unused:UNUSED_PAD src0_sel:DWORD src1_sel:BYTE_0
	v_cvt_f64_u32_e32 v[3:4], v3
	v_mov_b32_e32 v5, 0
	v_mov_b32_e32 v6, v5
	s_mov_b64 s[26:27], 0
	global_store_dwordx4 v[0:1], v[3:6], off
.LBB6_361:
	s_andn2_b64 vcc, exec, s[26:27]
	s_cbranch_vccnz .LBB6_363
; %bb.362:
	v_cvt_f32_ubyte0_e32 v3, v2
	v_mov_b32_e32 v4, 0
	global_store_dwordx2 v[0:1], v[3:4], off
.LBB6_363:
	s_mov_b64 s[26:27], 0
.LBB6_364:
	s_andn2_b64 vcc, exec, s[26:27]
	s_cbranch_vccnz .LBB6_366
; %bb.365:
	v_cvt_f16_u16_sdwa v3, v2 dst_sel:DWORD dst_unused:UNUSED_PAD src0_sel:BYTE_0
	global_store_dword v[0:1], v3, off
.LBB6_366:
	s_mov_b64 s[26:27], 0
.LBB6_367:
	s_andn2_b64 vcc, exec, s[26:27]
	s_cbranch_vccnz .LBB6_376
; %bb.368:
	s_cmp_lt_i32 s5, 6
	s_mov_b64 s[26:27], -1
	s_cbranch_scc1 .LBB6_374
; %bb.369:
	s_cmp_gt_i32 s5, 6
	s_cbranch_scc0 .LBB6_371
; %bb.370:
	s_mov_b32 s26, 0xffff
	v_and_b32_sdwa v3, s26, v2 dst_sel:DWORD dst_unused:UNUSED_PAD src0_sel:DWORD src1_sel:BYTE_0
	v_cvt_f64_u32_e32 v[3:4], v3
	s_mov_b64 s[26:27], 0
	global_store_dwordx2 v[0:1], v[3:4], off
.LBB6_371:
	s_andn2_b64 vcc, exec, s[26:27]
	s_cbranch_vccnz .LBB6_373
; %bb.372:
	v_cvt_f32_ubyte0_e32 v3, v2
	global_store_dword v[0:1], v3, off
.LBB6_373:
	s_mov_b64 s[26:27], 0
.LBB6_374:
	s_andn2_b64 vcc, exec, s[26:27]
	s_cbranch_vccnz .LBB6_376
; %bb.375:
	v_cvt_f16_u16_sdwa v3, v2 dst_sel:DWORD dst_unused:UNUSED_PAD src0_sel:BYTE_0
	global_store_short v[0:1], v3, off
.LBB6_376:
	s_mov_b64 s[26:27], 0
.LBB6_377:
	s_andn2_b64 vcc, exec, s[26:27]
	s_cbranch_vccnz .LBB6_393
; %bb.378:
	s_cmp_lt_i32 s5, 2
	s_mov_b64 s[26:27], -1
	s_cbranch_scc1 .LBB6_388
; %bb.379:
	s_cmp_lt_i32 s5, 3
	s_cbranch_scc1 .LBB6_385
; %bb.380:
	s_cmp_gt_i32 s5, 3
	s_cbranch_scc0 .LBB6_382
; %bb.381:
	v_and_b32_e32 v3, 0xff, v2
	v_mov_b32_e32 v4, 0
	s_mov_b64 s[26:27], 0
	global_store_dwordx2 v[0:1], v[3:4], off
.LBB6_382:
	s_andn2_b64 vcc, exec, s[26:27]
	s_cbranch_vccnz .LBB6_384
; %bb.383:
	v_and_b32_e32 v3, 0xff, v2
	global_store_dword v[0:1], v3, off
.LBB6_384:
	s_mov_b64 s[26:27], 0
.LBB6_385:
	s_andn2_b64 vcc, exec, s[26:27]
	s_cbranch_vccnz .LBB6_387
; %bb.386:
	v_and_b32_e32 v3, 0xff, v2
	global_store_short v[0:1], v3, off
.LBB6_387:
	s_mov_b64 s[26:27], 0
.LBB6_388:
	s_andn2_b64 vcc, exec, s[26:27]
	s_cbranch_vccnz .LBB6_393
; %bb.389:
	s_cmp_gt_i32 s5, 0
	s_mov_b64 s[26:27], -1
	s_cbranch_scc0 .LBB6_391
; %bb.390:
	s_mov_b64 s[26:27], 0
	global_store_byte v[0:1], v2, off
.LBB6_391:
	s_andn2_b64 vcc, exec, s[26:27]
	s_cbranch_vccnz .LBB6_393
; %bb.392:
	global_store_byte v[0:1], v2, off
.LBB6_393:
	s_mov_b64 s[26:27], -1
.LBB6_394:
	s_andn2_b64 vcc, exec, s[26:27]
	s_cbranch_vccnz .LBB6_396
; %bb.395:
	v_add_u32_e32 v7, 0x80, v7
	s_mov_b64 s[30:31], -1
	s_branch .LBB6_504
.LBB6_396:
	s_mov_b64 s[30:31], 0
                                        ; implicit-def: $vgpr7
	s_branch .LBB6_504
.LBB6_397:
	s_mov_b64 s[24:25], -1
                                        ; implicit-def: $vgpr2
.LBB6_398:
	s_mov_b64 s[26:27], 0
.LBB6_399:
	s_and_b64 vcc, exec, s[26:27]
	s_cbranch_vccz .LBB6_403
; %bb.400:
	s_cmp_eq_u32 s30, 29
	s_cbranch_scc0 .LBB6_402
; %bb.401:
	global_load_dwordx2 v[2:3], v[0:1], off
	s_mov_b64 s[2:3], -1
	s_mov_b64 s[24:25], 0
	s_branch .LBB6_403
.LBB6_402:
	s_mov_b64 s[24:25], -1
                                        ; implicit-def: $vgpr2
.LBB6_403:
	s_mov_b64 s[26:27], 0
.LBB6_404:
	s_and_b64 vcc, exec, s[26:27]
	s_cbranch_vccz .LBB6_420
; %bb.405:
	s_cmp_lt_i32 s30, 27
	s_cbranch_scc1 .LBB6_408
; %bb.406:
	s_cmp_gt_i32 s30, 27
	s_cbranch_scc0 .LBB6_409
; %bb.407:
	global_load_dword v2, v[0:1], off
	s_mov_b64 s[2:3], 0
	s_branch .LBB6_410
.LBB6_408:
	s_mov_b64 s[2:3], -1
                                        ; implicit-def: $vgpr2
	s_branch .LBB6_413
.LBB6_409:
	s_mov_b64 s[2:3], -1
                                        ; implicit-def: $vgpr2
.LBB6_410:
	s_andn2_b64 vcc, exec, s[2:3]
	s_cbranch_vccnz .LBB6_412
; %bb.411:
	global_load_ushort v2, v[0:1], off
.LBB6_412:
	s_mov_b64 s[2:3], 0
.LBB6_413:
	s_andn2_b64 vcc, exec, s[2:3]
	s_cbranch_vccnz .LBB6_419
; %bb.414:
	global_load_ubyte v3, v[0:1], off
	s_movk_i32 s2, 0x7f
	s_mov_b64 s[26:27], 0
	s_waitcnt vmcnt(0)
	v_cmp_lt_i16_e32 vcc, s2, v3
	s_and_saveexec_b64 s[2:3], vcc
	s_xor_b64 s[2:3], exec, s[2:3]
	s_cbranch_execz .LBB6_431
; %bb.415:
	s_movk_i32 s26, 0x80
	v_cmp_ne_u16_e32 vcc, s26, v3
	s_and_b64 s[26:27], vcc, exec
	s_andn2_saveexec_b64 s[2:3], s[2:3]
	s_cbranch_execnz .LBB6_432
.LBB6_416:
	s_or_b64 exec, exec, s[2:3]
	v_mov_b32_e32 v2, 0
	s_and_saveexec_b64 s[2:3], s[26:27]
	s_cbranch_execz .LBB6_418
.LBB6_417:
	v_lshlrev_b32_e32 v2, 24, v3
	v_and_b32_e32 v3, 0xffff, v3
	v_and_b32_e32 v4, 7, v3
	v_ffbh_u32_e32 v6, v4
	v_min_u32_e32 v6, 32, v6
	v_subrev_u32_e32 v8, 28, v6
	v_bfe_u32 v5, v3, 3, 4
	v_lshlrev_b32_e32 v3, v8, v3
	v_sub_u32_e32 v6, 29, v6
	v_and_b32_e32 v3, 7, v3
	v_cmp_eq_u32_e32 vcc, 0, v5
	v_cndmask_b32_e32 v5, v5, v6, vcc
	v_cndmask_b32_e32 v3, v4, v3, vcc
	v_mov_b32_e32 v4, 0x3b800000
	v_lshlrev_b32_e32 v3, 20, v3
	v_and_b32_e32 v2, 0x80000000, v2
	v_lshl_add_u32 v4, v5, 23, v4
	v_or3_b32 v2, v2, v4, v3
	v_trunc_f32_e32 v2, v2
	s_mov_b32 s26, 0x2f800000
	v_mul_f32_e64 v3, |v2|, s26
	v_floor_f32_e32 v3, v3
	s_mov_b32 s26, 0xcf800000
	v_fma_f32 v3, v3, s26, |v2|
	v_cvt_u32_f32_e32 v3, v3
	v_ashrrev_i32_e32 v2, 31, v2
	v_xor_b32_e32 v3, v3, v2
	v_sub_u32_e32 v2, v3, v2
.LBB6_418:
	s_or_b64 exec, exec, s[2:3]
.LBB6_419:
	s_mov_b64 s[2:3], -1
.LBB6_420:
	s_mov_b64 s[26:27], 0
.LBB6_421:
	s_and_b64 vcc, exec, s[26:27]
	s_cbranch_vccz .LBB6_454
; %bb.422:
	s_cmp_gt_i32 s30, 22
	s_cbranch_scc0 .LBB6_430
; %bb.423:
	s_cmp_lt_i32 s30, 24
	s_cbranch_scc1 .LBB6_433
; %bb.424:
	s_cmp_gt_i32 s30, 24
	s_cbranch_scc0 .LBB6_434
; %bb.425:
	global_load_ubyte v3, v[0:1], off
	s_movk_i32 s2, 0x7f
	s_mov_b64 s[26:27], 0
	s_waitcnt vmcnt(0)
	v_cmp_lt_i16_e32 vcc, s2, v3
	s_and_saveexec_b64 s[2:3], vcc
	s_xor_b64 s[2:3], exec, s[2:3]
	s_cbranch_execz .LBB6_446
; %bb.426:
	s_movk_i32 s26, 0x80
	v_cmp_ne_u16_e32 vcc, s26, v3
	s_and_b64 s[26:27], vcc, exec
	s_andn2_saveexec_b64 s[2:3], s[2:3]
	s_cbranch_execnz .LBB6_447
.LBB6_427:
	s_or_b64 exec, exec, s[2:3]
	v_mov_b32_e32 v2, 0
	s_and_saveexec_b64 s[2:3], s[26:27]
	s_cbranch_execz .LBB6_429
.LBB6_428:
	v_lshlrev_b32_e32 v2, 24, v3
	v_and_b32_e32 v3, 0xffff, v3
	v_and_b32_e32 v4, 3, v3
	v_ffbh_u32_e32 v6, v4
	v_min_u32_e32 v6, 32, v6
	v_subrev_u32_e32 v8, 29, v6
	v_bfe_u32 v5, v3, 2, 5
	v_lshlrev_b32_e32 v3, v8, v3
	v_sub_u32_e32 v6, 30, v6
	v_and_b32_e32 v3, 3, v3
	v_cmp_eq_u32_e32 vcc, 0, v5
	v_cndmask_b32_e32 v5, v5, v6, vcc
	v_cndmask_b32_e32 v3, v4, v3, vcc
	v_mov_b32_e32 v4, 0x37800000
	v_lshlrev_b32_e32 v3, 21, v3
	v_and_b32_e32 v2, 0x80000000, v2
	v_lshl_add_u32 v4, v5, 23, v4
	v_or3_b32 v2, v2, v4, v3
	v_trunc_f32_e32 v2, v2
	s_mov_b32 s26, 0x2f800000
	v_mul_f32_e64 v3, |v2|, s26
	v_floor_f32_e32 v3, v3
	s_mov_b32 s26, 0xcf800000
	v_fma_f32 v3, v3, s26, |v2|
	v_cvt_u32_f32_e32 v3, v3
	v_ashrrev_i32_e32 v2, 31, v2
	v_xor_b32_e32 v3, v3, v2
	v_sub_u32_e32 v2, v3, v2
.LBB6_429:
	s_or_b64 exec, exec, s[2:3]
	s_mov_b64 s[2:3], 0
	s_branch .LBB6_435
.LBB6_430:
	s_mov_b64 s[26:27], -1
                                        ; implicit-def: $vgpr2
	s_branch .LBB6_441
.LBB6_431:
	s_andn2_saveexec_b64 s[2:3], s[2:3]
	s_cbranch_execz .LBB6_416
.LBB6_432:
	v_cmp_ne_u16_e32 vcc, 0, v3
	s_andn2_b64 s[26:27], s[26:27], exec
	s_and_b64 s[34:35], vcc, exec
	s_or_b64 s[26:27], s[26:27], s[34:35]
	s_or_b64 exec, exec, s[2:3]
	v_mov_b32_e32 v2, 0
	s_and_saveexec_b64 s[2:3], s[26:27]
	s_cbranch_execnz .LBB6_417
	s_branch .LBB6_418
.LBB6_433:
	s_mov_b64 s[2:3], -1
                                        ; implicit-def: $vgpr2
	s_branch .LBB6_438
.LBB6_434:
	s_mov_b64 s[2:3], -1
                                        ; implicit-def: $vgpr2
.LBB6_435:
	s_and_b64 vcc, exec, s[2:3]
	s_cbranch_vccz .LBB6_437
; %bb.436:
	global_load_ubyte v2, v[0:1], off
	s_mov_b32 s2, 0x7f800000
	s_brev_b32 s3, 1
	s_mov_b32 s26, 0x2f800000
	s_waitcnt vmcnt(0)
	v_lshlrev_b32_e32 v2, 24, v2
	v_and_b32_e32 v3, 0x7f000000, v2
	v_ffbh_u32_e32 v4, v3
	v_min_u32_e32 v4, 32, v4
	v_sub_u32_e64 v4, v4, 4 clamp
	v_lshlrev_b32_e32 v6, v4, v3
	v_lshlrev_b32_e32 v4, 23, v4
	v_lshrrev_b32_e32 v6, 4, v6
	v_add_u32_e32 v5, 0x1000000, v3
	v_sub_u32_e32 v4, v6, v4
	v_ashrrev_i32_e32 v5, 8, v5
	v_add_u32_e32 v4, 0x3c000000, v4
	v_and_or_b32 v4, v5, s2, v4
	v_cmp_ne_u32_e32 vcc, 0, v3
	v_cndmask_b32_e32 v3, 0, v4, vcc
	v_and_or_b32 v2, v2, s3, v3
	v_trunc_f32_e32 v2, v2
	v_mul_f32_e64 v3, |v2|, s26
	v_floor_f32_e32 v3, v3
	s_mov_b32 s2, 0xcf800000
	v_fma_f32 v3, v3, s2, |v2|
	v_cvt_u32_f32_e32 v3, v3
	v_ashrrev_i32_e32 v2, 31, v2
	v_xor_b32_e32 v3, v3, v2
	v_sub_u32_e32 v2, v3, v2
.LBB6_437:
	s_mov_b64 s[2:3], 0
.LBB6_438:
	s_andn2_b64 vcc, exec, s[2:3]
	s_cbranch_vccnz .LBB6_440
; %bb.439:
	global_load_ubyte v2, v[0:1], off
	s_movk_i32 s2, 0x7f00
	s_brev_b32 s3, 16
	s_brev_b32 s26, 1
	s_mov_b32 s27, 0x2f800000
	s_waitcnt vmcnt(0)
	v_lshlrev_b16_e32 v3, 8, v2
	v_lshlrev_b32_e32 v2, 25, v2
	v_lshrrev_b32_e32 v4, 4, v2
	v_and_or_b32 v5, v3, s2, 0.5
	v_or_b32_e32 v4, 0x70000000, v4
	v_add_f32_e32 v5, -0.5, v5
	v_mul_f32_e32 v4, 0x7800000, v4
	v_cmp_gt_u32_e32 vcc, s3, v2
	v_bfe_i32 v3, v3, 0, 16
	v_cndmask_b32_e32 v2, v4, v5, vcc
	v_and_or_b32 v2, v3, s26, v2
	v_trunc_f32_e32 v2, v2
	v_mul_f32_e64 v3, |v2|, s27
	v_floor_f32_e32 v3, v3
	s_mov_b32 s2, 0xcf800000
	v_fma_f32 v3, v3, s2, |v2|
	v_cvt_u32_f32_e32 v3, v3
	v_ashrrev_i32_e32 v2, 31, v2
	v_xor_b32_e32 v3, v3, v2
	v_sub_u32_e32 v2, v3, v2
.LBB6_440:
	s_mov_b64 s[26:27], 0
	s_mov_b64 s[2:3], -1
.LBB6_441:
	s_andn2_b64 vcc, exec, s[26:27]
	s_cbranch_vccnz .LBB6_454
; %bb.442:
	s_cmp_gt_i32 s30, 14
	s_cbranch_scc0 .LBB6_445
; %bb.443:
	s_cmp_eq_u32 s30, 15
	s_cbranch_scc0 .LBB6_448
; %bb.444:
	global_load_ushort v2, v[0:1], off
	s_mov_b32 s2, 0x2f800000
	s_mov_b32 s3, 0xcf800000
	s_mov_b64 s[24:25], 0
	s_waitcnt vmcnt(0)
	v_lshlrev_b32_e32 v2, 16, v2
	v_trunc_f32_e32 v2, v2
	v_mul_f32_e64 v3, |v2|, s2
	v_floor_f32_e32 v3, v3
	v_fma_f32 v3, v3, s3, |v2|
	v_cvt_u32_f32_e32 v3, v3
	v_ashrrev_i32_e32 v2, 31, v2
	s_mov_b64 s[2:3], -1
	v_xor_b32_e32 v3, v3, v2
	v_sub_u32_e32 v2, v3, v2
	s_branch .LBB6_449
.LBB6_445:
	s_mov_b64 s[26:27], -1
                                        ; implicit-def: $vgpr2
	s_branch .LBB6_450
.LBB6_446:
	s_andn2_saveexec_b64 s[2:3], s[2:3]
	s_cbranch_execz .LBB6_427
.LBB6_447:
	v_cmp_ne_u16_e32 vcc, 0, v3
	s_andn2_b64 s[26:27], s[26:27], exec
	s_and_b64 s[34:35], vcc, exec
	s_or_b64 s[26:27], s[26:27], s[34:35]
	s_or_b64 exec, exec, s[2:3]
	v_mov_b32_e32 v2, 0
	s_and_saveexec_b64 s[2:3], s[26:27]
	s_cbranch_execnz .LBB6_428
	s_branch .LBB6_429
.LBB6_448:
	s_mov_b64 s[24:25], -1
                                        ; implicit-def: $vgpr2
.LBB6_449:
	s_mov_b64 s[26:27], 0
.LBB6_450:
	s_and_b64 vcc, exec, s[26:27]
	s_cbranch_vccz .LBB6_454
; %bb.451:
	s_cmp_eq_u32 s30, 11
	s_cbranch_scc0 .LBB6_453
; %bb.452:
	global_load_ubyte v2, v[0:1], off
	s_mov_b64 s[2:3], -1
	s_mov_b64 s[24:25], 0
	s_waitcnt vmcnt(0)
	v_cmp_ne_u16_e32 vcc, 0, v2
	v_cndmask_b32_e64 v2, 0, 1, vcc
	s_branch .LBB6_454
.LBB6_453:
	s_mov_b64 s[24:25], -1
                                        ; implicit-def: $vgpr2
.LBB6_454:
	s_branch .LBB6_261
.LBB6_455:
	s_and_b32 s5, 0xffff, s5
	s_cmp_lt_i32 s5, 5
	s_cbranch_scc1 .LBB6_460
; %bb.456:
	s_cmp_lt_i32 s5, 8
	s_cbranch_scc1 .LBB6_461
; %bb.457:
	;; [unrolled: 3-line block ×3, first 2 shown]
	s_cmp_gt_i32 s5, 9
	s_cbranch_scc0 .LBB6_463
; %bb.459:
	global_load_dwordx2 v[2:3], v[0:1], off
	s_movk_i32 s2, 0xffe0
	s_waitcnt vmcnt(0)
	v_trunc_f64_e32 v[2:3], v[2:3]
	v_ldexp_f64 v[4:5], v[2:3], s2
	s_mov_b32 s2, 0
	s_mov_b32 s3, 0xc1f00000
	v_floor_f64_e32 v[4:5], v[4:5]
	v_fma_f64 v[2:3], v[4:5], s[2:3], v[2:3]
	s_mov_b64 s[2:3], 0
	v_cvt_u32_f64_e32 v2, v[2:3]
	s_branch .LBB6_464
.LBB6_460:
	s_mov_b64 s[2:3], -1
                                        ; implicit-def: $vgpr2
	s_branch .LBB6_482
.LBB6_461:
	s_mov_b64 s[2:3], -1
                                        ; implicit-def: $vgpr2
	s_branch .LBB6_470
.LBB6_462:
	s_mov_b64 s[2:3], -1
                                        ; implicit-def: $vgpr2
	s_branch .LBB6_467
.LBB6_463:
	s_mov_b64 s[2:3], -1
                                        ; implicit-def: $vgpr2
.LBB6_464:
	s_andn2_b64 vcc, exec, s[2:3]
	s_cbranch_vccnz .LBB6_466
; %bb.465:
	global_load_dword v2, v[0:1], off
	s_mov_b32 s2, 0x2f800000
	s_waitcnt vmcnt(0)
	v_trunc_f32_e32 v2, v2
	v_mul_f32_e64 v3, |v2|, s2
	v_floor_f32_e32 v3, v3
	s_mov_b32 s2, 0xcf800000
	v_fma_f32 v3, v3, s2, |v2|
	v_cvt_u32_f32_e32 v3, v3
	v_ashrrev_i32_e32 v2, 31, v2
	v_xor_b32_e32 v3, v3, v2
	v_sub_u32_e32 v2, v3, v2
.LBB6_466:
	s_mov_b64 s[2:3], 0
.LBB6_467:
	s_andn2_b64 vcc, exec, s[2:3]
	s_cbranch_vccnz .LBB6_469
; %bb.468:
	global_load_dword v2, v[0:1], off
	s_waitcnt vmcnt(0)
	v_cvt_f32_f16_e32 v2, v2
	v_cvt_i32_f32_e32 v2, v2
.LBB6_469:
	s_mov_b64 s[2:3], 0
.LBB6_470:
	s_andn2_b64 vcc, exec, s[2:3]
	s_cbranch_vccnz .LBB6_481
; %bb.471:
	s_cmp_lt_i32 s5, 6
	s_cbranch_scc1 .LBB6_474
; %bb.472:
	s_cmp_gt_i32 s5, 6
	s_cbranch_scc0 .LBB6_475
; %bb.473:
	global_load_dwordx2 v[2:3], v[0:1], off
	s_movk_i32 s2, 0xffe0
	s_waitcnt vmcnt(0)
	v_trunc_f64_e32 v[2:3], v[2:3]
	v_ldexp_f64 v[4:5], v[2:3], s2
	s_mov_b32 s2, 0
	s_mov_b32 s3, 0xc1f00000
	v_floor_f64_e32 v[4:5], v[4:5]
	v_fma_f64 v[2:3], v[4:5], s[2:3], v[2:3]
	s_mov_b64 s[2:3], 0
	v_cvt_u32_f64_e32 v2, v[2:3]
	s_branch .LBB6_476
.LBB6_474:
	s_mov_b64 s[2:3], -1
                                        ; implicit-def: $vgpr2
	s_branch .LBB6_479
.LBB6_475:
	s_mov_b64 s[2:3], -1
                                        ; implicit-def: $vgpr2
.LBB6_476:
	s_andn2_b64 vcc, exec, s[2:3]
	s_cbranch_vccnz .LBB6_478
; %bb.477:
	global_load_dword v2, v[0:1], off
	s_mov_b32 s2, 0x2f800000
	s_waitcnt vmcnt(0)
	v_trunc_f32_e32 v2, v2
	v_mul_f32_e64 v3, |v2|, s2
	v_floor_f32_e32 v3, v3
	s_mov_b32 s2, 0xcf800000
	v_fma_f32 v3, v3, s2, |v2|
	v_cvt_u32_f32_e32 v3, v3
	v_ashrrev_i32_e32 v2, 31, v2
	v_xor_b32_e32 v3, v3, v2
	v_sub_u32_e32 v2, v3, v2
.LBB6_478:
	s_mov_b64 s[2:3], 0
.LBB6_479:
	s_andn2_b64 vcc, exec, s[2:3]
	s_cbranch_vccnz .LBB6_481
; %bb.480:
	global_load_ushort v2, v[0:1], off
	s_waitcnt vmcnt(0)
	v_cvt_f32_f16_e32 v2, v2
	v_cvt_i32_f32_e32 v2, v2
.LBB6_481:
	s_mov_b64 s[2:3], 0
.LBB6_482:
	s_andn2_b64 vcc, exec, s[2:3]
	s_cbranch_vccnz .LBB6_502
; %bb.483:
	s_cmp_lt_i32 s5, 2
	s_cbranch_scc1 .LBB6_487
; %bb.484:
	s_cmp_lt_i32 s5, 3
	s_cbranch_scc1 .LBB6_488
; %bb.485:
	s_cmp_gt_i32 s5, 3
	s_cbranch_scc0 .LBB6_489
; %bb.486:
	global_load_dwordx2 v[2:3], v[0:1], off
	s_mov_b64 s[2:3], 0
	s_branch .LBB6_490
.LBB6_487:
	s_mov_b64 s[2:3], -1
                                        ; implicit-def: $vgpr2
	s_branch .LBB6_496
.LBB6_488:
	s_mov_b64 s[2:3], -1
                                        ; implicit-def: $vgpr2
	s_branch .LBB6_493
.LBB6_489:
	s_mov_b64 s[2:3], -1
                                        ; implicit-def: $vgpr2
.LBB6_490:
	s_andn2_b64 vcc, exec, s[2:3]
	s_cbranch_vccnz .LBB6_492
; %bb.491:
	global_load_dword v2, v[0:1], off
.LBB6_492:
	s_mov_b64 s[2:3], 0
.LBB6_493:
	s_andn2_b64 vcc, exec, s[2:3]
	s_cbranch_vccnz .LBB6_495
; %bb.494:
	global_load_ushort v2, v[0:1], off
.LBB6_495:
	s_mov_b64 s[2:3], 0
.LBB6_496:
	s_andn2_b64 vcc, exec, s[2:3]
	s_cbranch_vccnz .LBB6_502
; %bb.497:
	s_cmp_gt_i32 s5, 0
	s_cbranch_scc0 .LBB6_499
; %bb.498:
	global_load_ubyte v2, v[0:1], off
	s_mov_b64 s[2:3], 0
	s_branch .LBB6_500
.LBB6_499:
	s_mov_b64 s[2:3], -1
                                        ; implicit-def: $vgpr2
.LBB6_500:
	s_andn2_b64 vcc, exec, s[2:3]
	s_cbranch_vccnz .LBB6_502
; %bb.501:
	global_load_ubyte v2, v[0:1], off
.LBB6_502:
	s_branch .LBB6_262
.LBB6_503:
	s_mov_b64 s[30:31], 0
                                        ; implicit-def: $vgpr7
	s_mov_b64 s[2:3], s[18:19]
.LBB6_504:
	s_andn2_b64 s[26:27], s[18:19], exec
	s_and_b64 s[2:3], s[2:3], exec
	s_or_b64 s[26:27], s[26:27], s[2:3]
	s_andn2_b64 s[2:3], s[20:21], exec
	s_and_b64 s[24:25], s[24:25], exec
	s_or_b64 s[24:25], s[2:3], s[24:25]
	s_orn2_b64 s[2:3], s[30:31], exec
.LBB6_505:
	s_or_b64 exec, exec, s[28:29]
	s_mov_b64 s[34:35], 0
	s_mov_b64 s[30:31], 0
	;; [unrolled: 1-line block ×3, first 2 shown]
                                        ; implicit-def: $sgpr5
                                        ; implicit-def: $vgpr0_vgpr1
                                        ; implicit-def: $vgpr2
	s_and_saveexec_b64 s[28:29], s[2:3]
	s_cbranch_execz .LBB6_842
; %bb.506:
	v_cmp_gt_i32_e32 vcc, s44, v7
	s_mov_b64 s[40:41], -1
	s_mov_b64 s[2:3], s[24:25]
	s_mov_b64 s[36:37], s[26:27]
	s_and_saveexec_b64 s[30:31], vcc
	s_cbranch_execz .LBB6_760
; %bb.507:
	v_mul_lo_u32 v0, v7, s13
	v_mov_b32_e32 v1, s11
	s_and_b32 s5, s15, 0xff
	s_cmp_lt_i32 s5, 11
	s_waitcnt vmcnt(0)
	v_ashrrev_i32_e32 v2, 31, v0
	v_add_co_u32_e32 v0, vcc, s10, v0
	v_addc_co_u32_e32 v1, vcc, v1, v2, vcc
	s_cbranch_scc1 .LBB6_514
; %bb.508:
	s_and_b32 s38, 0xffff, s5
	s_cmp_gt_i32 s38, 25
	s_cbranch_scc0 .LBB6_515
; %bb.509:
	s_cmp_gt_i32 s38, 28
	s_cbranch_scc0 .LBB6_516
; %bb.510:
	s_cmp_gt_i32 s38, 43
	s_cbranch_scc0 .LBB6_517
; %bb.511:
	s_cmp_gt_i32 s38, 45
	s_cbranch_scc0 .LBB6_520
; %bb.512:
	s_cmp_eq_u32 s38, 46
	s_mov_b64 s[36:37], 0
	s_cbranch_scc0 .LBB6_523
; %bb.513:
	global_load_dword v2, v[0:1], off
	s_mov_b32 s2, 0x2f800000
	s_mov_b32 s3, 0xcf800000
	s_waitcnt vmcnt(0)
	v_lshlrev_b32_e32 v2, 16, v2
	v_trunc_f32_e32 v2, v2
	v_mul_f32_e64 v3, |v2|, s2
	v_floor_f32_e32 v3, v3
	v_fma_f32 v3, v3, s3, |v2|
	v_cvt_u32_f32_e32 v3, v3
	v_ashrrev_i32_e32 v2, 31, v2
	s_mov_b64 s[2:3], -1
	v_xor_b32_e32 v3, v3, v2
	v_sub_u32_e32 v2, v3, v2
	s_branch .LBB6_524
.LBB6_514:
	s_mov_b64 s[36:37], -1
	s_mov_b64 s[2:3], 0
                                        ; implicit-def: $vgpr2
	s_mov_b64 s[34:35], s[24:25]
	s_branch .LBB6_585
.LBB6_515:
	s_mov_b64 s[36:37], -1
	s_mov_b64 s[2:3], 0
	s_mov_b64 s[34:35], s[24:25]
                                        ; implicit-def: $vgpr2
	s_branch .LBB6_551
.LBB6_516:
	s_mov_b64 s[36:37], -1
	s_mov_b64 s[2:3], 0
	s_mov_b64 s[34:35], s[24:25]
                                        ; implicit-def: $vgpr2
	s_branch .LBB6_534
.LBB6_517:
	s_mov_b64 s[36:37], -1
	s_mov_b64 s[2:3], 0
	s_mov_b64 s[34:35], s[24:25]
                                        ; implicit-def: $vgpr2
	s_branch .LBB6_529
.LBB6_518:
	s_andn2_saveexec_b64 s[34:35], s[34:35]
	s_cbranch_execz .LBB6_307
.LBB6_519:
	v_add_f32_e32 v3, 0x46000000, v4
	v_and_b32_e32 v3, 0xff, v3
	v_cmp_ne_u32_e32 vcc, 0, v3
	s_andn2_b64 s[30:31], s[30:31], exec
	s_and_b64 s[38:39], vcc, exec
	s_or_b64 s[30:31], s[30:31], s[38:39]
	s_or_b64 exec, exec, s[34:35]
	v_mov_b32_e32 v5, 0
	s_and_saveexec_b64 s[34:35], s[30:31]
	s_cbranch_execnz .LBB6_308
	s_branch .LBB6_309
.LBB6_520:
	s_mov_b64 s[36:37], -1
	s_mov_b64 s[2:3], 0
	s_mov_b64 s[34:35], s[24:25]
                                        ; implicit-def: $vgpr2
	s_branch .LBB6_524
.LBB6_521:
	s_andn2_saveexec_b64 s[34:35], s[34:35]
	s_cbranch_execz .LBB6_320
.LBB6_522:
	v_add_f32_e32 v3, 0x42800000, v4
	v_and_b32_e32 v3, 0xff, v3
	v_cmp_ne_u32_e32 vcc, 0, v3
	s_andn2_b64 s[30:31], s[30:31], exec
	s_and_b64 s[38:39], vcc, exec
	s_or_b64 s[30:31], s[30:31], s[38:39]
	s_or_b64 exec, exec, s[34:35]
	v_mov_b32_e32 v5, 0
	s_and_saveexec_b64 s[34:35], s[30:31]
	s_cbranch_execnz .LBB6_321
	s_branch .LBB6_322
.LBB6_523:
	s_mov_b64 s[34:35], -1
                                        ; implicit-def: $vgpr2
	s_mov_b64 s[2:3], 0
.LBB6_524:
	s_and_b64 vcc, exec, s[36:37]
	s_cbranch_vccz .LBB6_528
; %bb.525:
	s_cmp_eq_u32 s38, 44
	s_cbranch_scc0 .LBB6_527
; %bb.526:
	global_load_ubyte v2, v[0:1], off
	s_mov_b32 s2, 0x2f800000
	s_mov_b32 s3, 0xcf800000
	s_mov_b64 s[34:35], 0
	s_waitcnt vmcnt(0)
	v_lshlrev_b32_e32 v3, 23, v2
	v_trunc_f32_e32 v3, v3
	v_mul_f32_e64 v4, |v3|, s2
	v_floor_f32_e32 v4, v4
	v_fma_f32 v4, v4, s3, |v3|
	v_cvt_u32_f32_e32 v4, v4
	v_ashrrev_i32_e32 v3, 31, v3
	v_cmp_ne_u32_e32 vcc, 0, v2
	s_mov_b64 s[2:3], -1
	v_xor_b32_e32 v4, v4, v3
	v_sub_u32_e32 v3, v4, v3
	v_cndmask_b32_e32 v2, 0, v3, vcc
	s_branch .LBB6_528
.LBB6_527:
	s_mov_b64 s[34:35], -1
                                        ; implicit-def: $vgpr2
.LBB6_528:
	s_mov_b64 s[36:37], 0
.LBB6_529:
	s_and_b64 vcc, exec, s[36:37]
	s_cbranch_vccz .LBB6_533
; %bb.530:
	s_cmp_eq_u32 s38, 29
	s_cbranch_scc0 .LBB6_532
; %bb.531:
	global_load_dwordx2 v[2:3], v[0:1], off
	s_mov_b64 s[2:3], -1
	s_mov_b64 s[34:35], 0
	s_branch .LBB6_533
.LBB6_532:
	s_mov_b64 s[34:35], -1
                                        ; implicit-def: $vgpr2
.LBB6_533:
	s_mov_b64 s[36:37], 0
.LBB6_534:
	s_and_b64 vcc, exec, s[36:37]
	s_cbranch_vccz .LBB6_550
; %bb.535:
	s_cmp_lt_i32 s38, 27
	s_cbranch_scc1 .LBB6_538
; %bb.536:
	s_cmp_gt_i32 s38, 27
	s_cbranch_scc0 .LBB6_539
; %bb.537:
	global_load_dword v2, v[0:1], off
	s_mov_b64 s[2:3], 0
	s_branch .LBB6_540
.LBB6_538:
	s_mov_b64 s[2:3], -1
                                        ; implicit-def: $vgpr2
	s_branch .LBB6_543
.LBB6_539:
	s_mov_b64 s[2:3], -1
                                        ; implicit-def: $vgpr2
.LBB6_540:
	s_andn2_b64 vcc, exec, s[2:3]
	s_cbranch_vccnz .LBB6_542
; %bb.541:
	global_load_ushort v2, v[0:1], off
.LBB6_542:
	s_mov_b64 s[2:3], 0
.LBB6_543:
	s_andn2_b64 vcc, exec, s[2:3]
	s_cbranch_vccnz .LBB6_549
; %bb.544:
	global_load_ubyte v3, v[0:1], off
	s_movk_i32 s2, 0x7f
	s_mov_b64 s[36:37], 0
	s_waitcnt vmcnt(0)
	v_cmp_lt_i16_e32 vcc, s2, v3
	s_and_saveexec_b64 s[2:3], vcc
	s_xor_b64 s[2:3], exec, s[2:3]
	s_cbranch_execz .LBB6_561
; %bb.545:
	s_movk_i32 s36, 0x80
	v_cmp_ne_u16_e32 vcc, s36, v3
	s_and_b64 s[36:37], vcc, exec
	s_andn2_saveexec_b64 s[2:3], s[2:3]
	s_cbranch_execnz .LBB6_562
.LBB6_546:
	s_or_b64 exec, exec, s[2:3]
	v_mov_b32_e32 v2, 0
	s_and_saveexec_b64 s[2:3], s[36:37]
	s_cbranch_execz .LBB6_548
.LBB6_547:
	v_lshlrev_b32_e32 v2, 24, v3
	v_and_b32_e32 v3, 0xffff, v3
	v_and_b32_e32 v4, 7, v3
	v_ffbh_u32_e32 v6, v4
	v_min_u32_e32 v6, 32, v6
	v_subrev_u32_e32 v8, 28, v6
	v_bfe_u32 v5, v3, 3, 4
	v_lshlrev_b32_e32 v3, v8, v3
	v_sub_u32_e32 v6, 29, v6
	v_and_b32_e32 v3, 7, v3
	v_cmp_eq_u32_e32 vcc, 0, v5
	v_cndmask_b32_e32 v5, v5, v6, vcc
	v_cndmask_b32_e32 v3, v4, v3, vcc
	v_mov_b32_e32 v4, 0x3b800000
	v_lshlrev_b32_e32 v3, 20, v3
	v_and_b32_e32 v2, 0x80000000, v2
	v_lshl_add_u32 v4, v5, 23, v4
	v_or3_b32 v2, v2, v4, v3
	v_trunc_f32_e32 v2, v2
	s_mov_b32 s36, 0x2f800000
	v_mul_f32_e64 v3, |v2|, s36
	v_floor_f32_e32 v3, v3
	s_mov_b32 s36, 0xcf800000
	v_fma_f32 v3, v3, s36, |v2|
	v_cvt_u32_f32_e32 v3, v3
	v_ashrrev_i32_e32 v2, 31, v2
	v_xor_b32_e32 v3, v3, v2
	v_sub_u32_e32 v2, v3, v2
.LBB6_548:
	s_or_b64 exec, exec, s[2:3]
.LBB6_549:
	s_mov_b64 s[2:3], -1
.LBB6_550:
	s_mov_b64 s[36:37], 0
.LBB6_551:
	s_and_b64 vcc, exec, s[36:37]
	s_cbranch_vccz .LBB6_584
; %bb.552:
	s_cmp_gt_i32 s38, 22
	s_cbranch_scc0 .LBB6_560
; %bb.553:
	s_cmp_lt_i32 s38, 24
	s_cbranch_scc1 .LBB6_563
; %bb.554:
	s_cmp_gt_i32 s38, 24
	s_cbranch_scc0 .LBB6_564
; %bb.555:
	global_load_ubyte v3, v[0:1], off
	s_movk_i32 s2, 0x7f
	s_mov_b64 s[36:37], 0
	s_waitcnt vmcnt(0)
	v_cmp_lt_i16_e32 vcc, s2, v3
	s_and_saveexec_b64 s[2:3], vcc
	s_xor_b64 s[2:3], exec, s[2:3]
	s_cbranch_execz .LBB6_576
; %bb.556:
	s_movk_i32 s36, 0x80
	v_cmp_ne_u16_e32 vcc, s36, v3
	s_and_b64 s[36:37], vcc, exec
	s_andn2_saveexec_b64 s[2:3], s[2:3]
	s_cbranch_execnz .LBB6_577
.LBB6_557:
	s_or_b64 exec, exec, s[2:3]
	v_mov_b32_e32 v2, 0
	s_and_saveexec_b64 s[2:3], s[36:37]
	s_cbranch_execz .LBB6_559
.LBB6_558:
	v_lshlrev_b32_e32 v2, 24, v3
	v_and_b32_e32 v3, 0xffff, v3
	v_and_b32_e32 v4, 3, v3
	v_ffbh_u32_e32 v6, v4
	v_min_u32_e32 v6, 32, v6
	v_subrev_u32_e32 v8, 29, v6
	v_bfe_u32 v5, v3, 2, 5
	v_lshlrev_b32_e32 v3, v8, v3
	v_sub_u32_e32 v6, 30, v6
	v_and_b32_e32 v3, 3, v3
	v_cmp_eq_u32_e32 vcc, 0, v5
	v_cndmask_b32_e32 v5, v5, v6, vcc
	v_cndmask_b32_e32 v3, v4, v3, vcc
	v_mov_b32_e32 v4, 0x37800000
	v_lshlrev_b32_e32 v3, 21, v3
	v_and_b32_e32 v2, 0x80000000, v2
	v_lshl_add_u32 v4, v5, 23, v4
	v_or3_b32 v2, v2, v4, v3
	v_trunc_f32_e32 v2, v2
	s_mov_b32 s36, 0x2f800000
	v_mul_f32_e64 v3, |v2|, s36
	v_floor_f32_e32 v3, v3
	s_mov_b32 s36, 0xcf800000
	v_fma_f32 v3, v3, s36, |v2|
	v_cvt_u32_f32_e32 v3, v3
	v_ashrrev_i32_e32 v2, 31, v2
	v_xor_b32_e32 v3, v3, v2
	v_sub_u32_e32 v2, v3, v2
.LBB6_559:
	s_or_b64 exec, exec, s[2:3]
	s_mov_b64 s[2:3], 0
	s_branch .LBB6_565
.LBB6_560:
	s_mov_b64 s[36:37], -1
                                        ; implicit-def: $vgpr2
	s_branch .LBB6_571
.LBB6_561:
	s_andn2_saveexec_b64 s[2:3], s[2:3]
	s_cbranch_execz .LBB6_546
.LBB6_562:
	v_cmp_ne_u16_e32 vcc, 0, v3
	s_andn2_b64 s[36:37], s[36:37], exec
	s_and_b64 s[40:41], vcc, exec
	s_or_b64 s[36:37], s[36:37], s[40:41]
	s_or_b64 exec, exec, s[2:3]
	v_mov_b32_e32 v2, 0
	s_and_saveexec_b64 s[2:3], s[36:37]
	s_cbranch_execnz .LBB6_547
	s_branch .LBB6_548
.LBB6_563:
	s_mov_b64 s[2:3], -1
                                        ; implicit-def: $vgpr2
	s_branch .LBB6_568
.LBB6_564:
	s_mov_b64 s[2:3], -1
                                        ; implicit-def: $vgpr2
.LBB6_565:
	s_and_b64 vcc, exec, s[2:3]
	s_cbranch_vccz .LBB6_567
; %bb.566:
	global_load_ubyte v2, v[0:1], off
	s_mov_b32 s2, 0x7f800000
	s_brev_b32 s3, 1
	s_mov_b32 s36, 0x2f800000
	s_waitcnt vmcnt(0)
	v_lshlrev_b32_e32 v2, 24, v2
	v_and_b32_e32 v3, 0x7f000000, v2
	v_ffbh_u32_e32 v4, v3
	v_min_u32_e32 v4, 32, v4
	v_sub_u32_e64 v4, v4, 4 clamp
	v_lshlrev_b32_e32 v6, v4, v3
	v_lshlrev_b32_e32 v4, 23, v4
	v_lshrrev_b32_e32 v6, 4, v6
	v_add_u32_e32 v5, 0x1000000, v3
	v_sub_u32_e32 v4, v6, v4
	v_ashrrev_i32_e32 v5, 8, v5
	v_add_u32_e32 v4, 0x3c000000, v4
	v_and_or_b32 v4, v5, s2, v4
	v_cmp_ne_u32_e32 vcc, 0, v3
	v_cndmask_b32_e32 v3, 0, v4, vcc
	v_and_or_b32 v2, v2, s3, v3
	v_trunc_f32_e32 v2, v2
	v_mul_f32_e64 v3, |v2|, s36
	v_floor_f32_e32 v3, v3
	s_mov_b32 s2, 0xcf800000
	v_fma_f32 v3, v3, s2, |v2|
	v_cvt_u32_f32_e32 v3, v3
	v_ashrrev_i32_e32 v2, 31, v2
	v_xor_b32_e32 v3, v3, v2
	v_sub_u32_e32 v2, v3, v2
.LBB6_567:
	s_mov_b64 s[2:3], 0
.LBB6_568:
	s_andn2_b64 vcc, exec, s[2:3]
	s_cbranch_vccnz .LBB6_570
; %bb.569:
	global_load_ubyte v2, v[0:1], off
	s_movk_i32 s2, 0x7f00
	s_brev_b32 s3, 16
	s_brev_b32 s36, 1
	s_mov_b32 s37, 0x2f800000
	s_waitcnt vmcnt(0)
	v_lshlrev_b16_e32 v3, 8, v2
	v_lshlrev_b32_e32 v2, 25, v2
	v_lshrrev_b32_e32 v4, 4, v2
	v_and_or_b32 v5, v3, s2, 0.5
	v_or_b32_e32 v4, 0x70000000, v4
	v_add_f32_e32 v5, -0.5, v5
	v_mul_f32_e32 v4, 0x7800000, v4
	v_cmp_gt_u32_e32 vcc, s3, v2
	v_bfe_i32 v3, v3, 0, 16
	v_cndmask_b32_e32 v2, v4, v5, vcc
	v_and_or_b32 v2, v3, s36, v2
	v_trunc_f32_e32 v2, v2
	v_mul_f32_e64 v3, |v2|, s37
	v_floor_f32_e32 v3, v3
	s_mov_b32 s2, 0xcf800000
	v_fma_f32 v3, v3, s2, |v2|
	v_cvt_u32_f32_e32 v3, v3
	v_ashrrev_i32_e32 v2, 31, v2
	v_xor_b32_e32 v3, v3, v2
	v_sub_u32_e32 v2, v3, v2
.LBB6_570:
	s_mov_b64 s[36:37], 0
	s_mov_b64 s[2:3], -1
.LBB6_571:
	s_andn2_b64 vcc, exec, s[36:37]
	s_cbranch_vccnz .LBB6_584
; %bb.572:
	s_cmp_gt_i32 s38, 14
	s_cbranch_scc0 .LBB6_575
; %bb.573:
	s_cmp_eq_u32 s38, 15
	s_cbranch_scc0 .LBB6_578
; %bb.574:
	global_load_ushort v2, v[0:1], off
	s_mov_b32 s2, 0x2f800000
	s_mov_b32 s3, 0xcf800000
	s_mov_b64 s[34:35], 0
	s_waitcnt vmcnt(0)
	v_lshlrev_b32_e32 v2, 16, v2
	v_trunc_f32_e32 v2, v2
	v_mul_f32_e64 v3, |v2|, s2
	v_floor_f32_e32 v3, v3
	v_fma_f32 v3, v3, s3, |v2|
	v_cvt_u32_f32_e32 v3, v3
	v_ashrrev_i32_e32 v2, 31, v2
	s_mov_b64 s[2:3], -1
	v_xor_b32_e32 v3, v3, v2
	v_sub_u32_e32 v2, v3, v2
	s_branch .LBB6_579
.LBB6_575:
	s_mov_b64 s[36:37], -1
                                        ; implicit-def: $vgpr2
	s_branch .LBB6_580
.LBB6_576:
	s_andn2_saveexec_b64 s[2:3], s[2:3]
	s_cbranch_execz .LBB6_557
.LBB6_577:
	v_cmp_ne_u16_e32 vcc, 0, v3
	s_andn2_b64 s[36:37], s[36:37], exec
	s_and_b64 s[40:41], vcc, exec
	s_or_b64 s[36:37], s[36:37], s[40:41]
	s_or_b64 exec, exec, s[2:3]
	v_mov_b32_e32 v2, 0
	s_and_saveexec_b64 s[2:3], s[36:37]
	s_cbranch_execnz .LBB6_558
	s_branch .LBB6_559
.LBB6_578:
	s_mov_b64 s[34:35], -1
                                        ; implicit-def: $vgpr2
.LBB6_579:
	s_mov_b64 s[36:37], 0
.LBB6_580:
	s_and_b64 vcc, exec, s[36:37]
	s_cbranch_vccz .LBB6_584
; %bb.581:
	s_cmp_eq_u32 s38, 11
	s_cbranch_scc0 .LBB6_583
; %bb.582:
	global_load_ubyte v2, v[0:1], off
	s_mov_b64 s[2:3], -1
	s_mov_b64 s[34:35], 0
	s_waitcnt vmcnt(0)
	v_cmp_ne_u16_e32 vcc, 0, v2
	v_cndmask_b32_e64 v2, 0, 1, vcc
	s_branch .LBB6_584
.LBB6_583:
	s_mov_b64 s[34:35], -1
                                        ; implicit-def: $vgpr2
.LBB6_584:
	s_mov_b64 s[36:37], 0
.LBB6_585:
	s_and_b64 vcc, exec, s[36:37]
	s_cbranch_vccz .LBB6_634
; %bb.586:
	s_and_b32 s5, 0xffff, s5
	s_cmp_lt_i32 s5, 5
	s_cbranch_scc1 .LBB6_591
; %bb.587:
	s_cmp_lt_i32 s5, 8
	s_cbranch_scc1 .LBB6_592
; %bb.588:
	;; [unrolled: 3-line block ×3, first 2 shown]
	s_cmp_gt_i32 s5, 9
	s_cbranch_scc0 .LBB6_594
; %bb.590:
	global_load_dwordx2 v[2:3], v[0:1], off
	s_movk_i32 s2, 0xffe0
	s_waitcnt vmcnt(0)
	v_trunc_f64_e32 v[2:3], v[2:3]
	v_ldexp_f64 v[4:5], v[2:3], s2
	s_mov_b32 s2, 0
	s_mov_b32 s3, 0xc1f00000
	v_floor_f64_e32 v[4:5], v[4:5]
	v_fma_f64 v[2:3], v[4:5], s[2:3], v[2:3]
	s_mov_b64 s[2:3], 0
	v_cvt_u32_f64_e32 v2, v[2:3]
	s_branch .LBB6_595
.LBB6_591:
	s_mov_b64 s[2:3], -1
                                        ; implicit-def: $vgpr2
	s_branch .LBB6_613
.LBB6_592:
	s_mov_b64 s[2:3], -1
                                        ; implicit-def: $vgpr2
	s_branch .LBB6_601
.LBB6_593:
	s_mov_b64 s[2:3], -1
                                        ; implicit-def: $vgpr2
	s_branch .LBB6_598
.LBB6_594:
	s_mov_b64 s[2:3], -1
                                        ; implicit-def: $vgpr2
.LBB6_595:
	s_andn2_b64 vcc, exec, s[2:3]
	s_cbranch_vccnz .LBB6_597
; %bb.596:
	global_load_dword v2, v[0:1], off
	s_mov_b32 s2, 0x2f800000
	s_waitcnt vmcnt(0)
	v_trunc_f32_e32 v2, v2
	v_mul_f32_e64 v3, |v2|, s2
	v_floor_f32_e32 v3, v3
	s_mov_b32 s2, 0xcf800000
	v_fma_f32 v3, v3, s2, |v2|
	v_cvt_u32_f32_e32 v3, v3
	v_ashrrev_i32_e32 v2, 31, v2
	v_xor_b32_e32 v3, v3, v2
	v_sub_u32_e32 v2, v3, v2
.LBB6_597:
	s_mov_b64 s[2:3], 0
.LBB6_598:
	s_andn2_b64 vcc, exec, s[2:3]
	s_cbranch_vccnz .LBB6_600
; %bb.599:
	global_load_dword v2, v[0:1], off
	s_waitcnt vmcnt(0)
	v_cvt_f32_f16_e32 v2, v2
	v_cvt_i32_f32_e32 v2, v2
.LBB6_600:
	s_mov_b64 s[2:3], 0
.LBB6_601:
	s_andn2_b64 vcc, exec, s[2:3]
	s_cbranch_vccnz .LBB6_612
; %bb.602:
	s_cmp_lt_i32 s5, 6
	s_cbranch_scc1 .LBB6_605
; %bb.603:
	s_cmp_gt_i32 s5, 6
	s_cbranch_scc0 .LBB6_606
; %bb.604:
	global_load_dwordx2 v[2:3], v[0:1], off
	s_movk_i32 s2, 0xffe0
	s_waitcnt vmcnt(0)
	v_trunc_f64_e32 v[2:3], v[2:3]
	v_ldexp_f64 v[4:5], v[2:3], s2
	s_mov_b32 s2, 0
	s_mov_b32 s3, 0xc1f00000
	v_floor_f64_e32 v[4:5], v[4:5]
	v_fma_f64 v[2:3], v[4:5], s[2:3], v[2:3]
	s_mov_b64 s[2:3], 0
	v_cvt_u32_f64_e32 v2, v[2:3]
	s_branch .LBB6_607
.LBB6_605:
	s_mov_b64 s[2:3], -1
                                        ; implicit-def: $vgpr2
	s_branch .LBB6_610
.LBB6_606:
	s_mov_b64 s[2:3], -1
                                        ; implicit-def: $vgpr2
.LBB6_607:
	s_andn2_b64 vcc, exec, s[2:3]
	s_cbranch_vccnz .LBB6_609
; %bb.608:
	global_load_dword v2, v[0:1], off
	s_mov_b32 s2, 0x2f800000
	s_waitcnt vmcnt(0)
	v_trunc_f32_e32 v2, v2
	v_mul_f32_e64 v3, |v2|, s2
	v_floor_f32_e32 v3, v3
	s_mov_b32 s2, 0xcf800000
	v_fma_f32 v3, v3, s2, |v2|
	v_cvt_u32_f32_e32 v3, v3
	v_ashrrev_i32_e32 v2, 31, v2
	v_xor_b32_e32 v3, v3, v2
	v_sub_u32_e32 v2, v3, v2
.LBB6_609:
	s_mov_b64 s[2:3], 0
.LBB6_610:
	s_andn2_b64 vcc, exec, s[2:3]
	s_cbranch_vccnz .LBB6_612
; %bb.611:
	global_load_ushort v2, v[0:1], off
	s_waitcnt vmcnt(0)
	v_cvt_f32_f16_e32 v2, v2
	v_cvt_i32_f32_e32 v2, v2
.LBB6_612:
	s_mov_b64 s[2:3], 0
.LBB6_613:
	s_andn2_b64 vcc, exec, s[2:3]
	s_cbranch_vccnz .LBB6_633
; %bb.614:
	s_cmp_lt_i32 s5, 2
	s_cbranch_scc1 .LBB6_618
; %bb.615:
	s_cmp_lt_i32 s5, 3
	s_cbranch_scc1 .LBB6_619
; %bb.616:
	s_cmp_gt_i32 s5, 3
	s_cbranch_scc0 .LBB6_620
; %bb.617:
	global_load_dwordx2 v[2:3], v[0:1], off
	s_mov_b64 s[2:3], 0
	s_branch .LBB6_621
.LBB6_618:
	s_mov_b64 s[2:3], -1
                                        ; implicit-def: $vgpr2
	s_branch .LBB6_627
.LBB6_619:
	s_mov_b64 s[2:3], -1
                                        ; implicit-def: $vgpr2
	s_branch .LBB6_624
.LBB6_620:
	s_mov_b64 s[2:3], -1
                                        ; implicit-def: $vgpr2
.LBB6_621:
	s_andn2_b64 vcc, exec, s[2:3]
	s_cbranch_vccnz .LBB6_623
; %bb.622:
	global_load_dword v2, v[0:1], off
.LBB6_623:
	s_mov_b64 s[2:3], 0
.LBB6_624:
	s_andn2_b64 vcc, exec, s[2:3]
	s_cbranch_vccnz .LBB6_626
; %bb.625:
	global_load_ushort v2, v[0:1], off
.LBB6_626:
	s_mov_b64 s[2:3], 0
.LBB6_627:
	s_andn2_b64 vcc, exec, s[2:3]
	s_cbranch_vccnz .LBB6_633
; %bb.628:
	s_cmp_gt_i32 s5, 0
	s_cbranch_scc0 .LBB6_630
; %bb.629:
	global_load_ubyte v2, v[0:1], off
	s_mov_b64 s[2:3], 0
	s_branch .LBB6_631
.LBB6_630:
	s_mov_b64 s[2:3], -1
                                        ; implicit-def: $vgpr2
.LBB6_631:
	s_andn2_b64 vcc, exec, s[2:3]
	s_cbranch_vccnz .LBB6_633
; %bb.632:
	global_load_ubyte v2, v[0:1], off
.LBB6_633:
	s_mov_b64 s[2:3], -1
.LBB6_634:
	s_andn2_b64 vcc, exec, s[2:3]
	s_cbranch_vccnz .LBB6_642
; %bb.635:
	v_mul_lo_u32 v0, v7, s12
	v_mov_b32_e32 v1, s33
	s_waitcnt vmcnt(0)
	v_mov_b32_e32 v3, s9
	v_cndmask_b32_e64 v2, v1, v2, s[0:1]
	v_ashrrev_i32_e32 v1, 31, v0
	s_and_b32 s5, s4, 0xff
	v_add_co_u32_e32 v0, vcc, s8, v0
	s_cmp_lt_i32 s5, 11
	v_addc_co_u32_e32 v1, vcc, v3, v1, vcc
	s_cbranch_scc1 .LBB6_643
; %bb.636:
	s_and_b32 s42, 0xffff, s5
	s_cmp_gt_i32 s42, 25
	s_cbranch_scc0 .LBB6_644
; %bb.637:
	s_cmp_gt_i32 s42, 28
	s_cbranch_scc0 .LBB6_645
; %bb.638:
	;; [unrolled: 3-line block ×4, first 2 shown]
	s_mov_b64 s[38:39], 0
	s_mov_b64 s[2:3], -1
	s_cmp_eq_u32 s42, 46
	s_mov_b64 s[36:37], 0
	s_cbranch_scc0 .LBB6_648
; %bb.641:
	v_cvt_f32_ubyte0_e32 v3, v2
	v_bfe_u32 v4, v3, 16, 1
	s_movk_i32 s2, 0x7fff
	v_add3_u32 v3, v3, v4, s2
	v_lshrrev_b32_e32 v3, 16, v3
	global_store_dword v[0:1], v3, off
	s_mov_b64 s[36:37], -1
	s_mov_b64 s[2:3], 0
	s_branch .LBB6_648
.LBB6_642:
	s_mov_b64 s[38:39], 0
                                        ; implicit-def: $vgpr7
	s_mov_b64 s[2:3], s[26:27]
	s_branch .LBB6_759
.LBB6_643:
	s_mov_b64 s[38:39], -1
	s_mov_b64 s[36:37], 0
	s_mov_b64 s[2:3], s[26:27]
	s_branch .LBB6_717
.LBB6_644:
	s_mov_b64 s[38:39], -1
	s_mov_b64 s[36:37], 0
	s_mov_b64 s[2:3], s[26:27]
	s_branch .LBB6_675
.LBB6_645:
	s_mov_b64 s[38:39], -1
	s_mov_b64 s[36:37], 0
	s_mov_b64 s[2:3], s[26:27]
	s_branch .LBB6_658
.LBB6_646:
	s_mov_b64 s[38:39], -1
	s_mov_b64 s[36:37], 0
	s_mov_b64 s[2:3], s[26:27]
	s_branch .LBB6_654
.LBB6_647:
	s_mov_b64 s[38:39], -1
	s_mov_b64 s[36:37], 0
	s_mov_b64 s[2:3], s[26:27]
.LBB6_648:
	s_and_b64 vcc, exec, s[38:39]
	s_cbranch_vccz .LBB6_653
; %bb.649:
	s_cmp_eq_u32 s42, 44
	s_mov_b64 s[2:3], -1
	s_cbranch_scc0 .LBB6_653
; %bb.650:
	v_cvt_f32_ubyte0_e32 v4, v2
	v_lshrrev_b32_e32 v3, 23, v4
	s_movk_i32 s2, 0xff
	v_cmp_ne_u32_e32 vcc, s2, v3
	v_mov_b32_e32 v5, 0xff
	s_and_saveexec_b64 s[36:37], vcc
; %bb.651:
	s_mov_b32 s2, 0x3fffff
	v_and_b32_e32 v5, 0x400000, v4
	v_and_or_b32 v4, v4, s2, v3
	v_cmp_ne_u32_e32 vcc, 0, v5
	v_cmp_ne_u32_e64 s[2:3], 0, v4
	s_and_b64 s[2:3], vcc, s[2:3]
	v_cndmask_b32_e64 v4, 0, 1, s[2:3]
	v_add_u32_e32 v5, v3, v4
; %bb.652:
	s_or_b64 exec, exec, s[36:37]
	s_mov_b64 s[36:37], -1
	s_mov_b64 s[2:3], 0
	global_store_byte v[0:1], v5, off
.LBB6_653:
	s_mov_b64 s[38:39], 0
.LBB6_654:
	s_and_b64 vcc, exec, s[38:39]
	s_cbranch_vccz .LBB6_657
; %bb.655:
	s_cmp_eq_u32 s42, 29
	s_mov_b64 s[2:3], -1
	s_cbranch_scc0 .LBB6_657
; %bb.656:
	v_and_b32_e32 v3, 0xff, v2
	v_mov_b32_e32 v4, 0
	global_store_dwordx2 v[0:1], v[3:4], off
	s_mov_b64 s[36:37], -1
	s_mov_b64 s[2:3], 0
.LBB6_657:
	s_mov_b64 s[38:39], 0
.LBB6_658:
	s_and_b64 vcc, exec, s[38:39]
	s_cbranch_vccz .LBB6_674
; %bb.659:
	s_cmp_lt_i32 s42, 27
	s_mov_b64 s[36:37], -1
	s_cbranch_scc1 .LBB6_665
; %bb.660:
	s_cmp_gt_i32 s42, 27
	s_cbranch_scc0 .LBB6_662
; %bb.661:
	v_and_b32_e32 v3, 0xff, v2
	s_mov_b64 s[36:37], 0
	global_store_dword v[0:1], v3, off
.LBB6_662:
	s_andn2_b64 vcc, exec, s[36:37]
	s_cbranch_vccnz .LBB6_664
; %bb.663:
	v_and_b32_e32 v3, 0xff, v2
	global_store_short v[0:1], v3, off
.LBB6_664:
	s_mov_b64 s[36:37], 0
.LBB6_665:
	s_andn2_b64 vcc, exec, s[36:37]
	s_cbranch_vccnz .LBB6_673
; %bb.666:
	v_cvt_f32_ubyte0_e32 v4, v2
	s_mov_b32 s36, 0x43800000
	v_cmp_gt_u32_e32 vcc, s36, v4
	v_mov_b32_e32 v5, 0x80
	s_and_saveexec_b64 s[36:37], vcc
	s_cbranch_execz .LBB6_672
; %bb.667:
	s_mov_b32 s38, 0x3bffffff
	v_cmp_lt_u32_e32 vcc, s38, v4
	s_mov_b64 s[38:39], 0
                                        ; implicit-def: $vgpr3
	s_and_saveexec_b64 s[40:41], vcc
	s_xor_b64 s[40:41], exec, s[40:41]
	s_cbranch_execz .LBB6_773
; %bb.668:
	v_bfe_u32 v3, v4, 20, 1
	s_mov_b32 s43, 0x487ffff
	v_add3_u32 v3, v4, v3, s43
	s_mov_b64 s[38:39], exec
	v_lshrrev_b32_e32 v3, 20, v3
                                        ; implicit-def: $vgpr4
	s_andn2_saveexec_b64 s[40:41], s[40:41]
	s_cbranch_execnz .LBB6_774
.LBB6_669:
	s_or_b64 exec, exec, s[40:41]
	v_mov_b32_e32 v5, 0
	s_and_saveexec_b64 s[40:41], s[38:39]
.LBB6_670:
	v_mov_b32_e32 v5, v3
.LBB6_671:
	s_or_b64 exec, exec, s[40:41]
.LBB6_672:
	s_or_b64 exec, exec, s[36:37]
	global_store_byte v[0:1], v5, off
.LBB6_673:
	s_mov_b64 s[36:37], -1
.LBB6_674:
	s_mov_b64 s[38:39], 0
.LBB6_675:
	s_and_b64 vcc, exec, s[38:39]
	s_cbranch_vccz .LBB6_716
; %bb.676:
	s_cmp_gt_i32 s42, 22
	s_mov_b64 s[38:39], -1
	s_cbranch_scc0 .LBB6_708
; %bb.677:
	s_cmp_lt_i32 s42, 24
	s_mov_b64 s[36:37], -1
	s_cbranch_scc1 .LBB6_697
; %bb.678:
	s_cmp_gt_i32 s42, 24
	s_cbranch_scc0 .LBB6_686
; %bb.679:
	v_cvt_f32_ubyte0_e32 v4, v2
	s_mov_b32 s36, 0x47800000
	v_cmp_gt_u32_e32 vcc, s36, v4
	v_mov_b32_e32 v5, 0x80
	s_and_saveexec_b64 s[36:37], vcc
	s_cbranch_execz .LBB6_685
; %bb.680:
	s_mov_b32 s38, 0x37ffffff
	v_cmp_lt_u32_e32 vcc, s38, v4
	s_mov_b64 s[38:39], 0
                                        ; implicit-def: $vgpr3
	s_and_saveexec_b64 s[40:41], vcc
	s_xor_b64 s[40:41], exec, s[40:41]
	s_cbranch_execz .LBB6_776
; %bb.681:
	v_bfe_u32 v3, v4, 21, 1
	s_mov_b32 s43, 0x88fffff
	v_add3_u32 v3, v4, v3, s43
	s_mov_b64 s[38:39], exec
	v_lshrrev_b32_e32 v3, 21, v3
                                        ; implicit-def: $vgpr4
	s_andn2_saveexec_b64 s[40:41], s[40:41]
	s_cbranch_execnz .LBB6_777
.LBB6_682:
	s_or_b64 exec, exec, s[40:41]
	v_mov_b32_e32 v5, 0
	s_and_saveexec_b64 s[40:41], s[38:39]
.LBB6_683:
	v_mov_b32_e32 v5, v3
.LBB6_684:
	s_or_b64 exec, exec, s[40:41]
.LBB6_685:
	s_or_b64 exec, exec, s[36:37]
	s_mov_b64 s[36:37], 0
	global_store_byte v[0:1], v5, off
.LBB6_686:
	s_and_b64 vcc, exec, s[36:37]
	s_cbranch_vccz .LBB6_696
; %bb.687:
	v_cvt_f32_ubyte0_e32 v3, v2
	s_mov_b32 s36, 0x43f00000
	v_cmp_gt_u32_e32 vcc, s36, v3
                                        ; implicit-def: $vgpr4
	s_and_saveexec_b64 s[36:37], vcc
	s_xor_b64 s[36:37], exec, s[36:37]
	s_cbranch_execz .LBB6_693
; %bb.688:
	s_mov_b32 s38, 0x3c7fffff
	v_cmp_lt_u32_e32 vcc, s38, v3
                                        ; implicit-def: $vgpr4
	s_and_saveexec_b64 s[38:39], vcc
	s_xor_b64 s[38:39], exec, s[38:39]
; %bb.689:
	v_bfe_u32 v4, v3, 20, 1
	s_mov_b32 s40, 0x407ffff
	v_add3_u32 v3, v3, v4, s40
	v_lshrrev_b32_e32 v4, 20, v3
	v_and_b32_e32 v3, 0xff00000, v3
	s_mov_b32 s40, 0x7f00000
	v_mov_b32_e32 v5, 0x7e
	v_cmp_ne_u32_e32 vcc, s40, v3
	v_cndmask_b32_e32 v4, v5, v4, vcc
                                        ; implicit-def: $vgpr3
; %bb.690:
	s_andn2_saveexec_b64 s[38:39], s[38:39]
; %bb.691:
	v_add_f32_e32 v4, 0x46800000, v3
; %bb.692:
	s_or_b64 exec, exec, s[38:39]
                                        ; implicit-def: $vgpr3
.LBB6_693:
	s_andn2_saveexec_b64 s[36:37], s[36:37]
; %bb.694:
	s_mov_b32 s38, 0x7f800000
	v_mov_b32_e32 v4, 0x7e
	v_mov_b32_e32 v5, 0x7f
	v_cmp_lt_u32_e32 vcc, s38, v3
	v_cndmask_b32_e32 v4, v4, v5, vcc
; %bb.695:
	s_or_b64 exec, exec, s[36:37]
	global_store_byte v[0:1], v4, off
.LBB6_696:
	s_mov_b64 s[36:37], 0
.LBB6_697:
	s_andn2_b64 vcc, exec, s[36:37]
	s_cbranch_vccnz .LBB6_707
; %bb.698:
	v_cvt_f32_ubyte0_e32 v3, v2
	s_mov_b32 s36, 0x47800000
	v_cmp_gt_u32_e32 vcc, s36, v3
                                        ; implicit-def: $vgpr4
	s_and_saveexec_b64 s[36:37], vcc
	s_xor_b64 s[36:37], exec, s[36:37]
	s_cbranch_execz .LBB6_704
; %bb.699:
	s_mov_b32 s38, 0x387fffff
	v_cmp_lt_u32_e32 vcc, s38, v3
                                        ; implicit-def: $vgpr4
	s_and_saveexec_b64 s[38:39], vcc
	s_xor_b64 s[38:39], exec, s[38:39]
; %bb.700:
	v_bfe_u32 v4, v3, 21, 1
	s_mov_b32 s40, 0x80fffff
	v_add3_u32 v3, v3, v4, s40
	v_lshrrev_b32_e32 v4, 21, v3
                                        ; implicit-def: $vgpr3
; %bb.701:
	s_andn2_saveexec_b64 s[38:39], s[38:39]
; %bb.702:
	v_add_f32_e32 v4, 0x43000000, v3
; %bb.703:
	s_or_b64 exec, exec, s[38:39]
                                        ; implicit-def: $vgpr3
.LBB6_704:
	s_andn2_saveexec_b64 s[36:37], s[36:37]
; %bb.705:
	s_mov_b32 s38, 0x7f800000
	v_mov_b32_e32 v4, 0x7c
	v_mov_b32_e32 v5, 0x7f
	v_cmp_lt_u32_e32 vcc, s38, v3
	v_cndmask_b32_e32 v4, v4, v5, vcc
; %bb.706:
	s_or_b64 exec, exec, s[36:37]
	global_store_byte v[0:1], v4, off
.LBB6_707:
	s_mov_b64 s[38:39], 0
	s_mov_b64 s[36:37], -1
.LBB6_708:
	s_andn2_b64 vcc, exec, s[38:39]
	s_cbranch_vccnz .LBB6_716
; %bb.709:
	s_cmp_gt_i32 s42, 14
	s_mov_b64 s[38:39], -1
	s_cbranch_scc0 .LBB6_713
; %bb.710:
	s_cmp_eq_u32 s42, 15
	s_mov_b64 s[2:3], -1
	s_cbranch_scc0 .LBB6_712
; %bb.711:
	v_cvt_f32_ubyte0_e32 v3, v2
	v_bfe_u32 v4, v3, 16, 1
	s_movk_i32 s2, 0x7fff
	v_add3_u32 v3, v3, v4, s2
	global_store_short_d16_hi v[0:1], v3, off
	s_mov_b64 s[36:37], -1
	s_mov_b64 s[2:3], 0
.LBB6_712:
	s_mov_b64 s[38:39], 0
.LBB6_713:
	s_and_b64 vcc, exec, s[38:39]
	s_cbranch_vccz .LBB6_716
; %bb.714:
	s_cmp_eq_u32 s42, 11
	s_mov_b64 s[2:3], -1
	s_cbranch_scc0 .LBB6_716
; %bb.715:
	v_mov_b32_e32 v3, 0
	v_cmp_ne_u16_sdwa s[2:3], v2, v3 src0_sel:BYTE_0 src1_sel:DWORD
	v_cndmask_b32_e64 v3, 0, 1, s[2:3]
	s_mov_b64 s[36:37], -1
	s_mov_b64 s[2:3], 0
	global_store_byte v[0:1], v3, off
.LBB6_716:
	s_mov_b64 s[38:39], 0
.LBB6_717:
	s_and_b64 vcc, exec, s[38:39]
	s_cbranch_vccz .LBB6_756
; %bb.718:
	s_and_b32 s5, 0xffff, s5
	s_cmp_lt_i32 s5, 5
	s_mov_b64 s[36:37], -1
	s_cbranch_scc1 .LBB6_739
; %bb.719:
	s_cmp_lt_i32 s5, 8
	s_cbranch_scc1 .LBB6_729
; %bb.720:
	s_cmp_lt_i32 s5, 9
	s_cbranch_scc1 .LBB6_726
; %bb.721:
	s_cmp_gt_i32 s5, 9
	s_cbranch_scc0 .LBB6_723
; %bb.722:
	s_mov_b32 s36, 0xffff
	v_and_b32_sdwa v3, s36, v2 dst_sel:DWORD dst_unused:UNUSED_PAD src0_sel:DWORD src1_sel:BYTE_0
	v_cvt_f64_u32_e32 v[3:4], v3
	v_mov_b32_e32 v5, 0
	v_mov_b32_e32 v6, v5
	s_mov_b64 s[36:37], 0
	global_store_dwordx4 v[0:1], v[3:6], off
.LBB6_723:
	s_andn2_b64 vcc, exec, s[36:37]
	s_cbranch_vccnz .LBB6_725
; %bb.724:
	v_cvt_f32_ubyte0_e32 v3, v2
	v_mov_b32_e32 v4, 0
	global_store_dwordx2 v[0:1], v[3:4], off
.LBB6_725:
	s_mov_b64 s[36:37], 0
.LBB6_726:
	s_andn2_b64 vcc, exec, s[36:37]
	s_cbranch_vccnz .LBB6_728
; %bb.727:
	v_cvt_f16_u16_sdwa v3, v2 dst_sel:DWORD dst_unused:UNUSED_PAD src0_sel:BYTE_0
	global_store_dword v[0:1], v3, off
.LBB6_728:
	s_mov_b64 s[36:37], 0
.LBB6_729:
	s_andn2_b64 vcc, exec, s[36:37]
	s_cbranch_vccnz .LBB6_738
; %bb.730:
	s_cmp_lt_i32 s5, 6
	s_mov_b64 s[36:37], -1
	s_cbranch_scc1 .LBB6_736
; %bb.731:
	s_cmp_gt_i32 s5, 6
	s_cbranch_scc0 .LBB6_733
; %bb.732:
	s_mov_b32 s36, 0xffff
	v_and_b32_sdwa v3, s36, v2 dst_sel:DWORD dst_unused:UNUSED_PAD src0_sel:DWORD src1_sel:BYTE_0
	v_cvt_f64_u32_e32 v[3:4], v3
	s_mov_b64 s[36:37], 0
	global_store_dwordx2 v[0:1], v[3:4], off
.LBB6_733:
	s_andn2_b64 vcc, exec, s[36:37]
	s_cbranch_vccnz .LBB6_735
; %bb.734:
	v_cvt_f32_ubyte0_e32 v3, v2
	global_store_dword v[0:1], v3, off
.LBB6_735:
	s_mov_b64 s[36:37], 0
.LBB6_736:
	s_andn2_b64 vcc, exec, s[36:37]
	s_cbranch_vccnz .LBB6_738
; %bb.737:
	v_cvt_f16_u16_sdwa v3, v2 dst_sel:DWORD dst_unused:UNUSED_PAD src0_sel:BYTE_0
	global_store_short v[0:1], v3, off
.LBB6_738:
	s_mov_b64 s[36:37], 0
.LBB6_739:
	s_andn2_b64 vcc, exec, s[36:37]
	s_cbranch_vccnz .LBB6_755
; %bb.740:
	s_cmp_lt_i32 s5, 2
	s_mov_b64 s[36:37], -1
	s_cbranch_scc1 .LBB6_750
; %bb.741:
	s_cmp_lt_i32 s5, 3
	s_cbranch_scc1 .LBB6_747
; %bb.742:
	s_cmp_gt_i32 s5, 3
	s_cbranch_scc0 .LBB6_744
; %bb.743:
	v_and_b32_e32 v3, 0xff, v2
	v_mov_b32_e32 v4, 0
	s_mov_b64 s[36:37], 0
	global_store_dwordx2 v[0:1], v[3:4], off
.LBB6_744:
	s_andn2_b64 vcc, exec, s[36:37]
	s_cbranch_vccnz .LBB6_746
; %bb.745:
	v_and_b32_e32 v3, 0xff, v2
	global_store_dword v[0:1], v3, off
.LBB6_746:
	s_mov_b64 s[36:37], 0
.LBB6_747:
	s_andn2_b64 vcc, exec, s[36:37]
	s_cbranch_vccnz .LBB6_749
; %bb.748:
	v_and_b32_e32 v3, 0xff, v2
	global_store_short v[0:1], v3, off
.LBB6_749:
	s_mov_b64 s[36:37], 0
.LBB6_750:
	s_andn2_b64 vcc, exec, s[36:37]
	s_cbranch_vccnz .LBB6_755
; %bb.751:
	s_cmp_gt_i32 s5, 0
	s_mov_b64 s[36:37], -1
	s_cbranch_scc0 .LBB6_753
; %bb.752:
	s_mov_b64 s[36:37], 0
	global_store_byte v[0:1], v2, off
.LBB6_753:
	s_andn2_b64 vcc, exec, s[36:37]
	s_cbranch_vccnz .LBB6_755
; %bb.754:
	global_store_byte v[0:1], v2, off
.LBB6_755:
	s_mov_b64 s[36:37], -1
.LBB6_756:
	s_andn2_b64 vcc, exec, s[36:37]
	s_cbranch_vccnz .LBB6_758
; %bb.757:
	v_add_u32_e32 v7, 0x80, v7
	s_mov_b64 s[38:39], -1
	s_branch .LBB6_759
.LBB6_758:
	s_mov_b64 s[38:39], 0
                                        ; implicit-def: $vgpr7
.LBB6_759:
	s_andn2_b64 s[36:37], s[26:27], exec
	s_and_b64 s[2:3], s[2:3], exec
	s_or_b64 s[36:37], s[36:37], s[2:3]
	s_andn2_b64 s[2:3], s[24:25], exec
	s_and_b64 s[34:35], s[34:35], exec
	s_or_b64 s[2:3], s[2:3], s[34:35]
	s_orn2_b64 s[40:41], s[38:39], exec
.LBB6_760:
	s_or_b64 exec, exec, s[30:31]
	s_mov_b64 s[34:35], 0
	s_mov_b64 s[38:39], 0
	s_mov_b64 s[42:43], 0
                                        ; implicit-def: $sgpr5
                                        ; implicit-def: $vgpr0_vgpr1
                                        ; implicit-def: $vgpr2
	s_and_saveexec_b64 s[30:31], s[40:41]
	s_cbranch_execz .LBB6_841
; %bb.761:
	v_cmp_gt_i32_e32 vcc, s44, v7
	s_mov_b64 s[40:41], 0
	s_mov_b64 s[44:45], s[2:3]
	;; [unrolled: 1-line block ×3, first 2 shown]
                                        ; implicit-def: $sgpr5
                                        ; implicit-def: $vgpr0_vgpr1
                                        ; implicit-def: $vgpr2
	s_and_saveexec_b64 s[34:35], vcc
	s_cbranch_execz .LBB6_840
; %bb.762:
	v_mul_lo_u32 v0, v7, s13
	v_mov_b32_e32 v1, s11
	s_and_b32 s5, s15, 0xff
	s_cmp_lt_i32 s5, 11
	s_waitcnt vmcnt(0)
	v_ashrrev_i32_e32 v2, 31, v0
	v_add_co_u32_e32 v0, vcc, s10, v0
	v_addc_co_u32_e32 v1, vcc, v1, v2, vcc
	s_cbranch_scc1 .LBB6_769
; %bb.763:
	s_and_b32 s46, 0xffff, s5
	s_cmp_gt_i32 s46, 25
	s_cbranch_scc0 .LBB6_770
; %bb.764:
	s_cmp_gt_i32 s46, 28
	s_cbranch_scc0 .LBB6_771
; %bb.765:
	;; [unrolled: 3-line block ×4, first 2 shown]
	s_cmp_eq_u32 s46, 46
	s_mov_b64 s[44:45], 0
	s_cbranch_scc0 .LBB6_778
; %bb.768:
	global_load_dword v2, v[0:1], off
	s_mov_b32 s38, 0x2f800000
	s_mov_b32 s39, 0xcf800000
	s_mov_b64 s[42:43], -1
	s_waitcnt vmcnt(0)
	v_lshlrev_b32_e32 v2, 16, v2
	v_trunc_f32_e32 v2, v2
	v_mul_f32_e64 v3, |v2|, s38
	v_floor_f32_e32 v3, v3
	v_fma_f32 v3, v3, s39, |v2|
	v_cvt_u32_f32_e32 v3, v3
	v_ashrrev_i32_e32 v2, 31, v2
	s_mov_b64 s[38:39], 0
	v_xor_b32_e32 v3, v3, v2
	v_sub_u32_e32 v2, v3, v2
	s_branch .LBB6_780
.LBB6_769:
	s_mov_b64 s[44:45], -1
                                        ; implicit-def: $vgpr2
	s_mov_b64 s[38:39], s[2:3]
	s_branch .LBB6_839
.LBB6_770:
	s_mov_b64 s[44:45], -1
	s_mov_b64 s[38:39], s[2:3]
                                        ; implicit-def: $vgpr2
	s_branch .LBB6_807
.LBB6_771:
	s_mov_b64 s[44:45], -1
	s_mov_b64 s[38:39], s[2:3]
                                        ; implicit-def: $vgpr2
	s_branch .LBB6_790
.LBB6_772:
	s_mov_b64 s[44:45], -1
	s_mov_b64 s[38:39], s[2:3]
                                        ; implicit-def: $vgpr2
	s_branch .LBB6_785
.LBB6_773:
	s_andn2_saveexec_b64 s[40:41], s[40:41]
	s_cbranch_execz .LBB6_669
.LBB6_774:
	v_add_f32_e32 v3, 0x46000000, v4
	v_and_b32_e32 v3, 0xff, v3
	v_cmp_ne_u32_e32 vcc, 0, v3
	s_andn2_b64 s[38:39], s[38:39], exec
	s_and_b64 s[46:47], vcc, exec
	s_or_b64 s[38:39], s[38:39], s[46:47]
	s_or_b64 exec, exec, s[40:41]
	v_mov_b32_e32 v5, 0
	s_and_saveexec_b64 s[40:41], s[38:39]
	s_cbranch_execnz .LBB6_670
	s_branch .LBB6_671
.LBB6_775:
	s_mov_b64 s[44:45], -1
	s_mov_b64 s[38:39], s[2:3]
	s_branch .LBB6_779
.LBB6_776:
	s_andn2_saveexec_b64 s[40:41], s[40:41]
	s_cbranch_execz .LBB6_682
.LBB6_777:
	v_add_f32_e32 v3, 0x42800000, v4
	v_and_b32_e32 v3, 0xff, v3
	v_cmp_ne_u32_e32 vcc, 0, v3
	s_andn2_b64 s[38:39], s[38:39], exec
	s_and_b64 s[46:47], vcc, exec
	s_or_b64 s[38:39], s[38:39], s[46:47]
	s_or_b64 exec, exec, s[40:41]
	v_mov_b32_e32 v5, 0
	s_and_saveexec_b64 s[40:41], s[38:39]
	s_cbranch_execnz .LBB6_683
	s_branch .LBB6_684
.LBB6_778:
	s_mov_b64 s[38:39], -1
.LBB6_779:
                                        ; implicit-def: $vgpr2
.LBB6_780:
	s_and_b64 vcc, exec, s[44:45]
	s_cbranch_vccz .LBB6_784
; %bb.781:
	s_cmp_eq_u32 s46, 44
	s_cbranch_scc0 .LBB6_783
; %bb.782:
	global_load_ubyte v2, v[0:1], off
	s_mov_b32 s38, 0x2f800000
	s_mov_b32 s39, 0xcf800000
	s_mov_b64 s[42:43], -1
	s_waitcnt vmcnt(0)
	v_lshlrev_b32_e32 v3, 23, v2
	v_trunc_f32_e32 v3, v3
	v_mul_f32_e64 v4, |v3|, s38
	v_floor_f32_e32 v4, v4
	v_fma_f32 v4, v4, s39, |v3|
	v_cvt_u32_f32_e32 v4, v4
	v_ashrrev_i32_e32 v3, 31, v3
	v_cmp_ne_u32_e32 vcc, 0, v2
	s_mov_b64 s[38:39], 0
	v_xor_b32_e32 v4, v4, v3
	v_sub_u32_e32 v3, v4, v3
	v_cndmask_b32_e32 v2, 0, v3, vcc
	s_branch .LBB6_784
.LBB6_783:
	s_mov_b64 s[38:39], -1
                                        ; implicit-def: $vgpr2
.LBB6_784:
	s_mov_b64 s[44:45], 0
.LBB6_785:
	s_and_b64 vcc, exec, s[44:45]
	s_cbranch_vccz .LBB6_789
; %bb.786:
	s_cmp_eq_u32 s46, 29
	s_cbranch_scc0 .LBB6_788
; %bb.787:
	global_load_dwordx2 v[2:3], v[0:1], off
	s_mov_b64 s[38:39], 0
	s_mov_b64 s[42:43], -1
	s_branch .LBB6_789
.LBB6_788:
	s_mov_b64 s[38:39], -1
                                        ; implicit-def: $vgpr2
.LBB6_789:
	s_mov_b64 s[44:45], 0
.LBB6_790:
	s_and_b64 vcc, exec, s[44:45]
	s_cbranch_vccz .LBB6_806
; %bb.791:
	s_cmp_lt_i32 s46, 27
	s_cbranch_scc1 .LBB6_794
; %bb.792:
	s_cmp_gt_i32 s46, 27
	s_cbranch_scc0 .LBB6_795
; %bb.793:
	global_load_dword v2, v[0:1], off
	s_mov_b64 s[42:43], 0
	s_branch .LBB6_796
.LBB6_794:
	s_mov_b64 s[42:43], -1
                                        ; implicit-def: $vgpr2
	s_branch .LBB6_799
.LBB6_795:
	s_mov_b64 s[42:43], -1
                                        ; implicit-def: $vgpr2
.LBB6_796:
	s_andn2_b64 vcc, exec, s[42:43]
	s_cbranch_vccnz .LBB6_798
; %bb.797:
	global_load_ushort v2, v[0:1], off
.LBB6_798:
	s_mov_b64 s[42:43], 0
.LBB6_799:
	s_andn2_b64 vcc, exec, s[42:43]
	s_cbranch_vccnz .LBB6_805
; %bb.800:
	global_load_ubyte v3, v[0:1], off
	s_movk_i32 s42, 0x7f
	s_mov_b64 s[44:45], 0
	s_waitcnt vmcnt(0)
	v_cmp_lt_i16_e32 vcc, s42, v3
	s_and_saveexec_b64 s[42:43], vcc
	s_xor_b64 s[42:43], exec, s[42:43]
	s_cbranch_execz .LBB6_817
; %bb.801:
	s_movk_i32 s44, 0x80
	v_cmp_ne_u16_e32 vcc, s44, v3
	s_and_b64 s[44:45], vcc, exec
	s_andn2_saveexec_b64 s[42:43], s[42:43]
	s_cbranch_execnz .LBB6_818
.LBB6_802:
	s_or_b64 exec, exec, s[42:43]
	v_mov_b32_e32 v2, 0
	s_and_saveexec_b64 s[42:43], s[44:45]
	s_cbranch_execz .LBB6_804
.LBB6_803:
	v_lshlrev_b32_e32 v2, 24, v3
	v_and_b32_e32 v3, 0xffff, v3
	v_and_b32_e32 v4, 7, v3
	v_ffbh_u32_e32 v6, v4
	v_min_u32_e32 v6, 32, v6
	v_subrev_u32_e32 v8, 28, v6
	v_bfe_u32 v5, v3, 3, 4
	v_lshlrev_b32_e32 v3, v8, v3
	v_sub_u32_e32 v6, 29, v6
	v_and_b32_e32 v3, 7, v3
	v_cmp_eq_u32_e32 vcc, 0, v5
	v_cndmask_b32_e32 v5, v5, v6, vcc
	v_cndmask_b32_e32 v3, v4, v3, vcc
	v_mov_b32_e32 v4, 0x3b800000
	v_lshlrev_b32_e32 v3, 20, v3
	v_and_b32_e32 v2, 0x80000000, v2
	v_lshl_add_u32 v4, v5, 23, v4
	v_or3_b32 v2, v2, v4, v3
	v_trunc_f32_e32 v2, v2
	s_mov_b32 s44, 0x2f800000
	v_mul_f32_e64 v3, |v2|, s44
	v_floor_f32_e32 v3, v3
	s_mov_b32 s44, 0xcf800000
	v_fma_f32 v3, v3, s44, |v2|
	v_cvt_u32_f32_e32 v3, v3
	v_ashrrev_i32_e32 v2, 31, v2
	v_xor_b32_e32 v3, v3, v2
	v_sub_u32_e32 v2, v3, v2
.LBB6_804:
	s_or_b64 exec, exec, s[42:43]
.LBB6_805:
	s_mov_b64 s[42:43], -1
.LBB6_806:
	s_mov_b64 s[44:45], 0
.LBB6_807:
	s_and_b64 vcc, exec, s[44:45]
	s_cbranch_vccz .LBB6_838
; %bb.808:
	s_cmp_gt_i32 s46, 22
	s_cbranch_scc0 .LBB6_816
; %bb.809:
	s_cmp_lt_i32 s46, 24
	s_cbranch_scc1 .LBB6_819
; %bb.810:
	s_cmp_gt_i32 s46, 24
	s_cbranch_scc0 .LBB6_820
; %bb.811:
	global_load_ubyte v3, v[0:1], off
	s_movk_i32 s40, 0x7f
	s_mov_b64 s[42:43], 0
	s_waitcnt vmcnt(0)
	v_cmp_lt_i16_e32 vcc, s40, v3
	s_and_saveexec_b64 s[40:41], vcc
	s_xor_b64 s[40:41], exec, s[40:41]
	s_cbranch_execz .LBB6_832
; %bb.812:
	s_movk_i32 s42, 0x80
	v_cmp_ne_u16_e32 vcc, s42, v3
	s_and_b64 s[42:43], vcc, exec
	s_andn2_saveexec_b64 s[40:41], s[40:41]
	s_cbranch_execnz .LBB6_833
.LBB6_813:
	s_or_b64 exec, exec, s[40:41]
	v_mov_b32_e32 v2, 0
	s_and_saveexec_b64 s[40:41], s[42:43]
	s_cbranch_execz .LBB6_815
.LBB6_814:
	v_lshlrev_b32_e32 v2, 24, v3
	v_and_b32_e32 v3, 0xffff, v3
	v_and_b32_e32 v4, 3, v3
	v_ffbh_u32_e32 v6, v4
	v_min_u32_e32 v6, 32, v6
	v_subrev_u32_e32 v8, 29, v6
	v_bfe_u32 v5, v3, 2, 5
	v_lshlrev_b32_e32 v3, v8, v3
	v_sub_u32_e32 v6, 30, v6
	v_and_b32_e32 v3, 3, v3
	v_cmp_eq_u32_e32 vcc, 0, v5
	v_cndmask_b32_e32 v5, v5, v6, vcc
	v_cndmask_b32_e32 v3, v4, v3, vcc
	v_mov_b32_e32 v4, 0x37800000
	v_lshlrev_b32_e32 v3, 21, v3
	v_and_b32_e32 v2, 0x80000000, v2
	v_lshl_add_u32 v4, v5, 23, v4
	v_or3_b32 v2, v2, v4, v3
	v_trunc_f32_e32 v2, v2
	s_mov_b32 s42, 0x2f800000
	v_mul_f32_e64 v3, |v2|, s42
	v_floor_f32_e32 v3, v3
	s_mov_b32 s42, 0xcf800000
	v_fma_f32 v3, v3, s42, |v2|
	v_cvt_u32_f32_e32 v3, v3
	v_ashrrev_i32_e32 v2, 31, v2
	v_xor_b32_e32 v3, v3, v2
	v_sub_u32_e32 v2, v3, v2
.LBB6_815:
	s_or_b64 exec, exec, s[40:41]
	s_mov_b64 s[40:41], 0
	s_branch .LBB6_821
.LBB6_816:
	s_mov_b64 s[40:41], -1
                                        ; implicit-def: $vgpr2
	s_branch .LBB6_827
.LBB6_817:
	s_andn2_saveexec_b64 s[42:43], s[42:43]
	s_cbranch_execz .LBB6_802
.LBB6_818:
	v_cmp_ne_u16_e32 vcc, 0, v3
	s_andn2_b64 s[44:45], s[44:45], exec
	s_and_b64 s[50:51], vcc, exec
	s_or_b64 s[44:45], s[44:45], s[50:51]
	s_or_b64 exec, exec, s[42:43]
	v_mov_b32_e32 v2, 0
	s_and_saveexec_b64 s[42:43], s[44:45]
	s_cbranch_execnz .LBB6_803
	s_branch .LBB6_804
.LBB6_819:
	s_mov_b64 s[40:41], -1
                                        ; implicit-def: $vgpr2
	s_branch .LBB6_824
.LBB6_820:
	s_mov_b64 s[40:41], -1
                                        ; implicit-def: $vgpr2
.LBB6_821:
	s_and_b64 vcc, exec, s[40:41]
	s_cbranch_vccz .LBB6_823
; %bb.822:
	global_load_ubyte v2, v[0:1], off
	s_mov_b32 s40, 0x7f800000
	s_brev_b32 s41, 1
	s_mov_b32 s42, 0x2f800000
	s_waitcnt vmcnt(0)
	v_lshlrev_b32_e32 v2, 24, v2
	v_and_b32_e32 v3, 0x7f000000, v2
	v_ffbh_u32_e32 v4, v3
	v_min_u32_e32 v4, 32, v4
	v_sub_u32_e64 v4, v4, 4 clamp
	v_lshlrev_b32_e32 v6, v4, v3
	v_lshlrev_b32_e32 v4, 23, v4
	v_lshrrev_b32_e32 v6, 4, v6
	v_add_u32_e32 v5, 0x1000000, v3
	v_sub_u32_e32 v4, v6, v4
	v_ashrrev_i32_e32 v5, 8, v5
	v_add_u32_e32 v4, 0x3c000000, v4
	v_and_or_b32 v4, v5, s40, v4
	v_cmp_ne_u32_e32 vcc, 0, v3
	v_cndmask_b32_e32 v3, 0, v4, vcc
	v_and_or_b32 v2, v2, s41, v3
	v_trunc_f32_e32 v2, v2
	v_mul_f32_e64 v3, |v2|, s42
	v_floor_f32_e32 v3, v3
	s_mov_b32 s40, 0xcf800000
	v_fma_f32 v3, v3, s40, |v2|
	v_cvt_u32_f32_e32 v3, v3
	v_ashrrev_i32_e32 v2, 31, v2
	v_xor_b32_e32 v3, v3, v2
	v_sub_u32_e32 v2, v3, v2
.LBB6_823:
	s_mov_b64 s[40:41], 0
.LBB6_824:
	s_andn2_b64 vcc, exec, s[40:41]
	s_cbranch_vccnz .LBB6_826
; %bb.825:
	global_load_ubyte v2, v[0:1], off
	s_movk_i32 s40, 0x7f00
	s_brev_b32 s41, 16
	s_brev_b32 s42, 1
	s_mov_b32 s43, 0x2f800000
	s_waitcnt vmcnt(0)
	v_lshlrev_b16_e32 v3, 8, v2
	v_lshlrev_b32_e32 v2, 25, v2
	v_lshrrev_b32_e32 v4, 4, v2
	v_and_or_b32 v5, v3, s40, 0.5
	v_or_b32_e32 v4, 0x70000000, v4
	v_add_f32_e32 v5, -0.5, v5
	v_mul_f32_e32 v4, 0x7800000, v4
	v_cmp_gt_u32_e32 vcc, s41, v2
	v_bfe_i32 v3, v3, 0, 16
	v_cndmask_b32_e32 v2, v4, v5, vcc
	v_and_or_b32 v2, v3, s42, v2
	v_trunc_f32_e32 v2, v2
	v_mul_f32_e64 v3, |v2|, s43
	v_floor_f32_e32 v3, v3
	s_mov_b32 s40, 0xcf800000
	v_fma_f32 v3, v3, s40, |v2|
	v_cvt_u32_f32_e32 v3, v3
	v_ashrrev_i32_e32 v2, 31, v2
	v_xor_b32_e32 v3, v3, v2
	v_sub_u32_e32 v2, v3, v2
.LBB6_826:
	s_mov_b64 s[40:41], 0
	s_mov_b64 s[42:43], -1
.LBB6_827:
	s_andn2_b64 vcc, exec, s[40:41]
	s_mov_b64 s[40:41], 0
	s_cbranch_vccnz .LBB6_838
; %bb.828:
	s_cmp_gt_i32 s46, 14
	s_cbranch_scc0 .LBB6_831
; %bb.829:
	s_cmp_eq_u32 s46, 15
	s_cbranch_scc0 .LBB6_834
; %bb.830:
	global_load_ushort v2, v[0:1], off
	s_mov_b32 s38, 0x2f800000
	s_mov_b32 s39, 0xcf800000
	s_mov_b64 s[42:43], -1
	s_waitcnt vmcnt(0)
	v_lshlrev_b32_e32 v2, 16, v2
	v_trunc_f32_e32 v2, v2
	v_mul_f32_e64 v3, |v2|, s38
	v_floor_f32_e32 v3, v3
	v_fma_f32 v3, v3, s39, |v2|
	v_cvt_u32_f32_e32 v3, v3
	v_ashrrev_i32_e32 v2, 31, v2
	s_mov_b64 s[38:39], 0
	v_xor_b32_e32 v3, v3, v2
	v_sub_u32_e32 v2, v3, v2
	s_branch .LBB6_835
.LBB6_831:
	s_mov_b64 s[44:45], -1
                                        ; implicit-def: $vgpr2
	s_branch .LBB6_836
.LBB6_832:
	s_andn2_saveexec_b64 s[40:41], s[40:41]
	s_cbranch_execz .LBB6_813
.LBB6_833:
	v_cmp_ne_u16_e32 vcc, 0, v3
	s_andn2_b64 s[42:43], s[42:43], exec
	s_and_b64 s[44:45], vcc, exec
	s_or_b64 s[42:43], s[42:43], s[44:45]
	s_or_b64 exec, exec, s[40:41]
	v_mov_b32_e32 v2, 0
	s_and_saveexec_b64 s[40:41], s[42:43]
	s_cbranch_execnz .LBB6_814
	s_branch .LBB6_815
.LBB6_834:
	s_mov_b64 s[38:39], -1
                                        ; implicit-def: $vgpr2
.LBB6_835:
	s_mov_b64 s[44:45], 0
.LBB6_836:
	s_and_b64 vcc, exec, s[44:45]
	s_cbranch_vccz .LBB6_838
; %bb.837:
	s_cmp_lg_u32 s46, 11
	s_cselect_b64 s[44:45], -1, 0
	s_andn2_b64 s[38:39], s[38:39], exec
	s_and_b64 s[44:45], s[44:45], exec
	s_mov_b64 s[40:41], -1
	s_or_b64 s[38:39], s[38:39], s[44:45]
.LBB6_838:
	s_mov_b64 s[44:45], 0
.LBB6_839:
	s_and_b64 s[46:47], s[44:45], exec
	s_andn2_b64 s[44:45], s[2:3], exec
	s_and_b64 s[38:39], s[38:39], exec
	s_and_b64 s[42:43], s[42:43], exec
	;; [unrolled: 1-line block ×3, first 2 shown]
	s_or_b64 s[44:45], s[44:45], s[38:39]
.LBB6_840:
	s_or_b64 exec, exec, s[34:35]
	s_and_b64 s[34:35], s[40:41], exec
	s_andn2_b64 s[2:3], s[2:3], exec
	s_and_b64 s[40:41], s[44:45], exec
	s_and_b64 s[42:43], s[42:43], exec
	;; [unrolled: 1-line block ×3, first 2 shown]
	s_or_b64 s[2:3], s[2:3], s[40:41]
.LBB6_841:
	s_or_b64 exec, exec, s[30:31]
	s_andn2_b64 s[26:27], s[26:27], exec
	s_and_b64 s[30:31], s[36:37], exec
	s_andn2_b64 s[24:25], s[24:25], exec
	s_and_b64 s[2:3], s[2:3], exec
	s_or_b64 s[26:27], s[26:27], s[30:31]
	s_and_b64 s[36:37], s[42:43], exec
	s_and_b64 s[30:31], s[38:39], exec
	;; [unrolled: 1-line block ×3, first 2 shown]
	s_or_b64 s[24:25], s[24:25], s[2:3]
.LBB6_842:
	s_or_b64 exec, exec, s[28:29]
	s_andn2_b64 s[2:3], s[18:19], exec
	s_and_b64 s[18:19], s[26:27], exec
	s_or_b64 s[18:19], s[2:3], s[18:19]
	s_andn2_b64 s[2:3], s[20:21], exec
	s_and_b64 s[20:21], s[24:25], exec
	s_and_b64 s[28:29], s[36:37], exec
	;; [unrolled: 1-line block ×4, first 2 shown]
	s_or_b64 s[20:21], s[2:3], s[20:21]
	s_or_b64 exec, exec, s[22:23]
	s_mov_b64 s[2:3], 0
	s_and_saveexec_b64 s[22:23], s[20:21]
	s_cbranch_execz .LBB6_258
.LBB6_843:
	s_mov_b64 s[2:3], exec
	s_andn2_b64 s[26:27], s[26:27], exec
	s_trap 2
	s_or_b64 exec, exec, s[22:23]
	s_and_saveexec_b64 s[20:21], s[26:27]
	s_xor_b64 s[20:21], exec, s[20:21]
	s_cbranch_execnz .LBB6_259
.LBB6_844:
	s_or_b64 exec, exec, s[20:21]
	s_and_saveexec_b64 s[20:21], s[30:31]
	s_cbranch_execz .LBB6_890
.LBB6_845:
	s_sext_i32_i16 s22, s5
	s_cmp_lt_i32 s22, 5
	s_cbranch_scc1 .LBB6_850
; %bb.846:
	s_cmp_lt_i32 s22, 8
	s_cbranch_scc1 .LBB6_851
; %bb.847:
	;; [unrolled: 3-line block ×3, first 2 shown]
	s_cmp_gt_i32 s22, 9
	s_cbranch_scc0 .LBB6_853
; %bb.849:
	global_load_dwordx2 v[2:3], v[0:1], off
	s_movk_i32 s22, 0xffe0
	s_waitcnt vmcnt(0)
	v_trunc_f64_e32 v[2:3], v[2:3]
	v_ldexp_f64 v[4:5], v[2:3], s22
	s_mov_b32 s22, 0
	s_mov_b32 s23, 0xc1f00000
	v_floor_f64_e32 v[4:5], v[4:5]
	v_fma_f64 v[2:3], v[4:5], s[22:23], v[2:3]
	s_mov_b64 s[22:23], 0
	v_cvt_u32_f64_e32 v2, v[2:3]
	s_branch .LBB6_854
.LBB6_850:
                                        ; implicit-def: $vgpr2
	s_branch .LBB6_871
.LBB6_851:
                                        ; implicit-def: $vgpr2
	s_branch .LBB6_860
.LBB6_852:
	s_mov_b64 s[22:23], -1
                                        ; implicit-def: $vgpr2
	s_branch .LBB6_857
.LBB6_853:
	s_mov_b64 s[22:23], -1
                                        ; implicit-def: $vgpr2
.LBB6_854:
	s_andn2_b64 vcc, exec, s[22:23]
	s_cbranch_vccnz .LBB6_856
; %bb.855:
	global_load_dword v2, v[0:1], off
	s_mov_b32 s22, 0x2f800000
	s_waitcnt vmcnt(0)
	v_trunc_f32_e32 v2, v2
	v_mul_f32_e64 v3, |v2|, s22
	v_floor_f32_e32 v3, v3
	s_mov_b32 s22, 0xcf800000
	v_fma_f32 v3, v3, s22, |v2|
	v_cvt_u32_f32_e32 v3, v3
	v_ashrrev_i32_e32 v2, 31, v2
	v_xor_b32_e32 v3, v3, v2
	v_sub_u32_e32 v2, v3, v2
.LBB6_856:
	s_mov_b64 s[22:23], 0
.LBB6_857:
	s_andn2_b64 vcc, exec, s[22:23]
	s_cbranch_vccnz .LBB6_859
; %bb.858:
	global_load_dword v2, v[0:1], off
	s_waitcnt vmcnt(0)
	v_cvt_f32_f16_e32 v2, v2
	v_cvt_i32_f32_e32 v2, v2
.LBB6_859:
	s_cbranch_execnz .LBB6_870
.LBB6_860:
	s_sext_i32_i16 s22, s5
	s_cmp_lt_i32 s22, 6
	s_cbranch_scc1 .LBB6_863
; %bb.861:
	s_cmp_gt_i32 s22, 6
	s_cbranch_scc0 .LBB6_864
; %bb.862:
	global_load_dwordx2 v[2:3], v[0:1], off
	s_movk_i32 s22, 0xffe0
	s_waitcnt vmcnt(0)
	v_trunc_f64_e32 v[2:3], v[2:3]
	v_ldexp_f64 v[4:5], v[2:3], s22
	s_mov_b32 s22, 0
	s_mov_b32 s23, 0xc1f00000
	v_floor_f64_e32 v[4:5], v[4:5]
	v_fma_f64 v[2:3], v[4:5], s[22:23], v[2:3]
	s_mov_b64 s[22:23], 0
	v_cvt_u32_f64_e32 v2, v[2:3]
	s_branch .LBB6_865
.LBB6_863:
	s_mov_b64 s[22:23], -1
                                        ; implicit-def: $vgpr2
	s_branch .LBB6_868
.LBB6_864:
	s_mov_b64 s[22:23], -1
                                        ; implicit-def: $vgpr2
.LBB6_865:
	s_andn2_b64 vcc, exec, s[22:23]
	s_cbranch_vccnz .LBB6_867
; %bb.866:
	global_load_dword v2, v[0:1], off
	s_mov_b32 s22, 0x2f800000
	s_waitcnt vmcnt(0)
	v_trunc_f32_e32 v2, v2
	v_mul_f32_e64 v3, |v2|, s22
	v_floor_f32_e32 v3, v3
	s_mov_b32 s22, 0xcf800000
	v_fma_f32 v3, v3, s22, |v2|
	v_cvt_u32_f32_e32 v3, v3
	v_ashrrev_i32_e32 v2, 31, v2
	v_xor_b32_e32 v3, v3, v2
	v_sub_u32_e32 v2, v3, v2
.LBB6_867:
	s_mov_b64 s[22:23], 0
.LBB6_868:
	s_andn2_b64 vcc, exec, s[22:23]
	s_cbranch_vccnz .LBB6_870
; %bb.869:
	global_load_ushort v2, v[0:1], off
	s_waitcnt vmcnt(0)
	v_cvt_f32_f16_e32 v2, v2
	v_cvt_i32_f32_e32 v2, v2
.LBB6_870:
	s_cbranch_execnz .LBB6_889
.LBB6_871:
	s_sext_i32_i16 s22, s5
	s_cmp_lt_i32 s22, 2
	s_cbranch_scc1 .LBB6_875
; %bb.872:
	s_cmp_lt_i32 s22, 3
	s_cbranch_scc1 .LBB6_876
; %bb.873:
	s_cmp_gt_i32 s22, 3
	s_cbranch_scc0 .LBB6_877
; %bb.874:
	global_load_dwordx2 v[2:3], v[0:1], off
	s_mov_b64 s[22:23], 0
	s_branch .LBB6_878
.LBB6_875:
                                        ; implicit-def: $vgpr2
	s_branch .LBB6_884
.LBB6_876:
	s_mov_b64 s[22:23], -1
                                        ; implicit-def: $vgpr2
	s_branch .LBB6_881
.LBB6_877:
	s_mov_b64 s[22:23], -1
                                        ; implicit-def: $vgpr2
.LBB6_878:
	s_andn2_b64 vcc, exec, s[22:23]
	s_cbranch_vccnz .LBB6_880
; %bb.879:
	global_load_dword v2, v[0:1], off
.LBB6_880:
	s_mov_b64 s[22:23], 0
.LBB6_881:
	s_andn2_b64 vcc, exec, s[22:23]
	s_cbranch_vccnz .LBB6_883
; %bb.882:
	global_load_ushort v2, v[0:1], off
.LBB6_883:
	s_cbranch_execnz .LBB6_889
.LBB6_884:
	s_sext_i32_i16 s5, s5
	s_cmp_gt_i32 s5, 0
	s_cbranch_scc0 .LBB6_886
; %bb.885:
	global_load_ubyte v2, v[0:1], off
	s_mov_b64 s[22:23], 0
	s_branch .LBB6_887
.LBB6_886:
	s_mov_b64 s[22:23], -1
                                        ; implicit-def: $vgpr2
.LBB6_887:
	s_andn2_b64 vcc, exec, s[22:23]
	s_cbranch_vccnz .LBB6_889
; %bb.888:
	global_load_ubyte v2, v[0:1], off
.LBB6_889:
	s_or_b64 s[28:29], s[28:29], exec
.LBB6_890:
	s_or_b64 exec, exec, s[20:21]
	s_mov_b64 s[24:25], 0
	s_mov_b64 s[22:23], 0
                                        ; implicit-def: $sgpr5
                                        ; implicit-def: $vgpr0_vgpr1
                                        ; implicit-def: $vgpr3
	s_and_saveexec_b64 s[20:21], s[28:29]
	s_cbranch_execz .LBB6_965
; %bb.891:
	v_mul_lo_u32 v0, v7, s12
	v_mov_b32_e32 v1, s33
	v_mov_b32_e32 v4, s9
	s_waitcnt vmcnt(0)
	v_cndmask_b32_e64 v3, v1, v2, s[0:1]
	v_ashrrev_i32_e32 v1, 31, v0
	s_and_b32 s5, s4, 0xff
	v_add_co_u32_e32 v0, vcc, s8, v0
	s_cmp_lt_i32 s5, 11
	v_addc_co_u32_e32 v1, vcc, v4, v1, vcc
	s_cbranch_scc1 .LBB6_968
; %bb.892:
	s_and_b32 s30, 0xffff, s5
	s_mov_b64 s[24:25], -1
	s_cmp_gt_i32 s30, 25
	s_mov_b64 s[0:1], s[18:19]
	s_cbranch_scc0 .LBB6_925
; %bb.893:
	s_mov_b64 s[22:23], -1
	s_cmp_gt_i32 s30, 28
	s_mov_b64 s[0:1], s[18:19]
	s_cbranch_scc0 .LBB6_909
; %bb.894:
	s_cmp_gt_i32 s30, 43
	s_mov_b64 s[0:1], s[18:19]
	s_cbranch_scc0 .LBB6_905
; %bb.895:
	s_cmp_gt_i32 s30, 45
	s_mov_b64 s[0:1], s[18:19]
	s_cbranch_scc0 .LBB6_899
; %bb.896:
	s_cmp_eq_u32 s30, 46
	s_mov_b64 s[0:1], -1
	s_cbranch_scc0 .LBB6_898
; %bb.897:
	v_cvt_f32_ubyte0_e32 v2, v3
	v_bfe_u32 v4, v2, 16, 1
	s_movk_i32 s0, 0x7fff
	v_add3_u32 v2, v2, v4, s0
	v_lshrrev_b32_e32 v2, 16, v2
	global_store_dword v[0:1], v2, off
	s_mov_b64 s[0:1], 0
.LBB6_898:
	s_mov_b64 s[22:23], 0
.LBB6_899:
	s_and_b64 vcc, exec, s[22:23]
	s_cbranch_vccz .LBB6_904
; %bb.900:
	s_cmp_eq_u32 s30, 44
	s_mov_b64 s[0:1], -1
	s_cbranch_scc0 .LBB6_904
; %bb.901:
	v_cvt_f32_ubyte0_e32 v4, v3
	v_lshrrev_b32_e32 v2, 23, v4
	s_movk_i32 s0, 0xff
	v_cmp_ne_u32_e32 vcc, s0, v2
	v_mov_b32_e32 v5, 0xff
	s_and_saveexec_b64 s[22:23], vcc
; %bb.902:
	s_mov_b32 s0, 0x3fffff
	v_and_b32_e32 v5, 0x400000, v4
	v_and_or_b32 v4, v4, s0, v2
	v_cmp_ne_u32_e32 vcc, 0, v5
	v_cmp_ne_u32_e64 s[0:1], 0, v4
	s_and_b64 s[0:1], vcc, s[0:1]
	v_cndmask_b32_e64 v4, 0, 1, s[0:1]
	v_add_u32_e32 v5, v2, v4
; %bb.903:
	s_or_b64 exec, exec, s[22:23]
	s_mov_b64 s[0:1], 0
	global_store_byte v[0:1], v5, off
.LBB6_904:
	s_mov_b64 s[22:23], 0
.LBB6_905:
	s_and_b64 vcc, exec, s[22:23]
	s_cbranch_vccz .LBB6_908
; %bb.906:
	s_cmp_eq_u32 s30, 29
	s_mov_b64 s[0:1], -1
	s_cbranch_scc0 .LBB6_908
; %bb.907:
	v_and_b32_e32 v4, 0xff, v3
	v_mov_b32_e32 v5, 0
	global_store_dwordx2 v[0:1], v[4:5], off
	s_mov_b64 s[0:1], 0
.LBB6_908:
	s_mov_b64 s[22:23], 0
.LBB6_909:
	s_and_b64 vcc, exec, s[22:23]
	s_cbranch_vccz .LBB6_924
; %bb.910:
	s_cmp_lt_i32 s30, 27
	s_mov_b64 s[22:23], -1
	s_cbranch_scc1 .LBB6_916
; %bb.911:
	s_cmp_gt_i32 s30, 27
	s_cbranch_scc0 .LBB6_913
; %bb.912:
	v_and_b32_e32 v2, 0xff, v3
	s_mov_b64 s[22:23], 0
	global_store_dword v[0:1], v2, off
.LBB6_913:
	s_andn2_b64 vcc, exec, s[22:23]
	s_cbranch_vccnz .LBB6_915
; %bb.914:
	v_and_b32_e32 v2, 0xff, v3
	global_store_short v[0:1], v2, off
.LBB6_915:
	s_mov_b64 s[22:23], 0
.LBB6_916:
	s_andn2_b64 vcc, exec, s[22:23]
	s_cbranch_vccnz .LBB6_924
; %bb.917:
	v_cvt_f32_ubyte0_e32 v4, v3
	s_mov_b32 s22, 0x43800000
	v_cmp_gt_u32_e32 vcc, s22, v4
	v_mov_b32_e32 v5, 0x80
	s_and_saveexec_b64 s[22:23], vcc
	s_cbranch_execz .LBB6_923
; %bb.918:
	s_mov_b32 s24, 0x3bffffff
	v_cmp_lt_u32_e32 vcc, s24, v4
	s_mov_b64 s[24:25], 0
                                        ; implicit-def: $vgpr2
	s_and_saveexec_b64 s[26:27], vcc
	s_xor_b64 s[26:27], exec, s[26:27]
	s_cbranch_execz .LBB6_1025
; %bb.919:
	v_bfe_u32 v2, v4, 20, 1
	s_mov_b32 s28, 0x487ffff
	v_add3_u32 v2, v4, v2, s28
	s_mov_b64 s[24:25], exec
	v_lshrrev_b32_e32 v2, 20, v2
                                        ; implicit-def: $vgpr4
	s_andn2_saveexec_b64 s[26:27], s[26:27]
	s_cbranch_execnz .LBB6_1026
.LBB6_920:
	s_or_b64 exec, exec, s[26:27]
	v_mov_b32_e32 v5, 0
	s_and_saveexec_b64 s[26:27], s[24:25]
.LBB6_921:
	v_mov_b32_e32 v5, v2
.LBB6_922:
	s_or_b64 exec, exec, s[26:27]
.LBB6_923:
	s_or_b64 exec, exec, s[22:23]
	global_store_byte v[0:1], v5, off
.LBB6_924:
	s_mov_b64 s[24:25], 0
.LBB6_925:
	s_mov_b64 s[22:23], 0
	s_and_b64 vcc, exec, s[24:25]
	s_cbranch_vccz .LBB6_969
; %bb.926:
	s_cmp_gt_i32 s30, 22
	s_mov_b64 s[24:25], -1
	s_cbranch_scc0 .LBB6_958
; %bb.927:
	s_cmp_lt_i32 s30, 24
	s_cbranch_scc1 .LBB6_947
; %bb.928:
	s_cmp_gt_i32 s30, 24
	s_cbranch_scc0 .LBB6_936
; %bb.929:
	v_cvt_f32_ubyte0_e32 v4, v3
	s_mov_b32 s24, 0x47800000
	v_cmp_gt_u32_e32 vcc, s24, v4
	v_mov_b32_e32 v5, 0x80
	s_and_saveexec_b64 s[24:25], vcc
	s_cbranch_execz .LBB6_935
; %bb.930:
	s_mov_b32 s26, 0x37ffffff
	v_cmp_lt_u32_e32 vcc, s26, v4
	s_mov_b64 s[26:27], 0
                                        ; implicit-def: $vgpr2
	s_and_saveexec_b64 s[28:29], vcc
	s_xor_b64 s[28:29], exec, s[28:29]
	s_cbranch_execz .LBB6_1146
; %bb.931:
	v_bfe_u32 v2, v4, 21, 1
	s_mov_b32 s31, 0x88fffff
	v_add3_u32 v2, v4, v2, s31
	s_mov_b64 s[26:27], exec
	v_lshrrev_b32_e32 v2, 21, v2
                                        ; implicit-def: $vgpr4
	s_andn2_saveexec_b64 s[28:29], s[28:29]
	s_cbranch_execnz .LBB6_1147
.LBB6_932:
	s_or_b64 exec, exec, s[28:29]
	v_mov_b32_e32 v5, 0
	s_and_saveexec_b64 s[28:29], s[26:27]
.LBB6_933:
	v_mov_b32_e32 v5, v2
.LBB6_934:
	s_or_b64 exec, exec, s[28:29]
.LBB6_935:
	s_or_b64 exec, exec, s[24:25]
	s_mov_b64 s[24:25], 0
	global_store_byte v[0:1], v5, off
.LBB6_936:
	s_and_b64 vcc, exec, s[24:25]
	s_cbranch_vccz .LBB6_946
; %bb.937:
	v_cvt_f32_ubyte0_e32 v2, v3
	s_mov_b32 s24, 0x43f00000
	v_cmp_gt_u32_e32 vcc, s24, v2
                                        ; implicit-def: $vgpr4
	s_and_saveexec_b64 s[24:25], vcc
	s_xor_b64 s[24:25], exec, s[24:25]
	s_cbranch_execz .LBB6_943
; %bb.938:
	s_mov_b32 s26, 0x3c7fffff
	v_cmp_lt_u32_e32 vcc, s26, v2
                                        ; implicit-def: $vgpr4
	s_and_saveexec_b64 s[26:27], vcc
	s_xor_b64 s[26:27], exec, s[26:27]
; %bb.939:
	v_bfe_u32 v4, v2, 20, 1
	s_mov_b32 s28, 0x407ffff
	v_add3_u32 v2, v2, v4, s28
	v_lshrrev_b32_e32 v4, 20, v2
	v_and_b32_e32 v2, 0xff00000, v2
	s_mov_b32 s28, 0x7f00000
	v_mov_b32_e32 v5, 0x7e
	v_cmp_ne_u32_e32 vcc, s28, v2
	v_cndmask_b32_e32 v4, v5, v4, vcc
                                        ; implicit-def: $vgpr2
; %bb.940:
	s_andn2_saveexec_b64 s[26:27], s[26:27]
; %bb.941:
	v_add_f32_e32 v4, 0x46800000, v2
; %bb.942:
	s_or_b64 exec, exec, s[26:27]
                                        ; implicit-def: $vgpr2
.LBB6_943:
	s_andn2_saveexec_b64 s[24:25], s[24:25]
; %bb.944:
	s_mov_b32 s26, 0x7f800000
	v_mov_b32_e32 v4, 0x7e
	v_mov_b32_e32 v5, 0x7f
	v_cmp_lt_u32_e32 vcc, s26, v2
	v_cndmask_b32_e32 v4, v4, v5, vcc
; %bb.945:
	s_or_b64 exec, exec, s[24:25]
	global_store_byte v[0:1], v4, off
.LBB6_946:
	s_mov_b64 s[24:25], 0
.LBB6_947:
	s_andn2_b64 vcc, exec, s[24:25]
	s_cbranch_vccnz .LBB6_957
; %bb.948:
	v_cvt_f32_ubyte0_e32 v2, v3
	s_mov_b32 s24, 0x47800000
	v_cmp_gt_u32_e32 vcc, s24, v2
                                        ; implicit-def: $vgpr4
	s_and_saveexec_b64 s[24:25], vcc
	s_xor_b64 s[24:25], exec, s[24:25]
	s_cbranch_execz .LBB6_954
; %bb.949:
	s_mov_b32 s26, 0x387fffff
	v_cmp_lt_u32_e32 vcc, s26, v2
                                        ; implicit-def: $vgpr4
	s_and_saveexec_b64 s[26:27], vcc
	s_xor_b64 s[26:27], exec, s[26:27]
; %bb.950:
	v_bfe_u32 v4, v2, 21, 1
	s_mov_b32 s28, 0x80fffff
	v_add3_u32 v2, v2, v4, s28
	v_lshrrev_b32_e32 v4, 21, v2
                                        ; implicit-def: $vgpr2
; %bb.951:
	s_andn2_saveexec_b64 s[26:27], s[26:27]
; %bb.952:
	v_add_f32_e32 v4, 0x43000000, v2
; %bb.953:
	s_or_b64 exec, exec, s[26:27]
                                        ; implicit-def: $vgpr2
.LBB6_954:
	s_andn2_saveexec_b64 s[24:25], s[24:25]
; %bb.955:
	s_mov_b32 s26, 0x7f800000
	v_mov_b32_e32 v4, 0x7c
	v_mov_b32_e32 v5, 0x7f
	v_cmp_lt_u32_e32 vcc, s26, v2
	v_cndmask_b32_e32 v4, v4, v5, vcc
; %bb.956:
	s_or_b64 exec, exec, s[24:25]
	global_store_byte v[0:1], v4, off
.LBB6_957:
	s_mov_b64 s[24:25], 0
.LBB6_958:
	s_andn2_b64 vcc, exec, s[24:25]
	s_mov_b64 s[24:25], 0
	s_cbranch_vccnz .LBB6_970
; %bb.959:
	s_cmp_gt_i32 s30, 14
	s_mov_b64 s[26:27], -1
	s_cbranch_scc0 .LBB6_963
; %bb.960:
	s_cmp_eq_u32 s30, 15
	s_mov_b64 s[0:1], -1
	s_cbranch_scc0 .LBB6_962
; %bb.961:
	v_cvt_f32_ubyte0_e32 v2, v3
	v_bfe_u32 v4, v2, 16, 1
	s_movk_i32 s0, 0x7fff
	v_add3_u32 v2, v2, v4, s0
	global_store_short_d16_hi v[0:1], v2, off
	s_mov_b64 s[0:1], 0
.LBB6_962:
	s_mov_b64 s[26:27], 0
.LBB6_963:
	s_and_b64 vcc, exec, s[26:27]
	s_cbranch_vccz .LBB6_970
; %bb.964:
	s_cmp_lg_u32 s30, 11
	s_cselect_b64 s[26:27], -1, 0
	s_andn2_b64 s[0:1], s[0:1], exec
	s_and_b64 s[26:27], s[26:27], exec
	s_mov_b64 s[24:25], -1
	s_or_b64 s[0:1], s[0:1], s[26:27]
	s_branch .LBB6_970
.LBB6_965:
	s_or_b64 exec, exec, s[20:21]
	s_and_saveexec_b64 s[0:1], s[18:19]
	s_cbranch_execnz .LBB6_971
.LBB6_966:
	s_or_b64 exec, exec, s[0:1]
	s_and_saveexec_b64 s[0:1], s[24:25]
	s_xor_b64 s[0:1], exec, s[0:1]
	s_cbranch_execz .LBB6_972
.LBB6_967:
	s_waitcnt vmcnt(0)
	v_mov_b32_e32 v2, 0
	v_cmp_ne_u16_sdwa s[18:19], v3, v2 src0_sel:BYTE_0 src1_sel:DWORD
	v_cndmask_b32_e64 v2, 0, 1, s[18:19]
	global_store_byte v[0:1], v2, off
	s_or_b64 exec, exec, s[0:1]
	s_and_saveexec_b64 s[0:1], s[22:23]
	s_xor_b64 s[0:1], exec, s[0:1]
	s_cbranch_execz .LBB6_1010
	s_branch .LBB6_973
.LBB6_968:
	s_mov_b64 s[22:23], -1
	s_mov_b64 s[0:1], s[18:19]
	s_branch .LBB6_970
.LBB6_969:
	s_mov_b64 s[24:25], 0
.LBB6_970:
	s_andn2_b64 s[18:19], s[18:19], exec
	s_and_b64 s[0:1], s[0:1], exec
	s_and_b64 s[22:23], s[22:23], exec
	;; [unrolled: 1-line block ×3, first 2 shown]
	s_or_b64 s[18:19], s[18:19], s[0:1]
	s_or_b64 exec, exec, s[20:21]
	s_and_saveexec_b64 s[0:1], s[18:19]
	s_cbranch_execz .LBB6_966
.LBB6_971:
	s_or_b64 s[2:3], s[2:3], exec
	s_andn2_b64 s[24:25], s[24:25], exec
	s_trap 2
	s_or_b64 exec, exec, s[0:1]
	s_and_saveexec_b64 s[0:1], s[24:25]
	s_xor_b64 s[0:1], exec, s[0:1]
	s_cbranch_execnz .LBB6_967
.LBB6_972:
	s_or_b64 exec, exec, s[0:1]
	s_and_saveexec_b64 s[0:1], s[22:23]
	s_xor_b64 s[0:1], exec, s[0:1]
	s_cbranch_execz .LBB6_1010
.LBB6_973:
	s_sext_i32_i16 s20, s5
	s_cmp_lt_i32 s20, 5
	s_mov_b64 s[18:19], -1
	s_cbranch_scc1 .LBB6_994
; %bb.974:
	s_cmp_lt_i32 s20, 8
	s_cbranch_scc1 .LBB6_984
; %bb.975:
	s_cmp_lt_i32 s20, 9
	s_cbranch_scc1 .LBB6_981
; %bb.976:
	s_cmp_gt_i32 s20, 9
	s_cbranch_scc0 .LBB6_978
; %bb.977:
	s_mov_b32 s18, 0xffff
	s_waitcnt vmcnt(0)
	v_and_b32_sdwa v2, s18, v3 dst_sel:DWORD dst_unused:UNUSED_PAD src0_sel:DWORD src1_sel:BYTE_0
	v_cvt_f64_u32_e32 v[4:5], v2
	v_mov_b32_e32 v6, 0
	v_mov_b32_e32 v7, v6
	s_mov_b64 s[18:19], 0
	global_store_dwordx4 v[0:1], v[4:7], off
.LBB6_978:
	s_andn2_b64 vcc, exec, s[18:19]
	s_cbranch_vccnz .LBB6_980
; %bb.979:
	s_waitcnt vmcnt(0)
	v_cvt_f32_ubyte0_e32 v4, v3
	v_mov_b32_e32 v5, 0
	global_store_dwordx2 v[0:1], v[4:5], off
.LBB6_980:
	s_mov_b64 s[18:19], 0
.LBB6_981:
	s_andn2_b64 vcc, exec, s[18:19]
	s_cbranch_vccnz .LBB6_983
; %bb.982:
	s_waitcnt vmcnt(0)
	v_cvt_f16_u16_sdwa v2, v3 dst_sel:DWORD dst_unused:UNUSED_PAD src0_sel:BYTE_0
	global_store_dword v[0:1], v2, off
.LBB6_983:
	s_mov_b64 s[18:19], 0
.LBB6_984:
	s_andn2_b64 vcc, exec, s[18:19]
	s_cbranch_vccnz .LBB6_993
; %bb.985:
	s_sext_i32_i16 s20, s5
	s_cmp_lt_i32 s20, 6
	s_mov_b64 s[18:19], -1
	s_cbranch_scc1 .LBB6_991
; %bb.986:
	s_cmp_gt_i32 s20, 6
	s_cbranch_scc0 .LBB6_988
; %bb.987:
	s_mov_b32 s18, 0xffff
	s_waitcnt vmcnt(0)
	v_and_b32_sdwa v2, s18, v3 dst_sel:DWORD dst_unused:UNUSED_PAD src0_sel:DWORD src1_sel:BYTE_0
	v_cvt_f64_u32_e32 v[4:5], v2
	s_mov_b64 s[18:19], 0
	global_store_dwordx2 v[0:1], v[4:5], off
.LBB6_988:
	s_andn2_b64 vcc, exec, s[18:19]
	s_cbranch_vccnz .LBB6_990
; %bb.989:
	s_waitcnt vmcnt(0)
	v_cvt_f32_ubyte0_e32 v2, v3
	global_store_dword v[0:1], v2, off
.LBB6_990:
	s_mov_b64 s[18:19], 0
.LBB6_991:
	s_andn2_b64 vcc, exec, s[18:19]
	s_cbranch_vccnz .LBB6_993
; %bb.992:
	s_waitcnt vmcnt(0)
	v_cvt_f16_u16_sdwa v2, v3 dst_sel:DWORD dst_unused:UNUSED_PAD src0_sel:BYTE_0
	global_store_short v[0:1], v2, off
.LBB6_993:
	s_mov_b64 s[18:19], 0
.LBB6_994:
	s_andn2_b64 vcc, exec, s[18:19]
	s_cbranch_vccnz .LBB6_1010
; %bb.995:
	s_sext_i32_i16 s20, s5
	s_cmp_lt_i32 s20, 2
	s_mov_b64 s[18:19], -1
	s_cbranch_scc1 .LBB6_1005
; %bb.996:
	s_cmp_lt_i32 s20, 3
	s_cbranch_scc1 .LBB6_1002
; %bb.997:
	s_cmp_gt_i32 s20, 3
	s_cbranch_scc0 .LBB6_999
; %bb.998:
	s_waitcnt vmcnt(0)
	v_and_b32_e32 v4, 0xff, v3
	v_mov_b32_e32 v5, 0
	s_mov_b64 s[18:19], 0
	global_store_dwordx2 v[0:1], v[4:5], off
.LBB6_999:
	s_andn2_b64 vcc, exec, s[18:19]
	s_cbranch_vccnz .LBB6_1001
; %bb.1000:
	s_waitcnt vmcnt(0)
	v_and_b32_e32 v2, 0xff, v3
	global_store_dword v[0:1], v2, off
.LBB6_1001:
	s_mov_b64 s[18:19], 0
.LBB6_1002:
	s_andn2_b64 vcc, exec, s[18:19]
	s_cbranch_vccnz .LBB6_1004
; %bb.1003:
	s_waitcnt vmcnt(0)
	v_and_b32_e32 v2, 0xff, v3
	global_store_short v[0:1], v2, off
.LBB6_1004:
	s_mov_b64 s[18:19], 0
.LBB6_1005:
	s_andn2_b64 vcc, exec, s[18:19]
	s_cbranch_vccnz .LBB6_1010
; %bb.1006:
	s_sext_i32_i16 s5, s5
	s_cmp_gt_i32 s5, 0
	s_mov_b64 s[18:19], -1
	s_cbranch_scc0 .LBB6_1008
; %bb.1007:
	s_mov_b64 s[18:19], 0
	s_waitcnt vmcnt(0)
	global_store_byte v[0:1], v3, off
.LBB6_1008:
	s_andn2_b64 vcc, exec, s[18:19]
	s_cbranch_vccnz .LBB6_1010
; %bb.1009:
	s_waitcnt vmcnt(0)
	global_store_byte v[0:1], v3, off
.LBB6_1010:
	s_or_b64 exec, exec, s[0:1]
	s_and_b64 s[18:19], s[2:3], exec
                                        ; implicit-def: $vgpr7
.LBB6_1011:
	s_or_saveexec_b64 s[16:17], s[16:17]
	s_mov_b64 s[0:1], 0
                                        ; implicit-def: $sgpr22
                                        ; implicit-def: $vgpr0_vgpr1
                                        ; implicit-def: $vgpr2
	s_xor_b64 exec, exec, s[16:17]
	s_cbranch_execz .LBB6_1943
; %bb.1012:
	v_mul_lo_u32 v4, s13, v7
	v_mov_b32_e32 v0, s11
	s_and_b32 s5, s15, 0xff
	s_cmp_lt_i32 s5, 11
	v_ashrrev_i32_e32 v1, 31, v4
	s_waitcnt vmcnt(0)
	v_add_co_u32_e32 v2, vcc, s10, v4
	v_addc_co_u32_e32 v3, vcc, v0, v1, vcc
	s_cbranch_scc1 .LBB6_1019
; %bb.1013:
	s_and_b32 s15, 0xffff, s5
	s_cmp_gt_i32 s15, 25
	s_mov_b64 s[2:3], 0
	s_cbranch_scc0 .LBB6_1021
; %bb.1014:
	s_cmp_gt_i32 s15, 28
	s_cbranch_scc0 .LBB6_1022
; %bb.1015:
	s_cmp_gt_i32 s15, 43
	;; [unrolled: 3-line block ×3, first 2 shown]
	s_cbranch_scc0 .LBB6_1024
; %bb.1017:
	s_cmp_eq_u32 s15, 46
	s_mov_b64 s[20:21], 0
	s_cbranch_scc0 .LBB6_1027
; %bb.1018:
	global_load_dword v0, v[2:3], off
	s_mov_b32 s0, 0x2f800000
	s_mov_b32 s1, 0xcf800000
	s_mov_b64 s[6:7], -1
	s_waitcnt vmcnt(0)
	v_lshlrev_b32_e32 v0, 16, v0
	v_trunc_f32_e32 v0, v0
	v_mul_f32_e64 v1, |v0|, s0
	v_floor_f32_e32 v1, v1
	v_fma_f32 v1, v1, s1, |v0|
	v_cvt_u32_f32_e32 v1, v1
	v_ashrrev_i32_e32 v0, 31, v0
	s_mov_b64 s[0:1], 0
	v_xor_b32_e32 v1, v1, v0
	v_sub_u32_e32 v0, v1, v0
	s_branch .LBB6_1029
.LBB6_1019:
                                        ; implicit-def: $vgpr0
	s_mov_b64 s[20:21], s[18:19]
	s_cbranch_execnz .LBB6_1087
.LBB6_1020:
	s_andn2_b64 vcc, exec, s[6:7]
	s_cbranch_vccz .LBB6_1132
	s_branch .LBB6_1941
.LBB6_1021:
                                        ; implicit-def: $vgpr0
	s_cbranch_execnz .LBB6_1054
	s_branch .LBB6_1083
.LBB6_1022:
                                        ; implicit-def: $vgpr0
	s_cbranch_execz .LBB6_1053
	s_branch .LBB6_1038
.LBB6_1023:
                                        ; implicit-def: $vgpr0
	s_cbranch_execnz .LBB6_1034
	s_branch .LBB6_1037
.LBB6_1024:
	s_mov_b64 s[20:21], -1
	s_branch .LBB6_1028
.LBB6_1025:
	s_andn2_saveexec_b64 s[26:27], s[26:27]
	s_cbranch_execz .LBB6_920
.LBB6_1026:
	v_add_f32_e32 v2, 0x46000000, v4
	v_and_b32_e32 v2, 0xff, v2
	v_cmp_ne_u32_e32 vcc, 0, v2
	s_andn2_b64 s[24:25], s[24:25], exec
	s_and_b64 s[28:29], vcc, exec
	s_or_b64 s[24:25], s[24:25], s[28:29]
	s_or_b64 exec, exec, s[26:27]
	v_mov_b32_e32 v5, 0
	s_and_saveexec_b64 s[26:27], s[24:25]
	s_cbranch_execnz .LBB6_921
	s_branch .LBB6_922
.LBB6_1027:
	s_mov_b64 s[0:1], -1
.LBB6_1028:
                                        ; implicit-def: $vgpr0
.LBB6_1029:
	s_and_b64 vcc, exec, s[20:21]
	s_cbranch_vccz .LBB6_1032
; %bb.1030:
	s_cmp_eq_u32 s15, 44
	s_cbranch_scc0 .LBB6_1033
; %bb.1031:
	global_load_ubyte v0, v[2:3], off
	s_mov_b32 s0, 0x2f800000
	s_mov_b32 s1, 0xcf800000
	s_mov_b64 s[6:7], -1
	s_waitcnt vmcnt(0)
	v_lshlrev_b32_e32 v1, 23, v0
	v_trunc_f32_e32 v1, v1
	v_mul_f32_e64 v5, |v1|, s0
	v_floor_f32_e32 v5, v5
	v_fma_f32 v5, v5, s1, |v1|
	v_cvt_u32_f32_e32 v5, v5
	v_ashrrev_i32_e32 v1, 31, v1
	v_cmp_ne_u32_e32 vcc, 0, v0
	s_mov_b64 s[0:1], 0
	v_xor_b32_e32 v5, v5, v1
	v_sub_u32_e32 v1, v5, v1
	v_cndmask_b32_e32 v0, 0, v1, vcc
.LBB6_1032:
	s_branch .LBB6_1037
.LBB6_1033:
	s_mov_b64 s[0:1], -1
                                        ; implicit-def: $vgpr0
	s_branch .LBB6_1037
.LBB6_1034:
	s_cmp_eq_u32 s15, 29
	s_cbranch_scc0 .LBB6_1036
; %bb.1035:
	global_load_dwordx2 v[0:1], v[2:3], off
	s_mov_b64 s[0:1], 0
	s_mov_b64 s[6:7], -1
	s_branch .LBB6_1037
.LBB6_1036:
	s_mov_b64 s[0:1], -1
                                        ; implicit-def: $vgpr0
.LBB6_1037:
	s_branch .LBB6_1053
.LBB6_1038:
	s_cmp_lt_i32 s15, 27
	s_cbranch_scc1 .LBB6_1041
; %bb.1039:
	s_cmp_gt_i32 s15, 27
	s_cbranch_scc0 .LBB6_1042
; %bb.1040:
	global_load_dword v0, v[2:3], off
	s_mov_b64 s[6:7], 0
	s_branch .LBB6_1043
.LBB6_1041:
	s_mov_b64 s[6:7], -1
                                        ; implicit-def: $vgpr0
	s_branch .LBB6_1046
.LBB6_1042:
	s_mov_b64 s[6:7], -1
                                        ; implicit-def: $vgpr0
.LBB6_1043:
	s_andn2_b64 vcc, exec, s[6:7]
	s_cbranch_vccnz .LBB6_1045
; %bb.1044:
	global_load_ushort v0, v[2:3], off
.LBB6_1045:
	s_mov_b64 s[6:7], 0
.LBB6_1046:
	s_andn2_b64 vcc, exec, s[6:7]
	s_cbranch_vccnz .LBB6_1052
; %bb.1047:
	global_load_ubyte v1, v[2:3], off
	s_movk_i32 s6, 0x7f
	s_mov_b64 s[20:21], 0
	s_waitcnt vmcnt(0)
	v_cmp_lt_i16_e32 vcc, s6, v1
	s_and_saveexec_b64 s[6:7], vcc
	s_xor_b64 s[6:7], exec, s[6:7]
	s_cbranch_execz .LBB6_1063
; %bb.1048:
	s_movk_i32 s20, 0x80
	v_cmp_ne_u16_e32 vcc, s20, v1
	s_and_b64 s[20:21], vcc, exec
	s_andn2_saveexec_b64 s[6:7], s[6:7]
	s_cbranch_execnz .LBB6_1064
.LBB6_1049:
	s_or_b64 exec, exec, s[6:7]
	v_mov_b32_e32 v0, 0
	s_and_saveexec_b64 s[6:7], s[20:21]
	s_cbranch_execz .LBB6_1051
.LBB6_1050:
	v_lshlrev_b32_e32 v0, 24, v1
	v_and_b32_e32 v1, 0xffff, v1
	v_and_b32_e32 v5, 7, v1
	v_ffbh_u32_e32 v8, v5
	v_min_u32_e32 v8, 32, v8
	v_subrev_u32_e32 v9, 28, v8
	v_bfe_u32 v6, v1, 3, 4
	v_lshlrev_b32_e32 v1, v9, v1
	v_sub_u32_e32 v8, 29, v8
	v_and_b32_e32 v1, 7, v1
	v_cmp_eq_u32_e32 vcc, 0, v6
	v_cndmask_b32_e32 v6, v6, v8, vcc
	v_cndmask_b32_e32 v1, v5, v1, vcc
	v_mov_b32_e32 v5, 0x3b800000
	v_lshlrev_b32_e32 v1, 20, v1
	v_and_b32_e32 v0, 0x80000000, v0
	v_lshl_add_u32 v5, v6, 23, v5
	v_or3_b32 v0, v0, v5, v1
	v_trunc_f32_e32 v0, v0
	s_mov_b32 s20, 0x2f800000
	v_mul_f32_e64 v1, |v0|, s20
	v_floor_f32_e32 v1, v1
	s_mov_b32 s20, 0xcf800000
	v_fma_f32 v1, v1, s20, |v0|
	v_cvt_u32_f32_e32 v1, v1
	v_ashrrev_i32_e32 v0, 31, v0
	v_xor_b32_e32 v1, v1, v0
	v_sub_u32_e32 v0, v1, v0
.LBB6_1051:
	s_or_b64 exec, exec, s[6:7]
.LBB6_1052:
	s_mov_b64 s[6:7], -1
.LBB6_1053:
	s_branch .LBB6_1083
.LBB6_1054:
	s_cmp_gt_i32 s15, 22
	s_cbranch_scc0 .LBB6_1062
; %bb.1055:
	s_cmp_lt_i32 s15, 24
	s_cbranch_scc1 .LBB6_1065
; %bb.1056:
	s_cmp_gt_i32 s15, 24
	s_cbranch_scc0 .LBB6_1066
; %bb.1057:
	global_load_ubyte v1, v[2:3], off
	s_movk_i32 s2, 0x7f
	s_mov_b64 s[6:7], 0
	s_waitcnt vmcnt(0)
	v_cmp_lt_i16_e32 vcc, s2, v1
	s_and_saveexec_b64 s[2:3], vcc
	s_xor_b64 s[2:3], exec, s[2:3]
	s_cbranch_execz .LBB6_1077
; %bb.1058:
	s_movk_i32 s6, 0x80
	v_cmp_ne_u16_e32 vcc, s6, v1
	s_and_b64 s[6:7], vcc, exec
	s_andn2_saveexec_b64 s[2:3], s[2:3]
	s_cbranch_execnz .LBB6_1078
.LBB6_1059:
	s_or_b64 exec, exec, s[2:3]
	v_mov_b32_e32 v0, 0
	s_and_saveexec_b64 s[2:3], s[6:7]
	s_cbranch_execz .LBB6_1061
.LBB6_1060:
	v_lshlrev_b32_e32 v0, 24, v1
	v_and_b32_e32 v1, 0xffff, v1
	v_and_b32_e32 v5, 3, v1
	v_ffbh_u32_e32 v8, v5
	v_min_u32_e32 v8, 32, v8
	v_subrev_u32_e32 v9, 29, v8
	v_bfe_u32 v6, v1, 2, 5
	v_lshlrev_b32_e32 v1, v9, v1
	v_sub_u32_e32 v8, 30, v8
	v_and_b32_e32 v1, 3, v1
	v_cmp_eq_u32_e32 vcc, 0, v6
	v_cndmask_b32_e32 v6, v6, v8, vcc
	v_cndmask_b32_e32 v1, v5, v1, vcc
	v_mov_b32_e32 v5, 0x37800000
	v_lshlrev_b32_e32 v1, 21, v1
	v_and_b32_e32 v0, 0x80000000, v0
	v_lshl_add_u32 v5, v6, 23, v5
	v_or3_b32 v0, v0, v5, v1
	v_trunc_f32_e32 v0, v0
	s_mov_b32 s6, 0x2f800000
	v_mul_f32_e64 v1, |v0|, s6
	v_floor_f32_e32 v1, v1
	s_mov_b32 s6, 0xcf800000
	v_fma_f32 v1, v1, s6, |v0|
	v_cvt_u32_f32_e32 v1, v1
	v_ashrrev_i32_e32 v0, 31, v0
	v_xor_b32_e32 v1, v1, v0
	v_sub_u32_e32 v0, v1, v0
.LBB6_1061:
	s_or_b64 exec, exec, s[2:3]
	s_mov_b64 s[2:3], 0
	s_branch .LBB6_1067
.LBB6_1062:
                                        ; implicit-def: $vgpr0
	s_mov_b64 s[2:3], 0
	s_branch .LBB6_1073
.LBB6_1063:
	s_andn2_saveexec_b64 s[6:7], s[6:7]
	s_cbranch_execz .LBB6_1049
.LBB6_1064:
	v_cmp_ne_u16_e32 vcc, 0, v1
	s_andn2_b64 s[20:21], s[20:21], exec
	s_and_b64 s[22:23], vcc, exec
	s_or_b64 s[20:21], s[20:21], s[22:23]
	s_or_b64 exec, exec, s[6:7]
	v_mov_b32_e32 v0, 0
	s_and_saveexec_b64 s[6:7], s[20:21]
	s_cbranch_execnz .LBB6_1050
	s_branch .LBB6_1051
.LBB6_1065:
	s_mov_b64 s[2:3], -1
                                        ; implicit-def: $vgpr0
	s_branch .LBB6_1070
.LBB6_1066:
	s_mov_b64 s[2:3], -1
                                        ; implicit-def: $vgpr0
.LBB6_1067:
	s_and_b64 vcc, exec, s[2:3]
	s_cbranch_vccz .LBB6_1069
; %bb.1068:
	global_load_ubyte v0, v[2:3], off
	s_mov_b32 s2, 0x7f800000
	s_brev_b32 s3, 1
	s_mov_b32 s6, 0x2f800000
	s_waitcnt vmcnt(0)
	v_lshlrev_b32_e32 v0, 24, v0
	v_and_b32_e32 v1, 0x7f000000, v0
	v_ffbh_u32_e32 v5, v1
	v_min_u32_e32 v5, 32, v5
	v_sub_u32_e64 v5, v5, 4 clamp
	v_lshlrev_b32_e32 v8, v5, v1
	v_lshlrev_b32_e32 v5, 23, v5
	v_lshrrev_b32_e32 v8, 4, v8
	v_add_u32_e32 v6, 0x1000000, v1
	v_sub_u32_e32 v5, v8, v5
	v_ashrrev_i32_e32 v6, 8, v6
	v_add_u32_e32 v5, 0x3c000000, v5
	v_and_or_b32 v5, v6, s2, v5
	v_cmp_ne_u32_e32 vcc, 0, v1
	v_cndmask_b32_e32 v1, 0, v5, vcc
	v_and_or_b32 v0, v0, s3, v1
	v_trunc_f32_e32 v0, v0
	v_mul_f32_e64 v1, |v0|, s6
	v_floor_f32_e32 v1, v1
	s_mov_b32 s2, 0xcf800000
	v_fma_f32 v1, v1, s2, |v0|
	v_cvt_u32_f32_e32 v1, v1
	v_ashrrev_i32_e32 v0, 31, v0
	v_xor_b32_e32 v1, v1, v0
	v_sub_u32_e32 v0, v1, v0
.LBB6_1069:
	s_mov_b64 s[2:3], 0
.LBB6_1070:
	s_andn2_b64 vcc, exec, s[2:3]
	s_cbranch_vccnz .LBB6_1072
; %bb.1071:
	global_load_ubyte v0, v[2:3], off
	s_movk_i32 s2, 0x7f00
	s_brev_b32 s3, 16
	s_brev_b32 s6, 1
	s_mov_b32 s7, 0x2f800000
	s_waitcnt vmcnt(0)
	v_lshlrev_b16_e32 v1, 8, v0
	v_lshlrev_b32_e32 v0, 25, v0
	v_lshrrev_b32_e32 v5, 4, v0
	v_and_or_b32 v6, v1, s2, 0.5
	v_or_b32_e32 v5, 0x70000000, v5
	v_add_f32_e32 v6, -0.5, v6
	v_mul_f32_e32 v5, 0x7800000, v5
	v_cmp_gt_u32_e32 vcc, s3, v0
	v_bfe_i32 v1, v1, 0, 16
	v_cndmask_b32_e32 v0, v5, v6, vcc
	v_and_or_b32 v0, v1, s6, v0
	v_trunc_f32_e32 v0, v0
	v_mul_f32_e64 v1, |v0|, s7
	v_floor_f32_e32 v1, v1
	s_mov_b32 s2, 0xcf800000
	v_fma_f32 v1, v1, s2, |v0|
	v_cvt_u32_f32_e32 v1, v1
	v_ashrrev_i32_e32 v0, 31, v0
	v_xor_b32_e32 v1, v1, v0
	v_sub_u32_e32 v0, v1, v0
.LBB6_1072:
	s_mov_b64 s[6:7], -1
	s_mov_b64 s[2:3], 0
	s_cbranch_execnz .LBB6_1083
.LBB6_1073:
	s_cmp_gt_i32 s15, 14
	s_cbranch_scc0 .LBB6_1076
; %bb.1074:
	s_cmp_eq_u32 s15, 15
	s_cbranch_scc0 .LBB6_1079
; %bb.1075:
	global_load_ushort v0, v[2:3], off
	s_mov_b32 s0, 0x2f800000
	s_mov_b32 s1, 0xcf800000
	s_mov_b64 s[6:7], -1
	s_waitcnt vmcnt(0)
	v_lshlrev_b32_e32 v0, 16, v0
	v_trunc_f32_e32 v0, v0
	v_mul_f32_e64 v1, |v0|, s0
	v_floor_f32_e32 v1, v1
	v_fma_f32 v1, v1, s1, |v0|
	v_cvt_u32_f32_e32 v1, v1
	v_ashrrev_i32_e32 v0, 31, v0
	s_mov_b64 s[0:1], 0
	v_xor_b32_e32 v1, v1, v0
	v_sub_u32_e32 v0, v1, v0
	s_branch .LBB6_1080
.LBB6_1076:
	s_mov_b64 s[20:21], -1
                                        ; implicit-def: $vgpr0
	s_branch .LBB6_1081
.LBB6_1077:
	s_andn2_saveexec_b64 s[2:3], s[2:3]
	s_cbranch_execz .LBB6_1059
.LBB6_1078:
	v_cmp_ne_u16_e32 vcc, 0, v1
	s_andn2_b64 s[6:7], s[6:7], exec
	s_and_b64 s[20:21], vcc, exec
	s_or_b64 s[6:7], s[6:7], s[20:21]
	s_or_b64 exec, exec, s[2:3]
	v_mov_b32_e32 v0, 0
	s_and_saveexec_b64 s[2:3], s[6:7]
	s_cbranch_execnz .LBB6_1060
	s_branch .LBB6_1061
.LBB6_1079:
	s_mov_b64 s[0:1], -1
                                        ; implicit-def: $vgpr0
.LBB6_1080:
	s_mov_b64 s[20:21], 0
.LBB6_1081:
	s_and_b64 vcc, exec, s[20:21]
	s_cbranch_vccz .LBB6_1083
; %bb.1082:
	s_cmp_lg_u32 s15, 11
	s_mov_b64 s[2:3], -1
	s_cselect_b64 s[0:1], -1, 0
.LBB6_1083:
	s_and_b64 vcc, exec, s[0:1]
	s_mov_b64 s[20:21], s[18:19]
	s_cbranch_vccnz .LBB6_1144
; %bb.1084:
	s_andn2_b64 vcc, exec, s[2:3]
	s_cbranch_vccnz .LBB6_1086
.LBB6_1085:
	global_load_ubyte v0, v[2:3], off
	s_mov_b64 s[6:7], -1
	s_waitcnt vmcnt(0)
	v_cmp_ne_u16_e32 vcc, 0, v0
	v_cndmask_b32_e64 v0, 0, 1, vcc
.LBB6_1086:
	s_branch .LBB6_1020
.LBB6_1087:
	s_and_b32 s2, 0xffff, s5
	s_cmp_lt_i32 s2, 5
	s_cbranch_scc1 .LBB6_1092
; %bb.1088:
	s_cmp_lt_i32 s2, 8
	s_cbranch_scc1 .LBB6_1093
; %bb.1089:
	;; [unrolled: 3-line block ×3, first 2 shown]
	s_cmp_gt_i32 s2, 9
	s_cbranch_scc0 .LBB6_1095
; %bb.1091:
	global_load_dwordx2 v[0:1], v[2:3], off
	s_movk_i32 s0, 0xffe0
	s_waitcnt vmcnt(0)
	v_trunc_f64_e32 v[0:1], v[0:1]
	v_ldexp_f64 v[5:6], v[0:1], s0
	s_mov_b32 s0, 0
	s_mov_b32 s1, 0xc1f00000
	v_floor_f64_e32 v[5:6], v[5:6]
	v_fma_f64 v[0:1], v[5:6], s[0:1], v[0:1]
	s_mov_b64 s[0:1], 0
	v_cvt_u32_f64_e32 v0, v[0:1]
	s_branch .LBB6_1096
.LBB6_1092:
                                        ; implicit-def: $vgpr0
	s_branch .LBB6_1113
.LBB6_1093:
                                        ; implicit-def: $vgpr0
	s_branch .LBB6_1102
.LBB6_1094:
	s_mov_b64 s[0:1], -1
                                        ; implicit-def: $vgpr0
	s_branch .LBB6_1099
.LBB6_1095:
	s_mov_b64 s[0:1], -1
                                        ; implicit-def: $vgpr0
.LBB6_1096:
	s_andn2_b64 vcc, exec, s[0:1]
	s_cbranch_vccnz .LBB6_1098
; %bb.1097:
	global_load_dword v0, v[2:3], off
	s_mov_b32 s0, 0x2f800000
	s_waitcnt vmcnt(0)
	v_trunc_f32_e32 v0, v0
	v_mul_f32_e64 v1, |v0|, s0
	v_floor_f32_e32 v1, v1
	s_mov_b32 s0, 0xcf800000
	v_fma_f32 v1, v1, s0, |v0|
	v_cvt_u32_f32_e32 v1, v1
	v_ashrrev_i32_e32 v0, 31, v0
	v_xor_b32_e32 v1, v1, v0
	v_sub_u32_e32 v0, v1, v0
.LBB6_1098:
	s_mov_b64 s[0:1], 0
.LBB6_1099:
	s_andn2_b64 vcc, exec, s[0:1]
	s_cbranch_vccnz .LBB6_1101
; %bb.1100:
	global_load_dword v0, v[2:3], off
	s_waitcnt vmcnt(0)
	v_cvt_f32_f16_e32 v0, v0
	v_cvt_i32_f32_e32 v0, v0
.LBB6_1101:
	s_cbranch_execnz .LBB6_1112
.LBB6_1102:
	s_cmp_lt_i32 s2, 6
	s_cbranch_scc1 .LBB6_1105
; %bb.1103:
	s_cmp_gt_i32 s2, 6
	s_cbranch_scc0 .LBB6_1106
; %bb.1104:
	global_load_dwordx2 v[0:1], v[2:3], off
	s_movk_i32 s0, 0xffe0
	s_waitcnt vmcnt(0)
	v_trunc_f64_e32 v[0:1], v[0:1]
	v_ldexp_f64 v[5:6], v[0:1], s0
	s_mov_b32 s0, 0
	s_mov_b32 s1, 0xc1f00000
	v_floor_f64_e32 v[5:6], v[5:6]
	v_fma_f64 v[0:1], v[5:6], s[0:1], v[0:1]
	s_mov_b64 s[0:1], 0
	v_cvt_u32_f64_e32 v0, v[0:1]
	s_branch .LBB6_1107
.LBB6_1105:
	s_mov_b64 s[0:1], -1
                                        ; implicit-def: $vgpr0
	s_branch .LBB6_1110
.LBB6_1106:
	s_mov_b64 s[0:1], -1
                                        ; implicit-def: $vgpr0
.LBB6_1107:
	s_andn2_b64 vcc, exec, s[0:1]
	s_cbranch_vccnz .LBB6_1109
; %bb.1108:
	global_load_dword v0, v[2:3], off
	s_mov_b32 s0, 0x2f800000
	s_waitcnt vmcnt(0)
	v_trunc_f32_e32 v0, v0
	v_mul_f32_e64 v1, |v0|, s0
	v_floor_f32_e32 v1, v1
	s_mov_b32 s0, 0xcf800000
	v_fma_f32 v1, v1, s0, |v0|
	v_cvt_u32_f32_e32 v1, v1
	v_ashrrev_i32_e32 v0, 31, v0
	v_xor_b32_e32 v1, v1, v0
	v_sub_u32_e32 v0, v1, v0
.LBB6_1109:
	s_mov_b64 s[0:1], 0
.LBB6_1110:
	s_andn2_b64 vcc, exec, s[0:1]
	s_cbranch_vccnz .LBB6_1112
; %bb.1111:
	global_load_ushort v0, v[2:3], off
	s_waitcnt vmcnt(0)
	v_cvt_f32_f16_e32 v0, v0
	v_cvt_i32_f32_e32 v0, v0
.LBB6_1112:
	s_cbranch_execnz .LBB6_1131
.LBB6_1113:
	s_cmp_lt_i32 s2, 2
	s_cbranch_scc1 .LBB6_1117
; %bb.1114:
	s_cmp_lt_i32 s2, 3
	s_cbranch_scc1 .LBB6_1118
; %bb.1115:
	s_cmp_gt_i32 s2, 3
	s_cbranch_scc0 .LBB6_1119
; %bb.1116:
	global_load_dwordx2 v[0:1], v[2:3], off
	s_mov_b64 s[0:1], 0
	s_branch .LBB6_1120
.LBB6_1117:
                                        ; implicit-def: $vgpr0
	s_branch .LBB6_1126
.LBB6_1118:
	s_mov_b64 s[0:1], -1
                                        ; implicit-def: $vgpr0
	s_branch .LBB6_1123
.LBB6_1119:
	s_mov_b64 s[0:1], -1
                                        ; implicit-def: $vgpr0
.LBB6_1120:
	s_andn2_b64 vcc, exec, s[0:1]
	s_cbranch_vccnz .LBB6_1122
; %bb.1121:
	global_load_dword v0, v[2:3], off
.LBB6_1122:
	s_mov_b64 s[0:1], 0
.LBB6_1123:
	s_andn2_b64 vcc, exec, s[0:1]
	s_cbranch_vccnz .LBB6_1125
; %bb.1124:
	global_load_ushort v0, v[2:3], off
.LBB6_1125:
	s_cbranch_execnz .LBB6_1131
.LBB6_1126:
	s_cmp_gt_i32 s2, 0
	s_cbranch_scc0 .LBB6_1128
; %bb.1127:
	global_load_ubyte v0, v[2:3], off
	s_mov_b64 s[0:1], 0
	s_branch .LBB6_1129
.LBB6_1128:
	s_mov_b64 s[0:1], -1
                                        ; implicit-def: $vgpr0
.LBB6_1129:
	s_andn2_b64 vcc, exec, s[0:1]
	s_cbranch_vccnz .LBB6_1131
; %bb.1130:
	global_load_ubyte v0, v[2:3], off
.LBB6_1131:
.LBB6_1132:
	s_lshl_b32 s13, s13, 7
	v_add_u32_e32 v5, s13, v4
	s_waitcnt vmcnt(0)
	v_ashrrev_i32_e32 v1, 31, v5
	v_mov_b32_e32 v2, s11
	v_add_co_u32_e32 v3, vcc, s10, v5
	s_cmp_lt_i32 s5, 11
	v_addc_co_u32_e32 v4, vcc, v2, v1, vcc
	s_cbranch_scc1 .LBB6_1139
; %bb.1133:
	s_and_b32 s15, 0xffff, s5
	s_cmp_gt_i32 s15, 25
	s_mov_b64 s[2:3], 0
	s_cbranch_scc0 .LBB6_1141
; %bb.1134:
	s_cmp_gt_i32 s15, 28
	s_cbranch_scc0 .LBB6_1142
; %bb.1135:
	s_cmp_gt_i32 s15, 43
	;; [unrolled: 3-line block ×3, first 2 shown]
	s_cbranch_scc0 .LBB6_1145
; %bb.1137:
	s_cmp_eq_u32 s15, 46
	s_mov_b64 s[22:23], 0
	s_cbranch_scc0 .LBB6_1148
; %bb.1138:
	global_load_dword v1, v[3:4], off
	s_mov_b32 s0, 0x2f800000
	s_mov_b32 s1, 0xcf800000
	s_mov_b64 s[6:7], -1
	s_waitcnt vmcnt(0)
	v_lshlrev_b32_e32 v1, 16, v1
	v_trunc_f32_e32 v1, v1
	v_mul_f32_e64 v2, |v1|, s0
	v_floor_f32_e32 v2, v2
	v_fma_f32 v2, v2, s1, |v1|
	v_cvt_u32_f32_e32 v2, v2
	v_ashrrev_i32_e32 v1, 31, v1
	s_mov_b64 s[0:1], 0
	v_xor_b32_e32 v2, v2, v1
	v_sub_u32_e32 v1, v2, v1
	s_branch .LBB6_1149
.LBB6_1139:
	s_mov_b64 s[6:7], 0
                                        ; implicit-def: $vgpr1
	s_cbranch_execnz .LBB6_1210
.LBB6_1140:
	s_andn2_b64 vcc, exec, s[6:7]
	s_cbranch_vccnz .LBB6_1941
	s_branch .LBB6_1257
.LBB6_1141:
	s_mov_b64 s[6:7], 0
	s_mov_b64 s[0:1], 0
                                        ; implicit-def: $vgpr1
	s_cbranch_execnz .LBB6_1176
	s_branch .LBB6_1206
.LBB6_1142:
	s_mov_b64 s[22:23], -1
	s_mov_b64 s[6:7], 0
	s_mov_b64 s[0:1], 0
                                        ; implicit-def: $vgpr1
	s_branch .LBB6_1159
.LBB6_1143:
	s_mov_b64 s[22:23], -1
	s_mov_b64 s[6:7], 0
	s_mov_b64 s[0:1], 0
                                        ; implicit-def: $vgpr1
	s_branch .LBB6_1154
.LBB6_1144:
	s_or_b64 s[20:21], s[18:19], exec
	s_trap 2
	s_cbranch_execz .LBB6_1085
	s_branch .LBB6_1086
.LBB6_1145:
	s_mov_b64 s[22:23], -1
	s_mov_b64 s[6:7], 0
	s_mov_b64 s[0:1], 0
                                        ; implicit-def: $vgpr1
	s_branch .LBB6_1149
.LBB6_1146:
	s_andn2_saveexec_b64 s[28:29], s[28:29]
	s_cbranch_execz .LBB6_932
.LBB6_1147:
	v_add_f32_e32 v2, 0x42800000, v4
	v_and_b32_e32 v2, 0xff, v2
	v_cmp_ne_u32_e32 vcc, 0, v2
	s_andn2_b64 s[26:27], s[26:27], exec
	s_and_b64 s[34:35], vcc, exec
	s_or_b64 s[26:27], s[26:27], s[34:35]
	s_or_b64 exec, exec, s[28:29]
	v_mov_b32_e32 v5, 0
	s_and_saveexec_b64 s[28:29], s[26:27]
	s_cbranch_execnz .LBB6_933
	s_branch .LBB6_934
.LBB6_1148:
	s_mov_b64 s[0:1], -1
                                        ; implicit-def: $vgpr1
	s_mov_b64 s[6:7], 0
.LBB6_1149:
	s_and_b64 vcc, exec, s[22:23]
	s_cbranch_vccz .LBB6_1153
; %bb.1150:
	s_cmp_eq_u32 s15, 44
	s_cbranch_scc0 .LBB6_1152
; %bb.1151:
	global_load_ubyte v1, v[3:4], off
	s_mov_b32 s0, 0x2f800000
	s_mov_b32 s1, 0xcf800000
	s_mov_b64 s[6:7], -1
	s_waitcnt vmcnt(0)
	v_lshlrev_b32_e32 v2, 23, v1
	v_trunc_f32_e32 v2, v2
	v_mul_f32_e64 v6, |v2|, s0
	v_floor_f32_e32 v6, v6
	v_fma_f32 v6, v6, s1, |v2|
	v_cvt_u32_f32_e32 v6, v6
	v_ashrrev_i32_e32 v2, 31, v2
	v_cmp_ne_u32_e32 vcc, 0, v1
	s_mov_b64 s[0:1], 0
	v_xor_b32_e32 v6, v6, v2
	v_sub_u32_e32 v2, v6, v2
	v_cndmask_b32_e32 v1, 0, v2, vcc
	s_branch .LBB6_1153
.LBB6_1152:
	s_mov_b64 s[0:1], -1
                                        ; implicit-def: $vgpr1
.LBB6_1153:
	s_mov_b64 s[22:23], 0
.LBB6_1154:
	s_and_b64 vcc, exec, s[22:23]
	s_cbranch_vccz .LBB6_1158
; %bb.1155:
	s_cmp_eq_u32 s15, 29
	s_cbranch_scc0 .LBB6_1157
; %bb.1156:
	global_load_dwordx2 v[1:2], v[3:4], off
	s_mov_b64 s[0:1], 0
	s_mov_b64 s[6:7], -1
	s_branch .LBB6_1158
.LBB6_1157:
	s_mov_b64 s[0:1], -1
                                        ; implicit-def: $vgpr1
.LBB6_1158:
	s_mov_b64 s[22:23], 0
.LBB6_1159:
	s_and_b64 vcc, exec, s[22:23]
	s_cbranch_vccz .LBB6_1175
; %bb.1160:
	s_cmp_lt_i32 s15, 27
	s_cbranch_scc1 .LBB6_1163
; %bb.1161:
	s_cmp_gt_i32 s15, 27
	s_cbranch_scc0 .LBB6_1164
; %bb.1162:
	global_load_dword v1, v[3:4], off
	s_mov_b64 s[6:7], 0
	s_branch .LBB6_1165
.LBB6_1163:
	s_mov_b64 s[6:7], -1
                                        ; implicit-def: $vgpr1
	s_branch .LBB6_1168
.LBB6_1164:
	s_mov_b64 s[6:7], -1
                                        ; implicit-def: $vgpr1
.LBB6_1165:
	s_andn2_b64 vcc, exec, s[6:7]
	s_cbranch_vccnz .LBB6_1167
; %bb.1166:
	global_load_ushort v1, v[3:4], off
.LBB6_1167:
	s_mov_b64 s[6:7], 0
.LBB6_1168:
	s_andn2_b64 vcc, exec, s[6:7]
	s_cbranch_vccnz .LBB6_1174
; %bb.1169:
	global_load_ubyte v2, v[3:4], off
	s_movk_i32 s6, 0x7f
	s_mov_b64 s[22:23], 0
	s_waitcnt vmcnt(0)
	v_cmp_lt_i16_e32 vcc, s6, v2
	s_and_saveexec_b64 s[6:7], vcc
	s_xor_b64 s[6:7], exec, s[6:7]
	s_cbranch_execz .LBB6_1185
; %bb.1170:
	s_movk_i32 s22, 0x80
	v_cmp_ne_u16_e32 vcc, s22, v2
	s_and_b64 s[22:23], vcc, exec
	s_andn2_saveexec_b64 s[6:7], s[6:7]
	s_cbranch_execnz .LBB6_1186
.LBB6_1171:
	s_or_b64 exec, exec, s[6:7]
	v_mov_b32_e32 v1, 0
	s_and_saveexec_b64 s[6:7], s[22:23]
	s_cbranch_execz .LBB6_1173
.LBB6_1172:
	v_lshlrev_b32_e32 v1, 24, v2
	v_and_b32_e32 v2, 0xffff, v2
	v_and_b32_e32 v6, 7, v2
	v_ffbh_u32_e32 v9, v6
	v_min_u32_e32 v9, 32, v9
	v_subrev_u32_e32 v10, 28, v9
	v_bfe_u32 v8, v2, 3, 4
	v_lshlrev_b32_e32 v2, v10, v2
	v_sub_u32_e32 v9, 29, v9
	v_and_b32_e32 v2, 7, v2
	v_cmp_eq_u32_e32 vcc, 0, v8
	v_cndmask_b32_e32 v8, v8, v9, vcc
	v_cndmask_b32_e32 v2, v6, v2, vcc
	v_mov_b32_e32 v6, 0x3b800000
	v_lshlrev_b32_e32 v2, 20, v2
	v_and_b32_e32 v1, 0x80000000, v1
	v_lshl_add_u32 v6, v8, 23, v6
	v_or3_b32 v1, v1, v6, v2
	v_trunc_f32_e32 v1, v1
	s_mov_b32 s22, 0x2f800000
	v_mul_f32_e64 v2, |v1|, s22
	v_floor_f32_e32 v2, v2
	s_mov_b32 s22, 0xcf800000
	v_fma_f32 v2, v2, s22, |v1|
	v_cvt_u32_f32_e32 v2, v2
	v_ashrrev_i32_e32 v1, 31, v1
	v_xor_b32_e32 v2, v2, v1
	v_sub_u32_e32 v1, v2, v1
.LBB6_1173:
	s_or_b64 exec, exec, s[6:7]
.LBB6_1174:
	s_mov_b64 s[6:7], -1
.LBB6_1175:
	s_branch .LBB6_1206
.LBB6_1176:
	s_cmp_gt_i32 s15, 22
	s_cbranch_scc0 .LBB6_1184
; %bb.1177:
	s_cmp_lt_i32 s15, 24
	s_cbranch_scc1 .LBB6_1187
; %bb.1178:
	s_cmp_gt_i32 s15, 24
	s_cbranch_scc0 .LBB6_1188
; %bb.1179:
	global_load_ubyte v2, v[3:4], off
	s_movk_i32 s2, 0x7f
	s_mov_b64 s[6:7], 0
	s_waitcnt vmcnt(0)
	v_cmp_lt_i16_e32 vcc, s2, v2
	s_and_saveexec_b64 s[2:3], vcc
	s_xor_b64 s[2:3], exec, s[2:3]
	s_cbranch_execz .LBB6_1200
; %bb.1180:
	s_movk_i32 s6, 0x80
	v_cmp_ne_u16_e32 vcc, s6, v2
	s_and_b64 s[6:7], vcc, exec
	s_andn2_saveexec_b64 s[2:3], s[2:3]
	s_cbranch_execnz .LBB6_1201
.LBB6_1181:
	s_or_b64 exec, exec, s[2:3]
	v_mov_b32_e32 v1, 0
	s_and_saveexec_b64 s[2:3], s[6:7]
	s_cbranch_execz .LBB6_1183
.LBB6_1182:
	v_lshlrev_b32_e32 v1, 24, v2
	v_and_b32_e32 v2, 0xffff, v2
	v_and_b32_e32 v6, 3, v2
	v_ffbh_u32_e32 v9, v6
	v_min_u32_e32 v9, 32, v9
	v_subrev_u32_e32 v10, 29, v9
	v_bfe_u32 v8, v2, 2, 5
	v_lshlrev_b32_e32 v2, v10, v2
	v_sub_u32_e32 v9, 30, v9
	v_and_b32_e32 v2, 3, v2
	v_cmp_eq_u32_e32 vcc, 0, v8
	v_cndmask_b32_e32 v8, v8, v9, vcc
	v_cndmask_b32_e32 v2, v6, v2, vcc
	v_mov_b32_e32 v6, 0x37800000
	v_lshlrev_b32_e32 v2, 21, v2
	v_and_b32_e32 v1, 0x80000000, v1
	v_lshl_add_u32 v6, v8, 23, v6
	v_or3_b32 v1, v1, v6, v2
	v_trunc_f32_e32 v1, v1
	s_mov_b32 s6, 0x2f800000
	v_mul_f32_e64 v2, |v1|, s6
	v_floor_f32_e32 v2, v2
	s_mov_b32 s6, 0xcf800000
	v_fma_f32 v2, v2, s6, |v1|
	v_cvt_u32_f32_e32 v2, v2
	v_ashrrev_i32_e32 v1, 31, v1
	v_xor_b32_e32 v2, v2, v1
	v_sub_u32_e32 v1, v2, v1
.LBB6_1183:
	s_or_b64 exec, exec, s[2:3]
	s_mov_b64 s[2:3], 0
	s_branch .LBB6_1189
.LBB6_1184:
	s_mov_b64 s[2:3], -1
                                        ; implicit-def: $vgpr1
	s_branch .LBB6_1195
.LBB6_1185:
	s_andn2_saveexec_b64 s[6:7], s[6:7]
	s_cbranch_execz .LBB6_1171
.LBB6_1186:
	v_cmp_ne_u16_e32 vcc, 0, v2
	s_andn2_b64 s[22:23], s[22:23], exec
	s_and_b64 s[24:25], vcc, exec
	s_or_b64 s[22:23], s[22:23], s[24:25]
	s_or_b64 exec, exec, s[6:7]
	v_mov_b32_e32 v1, 0
	s_and_saveexec_b64 s[6:7], s[22:23]
	s_cbranch_execnz .LBB6_1172
	s_branch .LBB6_1173
.LBB6_1187:
	s_mov_b64 s[2:3], -1
                                        ; implicit-def: $vgpr1
	s_branch .LBB6_1192
.LBB6_1188:
	s_mov_b64 s[2:3], -1
                                        ; implicit-def: $vgpr1
.LBB6_1189:
	s_and_b64 vcc, exec, s[2:3]
	s_cbranch_vccz .LBB6_1191
; %bb.1190:
	global_load_ubyte v1, v[3:4], off
	s_mov_b32 s2, 0x7f800000
	s_brev_b32 s3, 1
	s_mov_b32 s6, 0x2f800000
	s_waitcnt vmcnt(0)
	v_lshlrev_b32_e32 v1, 24, v1
	v_and_b32_e32 v2, 0x7f000000, v1
	v_ffbh_u32_e32 v6, v2
	v_min_u32_e32 v6, 32, v6
	v_sub_u32_e64 v6, v6, 4 clamp
	v_lshlrev_b32_e32 v9, v6, v2
	v_lshlrev_b32_e32 v6, 23, v6
	v_lshrrev_b32_e32 v9, 4, v9
	v_add_u32_e32 v8, 0x1000000, v2
	v_sub_u32_e32 v6, v9, v6
	v_ashrrev_i32_e32 v8, 8, v8
	v_add_u32_e32 v6, 0x3c000000, v6
	v_and_or_b32 v6, v8, s2, v6
	v_cmp_ne_u32_e32 vcc, 0, v2
	v_cndmask_b32_e32 v2, 0, v6, vcc
	v_and_or_b32 v1, v1, s3, v2
	v_trunc_f32_e32 v1, v1
	v_mul_f32_e64 v2, |v1|, s6
	v_floor_f32_e32 v2, v2
	s_mov_b32 s2, 0xcf800000
	v_fma_f32 v2, v2, s2, |v1|
	v_cvt_u32_f32_e32 v2, v2
	v_ashrrev_i32_e32 v1, 31, v1
	v_xor_b32_e32 v2, v2, v1
	v_sub_u32_e32 v1, v2, v1
.LBB6_1191:
	s_mov_b64 s[2:3], 0
.LBB6_1192:
	s_andn2_b64 vcc, exec, s[2:3]
	s_cbranch_vccnz .LBB6_1194
; %bb.1193:
	global_load_ubyte v1, v[3:4], off
	s_movk_i32 s2, 0x7f00
	s_brev_b32 s3, 16
	s_brev_b32 s6, 1
	s_mov_b32 s7, 0x2f800000
	s_waitcnt vmcnt(0)
	v_lshlrev_b16_e32 v2, 8, v1
	v_lshlrev_b32_e32 v1, 25, v1
	v_lshrrev_b32_e32 v6, 4, v1
	v_and_or_b32 v8, v2, s2, 0.5
	v_or_b32_e32 v6, 0x70000000, v6
	v_add_f32_e32 v8, -0.5, v8
	v_mul_f32_e32 v6, 0x7800000, v6
	v_cmp_gt_u32_e32 vcc, s3, v1
	v_bfe_i32 v2, v2, 0, 16
	v_cndmask_b32_e32 v1, v6, v8, vcc
	v_and_or_b32 v1, v2, s6, v1
	v_trunc_f32_e32 v1, v1
	v_mul_f32_e64 v2, |v1|, s7
	v_floor_f32_e32 v2, v2
	s_mov_b32 s2, 0xcf800000
	v_fma_f32 v2, v2, s2, |v1|
	v_cvt_u32_f32_e32 v2, v2
	v_ashrrev_i32_e32 v1, 31, v1
	v_xor_b32_e32 v2, v2, v1
	v_sub_u32_e32 v1, v2, v1
.LBB6_1194:
	s_mov_b64 s[2:3], 0
	s_mov_b64 s[6:7], -1
.LBB6_1195:
	s_andn2_b64 vcc, exec, s[2:3]
	s_mov_b64 s[2:3], 0
	s_cbranch_vccnz .LBB6_1206
; %bb.1196:
	s_cmp_gt_i32 s15, 14
	s_cbranch_scc0 .LBB6_1199
; %bb.1197:
	s_cmp_eq_u32 s15, 15
	s_cbranch_scc0 .LBB6_1202
; %bb.1198:
	global_load_ushort v1, v[3:4], off
	s_mov_b32 s0, 0x2f800000
	s_mov_b32 s1, 0xcf800000
	s_mov_b64 s[6:7], -1
	s_waitcnt vmcnt(0)
	v_lshlrev_b32_e32 v1, 16, v1
	v_trunc_f32_e32 v1, v1
	v_mul_f32_e64 v2, |v1|, s0
	v_floor_f32_e32 v2, v2
	v_fma_f32 v2, v2, s1, |v1|
	v_cvt_u32_f32_e32 v2, v2
	v_ashrrev_i32_e32 v1, 31, v1
	s_mov_b64 s[0:1], 0
	v_xor_b32_e32 v2, v2, v1
	v_sub_u32_e32 v1, v2, v1
	s_branch .LBB6_1203
.LBB6_1199:
	s_mov_b64 s[22:23], -1
                                        ; implicit-def: $vgpr1
	s_branch .LBB6_1204
.LBB6_1200:
	s_andn2_saveexec_b64 s[2:3], s[2:3]
	s_cbranch_execz .LBB6_1181
.LBB6_1201:
	v_cmp_ne_u16_e32 vcc, 0, v2
	s_andn2_b64 s[6:7], s[6:7], exec
	s_and_b64 s[22:23], vcc, exec
	s_or_b64 s[6:7], s[6:7], s[22:23]
	s_or_b64 exec, exec, s[2:3]
	v_mov_b32_e32 v1, 0
	s_and_saveexec_b64 s[2:3], s[6:7]
	s_cbranch_execnz .LBB6_1182
	s_branch .LBB6_1183
.LBB6_1202:
	s_mov_b64 s[0:1], -1
                                        ; implicit-def: $vgpr1
.LBB6_1203:
	s_mov_b64 s[22:23], 0
.LBB6_1204:
	s_and_b64 vcc, exec, s[22:23]
	s_cbranch_vccz .LBB6_1206
; %bb.1205:
	s_cmp_lg_u32 s15, 11
	s_mov_b64 s[2:3], -1
	s_cselect_b64 s[0:1], -1, 0
.LBB6_1206:
	s_and_b64 vcc, exec, s[0:1]
	s_cbranch_vccnz .LBB6_1269
; %bb.1207:
	s_andn2_b64 vcc, exec, s[2:3]
	s_cbranch_vccnz .LBB6_1209
.LBB6_1208:
	global_load_ubyte v1, v[3:4], off
	s_mov_b64 s[6:7], -1
	s_waitcnt vmcnt(0)
	v_cmp_ne_u16_e32 vcc, 0, v1
	v_cndmask_b32_e64 v1, 0, 1, vcc
.LBB6_1209:
	s_branch .LBB6_1140
.LBB6_1210:
	s_and_b32 s2, 0xffff, s5
	s_cmp_lt_i32 s2, 5
	s_cbranch_scc1 .LBB6_1215
; %bb.1211:
	s_cmp_lt_i32 s2, 8
	s_cbranch_scc1 .LBB6_1216
; %bb.1212:
	;; [unrolled: 3-line block ×3, first 2 shown]
	s_cmp_gt_i32 s2, 9
	s_cbranch_scc0 .LBB6_1218
; %bb.1214:
	global_load_dwordx2 v[1:2], v[3:4], off
	s_movk_i32 s0, 0xffe0
	s_waitcnt vmcnt(0)
	v_trunc_f64_e32 v[1:2], v[1:2]
	v_ldexp_f64 v[8:9], v[1:2], s0
	s_mov_b32 s0, 0
	s_mov_b32 s1, 0xc1f00000
	v_floor_f64_e32 v[8:9], v[8:9]
	v_fma_f64 v[1:2], v[8:9], s[0:1], v[1:2]
	s_mov_b64 s[0:1], 0
	v_cvt_u32_f64_e32 v1, v[1:2]
	s_branch .LBB6_1219
.LBB6_1215:
                                        ; implicit-def: $vgpr1
	s_branch .LBB6_1237
.LBB6_1216:
	s_mov_b64 s[0:1], -1
                                        ; implicit-def: $vgpr1
	s_branch .LBB6_1225
.LBB6_1217:
	s_mov_b64 s[0:1], -1
                                        ; implicit-def: $vgpr1
	s_branch .LBB6_1222
.LBB6_1218:
	s_mov_b64 s[0:1], -1
                                        ; implicit-def: $vgpr1
.LBB6_1219:
	s_andn2_b64 vcc, exec, s[0:1]
	s_cbranch_vccnz .LBB6_1221
; %bb.1220:
	global_load_dword v1, v[3:4], off
	s_mov_b32 s0, 0x2f800000
	s_waitcnt vmcnt(0)
	v_trunc_f32_e32 v1, v1
	v_mul_f32_e64 v2, |v1|, s0
	v_floor_f32_e32 v2, v2
	s_mov_b32 s0, 0xcf800000
	v_fma_f32 v2, v2, s0, |v1|
	v_cvt_u32_f32_e32 v2, v2
	v_ashrrev_i32_e32 v1, 31, v1
	v_xor_b32_e32 v2, v2, v1
	v_sub_u32_e32 v1, v2, v1
.LBB6_1221:
	s_mov_b64 s[0:1], 0
.LBB6_1222:
	s_andn2_b64 vcc, exec, s[0:1]
	s_cbranch_vccnz .LBB6_1224
; %bb.1223:
	global_load_dword v1, v[3:4], off
	s_waitcnt vmcnt(0)
	v_cvt_f32_f16_e32 v1, v1
	v_cvt_i32_f32_e32 v1, v1
.LBB6_1224:
	s_mov_b64 s[0:1], 0
.LBB6_1225:
	s_andn2_b64 vcc, exec, s[0:1]
	s_cbranch_vccnz .LBB6_1236
; %bb.1226:
	s_cmp_lt_i32 s2, 6
	s_cbranch_scc1 .LBB6_1229
; %bb.1227:
	s_cmp_gt_i32 s2, 6
	s_cbranch_scc0 .LBB6_1230
; %bb.1228:
	global_load_dwordx2 v[1:2], v[3:4], off
	s_movk_i32 s0, 0xffe0
	s_waitcnt vmcnt(0)
	v_trunc_f64_e32 v[1:2], v[1:2]
	v_ldexp_f64 v[8:9], v[1:2], s0
	s_mov_b32 s0, 0
	s_mov_b32 s1, 0xc1f00000
	v_floor_f64_e32 v[8:9], v[8:9]
	v_fma_f64 v[1:2], v[8:9], s[0:1], v[1:2]
	s_mov_b64 s[0:1], 0
	v_cvt_u32_f64_e32 v1, v[1:2]
	s_branch .LBB6_1231
.LBB6_1229:
	s_mov_b64 s[0:1], -1
                                        ; implicit-def: $vgpr1
	s_branch .LBB6_1234
.LBB6_1230:
	s_mov_b64 s[0:1], -1
                                        ; implicit-def: $vgpr1
.LBB6_1231:
	s_andn2_b64 vcc, exec, s[0:1]
	s_cbranch_vccnz .LBB6_1233
; %bb.1232:
	global_load_dword v1, v[3:4], off
	s_mov_b32 s0, 0x2f800000
	s_waitcnt vmcnt(0)
	v_trunc_f32_e32 v1, v1
	v_mul_f32_e64 v2, |v1|, s0
	v_floor_f32_e32 v2, v2
	s_mov_b32 s0, 0xcf800000
	v_fma_f32 v2, v2, s0, |v1|
	v_cvt_u32_f32_e32 v2, v2
	v_ashrrev_i32_e32 v1, 31, v1
	v_xor_b32_e32 v2, v2, v1
	v_sub_u32_e32 v1, v2, v1
.LBB6_1233:
	s_mov_b64 s[0:1], 0
.LBB6_1234:
	s_andn2_b64 vcc, exec, s[0:1]
	s_cbranch_vccnz .LBB6_1236
; %bb.1235:
	global_load_ushort v1, v[3:4], off
	s_waitcnt vmcnt(0)
	v_cvt_f32_f16_e32 v1, v1
	v_cvt_i32_f32_e32 v1, v1
.LBB6_1236:
	s_cbranch_execnz .LBB6_1256
.LBB6_1237:
	s_cmp_lt_i32 s2, 2
	s_cbranch_scc1 .LBB6_1241
; %bb.1238:
	s_cmp_lt_i32 s2, 3
	s_cbranch_scc1 .LBB6_1242
; %bb.1239:
	s_cmp_gt_i32 s2, 3
	s_cbranch_scc0 .LBB6_1243
; %bb.1240:
	global_load_dwordx2 v[1:2], v[3:4], off
	s_mov_b64 s[0:1], 0
	s_branch .LBB6_1244
.LBB6_1241:
	s_mov_b64 s[0:1], -1
                                        ; implicit-def: $vgpr1
	s_branch .LBB6_1250
.LBB6_1242:
	s_mov_b64 s[0:1], -1
                                        ; implicit-def: $vgpr1
	s_branch .LBB6_1247
.LBB6_1243:
	s_mov_b64 s[0:1], -1
                                        ; implicit-def: $vgpr1
.LBB6_1244:
	s_andn2_b64 vcc, exec, s[0:1]
	s_cbranch_vccnz .LBB6_1246
; %bb.1245:
	global_load_dword v1, v[3:4], off
.LBB6_1246:
	s_mov_b64 s[0:1], 0
.LBB6_1247:
	s_andn2_b64 vcc, exec, s[0:1]
	s_cbranch_vccnz .LBB6_1249
; %bb.1248:
	global_load_ushort v1, v[3:4], off
.LBB6_1249:
	s_mov_b64 s[0:1], 0
.LBB6_1250:
	s_andn2_b64 vcc, exec, s[0:1]
	s_cbranch_vccnz .LBB6_1256
; %bb.1251:
	s_cmp_gt_i32 s2, 0
	s_cbranch_scc0 .LBB6_1253
; %bb.1252:
	global_load_ubyte v1, v[3:4], off
	s_mov_b64 s[0:1], 0
	s_branch .LBB6_1254
.LBB6_1253:
	s_mov_b64 s[0:1], -1
                                        ; implicit-def: $vgpr1
.LBB6_1254:
	s_andn2_b64 vcc, exec, s[0:1]
	s_cbranch_vccnz .LBB6_1256
; %bb.1255:
	global_load_ubyte v1, v[3:4], off
.LBB6_1256:
.LBB6_1257:
	v_add_u32_e32 v6, s13, v5
	s_waitcnt vmcnt(0)
	v_ashrrev_i32_e32 v2, 31, v6
	v_mov_b32_e32 v3, s11
	v_add_co_u32_e32 v4, vcc, s10, v6
	s_cmp_lt_i32 s5, 11
	v_addc_co_u32_e32 v5, vcc, v3, v2, vcc
	s_cbranch_scc1 .LBB6_1264
; %bb.1258:
	s_and_b32 s15, 0xffff, s5
	s_cmp_gt_i32 s15, 25
	s_mov_b64 s[2:3], 0
	s_cbranch_scc0 .LBB6_1266
; %bb.1259:
	s_cmp_gt_i32 s15, 28
	s_cbranch_scc0 .LBB6_1267
; %bb.1260:
	s_cmp_gt_i32 s15, 43
	;; [unrolled: 3-line block ×3, first 2 shown]
	s_cbranch_scc0 .LBB6_1270
; %bb.1262:
	s_cmp_eq_u32 s15, 46
	s_mov_b64 s[22:23], 0
	s_cbranch_scc0 .LBB6_1271
; %bb.1263:
	global_load_dword v2, v[4:5], off
	s_mov_b32 s0, 0x2f800000
	s_mov_b32 s1, 0xcf800000
	s_mov_b64 s[6:7], -1
	s_waitcnt vmcnt(0)
	v_lshlrev_b32_e32 v2, 16, v2
	v_trunc_f32_e32 v2, v2
	v_mul_f32_e64 v3, |v2|, s0
	v_floor_f32_e32 v3, v3
	v_fma_f32 v3, v3, s1, |v2|
	v_cvt_u32_f32_e32 v3, v3
	v_ashrrev_i32_e32 v2, 31, v2
	s_mov_b64 s[0:1], 0
	v_xor_b32_e32 v3, v3, v2
	v_sub_u32_e32 v2, v3, v2
	s_branch .LBB6_1272
.LBB6_1264:
	s_mov_b64 s[6:7], 0
                                        ; implicit-def: $vgpr2
	s_cbranch_execnz .LBB6_1334
.LBB6_1265:
	s_andn2_b64 vcc, exec, s[6:7]
	s_cbranch_vccnz .LBB6_1941
	s_branch .LBB6_1382
.LBB6_1266:
	s_mov_b64 s[22:23], -1
	s_mov_b64 s[6:7], 0
	s_mov_b64 s[0:1], 0
                                        ; implicit-def: $vgpr2
	s_branch .LBB6_1299
.LBB6_1267:
	s_mov_b64 s[22:23], -1
	s_mov_b64 s[6:7], 0
	s_mov_b64 s[0:1], 0
                                        ; implicit-def: $vgpr2
	s_branch .LBB6_1282
.LBB6_1268:
	s_mov_b64 s[22:23], -1
	s_mov_b64 s[6:7], 0
	s_mov_b64 s[0:1], 0
                                        ; implicit-def: $vgpr2
	s_branch .LBB6_1277
.LBB6_1269:
	s_trap 2
	s_or_b64 s[20:21], s[20:21], exec
	s_cbranch_execz .LBB6_1208
	s_branch .LBB6_1209
.LBB6_1270:
	s_mov_b64 s[22:23], -1
	s_mov_b64 s[6:7], 0
	s_mov_b64 s[0:1], 0
                                        ; implicit-def: $vgpr2
	s_branch .LBB6_1272
.LBB6_1271:
	s_mov_b64 s[0:1], -1
                                        ; implicit-def: $vgpr2
	s_mov_b64 s[6:7], 0
.LBB6_1272:
	s_and_b64 vcc, exec, s[22:23]
	s_cbranch_vccz .LBB6_1276
; %bb.1273:
	s_cmp_eq_u32 s15, 44
	s_cbranch_scc0 .LBB6_1275
; %bb.1274:
	global_load_ubyte v2, v[4:5], off
	s_mov_b32 s0, 0x2f800000
	s_mov_b32 s1, 0xcf800000
	s_mov_b64 s[6:7], -1
	s_waitcnt vmcnt(0)
	v_lshlrev_b32_e32 v3, 23, v2
	v_trunc_f32_e32 v3, v3
	v_mul_f32_e64 v8, |v3|, s0
	v_floor_f32_e32 v8, v8
	v_fma_f32 v8, v8, s1, |v3|
	v_cvt_u32_f32_e32 v8, v8
	v_ashrrev_i32_e32 v3, 31, v3
	v_cmp_ne_u32_e32 vcc, 0, v2
	s_mov_b64 s[0:1], 0
	v_xor_b32_e32 v8, v8, v3
	v_sub_u32_e32 v3, v8, v3
	v_cndmask_b32_e32 v2, 0, v3, vcc
	s_branch .LBB6_1276
.LBB6_1275:
	s_mov_b64 s[0:1], -1
                                        ; implicit-def: $vgpr2
.LBB6_1276:
	s_mov_b64 s[22:23], 0
.LBB6_1277:
	s_and_b64 vcc, exec, s[22:23]
	s_cbranch_vccz .LBB6_1281
; %bb.1278:
	s_cmp_eq_u32 s15, 29
	s_cbranch_scc0 .LBB6_1280
; %bb.1279:
	global_load_dwordx2 v[2:3], v[4:5], off
	s_mov_b64 s[0:1], 0
	s_mov_b64 s[6:7], -1
	s_branch .LBB6_1281
.LBB6_1280:
	s_mov_b64 s[0:1], -1
                                        ; implicit-def: $vgpr2
.LBB6_1281:
	s_mov_b64 s[22:23], 0
.LBB6_1282:
	s_and_b64 vcc, exec, s[22:23]
	s_cbranch_vccz .LBB6_1298
; %bb.1283:
	s_cmp_lt_i32 s15, 27
	s_cbranch_scc1 .LBB6_1286
; %bb.1284:
	s_cmp_gt_i32 s15, 27
	s_cbranch_scc0 .LBB6_1287
; %bb.1285:
	global_load_dword v2, v[4:5], off
	s_mov_b64 s[6:7], 0
	s_branch .LBB6_1288
.LBB6_1286:
	s_mov_b64 s[6:7], -1
                                        ; implicit-def: $vgpr2
	s_branch .LBB6_1291
.LBB6_1287:
	s_mov_b64 s[6:7], -1
                                        ; implicit-def: $vgpr2
.LBB6_1288:
	s_andn2_b64 vcc, exec, s[6:7]
	s_cbranch_vccnz .LBB6_1290
; %bb.1289:
	global_load_ushort v2, v[4:5], off
.LBB6_1290:
	s_mov_b64 s[6:7], 0
.LBB6_1291:
	s_andn2_b64 vcc, exec, s[6:7]
	s_cbranch_vccnz .LBB6_1297
; %bb.1292:
	global_load_ubyte v3, v[4:5], off
	s_movk_i32 s6, 0x7f
	s_mov_b64 s[22:23], 0
	s_waitcnt vmcnt(0)
	v_cmp_lt_i16_e32 vcc, s6, v3
	s_and_saveexec_b64 s[6:7], vcc
	s_xor_b64 s[6:7], exec, s[6:7]
	s_cbranch_execz .LBB6_1309
; %bb.1293:
	s_movk_i32 s22, 0x80
	v_cmp_ne_u16_e32 vcc, s22, v3
	s_and_b64 s[22:23], vcc, exec
	s_andn2_saveexec_b64 s[6:7], s[6:7]
	s_cbranch_execnz .LBB6_1310
.LBB6_1294:
	s_or_b64 exec, exec, s[6:7]
	v_mov_b32_e32 v2, 0
	s_and_saveexec_b64 s[6:7], s[22:23]
	s_cbranch_execz .LBB6_1296
.LBB6_1295:
	v_lshlrev_b32_e32 v2, 24, v3
	v_and_b32_e32 v3, 0xffff, v3
	v_and_b32_e32 v8, 7, v3
	v_ffbh_u32_e32 v10, v8
	v_min_u32_e32 v10, 32, v10
	v_subrev_u32_e32 v11, 28, v10
	v_bfe_u32 v9, v3, 3, 4
	v_lshlrev_b32_e32 v3, v11, v3
	v_sub_u32_e32 v10, 29, v10
	v_and_b32_e32 v3, 7, v3
	v_cmp_eq_u32_e32 vcc, 0, v9
	v_cndmask_b32_e32 v9, v9, v10, vcc
	v_cndmask_b32_e32 v3, v8, v3, vcc
	v_mov_b32_e32 v8, 0x3b800000
	v_lshlrev_b32_e32 v3, 20, v3
	v_and_b32_e32 v2, 0x80000000, v2
	v_lshl_add_u32 v8, v9, 23, v8
	v_or3_b32 v2, v2, v8, v3
	v_trunc_f32_e32 v2, v2
	s_mov_b32 s22, 0x2f800000
	v_mul_f32_e64 v3, |v2|, s22
	v_floor_f32_e32 v3, v3
	s_mov_b32 s22, 0xcf800000
	v_fma_f32 v3, v3, s22, |v2|
	v_cvt_u32_f32_e32 v3, v3
	v_ashrrev_i32_e32 v2, 31, v2
	v_xor_b32_e32 v3, v3, v2
	v_sub_u32_e32 v2, v3, v2
.LBB6_1296:
	s_or_b64 exec, exec, s[6:7]
.LBB6_1297:
	s_mov_b64 s[6:7], -1
.LBB6_1298:
	s_mov_b64 s[22:23], 0
.LBB6_1299:
	s_and_b64 vcc, exec, s[22:23]
	s_cbranch_vccz .LBB6_1330
; %bb.1300:
	s_cmp_gt_i32 s15, 22
	s_cbranch_scc0 .LBB6_1308
; %bb.1301:
	s_cmp_lt_i32 s15, 24
	s_cbranch_scc1 .LBB6_1311
; %bb.1302:
	s_cmp_gt_i32 s15, 24
	s_cbranch_scc0 .LBB6_1312
; %bb.1303:
	global_load_ubyte v3, v[4:5], off
	s_movk_i32 s2, 0x7f
	s_mov_b64 s[6:7], 0
	s_waitcnt vmcnt(0)
	v_cmp_lt_i16_e32 vcc, s2, v3
	s_and_saveexec_b64 s[2:3], vcc
	s_xor_b64 s[2:3], exec, s[2:3]
	s_cbranch_execz .LBB6_1324
; %bb.1304:
	s_movk_i32 s6, 0x80
	v_cmp_ne_u16_e32 vcc, s6, v3
	s_and_b64 s[6:7], vcc, exec
	s_andn2_saveexec_b64 s[2:3], s[2:3]
	s_cbranch_execnz .LBB6_1325
.LBB6_1305:
	s_or_b64 exec, exec, s[2:3]
	v_mov_b32_e32 v2, 0
	s_and_saveexec_b64 s[2:3], s[6:7]
	s_cbranch_execz .LBB6_1307
.LBB6_1306:
	v_lshlrev_b32_e32 v2, 24, v3
	v_and_b32_e32 v3, 0xffff, v3
	v_and_b32_e32 v8, 3, v3
	v_ffbh_u32_e32 v10, v8
	v_min_u32_e32 v10, 32, v10
	v_subrev_u32_e32 v11, 29, v10
	v_bfe_u32 v9, v3, 2, 5
	v_lshlrev_b32_e32 v3, v11, v3
	v_sub_u32_e32 v10, 30, v10
	v_and_b32_e32 v3, 3, v3
	v_cmp_eq_u32_e32 vcc, 0, v9
	v_cndmask_b32_e32 v9, v9, v10, vcc
	v_cndmask_b32_e32 v3, v8, v3, vcc
	v_mov_b32_e32 v8, 0x37800000
	v_lshlrev_b32_e32 v3, 21, v3
	v_and_b32_e32 v2, 0x80000000, v2
	v_lshl_add_u32 v8, v9, 23, v8
	v_or3_b32 v2, v2, v8, v3
	v_trunc_f32_e32 v2, v2
	s_mov_b32 s6, 0x2f800000
	v_mul_f32_e64 v3, |v2|, s6
	v_floor_f32_e32 v3, v3
	s_mov_b32 s6, 0xcf800000
	v_fma_f32 v3, v3, s6, |v2|
	v_cvt_u32_f32_e32 v3, v3
	v_ashrrev_i32_e32 v2, 31, v2
	v_xor_b32_e32 v3, v3, v2
	v_sub_u32_e32 v2, v3, v2
.LBB6_1307:
	s_or_b64 exec, exec, s[2:3]
	s_mov_b64 s[2:3], 0
	s_branch .LBB6_1313
.LBB6_1308:
	s_mov_b64 s[2:3], -1
                                        ; implicit-def: $vgpr2
	s_branch .LBB6_1319
.LBB6_1309:
	s_andn2_saveexec_b64 s[6:7], s[6:7]
	s_cbranch_execz .LBB6_1294
.LBB6_1310:
	v_cmp_ne_u16_e32 vcc, 0, v3
	s_andn2_b64 s[22:23], s[22:23], exec
	s_and_b64 s[24:25], vcc, exec
	s_or_b64 s[22:23], s[22:23], s[24:25]
	s_or_b64 exec, exec, s[6:7]
	v_mov_b32_e32 v2, 0
	s_and_saveexec_b64 s[6:7], s[22:23]
	s_cbranch_execnz .LBB6_1295
	s_branch .LBB6_1296
.LBB6_1311:
	s_mov_b64 s[2:3], -1
                                        ; implicit-def: $vgpr2
	s_branch .LBB6_1316
.LBB6_1312:
	s_mov_b64 s[2:3], -1
                                        ; implicit-def: $vgpr2
.LBB6_1313:
	s_and_b64 vcc, exec, s[2:3]
	s_cbranch_vccz .LBB6_1315
; %bb.1314:
	global_load_ubyte v2, v[4:5], off
	s_mov_b32 s2, 0x7f800000
	s_brev_b32 s3, 1
	s_mov_b32 s6, 0x2f800000
	s_waitcnt vmcnt(0)
	v_lshlrev_b32_e32 v2, 24, v2
	v_and_b32_e32 v3, 0x7f000000, v2
	v_ffbh_u32_e32 v8, v3
	v_min_u32_e32 v8, 32, v8
	v_sub_u32_e64 v8, v8, 4 clamp
	v_lshlrev_b32_e32 v10, v8, v3
	v_lshlrev_b32_e32 v8, 23, v8
	v_lshrrev_b32_e32 v10, 4, v10
	v_add_u32_e32 v9, 0x1000000, v3
	v_sub_u32_e32 v8, v10, v8
	v_ashrrev_i32_e32 v9, 8, v9
	v_add_u32_e32 v8, 0x3c000000, v8
	v_and_or_b32 v8, v9, s2, v8
	v_cmp_ne_u32_e32 vcc, 0, v3
	v_cndmask_b32_e32 v3, 0, v8, vcc
	v_and_or_b32 v2, v2, s3, v3
	v_trunc_f32_e32 v2, v2
	v_mul_f32_e64 v3, |v2|, s6
	v_floor_f32_e32 v3, v3
	s_mov_b32 s2, 0xcf800000
	v_fma_f32 v3, v3, s2, |v2|
	v_cvt_u32_f32_e32 v3, v3
	v_ashrrev_i32_e32 v2, 31, v2
	v_xor_b32_e32 v3, v3, v2
	v_sub_u32_e32 v2, v3, v2
.LBB6_1315:
	s_mov_b64 s[2:3], 0
.LBB6_1316:
	s_andn2_b64 vcc, exec, s[2:3]
	s_cbranch_vccnz .LBB6_1318
; %bb.1317:
	global_load_ubyte v2, v[4:5], off
	s_movk_i32 s2, 0x7f00
	s_brev_b32 s3, 16
	s_brev_b32 s6, 1
	s_mov_b32 s7, 0x2f800000
	s_waitcnt vmcnt(0)
	v_lshlrev_b16_e32 v3, 8, v2
	v_lshlrev_b32_e32 v2, 25, v2
	v_lshrrev_b32_e32 v8, 4, v2
	v_and_or_b32 v9, v3, s2, 0.5
	v_or_b32_e32 v8, 0x70000000, v8
	v_add_f32_e32 v9, -0.5, v9
	v_mul_f32_e32 v8, 0x7800000, v8
	v_cmp_gt_u32_e32 vcc, s3, v2
	v_bfe_i32 v3, v3, 0, 16
	v_cndmask_b32_e32 v2, v8, v9, vcc
	v_and_or_b32 v2, v3, s6, v2
	v_trunc_f32_e32 v2, v2
	v_mul_f32_e64 v3, |v2|, s7
	v_floor_f32_e32 v3, v3
	s_mov_b32 s2, 0xcf800000
	v_fma_f32 v3, v3, s2, |v2|
	v_cvt_u32_f32_e32 v3, v3
	v_ashrrev_i32_e32 v2, 31, v2
	v_xor_b32_e32 v3, v3, v2
	v_sub_u32_e32 v2, v3, v2
.LBB6_1318:
	s_mov_b64 s[2:3], 0
	s_mov_b64 s[6:7], -1
.LBB6_1319:
	s_andn2_b64 vcc, exec, s[2:3]
	s_mov_b64 s[2:3], 0
	s_cbranch_vccnz .LBB6_1330
; %bb.1320:
	s_cmp_gt_i32 s15, 14
	s_cbranch_scc0 .LBB6_1323
; %bb.1321:
	s_cmp_eq_u32 s15, 15
	s_cbranch_scc0 .LBB6_1326
; %bb.1322:
	global_load_ushort v2, v[4:5], off
	s_mov_b32 s0, 0x2f800000
	s_mov_b32 s1, 0xcf800000
	s_mov_b64 s[6:7], -1
	s_waitcnt vmcnt(0)
	v_lshlrev_b32_e32 v2, 16, v2
	v_trunc_f32_e32 v2, v2
	v_mul_f32_e64 v3, |v2|, s0
	v_floor_f32_e32 v3, v3
	v_fma_f32 v3, v3, s1, |v2|
	v_cvt_u32_f32_e32 v3, v3
	v_ashrrev_i32_e32 v2, 31, v2
	s_mov_b64 s[0:1], 0
	v_xor_b32_e32 v3, v3, v2
	v_sub_u32_e32 v2, v3, v2
	s_branch .LBB6_1327
.LBB6_1323:
	s_mov_b64 s[22:23], -1
                                        ; implicit-def: $vgpr2
	s_branch .LBB6_1328
.LBB6_1324:
	s_andn2_saveexec_b64 s[2:3], s[2:3]
	s_cbranch_execz .LBB6_1305
.LBB6_1325:
	v_cmp_ne_u16_e32 vcc, 0, v3
	s_andn2_b64 s[6:7], s[6:7], exec
	s_and_b64 s[22:23], vcc, exec
	s_or_b64 s[6:7], s[6:7], s[22:23]
	s_or_b64 exec, exec, s[2:3]
	v_mov_b32_e32 v2, 0
	s_and_saveexec_b64 s[2:3], s[6:7]
	s_cbranch_execnz .LBB6_1306
	s_branch .LBB6_1307
.LBB6_1326:
	s_mov_b64 s[0:1], -1
                                        ; implicit-def: $vgpr2
.LBB6_1327:
	s_mov_b64 s[22:23], 0
.LBB6_1328:
	s_and_b64 vcc, exec, s[22:23]
	s_cbranch_vccz .LBB6_1330
; %bb.1329:
	s_cmp_lg_u32 s15, 11
	s_mov_b64 s[2:3], -1
	s_cselect_b64 s[0:1], -1, 0
.LBB6_1330:
	s_and_b64 vcc, exec, s[0:1]
	s_cbranch_vccnz .LBB6_1393
; %bb.1331:
	s_andn2_b64 vcc, exec, s[2:3]
	s_cbranch_vccnz .LBB6_1333
.LBB6_1332:
	global_load_ubyte v2, v[4:5], off
	s_mov_b64 s[6:7], -1
	s_waitcnt vmcnt(0)
	v_cmp_ne_u16_e32 vcc, 0, v2
	v_cndmask_b32_e64 v2, 0, 1, vcc
.LBB6_1333:
	s_branch .LBB6_1265
.LBB6_1334:
	s_and_b32 s2, 0xffff, s5
	s_cmp_lt_i32 s2, 5
	s_cbranch_scc1 .LBB6_1339
; %bb.1335:
	s_cmp_lt_i32 s2, 8
	s_cbranch_scc1 .LBB6_1340
; %bb.1336:
	;; [unrolled: 3-line block ×3, first 2 shown]
	s_cmp_gt_i32 s2, 9
	s_cbranch_scc0 .LBB6_1342
; %bb.1338:
	global_load_dwordx2 v[2:3], v[4:5], off
	s_movk_i32 s0, 0xffe0
	s_waitcnt vmcnt(0)
	v_trunc_f64_e32 v[2:3], v[2:3]
	v_ldexp_f64 v[8:9], v[2:3], s0
	s_mov_b32 s0, 0
	s_mov_b32 s1, 0xc1f00000
	v_floor_f64_e32 v[8:9], v[8:9]
	v_fma_f64 v[2:3], v[8:9], s[0:1], v[2:3]
	s_mov_b64 s[0:1], 0
	v_cvt_u32_f64_e32 v2, v[2:3]
	s_branch .LBB6_1343
.LBB6_1339:
	s_mov_b64 s[0:1], -1
                                        ; implicit-def: $vgpr2
	s_branch .LBB6_1361
.LBB6_1340:
	s_mov_b64 s[0:1], -1
                                        ; implicit-def: $vgpr2
	s_branch .LBB6_1349
.LBB6_1341:
	s_mov_b64 s[0:1], -1
                                        ; implicit-def: $vgpr2
	s_branch .LBB6_1346
.LBB6_1342:
	s_mov_b64 s[0:1], -1
                                        ; implicit-def: $vgpr2
.LBB6_1343:
	s_andn2_b64 vcc, exec, s[0:1]
	s_cbranch_vccnz .LBB6_1345
; %bb.1344:
	global_load_dword v2, v[4:5], off
	s_mov_b32 s0, 0x2f800000
	s_waitcnt vmcnt(0)
	v_trunc_f32_e32 v2, v2
	v_mul_f32_e64 v3, |v2|, s0
	v_floor_f32_e32 v3, v3
	s_mov_b32 s0, 0xcf800000
	v_fma_f32 v3, v3, s0, |v2|
	v_cvt_u32_f32_e32 v3, v3
	v_ashrrev_i32_e32 v2, 31, v2
	v_xor_b32_e32 v3, v3, v2
	v_sub_u32_e32 v2, v3, v2
.LBB6_1345:
	s_mov_b64 s[0:1], 0
.LBB6_1346:
	s_andn2_b64 vcc, exec, s[0:1]
	s_cbranch_vccnz .LBB6_1348
; %bb.1347:
	global_load_dword v2, v[4:5], off
	s_waitcnt vmcnt(0)
	v_cvt_f32_f16_e32 v2, v2
	v_cvt_i32_f32_e32 v2, v2
.LBB6_1348:
	s_mov_b64 s[0:1], 0
.LBB6_1349:
	s_andn2_b64 vcc, exec, s[0:1]
	s_cbranch_vccnz .LBB6_1360
; %bb.1350:
	s_cmp_lt_i32 s2, 6
	s_cbranch_scc1 .LBB6_1353
; %bb.1351:
	s_cmp_gt_i32 s2, 6
	s_cbranch_scc0 .LBB6_1354
; %bb.1352:
	global_load_dwordx2 v[2:3], v[4:5], off
	s_movk_i32 s0, 0xffe0
	s_waitcnt vmcnt(0)
	v_trunc_f64_e32 v[2:3], v[2:3]
	v_ldexp_f64 v[8:9], v[2:3], s0
	s_mov_b32 s0, 0
	s_mov_b32 s1, 0xc1f00000
	v_floor_f64_e32 v[8:9], v[8:9]
	v_fma_f64 v[2:3], v[8:9], s[0:1], v[2:3]
	s_mov_b64 s[0:1], 0
	v_cvt_u32_f64_e32 v2, v[2:3]
	s_branch .LBB6_1355
.LBB6_1353:
	s_mov_b64 s[0:1], -1
                                        ; implicit-def: $vgpr2
	s_branch .LBB6_1358
.LBB6_1354:
	s_mov_b64 s[0:1], -1
                                        ; implicit-def: $vgpr2
.LBB6_1355:
	s_andn2_b64 vcc, exec, s[0:1]
	s_cbranch_vccnz .LBB6_1357
; %bb.1356:
	global_load_dword v2, v[4:5], off
	s_mov_b32 s0, 0x2f800000
	s_waitcnt vmcnt(0)
	v_trunc_f32_e32 v2, v2
	v_mul_f32_e64 v3, |v2|, s0
	v_floor_f32_e32 v3, v3
	s_mov_b32 s0, 0xcf800000
	v_fma_f32 v3, v3, s0, |v2|
	v_cvt_u32_f32_e32 v3, v3
	v_ashrrev_i32_e32 v2, 31, v2
	v_xor_b32_e32 v3, v3, v2
	v_sub_u32_e32 v2, v3, v2
.LBB6_1357:
	s_mov_b64 s[0:1], 0
.LBB6_1358:
	s_andn2_b64 vcc, exec, s[0:1]
	s_cbranch_vccnz .LBB6_1360
; %bb.1359:
	global_load_ushort v2, v[4:5], off
	s_waitcnt vmcnt(0)
	v_cvt_f32_f16_e32 v2, v2
	v_cvt_i32_f32_e32 v2, v2
.LBB6_1360:
	s_mov_b64 s[0:1], 0
.LBB6_1361:
	s_andn2_b64 vcc, exec, s[0:1]
	s_cbranch_vccnz .LBB6_1381
; %bb.1362:
	s_cmp_lt_i32 s2, 2
	s_cbranch_scc1 .LBB6_1366
; %bb.1363:
	s_cmp_lt_i32 s2, 3
	s_cbranch_scc1 .LBB6_1367
; %bb.1364:
	s_cmp_gt_i32 s2, 3
	s_cbranch_scc0 .LBB6_1368
; %bb.1365:
	global_load_dwordx2 v[2:3], v[4:5], off
	s_mov_b64 s[0:1], 0
	s_branch .LBB6_1369
.LBB6_1366:
	s_mov_b64 s[0:1], -1
                                        ; implicit-def: $vgpr2
	s_branch .LBB6_1375
.LBB6_1367:
	s_mov_b64 s[0:1], -1
                                        ; implicit-def: $vgpr2
	s_branch .LBB6_1372
.LBB6_1368:
	s_mov_b64 s[0:1], -1
                                        ; implicit-def: $vgpr2
.LBB6_1369:
	s_andn2_b64 vcc, exec, s[0:1]
	s_cbranch_vccnz .LBB6_1371
; %bb.1370:
	global_load_dword v2, v[4:5], off
.LBB6_1371:
	s_mov_b64 s[0:1], 0
.LBB6_1372:
	s_andn2_b64 vcc, exec, s[0:1]
	s_cbranch_vccnz .LBB6_1374
; %bb.1373:
	global_load_ushort v2, v[4:5], off
.LBB6_1374:
	s_mov_b64 s[0:1], 0
.LBB6_1375:
	s_andn2_b64 vcc, exec, s[0:1]
	s_cbranch_vccnz .LBB6_1381
; %bb.1376:
	s_cmp_gt_i32 s2, 0
	s_cbranch_scc0 .LBB6_1378
; %bb.1377:
	global_load_ubyte v2, v[4:5], off
	s_mov_b64 s[0:1], 0
	s_branch .LBB6_1379
.LBB6_1378:
	s_mov_b64 s[0:1], -1
                                        ; implicit-def: $vgpr2
.LBB6_1379:
	s_andn2_b64 vcc, exec, s[0:1]
	s_cbranch_vccnz .LBB6_1381
; %bb.1380:
	global_load_ubyte v2, v[4:5], off
.LBB6_1381:
.LBB6_1382:
	s_waitcnt vmcnt(0)
	v_add_u32_e32 v3, s13, v6
	v_ashrrev_i32_e32 v4, 31, v3
	v_mov_b32_e32 v6, s11
	v_add_co_u32_e32 v5, vcc, s10, v3
	s_cmp_lt_i32 s5, 11
	v_addc_co_u32_e32 v6, vcc, v6, v4, vcc
	s_cbranch_scc1 .LBB6_1389
; %bb.1383:
	s_and_b32 s13, 0xffff, s5
	s_cmp_gt_i32 s13, 25
	s_mov_b64 s[2:3], 0
	s_cbranch_scc0 .LBB6_1390
; %bb.1384:
	s_cmp_gt_i32 s13, 28
	s_cbranch_scc0 .LBB6_1391
; %bb.1385:
	s_cmp_gt_i32 s13, 43
	;; [unrolled: 3-line block ×3, first 2 shown]
	s_cbranch_scc0 .LBB6_1394
; %bb.1387:
	s_cmp_eq_u32 s13, 46
	s_mov_b64 s[10:11], 0
	s_cbranch_scc0 .LBB6_1395
; %bb.1388:
	global_load_dword v3, v[5:6], off
	s_mov_b32 s0, 0x2f800000
	s_mov_b32 s1, 0xcf800000
	s_mov_b64 s[6:7], -1
	s_waitcnt vmcnt(0)
	v_lshlrev_b32_e32 v3, 16, v3
	v_trunc_f32_e32 v3, v3
	v_mul_f32_e64 v4, |v3|, s0
	v_floor_f32_e32 v4, v4
	v_fma_f32 v4, v4, s1, |v3|
	v_cvt_u32_f32_e32 v4, v4
	v_ashrrev_i32_e32 v3, 31, v3
	s_mov_b64 s[0:1], 0
	v_xor_b32_e32 v4, v4, v3
	v_sub_u32_e32 v3, v4, v3
	s_branch .LBB6_1396
.LBB6_1389:
	s_mov_b64 s[0:1], -1
	s_mov_b64 s[6:7], 0
                                        ; implicit-def: $vgpr3
	s_branch .LBB6_1458
.LBB6_1390:
	s_mov_b64 s[10:11], -1
	s_mov_b64 s[6:7], 0
	s_mov_b64 s[0:1], 0
                                        ; implicit-def: $vgpr3
	s_branch .LBB6_1423
.LBB6_1391:
	s_mov_b64 s[10:11], -1
	s_mov_b64 s[6:7], 0
	s_mov_b64 s[0:1], 0
                                        ; implicit-def: $vgpr3
	s_branch .LBB6_1406
.LBB6_1392:
	s_mov_b64 s[10:11], -1
	s_mov_b64 s[6:7], 0
	s_mov_b64 s[0:1], 0
                                        ; implicit-def: $vgpr3
	s_branch .LBB6_1401
.LBB6_1393:
	s_trap 2
	s_or_b64 s[20:21], s[20:21], exec
	s_cbranch_execz .LBB6_1332
	s_branch .LBB6_1333
.LBB6_1394:
	s_mov_b64 s[10:11], -1
	s_mov_b64 s[6:7], 0
	s_mov_b64 s[0:1], 0
                                        ; implicit-def: $vgpr3
	s_branch .LBB6_1396
.LBB6_1395:
	s_mov_b64 s[0:1], -1
                                        ; implicit-def: $vgpr3
	s_mov_b64 s[6:7], 0
.LBB6_1396:
	s_and_b64 vcc, exec, s[10:11]
	s_cbranch_vccz .LBB6_1400
; %bb.1397:
	s_cmp_eq_u32 s13, 44
	s_cbranch_scc0 .LBB6_1399
; %bb.1398:
	global_load_ubyte v3, v[5:6], off
	s_mov_b32 s0, 0x2f800000
	s_mov_b32 s1, 0xcf800000
	s_mov_b64 s[6:7], -1
	s_waitcnt vmcnt(0)
	v_lshlrev_b32_e32 v4, 23, v3
	v_trunc_f32_e32 v4, v4
	v_mul_f32_e64 v8, |v4|, s0
	v_floor_f32_e32 v8, v8
	v_fma_f32 v8, v8, s1, |v4|
	v_cvt_u32_f32_e32 v8, v8
	v_ashrrev_i32_e32 v4, 31, v4
	v_cmp_ne_u32_e32 vcc, 0, v3
	s_mov_b64 s[0:1], 0
	v_xor_b32_e32 v8, v8, v4
	v_sub_u32_e32 v4, v8, v4
	v_cndmask_b32_e32 v3, 0, v4, vcc
	s_branch .LBB6_1400
.LBB6_1399:
	s_mov_b64 s[0:1], -1
                                        ; implicit-def: $vgpr3
.LBB6_1400:
	s_mov_b64 s[10:11], 0
.LBB6_1401:
	s_and_b64 vcc, exec, s[10:11]
	s_cbranch_vccz .LBB6_1405
; %bb.1402:
	s_cmp_eq_u32 s13, 29
	s_cbranch_scc0 .LBB6_1404
; %bb.1403:
	global_load_dwordx2 v[3:4], v[5:6], off
	s_mov_b64 s[0:1], 0
	s_mov_b64 s[6:7], -1
	s_branch .LBB6_1405
.LBB6_1404:
	s_mov_b64 s[0:1], -1
                                        ; implicit-def: $vgpr3
.LBB6_1405:
	s_mov_b64 s[10:11], 0
.LBB6_1406:
	s_and_b64 vcc, exec, s[10:11]
	s_cbranch_vccz .LBB6_1422
; %bb.1407:
	s_cmp_lt_i32 s13, 27
	s_cbranch_scc1 .LBB6_1410
; %bb.1408:
	s_cmp_gt_i32 s13, 27
	s_cbranch_scc0 .LBB6_1411
; %bb.1409:
	global_load_dword v3, v[5:6], off
	s_mov_b64 s[6:7], 0
	s_branch .LBB6_1412
.LBB6_1410:
	s_mov_b64 s[6:7], -1
                                        ; implicit-def: $vgpr3
	s_branch .LBB6_1415
.LBB6_1411:
	s_mov_b64 s[6:7], -1
                                        ; implicit-def: $vgpr3
.LBB6_1412:
	s_andn2_b64 vcc, exec, s[6:7]
	s_cbranch_vccnz .LBB6_1414
; %bb.1413:
	global_load_ushort v3, v[5:6], off
.LBB6_1414:
	s_mov_b64 s[6:7], 0
.LBB6_1415:
	s_andn2_b64 vcc, exec, s[6:7]
	s_cbranch_vccnz .LBB6_1421
; %bb.1416:
	global_load_ubyte v4, v[5:6], off
	s_movk_i32 s6, 0x7f
	s_mov_b64 s[10:11], 0
	s_waitcnt vmcnt(0)
	v_cmp_lt_i16_e32 vcc, s6, v4
	s_and_saveexec_b64 s[6:7], vcc
	s_xor_b64 s[6:7], exec, s[6:7]
	s_cbranch_execz .LBB6_1433
; %bb.1417:
	s_movk_i32 s10, 0x80
	v_cmp_ne_u16_e32 vcc, s10, v4
	s_and_b64 s[10:11], vcc, exec
	s_andn2_saveexec_b64 s[6:7], s[6:7]
	s_cbranch_execnz .LBB6_1434
.LBB6_1418:
	s_or_b64 exec, exec, s[6:7]
	v_mov_b32_e32 v3, 0
	s_and_saveexec_b64 s[6:7], s[10:11]
	s_cbranch_execz .LBB6_1420
.LBB6_1419:
	v_lshlrev_b32_e32 v3, 24, v4
	v_and_b32_e32 v4, 0xffff, v4
	v_and_b32_e32 v8, 7, v4
	v_ffbh_u32_e32 v10, v8
	v_min_u32_e32 v10, 32, v10
	v_subrev_u32_e32 v11, 28, v10
	v_bfe_u32 v9, v4, 3, 4
	v_lshlrev_b32_e32 v4, v11, v4
	v_sub_u32_e32 v10, 29, v10
	v_and_b32_e32 v4, 7, v4
	v_cmp_eq_u32_e32 vcc, 0, v9
	v_cndmask_b32_e32 v9, v9, v10, vcc
	v_cndmask_b32_e32 v4, v8, v4, vcc
	v_mov_b32_e32 v8, 0x3b800000
	v_lshlrev_b32_e32 v4, 20, v4
	v_and_b32_e32 v3, 0x80000000, v3
	v_lshl_add_u32 v8, v9, 23, v8
	v_or3_b32 v3, v3, v8, v4
	v_trunc_f32_e32 v3, v3
	s_mov_b32 s10, 0x2f800000
	v_mul_f32_e64 v4, |v3|, s10
	v_floor_f32_e32 v4, v4
	s_mov_b32 s10, 0xcf800000
	v_fma_f32 v4, v4, s10, |v3|
	v_cvt_u32_f32_e32 v4, v4
	v_ashrrev_i32_e32 v3, 31, v3
	v_xor_b32_e32 v4, v4, v3
	v_sub_u32_e32 v3, v4, v3
.LBB6_1420:
	s_or_b64 exec, exec, s[6:7]
.LBB6_1421:
	s_mov_b64 s[6:7], -1
.LBB6_1422:
	s_mov_b64 s[10:11], 0
.LBB6_1423:
	s_and_b64 vcc, exec, s[10:11]
	s_cbranch_vccz .LBB6_1454
; %bb.1424:
	s_cmp_gt_i32 s13, 22
	s_cbranch_scc0 .LBB6_1432
; %bb.1425:
	s_cmp_lt_i32 s13, 24
	s_cbranch_scc1 .LBB6_1435
; %bb.1426:
	s_cmp_gt_i32 s13, 24
	s_cbranch_scc0 .LBB6_1436
; %bb.1427:
	global_load_ubyte v4, v[5:6], off
	s_movk_i32 s2, 0x7f
	s_mov_b64 s[6:7], 0
	s_waitcnt vmcnt(0)
	v_cmp_lt_i16_e32 vcc, s2, v4
	s_and_saveexec_b64 s[2:3], vcc
	s_xor_b64 s[2:3], exec, s[2:3]
	s_cbranch_execz .LBB6_1448
; %bb.1428:
	s_movk_i32 s6, 0x80
	v_cmp_ne_u16_e32 vcc, s6, v4
	s_and_b64 s[6:7], vcc, exec
	s_andn2_saveexec_b64 s[2:3], s[2:3]
	s_cbranch_execnz .LBB6_1449
.LBB6_1429:
	s_or_b64 exec, exec, s[2:3]
	v_mov_b32_e32 v3, 0
	s_and_saveexec_b64 s[2:3], s[6:7]
	s_cbranch_execz .LBB6_1431
.LBB6_1430:
	v_lshlrev_b32_e32 v3, 24, v4
	v_and_b32_e32 v4, 0xffff, v4
	v_and_b32_e32 v8, 3, v4
	v_ffbh_u32_e32 v10, v8
	v_min_u32_e32 v10, 32, v10
	v_subrev_u32_e32 v11, 29, v10
	v_bfe_u32 v9, v4, 2, 5
	v_lshlrev_b32_e32 v4, v11, v4
	v_sub_u32_e32 v10, 30, v10
	v_and_b32_e32 v4, 3, v4
	v_cmp_eq_u32_e32 vcc, 0, v9
	v_cndmask_b32_e32 v9, v9, v10, vcc
	v_cndmask_b32_e32 v4, v8, v4, vcc
	v_mov_b32_e32 v8, 0x37800000
	v_lshlrev_b32_e32 v4, 21, v4
	v_and_b32_e32 v3, 0x80000000, v3
	v_lshl_add_u32 v8, v9, 23, v8
	v_or3_b32 v3, v3, v8, v4
	v_trunc_f32_e32 v3, v3
	s_mov_b32 s6, 0x2f800000
	v_mul_f32_e64 v4, |v3|, s6
	v_floor_f32_e32 v4, v4
	s_mov_b32 s6, 0xcf800000
	v_fma_f32 v4, v4, s6, |v3|
	v_cvt_u32_f32_e32 v4, v4
	v_ashrrev_i32_e32 v3, 31, v3
	v_xor_b32_e32 v4, v4, v3
	v_sub_u32_e32 v3, v4, v3
.LBB6_1431:
	s_or_b64 exec, exec, s[2:3]
	s_mov_b64 s[2:3], 0
	s_branch .LBB6_1437
.LBB6_1432:
	s_mov_b64 s[2:3], -1
                                        ; implicit-def: $vgpr3
	s_branch .LBB6_1443
.LBB6_1433:
	s_andn2_saveexec_b64 s[6:7], s[6:7]
	s_cbranch_execz .LBB6_1418
.LBB6_1434:
	v_cmp_ne_u16_e32 vcc, 0, v4
	s_andn2_b64 s[10:11], s[10:11], exec
	s_and_b64 s[22:23], vcc, exec
	s_or_b64 s[10:11], s[10:11], s[22:23]
	s_or_b64 exec, exec, s[6:7]
	v_mov_b32_e32 v3, 0
	s_and_saveexec_b64 s[6:7], s[10:11]
	s_cbranch_execnz .LBB6_1419
	s_branch .LBB6_1420
.LBB6_1435:
	s_mov_b64 s[2:3], -1
                                        ; implicit-def: $vgpr3
	s_branch .LBB6_1440
.LBB6_1436:
	s_mov_b64 s[2:3], -1
                                        ; implicit-def: $vgpr3
.LBB6_1437:
	s_and_b64 vcc, exec, s[2:3]
	s_cbranch_vccz .LBB6_1439
; %bb.1438:
	global_load_ubyte v3, v[5:6], off
	s_mov_b32 s2, 0x7f800000
	s_brev_b32 s3, 1
	s_mov_b32 s6, 0x2f800000
	s_waitcnt vmcnt(0)
	v_lshlrev_b32_e32 v3, 24, v3
	v_and_b32_e32 v4, 0x7f000000, v3
	v_ffbh_u32_e32 v8, v4
	v_min_u32_e32 v8, 32, v8
	v_sub_u32_e64 v8, v8, 4 clamp
	v_lshlrev_b32_e32 v10, v8, v4
	v_lshlrev_b32_e32 v8, 23, v8
	v_lshrrev_b32_e32 v10, 4, v10
	v_add_u32_e32 v9, 0x1000000, v4
	v_sub_u32_e32 v8, v10, v8
	v_ashrrev_i32_e32 v9, 8, v9
	v_add_u32_e32 v8, 0x3c000000, v8
	v_and_or_b32 v8, v9, s2, v8
	v_cmp_ne_u32_e32 vcc, 0, v4
	v_cndmask_b32_e32 v4, 0, v8, vcc
	v_and_or_b32 v3, v3, s3, v4
	v_trunc_f32_e32 v3, v3
	v_mul_f32_e64 v4, |v3|, s6
	v_floor_f32_e32 v4, v4
	s_mov_b32 s2, 0xcf800000
	v_fma_f32 v4, v4, s2, |v3|
	v_cvt_u32_f32_e32 v4, v4
	v_ashrrev_i32_e32 v3, 31, v3
	v_xor_b32_e32 v4, v4, v3
	v_sub_u32_e32 v3, v4, v3
.LBB6_1439:
	s_mov_b64 s[2:3], 0
.LBB6_1440:
	s_andn2_b64 vcc, exec, s[2:3]
	s_cbranch_vccnz .LBB6_1442
; %bb.1441:
	global_load_ubyte v3, v[5:6], off
	s_movk_i32 s2, 0x7f00
	s_brev_b32 s3, 16
	s_brev_b32 s6, 1
	s_mov_b32 s7, 0x2f800000
	s_waitcnt vmcnt(0)
	v_lshlrev_b16_e32 v4, 8, v3
	v_lshlrev_b32_e32 v3, 25, v3
	v_lshrrev_b32_e32 v8, 4, v3
	v_and_or_b32 v9, v4, s2, 0.5
	v_or_b32_e32 v8, 0x70000000, v8
	v_add_f32_e32 v9, -0.5, v9
	v_mul_f32_e32 v8, 0x7800000, v8
	v_cmp_gt_u32_e32 vcc, s3, v3
	v_bfe_i32 v4, v4, 0, 16
	v_cndmask_b32_e32 v3, v8, v9, vcc
	v_and_or_b32 v3, v4, s6, v3
	v_trunc_f32_e32 v3, v3
	v_mul_f32_e64 v4, |v3|, s7
	v_floor_f32_e32 v4, v4
	s_mov_b32 s2, 0xcf800000
	v_fma_f32 v4, v4, s2, |v3|
	v_cvt_u32_f32_e32 v4, v4
	v_ashrrev_i32_e32 v3, 31, v3
	v_xor_b32_e32 v4, v4, v3
	v_sub_u32_e32 v3, v4, v3
.LBB6_1442:
	s_mov_b64 s[2:3], 0
	s_mov_b64 s[6:7], -1
.LBB6_1443:
	s_andn2_b64 vcc, exec, s[2:3]
	s_mov_b64 s[2:3], 0
	s_cbranch_vccnz .LBB6_1454
; %bb.1444:
	s_cmp_gt_i32 s13, 14
	s_cbranch_scc0 .LBB6_1447
; %bb.1445:
	s_cmp_eq_u32 s13, 15
	s_cbranch_scc0 .LBB6_1450
; %bb.1446:
	global_load_ushort v3, v[5:6], off
	s_mov_b32 s0, 0x2f800000
	s_mov_b32 s1, 0xcf800000
	s_mov_b64 s[6:7], -1
	s_waitcnt vmcnt(0)
	v_lshlrev_b32_e32 v3, 16, v3
	v_trunc_f32_e32 v3, v3
	v_mul_f32_e64 v4, |v3|, s0
	v_floor_f32_e32 v4, v4
	v_fma_f32 v4, v4, s1, |v3|
	v_cvt_u32_f32_e32 v4, v4
	v_ashrrev_i32_e32 v3, 31, v3
	s_mov_b64 s[0:1], 0
	v_xor_b32_e32 v4, v4, v3
	v_sub_u32_e32 v3, v4, v3
	s_branch .LBB6_1451
.LBB6_1447:
	s_mov_b64 s[10:11], -1
                                        ; implicit-def: $vgpr3
	s_branch .LBB6_1452
.LBB6_1448:
	s_andn2_saveexec_b64 s[2:3], s[2:3]
	s_cbranch_execz .LBB6_1429
.LBB6_1449:
	v_cmp_ne_u16_e32 vcc, 0, v4
	s_andn2_b64 s[6:7], s[6:7], exec
	s_and_b64 s[10:11], vcc, exec
	s_or_b64 s[6:7], s[6:7], s[10:11]
	s_or_b64 exec, exec, s[2:3]
	v_mov_b32_e32 v3, 0
	s_and_saveexec_b64 s[2:3], s[6:7]
	s_cbranch_execnz .LBB6_1430
	s_branch .LBB6_1431
.LBB6_1450:
	s_mov_b64 s[0:1], -1
                                        ; implicit-def: $vgpr3
.LBB6_1451:
	s_mov_b64 s[10:11], 0
.LBB6_1452:
	s_and_b64 vcc, exec, s[10:11]
	s_cbranch_vccz .LBB6_1454
; %bb.1453:
	s_cmp_lg_u32 s13, 11
	s_mov_b64 s[2:3], -1
	s_cselect_b64 s[0:1], -1, 0
.LBB6_1454:
	s_and_b64 vcc, exec, s[0:1]
	s_cbranch_vccnz .LBB6_1987
; %bb.1455:
	s_andn2_b64 vcc, exec, s[2:3]
	s_cbranch_vccnz .LBB6_1457
.LBB6_1456:
	global_load_ubyte v3, v[5:6], off
	s_mov_b64 s[6:7], -1
	s_waitcnt vmcnt(0)
	v_cmp_ne_u16_e32 vcc, 0, v3
	v_cndmask_b32_e64 v3, 0, 1, vcc
.LBB6_1457:
	s_mov_b64 s[0:1], 0
.LBB6_1458:
	s_and_b64 vcc, exec, s[0:1]
	s_cbranch_vccz .LBB6_1507
; %bb.1459:
	s_and_b32 s2, 0xffff, s5
	s_cmp_lt_i32 s2, 5
	s_cbranch_scc1 .LBB6_1464
; %bb.1460:
	s_cmp_lt_i32 s2, 8
	s_cbranch_scc1 .LBB6_1465
; %bb.1461:
	;; [unrolled: 3-line block ×3, first 2 shown]
	s_cmp_gt_i32 s2, 9
	s_cbranch_scc0 .LBB6_1467
; %bb.1463:
	global_load_dwordx2 v[3:4], v[5:6], off
	s_movk_i32 s0, 0xffe0
	s_waitcnt vmcnt(0)
	v_trunc_f64_e32 v[3:4], v[3:4]
	v_ldexp_f64 v[8:9], v[3:4], s0
	s_mov_b32 s0, 0
	s_mov_b32 s1, 0xc1f00000
	v_floor_f64_e32 v[8:9], v[8:9]
	v_fma_f64 v[3:4], v[8:9], s[0:1], v[3:4]
	s_mov_b64 s[0:1], 0
	v_cvt_u32_f64_e32 v3, v[3:4]
	s_branch .LBB6_1468
.LBB6_1464:
	s_mov_b64 s[0:1], -1
                                        ; implicit-def: $vgpr3
	s_branch .LBB6_1486
.LBB6_1465:
	s_mov_b64 s[0:1], -1
                                        ; implicit-def: $vgpr3
	s_branch .LBB6_1474
.LBB6_1466:
	s_mov_b64 s[0:1], -1
                                        ; implicit-def: $vgpr3
	s_branch .LBB6_1471
.LBB6_1467:
	s_mov_b64 s[0:1], -1
                                        ; implicit-def: $vgpr3
.LBB6_1468:
	s_andn2_b64 vcc, exec, s[0:1]
	s_cbranch_vccnz .LBB6_1470
; %bb.1469:
	global_load_dword v3, v[5:6], off
	s_mov_b32 s0, 0x2f800000
	s_waitcnt vmcnt(0)
	v_trunc_f32_e32 v3, v3
	v_mul_f32_e64 v4, |v3|, s0
	v_floor_f32_e32 v4, v4
	s_mov_b32 s0, 0xcf800000
	v_fma_f32 v4, v4, s0, |v3|
	v_cvt_u32_f32_e32 v4, v4
	v_ashrrev_i32_e32 v3, 31, v3
	v_xor_b32_e32 v4, v4, v3
	v_sub_u32_e32 v3, v4, v3
.LBB6_1470:
	s_mov_b64 s[0:1], 0
.LBB6_1471:
	s_andn2_b64 vcc, exec, s[0:1]
	s_cbranch_vccnz .LBB6_1473
; %bb.1472:
	global_load_dword v3, v[5:6], off
	s_waitcnt vmcnt(0)
	v_cvt_f32_f16_e32 v3, v3
	v_cvt_i32_f32_e32 v3, v3
.LBB6_1473:
	s_mov_b64 s[0:1], 0
.LBB6_1474:
	s_andn2_b64 vcc, exec, s[0:1]
	s_cbranch_vccnz .LBB6_1485
; %bb.1475:
	s_cmp_lt_i32 s2, 6
	s_cbranch_scc1 .LBB6_1478
; %bb.1476:
	s_cmp_gt_i32 s2, 6
	s_cbranch_scc0 .LBB6_1479
; %bb.1477:
	global_load_dwordx2 v[3:4], v[5:6], off
	s_movk_i32 s0, 0xffe0
	s_waitcnt vmcnt(0)
	v_trunc_f64_e32 v[3:4], v[3:4]
	v_ldexp_f64 v[8:9], v[3:4], s0
	s_mov_b32 s0, 0
	s_mov_b32 s1, 0xc1f00000
	v_floor_f64_e32 v[8:9], v[8:9]
	v_fma_f64 v[3:4], v[8:9], s[0:1], v[3:4]
	s_mov_b64 s[0:1], 0
	v_cvt_u32_f64_e32 v3, v[3:4]
	s_branch .LBB6_1480
.LBB6_1478:
	s_mov_b64 s[0:1], -1
                                        ; implicit-def: $vgpr3
	s_branch .LBB6_1483
.LBB6_1479:
	s_mov_b64 s[0:1], -1
                                        ; implicit-def: $vgpr3
.LBB6_1480:
	s_andn2_b64 vcc, exec, s[0:1]
	s_cbranch_vccnz .LBB6_1482
; %bb.1481:
	global_load_dword v3, v[5:6], off
	s_mov_b32 s0, 0x2f800000
	s_waitcnt vmcnt(0)
	v_trunc_f32_e32 v3, v3
	v_mul_f32_e64 v4, |v3|, s0
	v_floor_f32_e32 v4, v4
	s_mov_b32 s0, 0xcf800000
	v_fma_f32 v4, v4, s0, |v3|
	v_cvt_u32_f32_e32 v4, v4
	v_ashrrev_i32_e32 v3, 31, v3
	v_xor_b32_e32 v4, v4, v3
	v_sub_u32_e32 v3, v4, v3
.LBB6_1482:
	s_mov_b64 s[0:1], 0
.LBB6_1483:
	s_andn2_b64 vcc, exec, s[0:1]
	s_cbranch_vccnz .LBB6_1485
; %bb.1484:
	global_load_ushort v3, v[5:6], off
	s_waitcnt vmcnt(0)
	v_cvt_f32_f16_e32 v3, v3
	v_cvt_i32_f32_e32 v3, v3
.LBB6_1485:
	s_mov_b64 s[0:1], 0
.LBB6_1486:
	s_andn2_b64 vcc, exec, s[0:1]
	s_cbranch_vccnz .LBB6_1506
; %bb.1487:
	s_cmp_lt_i32 s2, 2
	s_cbranch_scc1 .LBB6_1491
; %bb.1488:
	s_cmp_lt_i32 s2, 3
	s_cbranch_scc1 .LBB6_1492
; %bb.1489:
	s_cmp_gt_i32 s2, 3
	s_cbranch_scc0 .LBB6_1493
; %bb.1490:
	global_load_dwordx2 v[3:4], v[5:6], off
	s_mov_b64 s[0:1], 0
	s_branch .LBB6_1494
.LBB6_1491:
	s_mov_b64 s[0:1], -1
                                        ; implicit-def: $vgpr3
	s_branch .LBB6_1500
.LBB6_1492:
	s_mov_b64 s[0:1], -1
                                        ; implicit-def: $vgpr3
	s_branch .LBB6_1497
.LBB6_1493:
	s_mov_b64 s[0:1], -1
                                        ; implicit-def: $vgpr3
.LBB6_1494:
	s_andn2_b64 vcc, exec, s[0:1]
	s_cbranch_vccnz .LBB6_1496
; %bb.1495:
	global_load_dword v3, v[5:6], off
.LBB6_1496:
	s_mov_b64 s[0:1], 0
.LBB6_1497:
	s_andn2_b64 vcc, exec, s[0:1]
	s_cbranch_vccnz .LBB6_1499
; %bb.1498:
	global_load_ushort v3, v[5:6], off
.LBB6_1499:
	s_mov_b64 s[0:1], 0
.LBB6_1500:
	s_andn2_b64 vcc, exec, s[0:1]
	s_cbranch_vccnz .LBB6_1506
; %bb.1501:
	s_cmp_gt_i32 s2, 0
	s_cbranch_scc0 .LBB6_1503
; %bb.1502:
	global_load_ubyte v3, v[5:6], off
	s_mov_b64 s[0:1], 0
	s_branch .LBB6_1504
.LBB6_1503:
	s_mov_b64 s[0:1], -1
                                        ; implicit-def: $vgpr3
.LBB6_1504:
	s_andn2_b64 vcc, exec, s[0:1]
	s_cbranch_vccnz .LBB6_1506
; %bb.1505:
	global_load_ubyte v3, v[5:6], off
.LBB6_1506:
	s_mov_b64 s[6:7], -1
.LBB6_1507:
	s_andn2_b64 vcc, exec, s[6:7]
	s_cbranch_vccnz .LBB6_1941
; %bb.1508:
	v_mul_lo_u32 v6, s12, v7
	s_and_b32 s0, s14, 0xff
	s_and_b32 s1, s48, 0xff
	s_cmp_gt_u32 s1, s0
	s_waitcnt vmcnt(0)
	v_mov_b32_e32 v4, s33
	s_cselect_b64 s[0:1], -1, 0
	v_cndmask_b32_e64 v0, v4, v0, s[0:1]
	v_ashrrev_i32_e32 v5, 31, v6
	v_mov_b32_e32 v7, s9
	s_and_b32 s22, s4, 0xff
	v_add_co_u32_e32 v4, vcc, s8, v6
	s_cmp_lt_i32 s22, 11
	v_addc_co_u32_e32 v5, vcc, v7, v5, vcc
	s_cbranch_scc1 .LBB6_1586
; %bb.1509:
	s_and_b32 s13, 0xffff, s22
	s_mov_b64 s[10:11], -1
	s_mov_b64 s[4:5], 0
	s_cmp_gt_i32 s13, 25
	s_mov_b64 s[6:7], 0
	s_mov_b64 s[2:3], 0
	s_cbranch_scc0 .LBB6_1542
; %bb.1510:
	s_cmp_gt_i32 s13, 28
	s_cbranch_scc0 .LBB6_1525
; %bb.1511:
	s_cmp_gt_i32 s13, 43
	;; [unrolled: 3-line block ×3, first 2 shown]
	s_cbranch_scc0 .LBB6_1515
; %bb.1513:
	s_mov_b64 s[2:3], -1
	s_mov_b64 s[10:11], 0
	s_cmp_eq_u32 s13, 46
	s_cbranch_scc0 .LBB6_1515
; %bb.1514:
	v_cvt_f32_ubyte0_e32 v7, v0
	v_bfe_u32 v8, v7, 16, 1
	s_movk_i32 s2, 0x7fff
	v_add3_u32 v7, v7, v8, s2
	v_lshrrev_b32_e32 v7, 16, v7
	global_store_dword v[4:5], v7, off
	s_mov_b64 s[2:3], 0
	s_mov_b64 s[6:7], -1
.LBB6_1515:
	s_and_b64 vcc, exec, s[10:11]
	s_cbranch_vccz .LBB6_1520
; %bb.1516:
	s_cmp_eq_u32 s13, 44
	s_mov_b64 s[2:3], -1
	s_cbranch_scc0 .LBB6_1520
; %bb.1517:
	v_cvt_f32_ubyte0_e32 v8, v0
	v_lshrrev_b32_e32 v7, 23, v8
	s_movk_i32 s2, 0xff
	v_cmp_ne_u32_e32 vcc, s2, v7
	v_mov_b32_e32 v9, 0xff
	s_and_saveexec_b64 s[6:7], vcc
; %bb.1518:
	s_mov_b32 s2, 0x3fffff
	v_and_b32_e32 v9, 0x400000, v8
	v_and_or_b32 v8, v8, s2, v7
	v_cmp_ne_u32_e32 vcc, 0, v9
	v_cmp_ne_u32_e64 s[2:3], 0, v8
	s_and_b64 s[2:3], vcc, s[2:3]
	v_cndmask_b32_e64 v8, 0, 1, s[2:3]
	v_add_u32_e32 v9, v7, v8
; %bb.1519:
	s_or_b64 exec, exec, s[6:7]
	s_mov_b64 s[2:3], 0
	s_mov_b64 s[6:7], -1
	global_store_byte v[4:5], v9, off
.LBB6_1520:
	s_mov_b64 s[10:11], 0
.LBB6_1521:
	s_and_b64 vcc, exec, s[10:11]
	s_cbranch_vccz .LBB6_1524
; %bb.1522:
	s_cmp_eq_u32 s13, 29
	s_mov_b64 s[2:3], -1
	s_cbranch_scc0 .LBB6_1524
; %bb.1523:
	v_and_b32_e32 v7, 0xff, v0
	v_mov_b32_e32 v8, 0
	global_store_dwordx2 v[4:5], v[7:8], off
	s_mov_b64 s[2:3], 0
	s_mov_b64 s[6:7], -1
.LBB6_1524:
	s_mov_b64 s[10:11], 0
.LBB6_1525:
	s_and_b64 vcc, exec, s[10:11]
	s_cbranch_vccz .LBB6_1541
; %bb.1526:
	s_cmp_lt_i32 s13, 27
	s_mov_b64 s[6:7], -1
	s_cbranch_scc1 .LBB6_1532
; %bb.1527:
	s_cmp_gt_i32 s13, 27
	s_cbranch_scc0 .LBB6_1529
; %bb.1528:
	v_and_b32_e32 v7, 0xff, v0
	s_mov_b64 s[6:7], 0
	global_store_dword v[4:5], v7, off
.LBB6_1529:
	s_andn2_b64 vcc, exec, s[6:7]
	s_cbranch_vccnz .LBB6_1531
; %bb.1530:
	v_and_b32_e32 v7, 0xff, v0
	global_store_short v[4:5], v7, off
.LBB6_1531:
	s_mov_b64 s[6:7], 0
.LBB6_1532:
	s_andn2_b64 vcc, exec, s[6:7]
	s_cbranch_vccnz .LBB6_1540
; %bb.1533:
	v_cvt_f32_ubyte0_e32 v8, v0
	s_mov_b32 s6, 0x43800000
	v_cmp_gt_u32_e32 vcc, s6, v8
	v_mov_b32_e32 v9, 0x80
	s_and_saveexec_b64 s[6:7], vcc
	s_cbranch_execz .LBB6_1539
; %bb.1534:
	s_mov_b32 s10, 0x3bffffff
	v_cmp_lt_u32_e32 vcc, s10, v8
	s_mov_b64 s[10:11], 0
                                        ; implicit-def: $vgpr7
	s_and_saveexec_b64 s[14:15], vcc
	s_xor_b64 s[14:15], exec, s[14:15]
	s_cbranch_execz .LBB6_1988
; %bb.1535:
	v_bfe_u32 v7, v8, 20, 1
	s_mov_b32 s23, 0x487ffff
	v_add3_u32 v7, v8, v7, s23
	s_mov_b64 s[10:11], exec
	v_lshrrev_b32_e32 v7, 20, v7
                                        ; implicit-def: $vgpr8
	s_andn2_saveexec_b64 s[14:15], s[14:15]
	s_cbranch_execnz .LBB6_1989
.LBB6_1536:
	s_or_b64 exec, exec, s[14:15]
	v_mov_b32_e32 v9, 0
	s_and_saveexec_b64 s[14:15], s[10:11]
.LBB6_1537:
	v_mov_b32_e32 v9, v7
.LBB6_1538:
	s_or_b64 exec, exec, s[14:15]
.LBB6_1539:
	s_or_b64 exec, exec, s[6:7]
	global_store_byte v[4:5], v9, off
.LBB6_1540:
	s_mov_b64 s[6:7], -1
.LBB6_1541:
	s_mov_b64 s[10:11], 0
.LBB6_1542:
	s_and_b64 vcc, exec, s[10:11]
	s_cbranch_vccz .LBB6_1582
; %bb.1543:
	s_cmp_gt_i32 s13, 22
	s_mov_b64 s[4:5], -1
	s_cbranch_scc0 .LBB6_1575
; %bb.1544:
	s_cmp_lt_i32 s13, 24
	s_cbranch_scc1 .LBB6_1564
; %bb.1545:
	s_cmp_gt_i32 s13, 24
	s_cbranch_scc0 .LBB6_1553
; %bb.1546:
	v_cvt_f32_ubyte0_e32 v8, v0
	s_mov_b32 s4, 0x47800000
	v_cmp_gt_u32_e32 vcc, s4, v8
	v_mov_b32_e32 v9, 0x80
	s_and_saveexec_b64 s[4:5], vcc
	s_cbranch_execz .LBB6_1552
; %bb.1547:
	s_mov_b32 s6, 0x37ffffff
	v_cmp_lt_u32_e32 vcc, s6, v8
	s_mov_b64 s[6:7], 0
                                        ; implicit-def: $vgpr7
	s_and_saveexec_b64 s[10:11], vcc
	s_xor_b64 s[10:11], exec, s[10:11]
	s_cbranch_execz .LBB6_1991
; %bb.1548:
	v_bfe_u32 v7, v8, 21, 1
	s_mov_b32 s14, 0x88fffff
	v_add3_u32 v7, v8, v7, s14
	s_mov_b64 s[6:7], exec
	v_lshrrev_b32_e32 v7, 21, v7
                                        ; implicit-def: $vgpr8
	s_andn2_saveexec_b64 s[10:11], s[10:11]
	s_cbranch_execnz .LBB6_1992
.LBB6_1549:
	s_or_b64 exec, exec, s[10:11]
	v_mov_b32_e32 v9, 0
	s_and_saveexec_b64 s[10:11], s[6:7]
.LBB6_1550:
	v_mov_b32_e32 v9, v7
.LBB6_1551:
	s_or_b64 exec, exec, s[10:11]
.LBB6_1552:
	s_or_b64 exec, exec, s[4:5]
	s_mov_b64 s[4:5], 0
	global_store_byte v[4:5], v9, off
.LBB6_1553:
	s_and_b64 vcc, exec, s[4:5]
	s_cbranch_vccz .LBB6_1563
; %bb.1554:
	v_cvt_f32_ubyte0_e32 v7, v0
	s_mov_b32 s4, 0x43f00000
	v_cmp_gt_u32_e32 vcc, s4, v7
                                        ; implicit-def: $vgpr8
	s_and_saveexec_b64 s[4:5], vcc
	s_xor_b64 s[4:5], exec, s[4:5]
	s_cbranch_execz .LBB6_1560
; %bb.1555:
	s_mov_b32 s6, 0x3c7fffff
	v_cmp_lt_u32_e32 vcc, s6, v7
                                        ; implicit-def: $vgpr8
	s_and_saveexec_b64 s[6:7], vcc
	s_xor_b64 s[6:7], exec, s[6:7]
; %bb.1556:
	v_bfe_u32 v8, v7, 20, 1
	s_mov_b32 s10, 0x407ffff
	v_add3_u32 v7, v7, v8, s10
	v_lshrrev_b32_e32 v8, 20, v7
	v_and_b32_e32 v7, 0xff00000, v7
	s_mov_b32 s10, 0x7f00000
	v_mov_b32_e32 v9, 0x7e
	v_cmp_ne_u32_e32 vcc, s10, v7
	v_cndmask_b32_e32 v8, v9, v8, vcc
                                        ; implicit-def: $vgpr7
; %bb.1557:
	s_andn2_saveexec_b64 s[6:7], s[6:7]
; %bb.1558:
	v_add_f32_e32 v8, 0x46800000, v7
; %bb.1559:
	s_or_b64 exec, exec, s[6:7]
                                        ; implicit-def: $vgpr7
.LBB6_1560:
	s_andn2_saveexec_b64 s[4:5], s[4:5]
; %bb.1561:
	s_mov_b32 s6, 0x7f800000
	v_mov_b32_e32 v8, 0x7e
	v_mov_b32_e32 v9, 0x7f
	v_cmp_lt_u32_e32 vcc, s6, v7
	v_cndmask_b32_e32 v8, v8, v9, vcc
; %bb.1562:
	s_or_b64 exec, exec, s[4:5]
	global_store_byte v[4:5], v8, off
.LBB6_1563:
	s_mov_b64 s[4:5], 0
.LBB6_1564:
	s_andn2_b64 vcc, exec, s[4:5]
	s_cbranch_vccnz .LBB6_1574
; %bb.1565:
	v_cvt_f32_ubyte0_e32 v7, v0
	s_mov_b32 s4, 0x47800000
	v_cmp_gt_u32_e32 vcc, s4, v7
                                        ; implicit-def: $vgpr8
	s_and_saveexec_b64 s[4:5], vcc
	s_xor_b64 s[4:5], exec, s[4:5]
	s_cbranch_execz .LBB6_1571
; %bb.1566:
	s_mov_b32 s6, 0x387fffff
	v_cmp_lt_u32_e32 vcc, s6, v7
                                        ; implicit-def: $vgpr8
	s_and_saveexec_b64 s[6:7], vcc
	s_xor_b64 s[6:7], exec, s[6:7]
; %bb.1567:
	v_bfe_u32 v8, v7, 21, 1
	s_mov_b32 s10, 0x80fffff
	v_add3_u32 v7, v7, v8, s10
	v_lshrrev_b32_e32 v8, 21, v7
                                        ; implicit-def: $vgpr7
; %bb.1568:
	s_andn2_saveexec_b64 s[6:7], s[6:7]
; %bb.1569:
	v_add_f32_e32 v8, 0x43000000, v7
; %bb.1570:
	s_or_b64 exec, exec, s[6:7]
                                        ; implicit-def: $vgpr7
.LBB6_1571:
	s_andn2_saveexec_b64 s[4:5], s[4:5]
; %bb.1572:
	s_mov_b32 s6, 0x7f800000
	v_mov_b32_e32 v8, 0x7c
	v_mov_b32_e32 v9, 0x7f
	v_cmp_lt_u32_e32 vcc, s6, v7
	v_cndmask_b32_e32 v8, v8, v9, vcc
; %bb.1573:
	s_or_b64 exec, exec, s[4:5]
	global_store_byte v[4:5], v8, off
.LBB6_1574:
	s_mov_b64 s[4:5], 0
	s_mov_b64 s[6:7], -1
.LBB6_1575:
	s_andn2_b64 vcc, exec, s[4:5]
	s_mov_b64 s[4:5], 0
	s_cbranch_vccnz .LBB6_1582
; %bb.1576:
	s_cmp_gt_i32 s13, 14
	s_mov_b64 s[10:11], -1
	s_cbranch_scc0 .LBB6_1580
; %bb.1577:
	s_cmp_eq_u32 s13, 15
	s_mov_b64 s[2:3], -1
	s_cbranch_scc0 .LBB6_1579
; %bb.1578:
	v_cvt_f32_ubyte0_e32 v7, v0
	v_bfe_u32 v8, v7, 16, 1
	s_movk_i32 s2, 0x7fff
	v_add3_u32 v7, v7, v8, s2
	global_store_short_d16_hi v[4:5], v7, off
	s_mov_b64 s[2:3], 0
	s_mov_b64 s[6:7], -1
.LBB6_1579:
	s_mov_b64 s[10:11], 0
.LBB6_1580:
	s_and_b64 vcc, exec, s[10:11]
	s_cbranch_vccz .LBB6_1582
; %bb.1581:
	s_cmp_lg_u32 s13, 11
	s_mov_b64 s[4:5], -1
	s_cselect_b64 s[2:3], -1, 0
.LBB6_1582:
	s_and_b64 vcc, exec, s[2:3]
	s_cbranch_vccnz .LBB6_1990
; %bb.1583:
	s_andn2_b64 vcc, exec, s[4:5]
	s_cbranch_vccnz .LBB6_1585
.LBB6_1584:
	v_mov_b32_e32 v7, 0
	v_cmp_ne_u16_sdwa s[2:3], v0, v7 src0_sel:BYTE_0 src1_sel:DWORD
	v_cndmask_b32_e64 v7, 0, 1, s[2:3]
	s_mov_b64 s[6:7], -1
	global_store_byte v[4:5], v7, off
.LBB6_1585:
	s_mov_b64 s[2:3], 0
	s_branch .LBB6_1587
.LBB6_1586:
	s_mov_b64 s[2:3], -1
	s_mov_b64 s[6:7], 0
.LBB6_1587:
	s_and_b64 vcc, exec, s[2:3]
	s_cbranch_vccz .LBB6_1626
; %bb.1588:
	s_and_b32 s4, 0xffff, s22
	s_cmp_lt_i32 s4, 5
	s_mov_b64 s[2:3], -1
	s_cbranch_scc1 .LBB6_1609
; %bb.1589:
	s_cmp_lt_i32 s4, 8
	s_cbranch_scc1 .LBB6_1599
; %bb.1590:
	s_cmp_lt_i32 s4, 9
	s_cbranch_scc1 .LBB6_1596
; %bb.1591:
	s_cmp_gt_i32 s4, 9
	s_cbranch_scc0 .LBB6_1593
; %bb.1592:
	s_mov_b32 s2, 0xffff
	v_and_b32_sdwa v7, s2, v0 dst_sel:DWORD dst_unused:UNUSED_PAD src0_sel:DWORD src1_sel:BYTE_0
	v_cvt_f64_u32_e32 v[7:8], v7
	v_mov_b32_e32 v9, 0
	v_mov_b32_e32 v10, v9
	s_mov_b64 s[2:3], 0
	global_store_dwordx4 v[4:5], v[7:10], off
.LBB6_1593:
	s_andn2_b64 vcc, exec, s[2:3]
	s_cbranch_vccnz .LBB6_1595
; %bb.1594:
	v_cvt_f32_ubyte0_e32 v7, v0
	v_mov_b32_e32 v8, 0
	global_store_dwordx2 v[4:5], v[7:8], off
.LBB6_1595:
	s_mov_b64 s[2:3], 0
.LBB6_1596:
	s_andn2_b64 vcc, exec, s[2:3]
	s_cbranch_vccnz .LBB6_1598
; %bb.1597:
	v_cvt_f16_u16_sdwa v7, v0 dst_sel:DWORD dst_unused:UNUSED_PAD src0_sel:BYTE_0
	global_store_dword v[4:5], v7, off
.LBB6_1598:
	s_mov_b64 s[2:3], 0
.LBB6_1599:
	s_andn2_b64 vcc, exec, s[2:3]
	s_cbranch_vccnz .LBB6_1608
; %bb.1600:
	s_cmp_lt_i32 s4, 6
	s_mov_b64 s[2:3], -1
	s_cbranch_scc1 .LBB6_1606
; %bb.1601:
	s_cmp_gt_i32 s4, 6
	s_cbranch_scc0 .LBB6_1603
; %bb.1602:
	s_mov_b32 s2, 0xffff
	v_and_b32_sdwa v7, s2, v0 dst_sel:DWORD dst_unused:UNUSED_PAD src0_sel:DWORD src1_sel:BYTE_0
	v_cvt_f64_u32_e32 v[7:8], v7
	s_mov_b64 s[2:3], 0
	global_store_dwordx2 v[4:5], v[7:8], off
.LBB6_1603:
	s_andn2_b64 vcc, exec, s[2:3]
	s_cbranch_vccnz .LBB6_1605
; %bb.1604:
	v_cvt_f32_ubyte0_e32 v7, v0
	global_store_dword v[4:5], v7, off
.LBB6_1605:
	s_mov_b64 s[2:3], 0
.LBB6_1606:
	s_andn2_b64 vcc, exec, s[2:3]
	s_cbranch_vccnz .LBB6_1608
; %bb.1607:
	v_cvt_f16_u16_sdwa v7, v0 dst_sel:DWORD dst_unused:UNUSED_PAD src0_sel:BYTE_0
	global_store_short v[4:5], v7, off
.LBB6_1608:
	s_mov_b64 s[2:3], 0
.LBB6_1609:
	s_andn2_b64 vcc, exec, s[2:3]
	s_cbranch_vccnz .LBB6_1625
; %bb.1610:
	s_cmp_lt_i32 s4, 2
	s_mov_b64 s[2:3], -1
	s_cbranch_scc1 .LBB6_1620
; %bb.1611:
	s_cmp_lt_i32 s4, 3
	s_cbranch_scc1 .LBB6_1617
; %bb.1612:
	s_cmp_gt_i32 s4, 3
	s_cbranch_scc0 .LBB6_1614
; %bb.1613:
	v_and_b32_e32 v7, 0xff, v0
	v_mov_b32_e32 v8, 0
	global_store_dwordx2 v[4:5], v[7:8], off
	s_mov_b64 s[2:3], 0
.LBB6_1614:
	s_andn2_b64 vcc, exec, s[2:3]
	s_cbranch_vccnz .LBB6_1616
; %bb.1615:
	v_and_b32_e32 v7, 0xff, v0
	global_store_dword v[4:5], v7, off
.LBB6_1616:
	s_mov_b64 s[2:3], 0
.LBB6_1617:
	s_andn2_b64 vcc, exec, s[2:3]
	s_cbranch_vccnz .LBB6_1619
; %bb.1618:
	v_and_b32_e32 v7, 0xff, v0
	global_store_short v[4:5], v7, off
.LBB6_1619:
	s_mov_b64 s[2:3], 0
.LBB6_1620:
	s_andn2_b64 vcc, exec, s[2:3]
	s_cbranch_vccnz .LBB6_1625
; %bb.1621:
	s_cmp_gt_i32 s4, 0
	s_mov_b64 s[2:3], -1
	s_cbranch_scc0 .LBB6_1623
; %bb.1622:
	global_store_byte v[4:5], v0, off
	s_mov_b64 s[2:3], 0
.LBB6_1623:
	s_andn2_b64 vcc, exec, s[2:3]
	s_cbranch_vccnz .LBB6_1625
; %bb.1624:
	global_store_byte v[4:5], v0, off
.LBB6_1625:
	s_mov_b64 s[6:7], -1
.LBB6_1626:
	s_andn2_b64 vcc, exec, s[6:7]
	s_cbranch_vccnz .LBB6_1941
; %bb.1627:
	s_lshl_b32 s14, s12, 7
	v_mov_b32_e32 v0, s33
	v_add_u32_e32 v4, s14, v6
	v_cndmask_b32_e64 v5, v0, v1, s[0:1]
	v_ashrrev_i32_e32 v1, 31, v4
	v_mov_b32_e32 v6, s9
	v_add_co_u32_e32 v0, vcc, s8, v4
	s_cmp_lt_i32 s22, 11
	v_addc_co_u32_e32 v1, vcc, v6, v1, vcc
	s_cbranch_scc1 .LBB6_1705
; %bb.1628:
	s_and_b32 s15, 0xffff, s22
	s_mov_b64 s[10:11], -1
	s_mov_b64 s[4:5], 0
	s_cmp_gt_i32 s15, 25
	s_mov_b64 s[6:7], 0
	s_mov_b64 s[2:3], 0
	s_cbranch_scc0 .LBB6_1661
; %bb.1629:
	s_cmp_gt_i32 s15, 28
	s_cbranch_scc0 .LBB6_1644
; %bb.1630:
	s_cmp_gt_i32 s15, 43
	;; [unrolled: 3-line block ×3, first 2 shown]
	s_cbranch_scc0 .LBB6_1634
; %bb.1632:
	s_mov_b64 s[2:3], -1
	s_mov_b64 s[10:11], 0
	s_cmp_eq_u32 s15, 46
	s_cbranch_scc0 .LBB6_1634
; %bb.1633:
	v_cvt_f32_ubyte0_e32 v6, v5
	v_bfe_u32 v7, v6, 16, 1
	s_movk_i32 s2, 0x7fff
	v_add3_u32 v6, v6, v7, s2
	v_lshrrev_b32_e32 v6, 16, v6
	global_store_dword v[0:1], v6, off
	s_mov_b64 s[2:3], 0
	s_mov_b64 s[6:7], -1
.LBB6_1634:
	s_and_b64 vcc, exec, s[10:11]
	s_cbranch_vccz .LBB6_1639
; %bb.1635:
	s_cmp_eq_u32 s15, 44
	s_mov_b64 s[2:3], -1
	s_cbranch_scc0 .LBB6_1639
; %bb.1636:
	v_cvt_f32_ubyte0_e32 v7, v5
	v_lshrrev_b32_e32 v6, 23, v7
	s_movk_i32 s2, 0xff
	v_cmp_ne_u32_e32 vcc, s2, v6
	v_mov_b32_e32 v8, 0xff
	s_and_saveexec_b64 s[6:7], vcc
; %bb.1637:
	s_mov_b32 s2, 0x3fffff
	v_and_b32_e32 v8, 0x400000, v7
	v_and_or_b32 v7, v7, s2, v6
	v_cmp_ne_u32_e32 vcc, 0, v8
	v_cmp_ne_u32_e64 s[2:3], 0, v7
	s_and_b64 s[2:3], vcc, s[2:3]
	v_cndmask_b32_e64 v7, 0, 1, s[2:3]
	v_add_u32_e32 v8, v6, v7
; %bb.1638:
	s_or_b64 exec, exec, s[6:7]
	s_mov_b64 s[2:3], 0
	s_mov_b64 s[6:7], -1
	global_store_byte v[0:1], v8, off
.LBB6_1639:
	s_mov_b64 s[10:11], 0
.LBB6_1640:
	s_and_b64 vcc, exec, s[10:11]
	s_cbranch_vccz .LBB6_1643
; %bb.1641:
	s_cmp_eq_u32 s15, 29
	s_mov_b64 s[2:3], -1
	s_cbranch_scc0 .LBB6_1643
; %bb.1642:
	v_and_b32_e32 v6, 0xff, v5
	v_mov_b32_e32 v7, 0
	global_store_dwordx2 v[0:1], v[6:7], off
	s_mov_b64 s[2:3], 0
	s_mov_b64 s[6:7], -1
.LBB6_1643:
	s_mov_b64 s[10:11], 0
.LBB6_1644:
	s_and_b64 vcc, exec, s[10:11]
	s_cbranch_vccz .LBB6_1660
; %bb.1645:
	s_cmp_lt_i32 s15, 27
	s_mov_b64 s[6:7], -1
	s_cbranch_scc1 .LBB6_1651
; %bb.1646:
	s_cmp_gt_i32 s15, 27
	s_cbranch_scc0 .LBB6_1648
; %bb.1647:
	v_and_b32_e32 v6, 0xff, v5
	s_mov_b64 s[6:7], 0
	global_store_dword v[0:1], v6, off
.LBB6_1648:
	s_andn2_b64 vcc, exec, s[6:7]
	s_cbranch_vccnz .LBB6_1650
; %bb.1649:
	v_and_b32_e32 v6, 0xff, v5
	global_store_short v[0:1], v6, off
.LBB6_1650:
	s_mov_b64 s[6:7], 0
.LBB6_1651:
	s_andn2_b64 vcc, exec, s[6:7]
	s_cbranch_vccnz .LBB6_1659
; %bb.1652:
	v_cvt_f32_ubyte0_e32 v7, v5
	s_mov_b32 s6, 0x43800000
	v_cmp_gt_u32_e32 vcc, s6, v7
	v_mov_b32_e32 v8, 0x80
	s_and_saveexec_b64 s[6:7], vcc
	s_cbranch_execz .LBB6_1658
; %bb.1653:
	s_mov_b32 s10, 0x3bffffff
	v_cmp_lt_u32_e32 vcc, s10, v7
	s_mov_b64 s[10:11], 0
                                        ; implicit-def: $vgpr6
	s_and_saveexec_b64 s[12:13], vcc
	s_xor_b64 s[12:13], exec, s[12:13]
	s_cbranch_execz .LBB6_1993
; %bb.1654:
	v_bfe_u32 v6, v7, 20, 1
	s_mov_b32 s23, 0x487ffff
	v_add3_u32 v6, v7, v6, s23
	s_mov_b64 s[10:11], exec
	v_lshrrev_b32_e32 v6, 20, v6
                                        ; implicit-def: $vgpr7
	s_andn2_saveexec_b64 s[12:13], s[12:13]
	s_cbranch_execnz .LBB6_1994
.LBB6_1655:
	s_or_b64 exec, exec, s[12:13]
	v_mov_b32_e32 v8, 0
	s_and_saveexec_b64 s[12:13], s[10:11]
.LBB6_1656:
	v_mov_b32_e32 v8, v6
.LBB6_1657:
	s_or_b64 exec, exec, s[12:13]
.LBB6_1658:
	s_or_b64 exec, exec, s[6:7]
	global_store_byte v[0:1], v8, off
.LBB6_1659:
	s_mov_b64 s[6:7], -1
.LBB6_1660:
	s_mov_b64 s[10:11], 0
.LBB6_1661:
	s_and_b64 vcc, exec, s[10:11]
	s_cbranch_vccz .LBB6_1701
; %bb.1662:
	s_cmp_gt_i32 s15, 22
	s_mov_b64 s[4:5], -1
	s_cbranch_scc0 .LBB6_1694
; %bb.1663:
	s_cmp_lt_i32 s15, 24
	s_cbranch_scc1 .LBB6_1683
; %bb.1664:
	s_cmp_gt_i32 s15, 24
	s_cbranch_scc0 .LBB6_1672
; %bb.1665:
	v_cvt_f32_ubyte0_e32 v7, v5
	s_mov_b32 s4, 0x47800000
	v_cmp_gt_u32_e32 vcc, s4, v7
	v_mov_b32_e32 v8, 0x80
	s_and_saveexec_b64 s[4:5], vcc
	s_cbranch_execz .LBB6_1671
; %bb.1666:
	s_mov_b32 s6, 0x37ffffff
	v_cmp_lt_u32_e32 vcc, s6, v7
	s_mov_b64 s[6:7], 0
                                        ; implicit-def: $vgpr6
	s_and_saveexec_b64 s[10:11], vcc
	s_xor_b64 s[10:11], exec, s[10:11]
	s_cbranch_execz .LBB6_1996
; %bb.1667:
	v_bfe_u32 v6, v7, 21, 1
	s_mov_b32 s12, 0x88fffff
	v_add3_u32 v6, v7, v6, s12
	s_mov_b64 s[6:7], exec
	v_lshrrev_b32_e32 v6, 21, v6
                                        ; implicit-def: $vgpr7
	s_andn2_saveexec_b64 s[10:11], s[10:11]
	s_cbranch_execnz .LBB6_1997
.LBB6_1668:
	s_or_b64 exec, exec, s[10:11]
	v_mov_b32_e32 v8, 0
	s_and_saveexec_b64 s[10:11], s[6:7]
.LBB6_1669:
	v_mov_b32_e32 v8, v6
.LBB6_1670:
	s_or_b64 exec, exec, s[10:11]
.LBB6_1671:
	s_or_b64 exec, exec, s[4:5]
	s_mov_b64 s[4:5], 0
	global_store_byte v[0:1], v8, off
.LBB6_1672:
	s_and_b64 vcc, exec, s[4:5]
	s_cbranch_vccz .LBB6_1682
; %bb.1673:
	v_cvt_f32_ubyte0_e32 v6, v5
	s_mov_b32 s4, 0x43f00000
	v_cmp_gt_u32_e32 vcc, s4, v6
                                        ; implicit-def: $vgpr7
	s_and_saveexec_b64 s[4:5], vcc
	s_xor_b64 s[4:5], exec, s[4:5]
	s_cbranch_execz .LBB6_1679
; %bb.1674:
	s_mov_b32 s6, 0x3c7fffff
	v_cmp_lt_u32_e32 vcc, s6, v6
                                        ; implicit-def: $vgpr7
	s_and_saveexec_b64 s[6:7], vcc
	s_xor_b64 s[6:7], exec, s[6:7]
; %bb.1675:
	v_bfe_u32 v7, v6, 20, 1
	s_mov_b32 s10, 0x407ffff
	v_add3_u32 v6, v6, v7, s10
	v_lshrrev_b32_e32 v7, 20, v6
	v_and_b32_e32 v6, 0xff00000, v6
	s_mov_b32 s10, 0x7f00000
	v_mov_b32_e32 v8, 0x7e
	v_cmp_ne_u32_e32 vcc, s10, v6
	v_cndmask_b32_e32 v7, v8, v7, vcc
                                        ; implicit-def: $vgpr6
; %bb.1676:
	s_andn2_saveexec_b64 s[6:7], s[6:7]
; %bb.1677:
	v_add_f32_e32 v7, 0x46800000, v6
; %bb.1678:
	s_or_b64 exec, exec, s[6:7]
                                        ; implicit-def: $vgpr6
.LBB6_1679:
	s_andn2_saveexec_b64 s[4:5], s[4:5]
; %bb.1680:
	s_mov_b32 s6, 0x7f800000
	v_mov_b32_e32 v7, 0x7e
	v_mov_b32_e32 v8, 0x7f
	v_cmp_lt_u32_e32 vcc, s6, v6
	v_cndmask_b32_e32 v7, v7, v8, vcc
; %bb.1681:
	s_or_b64 exec, exec, s[4:5]
	global_store_byte v[0:1], v7, off
.LBB6_1682:
	s_mov_b64 s[4:5], 0
.LBB6_1683:
	s_andn2_b64 vcc, exec, s[4:5]
	s_cbranch_vccnz .LBB6_1693
; %bb.1684:
	v_cvt_f32_ubyte0_e32 v6, v5
	s_mov_b32 s4, 0x47800000
	v_cmp_gt_u32_e32 vcc, s4, v6
                                        ; implicit-def: $vgpr7
	s_and_saveexec_b64 s[4:5], vcc
	s_xor_b64 s[4:5], exec, s[4:5]
	s_cbranch_execz .LBB6_1690
; %bb.1685:
	s_mov_b32 s6, 0x387fffff
	v_cmp_lt_u32_e32 vcc, s6, v6
                                        ; implicit-def: $vgpr7
	s_and_saveexec_b64 s[6:7], vcc
	s_xor_b64 s[6:7], exec, s[6:7]
; %bb.1686:
	v_bfe_u32 v7, v6, 21, 1
	s_mov_b32 s10, 0x80fffff
	v_add3_u32 v6, v6, v7, s10
	v_lshrrev_b32_e32 v7, 21, v6
                                        ; implicit-def: $vgpr6
; %bb.1687:
	s_andn2_saveexec_b64 s[6:7], s[6:7]
; %bb.1688:
	v_add_f32_e32 v7, 0x43000000, v6
; %bb.1689:
	s_or_b64 exec, exec, s[6:7]
                                        ; implicit-def: $vgpr6
.LBB6_1690:
	s_andn2_saveexec_b64 s[4:5], s[4:5]
; %bb.1691:
	s_mov_b32 s6, 0x7f800000
	v_mov_b32_e32 v7, 0x7c
	v_mov_b32_e32 v8, 0x7f
	v_cmp_lt_u32_e32 vcc, s6, v6
	v_cndmask_b32_e32 v7, v7, v8, vcc
; %bb.1692:
	s_or_b64 exec, exec, s[4:5]
	global_store_byte v[0:1], v7, off
.LBB6_1693:
	s_mov_b64 s[4:5], 0
	s_mov_b64 s[6:7], -1
.LBB6_1694:
	s_andn2_b64 vcc, exec, s[4:5]
	s_mov_b64 s[4:5], 0
	s_cbranch_vccnz .LBB6_1701
; %bb.1695:
	s_cmp_gt_i32 s15, 14
	s_mov_b64 s[10:11], -1
	s_cbranch_scc0 .LBB6_1699
; %bb.1696:
	s_cmp_eq_u32 s15, 15
	s_mov_b64 s[2:3], -1
	s_cbranch_scc0 .LBB6_1698
; %bb.1697:
	v_cvt_f32_ubyte0_e32 v6, v5
	v_bfe_u32 v7, v6, 16, 1
	s_movk_i32 s2, 0x7fff
	v_add3_u32 v6, v6, v7, s2
	global_store_short_d16_hi v[0:1], v6, off
	s_mov_b64 s[2:3], 0
	s_mov_b64 s[6:7], -1
.LBB6_1698:
	s_mov_b64 s[10:11], 0
.LBB6_1699:
	s_and_b64 vcc, exec, s[10:11]
	s_cbranch_vccz .LBB6_1701
; %bb.1700:
	s_cmp_lg_u32 s15, 11
	s_mov_b64 s[4:5], -1
	s_cselect_b64 s[2:3], -1, 0
.LBB6_1701:
	s_and_b64 vcc, exec, s[2:3]
	s_cbranch_vccnz .LBB6_1995
; %bb.1702:
	s_andn2_b64 vcc, exec, s[4:5]
	s_cbranch_vccnz .LBB6_1704
.LBB6_1703:
	v_mov_b32_e32 v6, 0
	v_cmp_ne_u16_sdwa s[2:3], v5, v6 src0_sel:BYTE_0 src1_sel:DWORD
	v_cndmask_b32_e64 v6, 0, 1, s[2:3]
	s_mov_b64 s[6:7], -1
	global_store_byte v[0:1], v6, off
.LBB6_1704:
	s_mov_b64 s[2:3], 0
	s_branch .LBB6_1706
.LBB6_1705:
	s_mov_b64 s[2:3], -1
	s_mov_b64 s[6:7], 0
.LBB6_1706:
	s_and_b64 vcc, exec, s[2:3]
	s_cbranch_vccz .LBB6_1745
; %bb.1707:
	s_and_b32 s4, 0xffff, s22
	s_cmp_lt_i32 s4, 5
	s_mov_b64 s[2:3], -1
	s_cbranch_scc1 .LBB6_1728
; %bb.1708:
	s_cmp_lt_i32 s4, 8
	s_cbranch_scc1 .LBB6_1718
; %bb.1709:
	s_cmp_lt_i32 s4, 9
	s_cbranch_scc1 .LBB6_1715
; %bb.1710:
	s_cmp_gt_i32 s4, 9
	s_cbranch_scc0 .LBB6_1712
; %bb.1711:
	s_mov_b32 s2, 0xffff
	v_and_b32_sdwa v6, s2, v5 dst_sel:DWORD dst_unused:UNUSED_PAD src0_sel:DWORD src1_sel:BYTE_0
	v_cvt_f64_u32_e32 v[6:7], v6
	v_mov_b32_e32 v8, 0
	v_mov_b32_e32 v9, v8
	s_mov_b64 s[2:3], 0
	global_store_dwordx4 v[0:1], v[6:9], off
.LBB6_1712:
	s_andn2_b64 vcc, exec, s[2:3]
	s_cbranch_vccnz .LBB6_1714
; %bb.1713:
	v_cvt_f32_ubyte0_e32 v6, v5
	v_mov_b32_e32 v7, 0
	global_store_dwordx2 v[0:1], v[6:7], off
.LBB6_1714:
	s_mov_b64 s[2:3], 0
.LBB6_1715:
	s_andn2_b64 vcc, exec, s[2:3]
	s_cbranch_vccnz .LBB6_1717
; %bb.1716:
	v_cvt_f16_u16_sdwa v6, v5 dst_sel:DWORD dst_unused:UNUSED_PAD src0_sel:BYTE_0
	global_store_dword v[0:1], v6, off
.LBB6_1717:
	s_mov_b64 s[2:3], 0
.LBB6_1718:
	s_andn2_b64 vcc, exec, s[2:3]
	s_cbranch_vccnz .LBB6_1727
; %bb.1719:
	s_cmp_lt_i32 s4, 6
	s_mov_b64 s[2:3], -1
	s_cbranch_scc1 .LBB6_1725
; %bb.1720:
	s_cmp_gt_i32 s4, 6
	s_cbranch_scc0 .LBB6_1722
; %bb.1721:
	s_mov_b32 s2, 0xffff
	v_and_b32_sdwa v6, s2, v5 dst_sel:DWORD dst_unused:UNUSED_PAD src0_sel:DWORD src1_sel:BYTE_0
	v_cvt_f64_u32_e32 v[6:7], v6
	s_mov_b64 s[2:3], 0
	global_store_dwordx2 v[0:1], v[6:7], off
.LBB6_1722:
	s_andn2_b64 vcc, exec, s[2:3]
	s_cbranch_vccnz .LBB6_1724
; %bb.1723:
	v_cvt_f32_ubyte0_e32 v6, v5
	global_store_dword v[0:1], v6, off
.LBB6_1724:
	s_mov_b64 s[2:3], 0
.LBB6_1725:
	s_andn2_b64 vcc, exec, s[2:3]
	s_cbranch_vccnz .LBB6_1727
; %bb.1726:
	v_cvt_f16_u16_sdwa v6, v5 dst_sel:DWORD dst_unused:UNUSED_PAD src0_sel:BYTE_0
	global_store_short v[0:1], v6, off
.LBB6_1727:
	s_mov_b64 s[2:3], 0
.LBB6_1728:
	s_andn2_b64 vcc, exec, s[2:3]
	s_cbranch_vccnz .LBB6_1744
; %bb.1729:
	s_cmp_lt_i32 s4, 2
	s_mov_b64 s[2:3], -1
	s_cbranch_scc1 .LBB6_1739
; %bb.1730:
	s_cmp_lt_i32 s4, 3
	s_cbranch_scc1 .LBB6_1736
; %bb.1731:
	s_cmp_gt_i32 s4, 3
	s_cbranch_scc0 .LBB6_1733
; %bb.1732:
	v_and_b32_e32 v6, 0xff, v5
	v_mov_b32_e32 v7, 0
	global_store_dwordx2 v[0:1], v[6:7], off
	s_mov_b64 s[2:3], 0
.LBB6_1733:
	s_andn2_b64 vcc, exec, s[2:3]
	s_cbranch_vccnz .LBB6_1735
; %bb.1734:
	v_and_b32_e32 v6, 0xff, v5
	global_store_dword v[0:1], v6, off
.LBB6_1735:
	s_mov_b64 s[2:3], 0
.LBB6_1736:
	s_andn2_b64 vcc, exec, s[2:3]
	s_cbranch_vccnz .LBB6_1738
; %bb.1737:
	v_and_b32_e32 v6, 0xff, v5
	global_store_short v[0:1], v6, off
.LBB6_1738:
	s_mov_b64 s[2:3], 0
.LBB6_1739:
	s_andn2_b64 vcc, exec, s[2:3]
	s_cbranch_vccnz .LBB6_1744
; %bb.1740:
	s_cmp_gt_i32 s4, 0
	s_mov_b64 s[2:3], -1
	s_cbranch_scc0 .LBB6_1742
; %bb.1741:
	global_store_byte v[0:1], v5, off
	s_mov_b64 s[2:3], 0
.LBB6_1742:
	s_andn2_b64 vcc, exec, s[2:3]
	s_cbranch_vccnz .LBB6_1744
; %bb.1743:
	global_store_byte v[0:1], v5, off
.LBB6_1744:
	s_mov_b64 s[6:7], -1
.LBB6_1745:
	s_andn2_b64 vcc, exec, s[6:7]
	s_cbranch_vccnz .LBB6_1941
; %bb.1746:
	v_mov_b32_e32 v0, s33
	v_add_u32_e32 v4, s14, v4
	v_cndmask_b32_e64 v2, v0, v2, s[0:1]
	v_ashrrev_i32_e32 v1, 31, v4
	v_mov_b32_e32 v5, s9
	v_add_co_u32_e32 v0, vcc, s8, v4
	s_cmp_lt_i32 s22, 11
	v_addc_co_u32_e32 v1, vcc, v5, v1, vcc
	s_cbranch_scc1 .LBB6_1824
; %bb.1747:
	s_and_b32 s15, 0xffff, s22
	s_mov_b64 s[10:11], -1
	s_mov_b64 s[4:5], 0
	s_cmp_gt_i32 s15, 25
	s_mov_b64 s[6:7], 0
	s_mov_b64 s[2:3], 0
	s_cbranch_scc0 .LBB6_1780
; %bb.1748:
	s_cmp_gt_i32 s15, 28
	s_cbranch_scc0 .LBB6_1763
; %bb.1749:
	s_cmp_gt_i32 s15, 43
	;; [unrolled: 3-line block ×3, first 2 shown]
	s_cbranch_scc0 .LBB6_1753
; %bb.1751:
	s_mov_b64 s[2:3], -1
	s_mov_b64 s[10:11], 0
	s_cmp_eq_u32 s15, 46
	s_cbranch_scc0 .LBB6_1753
; %bb.1752:
	v_cvt_f32_ubyte0_e32 v5, v2
	v_bfe_u32 v6, v5, 16, 1
	s_movk_i32 s2, 0x7fff
	v_add3_u32 v5, v5, v6, s2
	v_lshrrev_b32_e32 v5, 16, v5
	global_store_dword v[0:1], v5, off
	s_mov_b64 s[2:3], 0
	s_mov_b64 s[6:7], -1
.LBB6_1753:
	s_and_b64 vcc, exec, s[10:11]
	s_cbranch_vccz .LBB6_1758
; %bb.1754:
	s_cmp_eq_u32 s15, 44
	s_mov_b64 s[2:3], -1
	s_cbranch_scc0 .LBB6_1758
; %bb.1755:
	v_cvt_f32_ubyte0_e32 v6, v2
	v_lshrrev_b32_e32 v5, 23, v6
	s_movk_i32 s2, 0xff
	v_cmp_ne_u32_e32 vcc, s2, v5
	v_mov_b32_e32 v7, 0xff
	s_and_saveexec_b64 s[6:7], vcc
; %bb.1756:
	s_mov_b32 s2, 0x3fffff
	v_and_b32_e32 v7, 0x400000, v6
	v_and_or_b32 v6, v6, s2, v5
	v_cmp_ne_u32_e32 vcc, 0, v7
	v_cmp_ne_u32_e64 s[2:3], 0, v6
	s_and_b64 s[2:3], vcc, s[2:3]
	v_cndmask_b32_e64 v6, 0, 1, s[2:3]
	v_add_u32_e32 v7, v5, v6
; %bb.1757:
	s_or_b64 exec, exec, s[6:7]
	s_mov_b64 s[2:3], 0
	s_mov_b64 s[6:7], -1
	global_store_byte v[0:1], v7, off
.LBB6_1758:
	s_mov_b64 s[10:11], 0
.LBB6_1759:
	s_and_b64 vcc, exec, s[10:11]
	s_cbranch_vccz .LBB6_1762
; %bb.1760:
	s_cmp_eq_u32 s15, 29
	s_mov_b64 s[2:3], -1
	s_cbranch_scc0 .LBB6_1762
; %bb.1761:
	v_and_b32_e32 v5, 0xff, v2
	v_mov_b32_e32 v6, 0
	global_store_dwordx2 v[0:1], v[5:6], off
	s_mov_b64 s[2:3], 0
	s_mov_b64 s[6:7], -1
.LBB6_1762:
	s_mov_b64 s[10:11], 0
.LBB6_1763:
	s_and_b64 vcc, exec, s[10:11]
	s_cbranch_vccz .LBB6_1779
; %bb.1764:
	s_cmp_lt_i32 s15, 27
	s_mov_b64 s[6:7], -1
	s_cbranch_scc1 .LBB6_1770
; %bb.1765:
	s_cmp_gt_i32 s15, 27
	s_cbranch_scc0 .LBB6_1767
; %bb.1766:
	v_and_b32_e32 v5, 0xff, v2
	s_mov_b64 s[6:7], 0
	global_store_dword v[0:1], v5, off
.LBB6_1767:
	s_andn2_b64 vcc, exec, s[6:7]
	s_cbranch_vccnz .LBB6_1769
; %bb.1768:
	v_and_b32_e32 v5, 0xff, v2
	global_store_short v[0:1], v5, off
.LBB6_1769:
	s_mov_b64 s[6:7], 0
.LBB6_1770:
	s_andn2_b64 vcc, exec, s[6:7]
	s_cbranch_vccnz .LBB6_1778
; %bb.1771:
	v_cvt_f32_ubyte0_e32 v6, v2
	s_mov_b32 s6, 0x43800000
	v_cmp_gt_u32_e32 vcc, s6, v6
	v_mov_b32_e32 v7, 0x80
	s_and_saveexec_b64 s[6:7], vcc
	s_cbranch_execz .LBB6_1777
; %bb.1772:
	s_mov_b32 s10, 0x3bffffff
	v_cmp_lt_u32_e32 vcc, s10, v6
	s_mov_b64 s[10:11], 0
                                        ; implicit-def: $vgpr5
	s_and_saveexec_b64 s[12:13], vcc
	s_xor_b64 s[12:13], exec, s[12:13]
	s_cbranch_execz .LBB6_1998
; %bb.1773:
	v_bfe_u32 v5, v6, 20, 1
	s_mov_b32 s23, 0x487ffff
	v_add3_u32 v5, v6, v5, s23
	s_mov_b64 s[10:11], exec
	v_lshrrev_b32_e32 v5, 20, v5
                                        ; implicit-def: $vgpr6
	s_andn2_saveexec_b64 s[12:13], s[12:13]
	s_cbranch_execnz .LBB6_1999
.LBB6_1774:
	s_or_b64 exec, exec, s[12:13]
	v_mov_b32_e32 v7, 0
	s_and_saveexec_b64 s[12:13], s[10:11]
.LBB6_1775:
	v_mov_b32_e32 v7, v5
.LBB6_1776:
	s_or_b64 exec, exec, s[12:13]
.LBB6_1777:
	s_or_b64 exec, exec, s[6:7]
	global_store_byte v[0:1], v7, off
.LBB6_1778:
	s_mov_b64 s[6:7], -1
.LBB6_1779:
	s_mov_b64 s[10:11], 0
.LBB6_1780:
	s_and_b64 vcc, exec, s[10:11]
	s_cbranch_vccz .LBB6_1820
; %bb.1781:
	s_cmp_gt_i32 s15, 22
	s_mov_b64 s[4:5], -1
	s_cbranch_scc0 .LBB6_1813
; %bb.1782:
	s_cmp_lt_i32 s15, 24
	s_cbranch_scc1 .LBB6_1802
; %bb.1783:
	s_cmp_gt_i32 s15, 24
	s_cbranch_scc0 .LBB6_1791
; %bb.1784:
	v_cvt_f32_ubyte0_e32 v6, v2
	s_mov_b32 s4, 0x47800000
	v_cmp_gt_u32_e32 vcc, s4, v6
	v_mov_b32_e32 v7, 0x80
	s_and_saveexec_b64 s[4:5], vcc
	s_cbranch_execz .LBB6_1790
; %bb.1785:
	s_mov_b32 s6, 0x37ffffff
	v_cmp_lt_u32_e32 vcc, s6, v6
	s_mov_b64 s[6:7], 0
                                        ; implicit-def: $vgpr5
	s_and_saveexec_b64 s[10:11], vcc
	s_xor_b64 s[10:11], exec, s[10:11]
	s_cbranch_execz .LBB6_2001
; %bb.1786:
	v_bfe_u32 v5, v6, 21, 1
	s_mov_b32 s12, 0x88fffff
	v_add3_u32 v5, v6, v5, s12
	s_mov_b64 s[6:7], exec
	v_lshrrev_b32_e32 v5, 21, v5
                                        ; implicit-def: $vgpr6
	s_andn2_saveexec_b64 s[10:11], s[10:11]
	s_cbranch_execnz .LBB6_2002
.LBB6_1787:
	s_or_b64 exec, exec, s[10:11]
	v_mov_b32_e32 v7, 0
	s_and_saveexec_b64 s[10:11], s[6:7]
.LBB6_1788:
	v_mov_b32_e32 v7, v5
.LBB6_1789:
	s_or_b64 exec, exec, s[10:11]
.LBB6_1790:
	s_or_b64 exec, exec, s[4:5]
	s_mov_b64 s[4:5], 0
	global_store_byte v[0:1], v7, off
.LBB6_1791:
	s_and_b64 vcc, exec, s[4:5]
	s_cbranch_vccz .LBB6_1801
; %bb.1792:
	v_cvt_f32_ubyte0_e32 v5, v2
	s_mov_b32 s4, 0x43f00000
	v_cmp_gt_u32_e32 vcc, s4, v5
                                        ; implicit-def: $vgpr6
	s_and_saveexec_b64 s[4:5], vcc
	s_xor_b64 s[4:5], exec, s[4:5]
	s_cbranch_execz .LBB6_1798
; %bb.1793:
	s_mov_b32 s6, 0x3c7fffff
	v_cmp_lt_u32_e32 vcc, s6, v5
                                        ; implicit-def: $vgpr6
	s_and_saveexec_b64 s[6:7], vcc
	s_xor_b64 s[6:7], exec, s[6:7]
; %bb.1794:
	v_bfe_u32 v6, v5, 20, 1
	s_mov_b32 s10, 0x407ffff
	v_add3_u32 v5, v5, v6, s10
	v_lshrrev_b32_e32 v6, 20, v5
	v_and_b32_e32 v5, 0xff00000, v5
	s_mov_b32 s10, 0x7f00000
	v_mov_b32_e32 v7, 0x7e
	v_cmp_ne_u32_e32 vcc, s10, v5
	v_cndmask_b32_e32 v6, v7, v6, vcc
                                        ; implicit-def: $vgpr5
; %bb.1795:
	s_andn2_saveexec_b64 s[6:7], s[6:7]
; %bb.1796:
	v_add_f32_e32 v6, 0x46800000, v5
; %bb.1797:
	s_or_b64 exec, exec, s[6:7]
                                        ; implicit-def: $vgpr5
.LBB6_1798:
	s_andn2_saveexec_b64 s[4:5], s[4:5]
; %bb.1799:
	s_mov_b32 s6, 0x7f800000
	v_mov_b32_e32 v6, 0x7e
	v_mov_b32_e32 v7, 0x7f
	v_cmp_lt_u32_e32 vcc, s6, v5
	v_cndmask_b32_e32 v6, v6, v7, vcc
; %bb.1800:
	s_or_b64 exec, exec, s[4:5]
	global_store_byte v[0:1], v6, off
.LBB6_1801:
	s_mov_b64 s[4:5], 0
.LBB6_1802:
	s_andn2_b64 vcc, exec, s[4:5]
	s_cbranch_vccnz .LBB6_1812
; %bb.1803:
	v_cvt_f32_ubyte0_e32 v5, v2
	s_mov_b32 s4, 0x47800000
	v_cmp_gt_u32_e32 vcc, s4, v5
                                        ; implicit-def: $vgpr6
	s_and_saveexec_b64 s[4:5], vcc
	s_xor_b64 s[4:5], exec, s[4:5]
	s_cbranch_execz .LBB6_1809
; %bb.1804:
	s_mov_b32 s6, 0x387fffff
	v_cmp_lt_u32_e32 vcc, s6, v5
                                        ; implicit-def: $vgpr6
	s_and_saveexec_b64 s[6:7], vcc
	s_xor_b64 s[6:7], exec, s[6:7]
; %bb.1805:
	v_bfe_u32 v6, v5, 21, 1
	s_mov_b32 s10, 0x80fffff
	v_add3_u32 v5, v5, v6, s10
	v_lshrrev_b32_e32 v6, 21, v5
                                        ; implicit-def: $vgpr5
; %bb.1806:
	s_andn2_saveexec_b64 s[6:7], s[6:7]
; %bb.1807:
	v_add_f32_e32 v6, 0x43000000, v5
; %bb.1808:
	s_or_b64 exec, exec, s[6:7]
                                        ; implicit-def: $vgpr5
.LBB6_1809:
	s_andn2_saveexec_b64 s[4:5], s[4:5]
; %bb.1810:
	s_mov_b32 s6, 0x7f800000
	v_mov_b32_e32 v6, 0x7c
	v_mov_b32_e32 v7, 0x7f
	v_cmp_lt_u32_e32 vcc, s6, v5
	v_cndmask_b32_e32 v6, v6, v7, vcc
; %bb.1811:
	s_or_b64 exec, exec, s[4:5]
	global_store_byte v[0:1], v6, off
.LBB6_1812:
	s_mov_b64 s[4:5], 0
	s_mov_b64 s[6:7], -1
.LBB6_1813:
	s_andn2_b64 vcc, exec, s[4:5]
	s_mov_b64 s[4:5], 0
	s_cbranch_vccnz .LBB6_1820
; %bb.1814:
	s_cmp_gt_i32 s15, 14
	s_mov_b64 s[10:11], -1
	s_cbranch_scc0 .LBB6_1818
; %bb.1815:
	s_cmp_eq_u32 s15, 15
	s_mov_b64 s[2:3], -1
	s_cbranch_scc0 .LBB6_1817
; %bb.1816:
	v_cvt_f32_ubyte0_e32 v5, v2
	v_bfe_u32 v6, v5, 16, 1
	s_movk_i32 s2, 0x7fff
	v_add3_u32 v5, v5, v6, s2
	global_store_short_d16_hi v[0:1], v5, off
	s_mov_b64 s[2:3], 0
	s_mov_b64 s[6:7], -1
.LBB6_1817:
	s_mov_b64 s[10:11], 0
.LBB6_1818:
	s_and_b64 vcc, exec, s[10:11]
	s_cbranch_vccz .LBB6_1820
; %bb.1819:
	s_cmp_lg_u32 s15, 11
	s_mov_b64 s[4:5], -1
	s_cselect_b64 s[2:3], -1, 0
.LBB6_1820:
	s_and_b64 vcc, exec, s[2:3]
	s_cbranch_vccnz .LBB6_2000
; %bb.1821:
	s_andn2_b64 vcc, exec, s[4:5]
	s_cbranch_vccnz .LBB6_1823
.LBB6_1822:
	v_mov_b32_e32 v5, 0
	v_cmp_ne_u16_sdwa s[2:3], v2, v5 src0_sel:BYTE_0 src1_sel:DWORD
	v_cndmask_b32_e64 v5, 0, 1, s[2:3]
	s_mov_b64 s[6:7], -1
	global_store_byte v[0:1], v5, off
.LBB6_1823:
	s_mov_b64 s[2:3], 0
	s_branch .LBB6_1825
.LBB6_1824:
	s_mov_b64 s[2:3], -1
	s_mov_b64 s[6:7], 0
.LBB6_1825:
	s_and_b64 vcc, exec, s[2:3]
	s_cbranch_vccz .LBB6_1864
; %bb.1826:
	s_and_b32 s4, 0xffff, s22
	s_cmp_lt_i32 s4, 5
	s_mov_b64 s[2:3], -1
	s_cbranch_scc1 .LBB6_1847
; %bb.1827:
	s_cmp_lt_i32 s4, 8
	s_cbranch_scc1 .LBB6_1837
; %bb.1828:
	s_cmp_lt_i32 s4, 9
	s_cbranch_scc1 .LBB6_1834
; %bb.1829:
	s_cmp_gt_i32 s4, 9
	s_cbranch_scc0 .LBB6_1831
; %bb.1830:
	s_mov_b32 s2, 0xffff
	v_and_b32_sdwa v5, s2, v2 dst_sel:DWORD dst_unused:UNUSED_PAD src0_sel:DWORD src1_sel:BYTE_0
	v_cvt_f64_u32_e32 v[5:6], v5
	v_mov_b32_e32 v7, 0
	v_mov_b32_e32 v8, v7
	s_mov_b64 s[2:3], 0
	global_store_dwordx4 v[0:1], v[5:8], off
.LBB6_1831:
	s_andn2_b64 vcc, exec, s[2:3]
	s_cbranch_vccnz .LBB6_1833
; %bb.1832:
	v_cvt_f32_ubyte0_e32 v5, v2
	v_mov_b32_e32 v6, 0
	global_store_dwordx2 v[0:1], v[5:6], off
.LBB6_1833:
	s_mov_b64 s[2:3], 0
.LBB6_1834:
	s_andn2_b64 vcc, exec, s[2:3]
	s_cbranch_vccnz .LBB6_1836
; %bb.1835:
	v_cvt_f16_u16_sdwa v5, v2 dst_sel:DWORD dst_unused:UNUSED_PAD src0_sel:BYTE_0
	global_store_dword v[0:1], v5, off
.LBB6_1836:
	s_mov_b64 s[2:3], 0
.LBB6_1837:
	s_andn2_b64 vcc, exec, s[2:3]
	s_cbranch_vccnz .LBB6_1846
; %bb.1838:
	s_cmp_lt_i32 s4, 6
	s_mov_b64 s[2:3], -1
	s_cbranch_scc1 .LBB6_1844
; %bb.1839:
	s_cmp_gt_i32 s4, 6
	s_cbranch_scc0 .LBB6_1841
; %bb.1840:
	s_mov_b32 s2, 0xffff
	v_and_b32_sdwa v5, s2, v2 dst_sel:DWORD dst_unused:UNUSED_PAD src0_sel:DWORD src1_sel:BYTE_0
	v_cvt_f64_u32_e32 v[5:6], v5
	s_mov_b64 s[2:3], 0
	global_store_dwordx2 v[0:1], v[5:6], off
.LBB6_1841:
	s_andn2_b64 vcc, exec, s[2:3]
	s_cbranch_vccnz .LBB6_1843
; %bb.1842:
	v_cvt_f32_ubyte0_e32 v5, v2
	global_store_dword v[0:1], v5, off
.LBB6_1843:
	s_mov_b64 s[2:3], 0
.LBB6_1844:
	s_andn2_b64 vcc, exec, s[2:3]
	s_cbranch_vccnz .LBB6_1846
; %bb.1845:
	v_cvt_f16_u16_sdwa v5, v2 dst_sel:DWORD dst_unused:UNUSED_PAD src0_sel:BYTE_0
	global_store_short v[0:1], v5, off
.LBB6_1846:
	s_mov_b64 s[2:3], 0
.LBB6_1847:
	s_andn2_b64 vcc, exec, s[2:3]
	s_cbranch_vccnz .LBB6_1863
; %bb.1848:
	s_cmp_lt_i32 s4, 2
	s_mov_b64 s[2:3], -1
	s_cbranch_scc1 .LBB6_1858
; %bb.1849:
	s_cmp_lt_i32 s4, 3
	s_cbranch_scc1 .LBB6_1855
; %bb.1850:
	s_cmp_gt_i32 s4, 3
	s_cbranch_scc0 .LBB6_1852
; %bb.1851:
	v_and_b32_e32 v5, 0xff, v2
	v_mov_b32_e32 v6, 0
	global_store_dwordx2 v[0:1], v[5:6], off
	s_mov_b64 s[2:3], 0
.LBB6_1852:
	s_andn2_b64 vcc, exec, s[2:3]
	s_cbranch_vccnz .LBB6_1854
; %bb.1853:
	v_and_b32_e32 v5, 0xff, v2
	global_store_dword v[0:1], v5, off
.LBB6_1854:
	s_mov_b64 s[2:3], 0
.LBB6_1855:
	s_andn2_b64 vcc, exec, s[2:3]
	s_cbranch_vccnz .LBB6_1857
; %bb.1856:
	v_and_b32_e32 v5, 0xff, v2
	global_store_short v[0:1], v5, off
.LBB6_1857:
	s_mov_b64 s[2:3], 0
.LBB6_1858:
	s_andn2_b64 vcc, exec, s[2:3]
	s_cbranch_vccnz .LBB6_1863
; %bb.1859:
	s_cmp_gt_i32 s4, 0
	s_mov_b64 s[2:3], -1
	s_cbranch_scc0 .LBB6_1861
; %bb.1860:
	global_store_byte v[0:1], v2, off
	s_mov_b64 s[2:3], 0
.LBB6_1861:
	s_andn2_b64 vcc, exec, s[2:3]
	s_cbranch_vccnz .LBB6_1863
; %bb.1862:
	global_store_byte v[0:1], v2, off
.LBB6_1863:
	s_mov_b64 s[6:7], -1
.LBB6_1864:
	s_andn2_b64 vcc, exec, s[6:7]
	s_cbranch_vccnz .LBB6_1941
; %bb.1865:
	v_mov_b32_e32 v0, s33
	v_cndmask_b32_e64 v2, v0, v3, s[0:1]
	v_add_u32_e32 v0, s14, v4
	v_ashrrev_i32_e32 v1, 31, v0
	v_mov_b32_e32 v3, s9
	v_add_co_u32_e32 v0, vcc, s8, v0
	s_cmp_lt_i32 s22, 11
	v_addc_co_u32_e32 v1, vcc, v3, v1, vcc
	s_cbranch_scc1 .LBB6_1986
; %bb.1866:
	s_and_b32 s10, 0xffff, s22
	s_mov_b64 s[4:5], -1
	s_mov_b64 s[2:3], 0
	s_cmp_gt_i32 s10, 25
	s_mov_b64 s[0:1], 0
	s_cbranch_scc0 .LBB6_1899
; %bb.1867:
	s_cmp_gt_i32 s10, 28
	s_cbranch_scc0 .LBB6_1883
; %bb.1868:
	s_cmp_gt_i32 s10, 43
	;; [unrolled: 3-line block ×3, first 2 shown]
	s_cbranch_scc0 .LBB6_1873
; %bb.1870:
	s_cmp_eq_u32 s10, 46
	s_mov_b64 s[0:1], -1
	s_cbranch_scc0 .LBB6_1872
; %bb.1871:
	v_cvt_f32_ubyte0_e32 v3, v2
	v_bfe_u32 v4, v3, 16, 1
	s_movk_i32 s0, 0x7fff
	v_add3_u32 v3, v3, v4, s0
	v_lshrrev_b32_e32 v3, 16, v3
	global_store_dword v[0:1], v3, off
	s_mov_b64 s[0:1], 0
.LBB6_1872:
	s_mov_b64 s[4:5], 0
.LBB6_1873:
	s_and_b64 vcc, exec, s[4:5]
	s_cbranch_vccz .LBB6_1878
; %bb.1874:
	s_cmp_eq_u32 s10, 44
	s_mov_b64 s[0:1], -1
	s_cbranch_scc0 .LBB6_1878
; %bb.1875:
	v_cvt_f32_ubyte0_e32 v4, v2
	v_lshrrev_b32_e32 v3, 23, v4
	s_movk_i32 s0, 0xff
	v_cmp_ne_u32_e32 vcc, s0, v3
	v_mov_b32_e32 v5, 0xff
	s_and_saveexec_b64 s[4:5], vcc
; %bb.1876:
	s_mov_b32 s0, 0x3fffff
	v_and_b32_e32 v5, 0x400000, v4
	v_and_or_b32 v4, v4, s0, v3
	v_cmp_ne_u32_e32 vcc, 0, v5
	v_cmp_ne_u32_e64 s[0:1], 0, v4
	s_and_b64 s[0:1], vcc, s[0:1]
	v_cndmask_b32_e64 v4, 0, 1, s[0:1]
	v_add_u32_e32 v5, v3, v4
; %bb.1877:
	s_or_b64 exec, exec, s[4:5]
	s_mov_b64 s[0:1], 0
	global_store_byte v[0:1], v5, off
.LBB6_1878:
	s_mov_b64 s[4:5], 0
.LBB6_1879:
	s_and_b64 vcc, exec, s[4:5]
	s_cbranch_vccz .LBB6_1882
; %bb.1880:
	s_cmp_eq_u32 s10, 29
	s_mov_b64 s[0:1], -1
	s_cbranch_scc0 .LBB6_1882
; %bb.1881:
	v_and_b32_e32 v3, 0xff, v2
	v_mov_b32_e32 v4, 0
	global_store_dwordx2 v[0:1], v[3:4], off
	s_mov_b64 s[0:1], 0
.LBB6_1882:
	s_mov_b64 s[4:5], 0
.LBB6_1883:
	s_and_b64 vcc, exec, s[4:5]
	s_cbranch_vccz .LBB6_1898
; %bb.1884:
	s_cmp_lt_i32 s10, 27
	s_mov_b64 s[4:5], -1
	s_cbranch_scc1 .LBB6_1890
; %bb.1885:
	s_cmp_gt_i32 s10, 27
	s_cbranch_scc0 .LBB6_1887
; %bb.1886:
	v_and_b32_e32 v3, 0xff, v2
	global_store_dword v[0:1], v3, off
	s_mov_b64 s[4:5], 0
.LBB6_1887:
	s_andn2_b64 vcc, exec, s[4:5]
	s_cbranch_vccnz .LBB6_1889
; %bb.1888:
	v_and_b32_e32 v3, 0xff, v2
	global_store_short v[0:1], v3, off
.LBB6_1889:
	s_mov_b64 s[4:5], 0
.LBB6_1890:
	s_andn2_b64 vcc, exec, s[4:5]
	s_cbranch_vccnz .LBB6_1898
; %bb.1891:
	v_cvt_f32_ubyte0_e32 v4, v2
	s_mov_b32 s4, 0x43800000
	v_cmp_gt_u32_e32 vcc, s4, v4
	v_mov_b32_e32 v5, 0x80
	s_and_saveexec_b64 s[4:5], vcc
	s_cbranch_execz .LBB6_1897
; %bb.1892:
	s_mov_b32 s6, 0x3bffffff
	v_cmp_lt_u32_e32 vcc, s6, v4
	s_mov_b64 s[6:7], 0
                                        ; implicit-def: $vgpr3
	s_and_saveexec_b64 s[8:9], vcc
	s_xor_b64 s[8:9], exec, s[8:9]
	s_cbranch_execz .LBB6_2003
; %bb.1893:
	v_bfe_u32 v3, v4, 20, 1
	s_mov_b32 s11, 0x487ffff
	v_add3_u32 v3, v4, v3, s11
	s_mov_b64 s[6:7], exec
	v_lshrrev_b32_e32 v3, 20, v3
                                        ; implicit-def: $vgpr4
	s_andn2_saveexec_b64 s[8:9], s[8:9]
	s_cbranch_execnz .LBB6_2004
.LBB6_1894:
	s_or_b64 exec, exec, s[8:9]
	v_mov_b32_e32 v5, 0
	s_and_saveexec_b64 s[8:9], s[6:7]
.LBB6_1895:
	v_mov_b32_e32 v5, v3
.LBB6_1896:
	s_or_b64 exec, exec, s[8:9]
.LBB6_1897:
	s_or_b64 exec, exec, s[4:5]
	global_store_byte v[0:1], v5, off
.LBB6_1898:
	s_mov_b64 s[4:5], 0
.LBB6_1899:
	s_and_b64 vcc, exec, s[4:5]
	s_cbranch_vccz .LBB6_1939
; %bb.1900:
	s_cmp_gt_i32 s10, 22
	s_mov_b64 s[2:3], -1
	s_cbranch_scc0 .LBB6_1932
; %bb.1901:
	s_cmp_lt_i32 s10, 24
	s_cbranch_scc1 .LBB6_1921
; %bb.1902:
	s_cmp_gt_i32 s10, 24
	s_cbranch_scc0 .LBB6_1910
; %bb.1903:
	v_cvt_f32_ubyte0_e32 v4, v2
	s_mov_b32 s2, 0x47800000
	v_cmp_gt_u32_e32 vcc, s2, v4
	v_mov_b32_e32 v5, 0x80
	s_and_saveexec_b64 s[2:3], vcc
	s_cbranch_execz .LBB6_1909
; %bb.1904:
	s_mov_b32 s4, 0x37ffffff
	v_cmp_lt_u32_e32 vcc, s4, v4
	s_mov_b64 s[4:5], 0
                                        ; implicit-def: $vgpr3
	s_and_saveexec_b64 s[6:7], vcc
	s_xor_b64 s[6:7], exec, s[6:7]
	s_cbranch_execz .LBB6_2006
; %bb.1905:
	v_bfe_u32 v3, v4, 21, 1
	s_mov_b32 s8, 0x88fffff
	v_add3_u32 v3, v4, v3, s8
	s_mov_b64 s[4:5], exec
	v_lshrrev_b32_e32 v3, 21, v3
                                        ; implicit-def: $vgpr4
	s_andn2_saveexec_b64 s[6:7], s[6:7]
	s_cbranch_execnz .LBB6_2007
.LBB6_1906:
	s_or_b64 exec, exec, s[6:7]
	v_mov_b32_e32 v5, 0
	s_and_saveexec_b64 s[6:7], s[4:5]
.LBB6_1907:
	v_mov_b32_e32 v5, v3
.LBB6_1908:
	s_or_b64 exec, exec, s[6:7]
.LBB6_1909:
	s_or_b64 exec, exec, s[2:3]
	s_mov_b64 s[2:3], 0
	global_store_byte v[0:1], v5, off
.LBB6_1910:
	s_and_b64 vcc, exec, s[2:3]
	s_cbranch_vccz .LBB6_1920
; %bb.1911:
	v_cvt_f32_ubyte0_e32 v3, v2
	s_mov_b32 s2, 0x43f00000
	v_cmp_gt_u32_e32 vcc, s2, v3
                                        ; implicit-def: $vgpr4
	s_and_saveexec_b64 s[2:3], vcc
	s_xor_b64 s[2:3], exec, s[2:3]
	s_cbranch_execz .LBB6_1917
; %bb.1912:
	s_mov_b32 s4, 0x3c7fffff
	v_cmp_lt_u32_e32 vcc, s4, v3
                                        ; implicit-def: $vgpr4
	s_and_saveexec_b64 s[4:5], vcc
	s_xor_b64 s[4:5], exec, s[4:5]
; %bb.1913:
	v_bfe_u32 v4, v3, 20, 1
	s_mov_b32 s6, 0x407ffff
	v_add3_u32 v3, v3, v4, s6
	v_lshrrev_b32_e32 v4, 20, v3
	v_and_b32_e32 v3, 0xff00000, v3
	s_mov_b32 s6, 0x7f00000
	v_mov_b32_e32 v5, 0x7e
	v_cmp_ne_u32_e32 vcc, s6, v3
	v_cndmask_b32_e32 v4, v5, v4, vcc
                                        ; implicit-def: $vgpr3
; %bb.1914:
	s_andn2_saveexec_b64 s[4:5], s[4:5]
; %bb.1915:
	v_add_f32_e32 v4, 0x46800000, v3
; %bb.1916:
	s_or_b64 exec, exec, s[4:5]
                                        ; implicit-def: $vgpr3
.LBB6_1917:
	s_andn2_saveexec_b64 s[2:3], s[2:3]
; %bb.1918:
	s_mov_b32 s4, 0x7f800000
	v_mov_b32_e32 v4, 0x7e
	v_mov_b32_e32 v5, 0x7f
	v_cmp_lt_u32_e32 vcc, s4, v3
	v_cndmask_b32_e32 v4, v4, v5, vcc
; %bb.1919:
	s_or_b64 exec, exec, s[2:3]
	global_store_byte v[0:1], v4, off
.LBB6_1920:
	s_mov_b64 s[2:3], 0
.LBB6_1921:
	s_andn2_b64 vcc, exec, s[2:3]
	s_cbranch_vccnz .LBB6_1931
; %bb.1922:
	v_cvt_f32_ubyte0_e32 v3, v2
	s_mov_b32 s2, 0x47800000
	v_cmp_gt_u32_e32 vcc, s2, v3
                                        ; implicit-def: $vgpr4
	s_and_saveexec_b64 s[2:3], vcc
	s_xor_b64 s[2:3], exec, s[2:3]
	s_cbranch_execz .LBB6_1928
; %bb.1923:
	s_mov_b32 s4, 0x387fffff
	v_cmp_lt_u32_e32 vcc, s4, v3
                                        ; implicit-def: $vgpr4
	s_and_saveexec_b64 s[4:5], vcc
	s_xor_b64 s[4:5], exec, s[4:5]
; %bb.1924:
	v_bfe_u32 v4, v3, 21, 1
	s_mov_b32 s6, 0x80fffff
	v_add3_u32 v3, v3, v4, s6
	v_lshrrev_b32_e32 v4, 21, v3
                                        ; implicit-def: $vgpr3
; %bb.1925:
	s_andn2_saveexec_b64 s[4:5], s[4:5]
; %bb.1926:
	v_add_f32_e32 v4, 0x43000000, v3
; %bb.1927:
	s_or_b64 exec, exec, s[4:5]
                                        ; implicit-def: $vgpr3
.LBB6_1928:
	s_andn2_saveexec_b64 s[2:3], s[2:3]
; %bb.1929:
	s_mov_b32 s4, 0x7f800000
	v_mov_b32_e32 v4, 0x7c
	v_mov_b32_e32 v5, 0x7f
	v_cmp_lt_u32_e32 vcc, s4, v3
	v_cndmask_b32_e32 v4, v4, v5, vcc
; %bb.1930:
	s_or_b64 exec, exec, s[2:3]
	global_store_byte v[0:1], v4, off
.LBB6_1931:
	s_mov_b64 s[2:3], 0
.LBB6_1932:
	s_andn2_b64 vcc, exec, s[2:3]
	s_mov_b64 s[2:3], 0
	s_cbranch_vccnz .LBB6_1939
; %bb.1933:
	s_cmp_gt_i32 s10, 14
	s_mov_b64 s[4:5], -1
	s_cbranch_scc0 .LBB6_1937
; %bb.1934:
	s_cmp_eq_u32 s10, 15
	s_mov_b64 s[0:1], -1
	s_cbranch_scc0 .LBB6_1936
; %bb.1935:
	v_cvt_f32_ubyte0_e32 v3, v2
	v_bfe_u32 v4, v3, 16, 1
	s_movk_i32 s0, 0x7fff
	v_add3_u32 v3, v3, v4, s0
	global_store_short_d16_hi v[0:1], v3, off
	s_mov_b64 s[0:1], 0
.LBB6_1936:
	s_mov_b64 s[4:5], 0
.LBB6_1937:
	s_and_b64 vcc, exec, s[4:5]
	s_cbranch_vccz .LBB6_1939
; %bb.1938:
	s_cmp_lg_u32 s10, 11
	s_mov_b64 s[2:3], -1
	s_cselect_b64 s[0:1], -1, 0
.LBB6_1939:
	s_and_b64 vcc, exec, s[0:1]
	s_cbranch_vccnz .LBB6_2005
.LBB6_1940:
	s_mov_b64 s[0:1], 0
	s_branch .LBB6_1942
.LBB6_1941:
	s_mov_b64 s[0:1], 0
	s_mov_b64 s[2:3], 0
                                        ; implicit-def: $sgpr22
                                        ; implicit-def: $vgpr0_vgpr1
                                        ; implicit-def: $vgpr2
.LBB6_1942:
	s_and_b64 s[6:7], s[2:3], exec
	s_andn2_b64 s[2:3], s[18:19], exec
	s_and_b64 s[4:5], s[20:21], exec
	s_and_b64 s[0:1], s[0:1], exec
	s_or_b64 s[18:19], s[2:3], s[4:5]
.LBB6_1943:
	s_or_b64 exec, exec, s[16:17]
	s_and_saveexec_b64 s[2:3], s[18:19]
	s_cbranch_execz .LBB6_1946
; %bb.1944:
	; divergent unreachable
	s_or_b64 exec, exec, s[2:3]
	s_and_saveexec_b64 s[2:3], s[6:7]
	s_xor_b64 s[2:3], exec, s[2:3]
	s_cbranch_execnz .LBB6_1947
.LBB6_1945:
	s_or_b64 exec, exec, s[2:3]
	s_and_saveexec_b64 s[2:3], s[0:1]
	s_cbranch_execnz .LBB6_1948
	s_branch .LBB6_1985
.LBB6_1946:
	s_or_b64 exec, exec, s[2:3]
	s_and_saveexec_b64 s[2:3], s[6:7]
	s_xor_b64 s[2:3], exec, s[2:3]
	s_cbranch_execz .LBB6_1945
.LBB6_1947:
	s_waitcnt vmcnt(0)
	v_mov_b32_e32 v3, 0
	v_cmp_ne_u16_sdwa s[4:5], v2, v3 src0_sel:BYTE_0 src1_sel:DWORD
	v_cndmask_b32_e64 v3, 0, 1, s[4:5]
	global_store_byte v[0:1], v3, off
	s_or_b64 exec, exec, s[2:3]
	s_and_saveexec_b64 s[2:3], s[0:1]
	s_cbranch_execz .LBB6_1985
.LBB6_1948:
	s_sext_i32_i16 s2, s22
	s_cmp_lt_i32 s2, 5
	s_mov_b64 s[0:1], -1
	s_cbranch_scc1 .LBB6_1969
; %bb.1949:
	s_cmp_lt_i32 s2, 8
	s_cbranch_scc1 .LBB6_1959
; %bb.1950:
	s_cmp_lt_i32 s2, 9
	s_cbranch_scc1 .LBB6_1956
; %bb.1951:
	s_cmp_gt_i32 s2, 9
	s_cbranch_scc0 .LBB6_1953
; %bb.1952:
	s_mov_b32 s0, 0xffff
	s_waitcnt vmcnt(0)
	v_and_b32_sdwa v3, s0, v2 dst_sel:DWORD dst_unused:UNUSED_PAD src0_sel:DWORD src1_sel:BYTE_0
	v_cvt_f64_u32_e32 v[3:4], v3
	v_mov_b32_e32 v5, 0
	v_mov_b32_e32 v6, v5
	s_mov_b64 s[0:1], 0
	global_store_dwordx4 v[0:1], v[3:6], off
.LBB6_1953:
	s_andn2_b64 vcc, exec, s[0:1]
	s_cbranch_vccnz .LBB6_1955
; %bb.1954:
	s_waitcnt vmcnt(0)
	v_cvt_f32_ubyte0_e32 v3, v2
	v_mov_b32_e32 v4, 0
	global_store_dwordx2 v[0:1], v[3:4], off
.LBB6_1955:
	s_mov_b64 s[0:1], 0
.LBB6_1956:
	s_andn2_b64 vcc, exec, s[0:1]
	s_cbranch_vccnz .LBB6_1958
; %bb.1957:
	s_waitcnt vmcnt(0)
	v_cvt_f16_u16_sdwa v3, v2 dst_sel:DWORD dst_unused:UNUSED_PAD src0_sel:BYTE_0
	global_store_dword v[0:1], v3, off
.LBB6_1958:
	s_mov_b64 s[0:1], 0
.LBB6_1959:
	s_andn2_b64 vcc, exec, s[0:1]
	s_cbranch_vccnz .LBB6_1968
; %bb.1960:
	s_sext_i32_i16 s2, s22
	s_cmp_lt_i32 s2, 6
	s_mov_b64 s[0:1], -1
	s_cbranch_scc1 .LBB6_1966
; %bb.1961:
	s_cmp_gt_i32 s2, 6
	s_cbranch_scc0 .LBB6_1963
; %bb.1962:
	s_mov_b32 s0, 0xffff
	s_waitcnt vmcnt(0)
	v_and_b32_sdwa v3, s0, v2 dst_sel:DWORD dst_unused:UNUSED_PAD src0_sel:DWORD src1_sel:BYTE_0
	v_cvt_f64_u32_e32 v[3:4], v3
	s_mov_b64 s[0:1], 0
	global_store_dwordx2 v[0:1], v[3:4], off
.LBB6_1963:
	s_andn2_b64 vcc, exec, s[0:1]
	s_cbranch_vccnz .LBB6_1965
; %bb.1964:
	s_waitcnt vmcnt(0)
	v_cvt_f32_ubyte0_e32 v3, v2
	global_store_dword v[0:1], v3, off
.LBB6_1965:
	s_mov_b64 s[0:1], 0
.LBB6_1966:
	s_andn2_b64 vcc, exec, s[0:1]
	s_cbranch_vccnz .LBB6_1968
; %bb.1967:
	s_waitcnt vmcnt(0)
	v_cvt_f16_u16_sdwa v3, v2 dst_sel:DWORD dst_unused:UNUSED_PAD src0_sel:BYTE_0
	global_store_short v[0:1], v3, off
.LBB6_1968:
	s_mov_b64 s[0:1], 0
.LBB6_1969:
	s_andn2_b64 vcc, exec, s[0:1]
	s_cbranch_vccnz .LBB6_1985
; %bb.1970:
	s_sext_i32_i16 s2, s22
	s_cmp_lt_i32 s2, 2
	s_mov_b64 s[0:1], -1
	s_cbranch_scc1 .LBB6_1980
; %bb.1971:
	s_cmp_lt_i32 s2, 3
	s_cbranch_scc1 .LBB6_1977
; %bb.1972:
	s_cmp_gt_i32 s2, 3
	s_cbranch_scc0 .LBB6_1974
; %bb.1973:
	s_waitcnt vmcnt(0)
	v_and_b32_e32 v3, 0xff, v2
	v_mov_b32_e32 v4, 0
	global_store_dwordx2 v[0:1], v[3:4], off
	s_mov_b64 s[0:1], 0
.LBB6_1974:
	s_andn2_b64 vcc, exec, s[0:1]
	s_cbranch_vccnz .LBB6_1976
; %bb.1975:
	s_waitcnt vmcnt(0)
	v_and_b32_e32 v3, 0xff, v2
	global_store_dword v[0:1], v3, off
.LBB6_1976:
	s_mov_b64 s[0:1], 0
.LBB6_1977:
	s_andn2_b64 vcc, exec, s[0:1]
	s_cbranch_vccnz .LBB6_1979
; %bb.1978:
	s_waitcnt vmcnt(0)
	v_and_b32_e32 v3, 0xff, v2
	global_store_short v[0:1], v3, off
.LBB6_1979:
	s_mov_b64 s[0:1], 0
.LBB6_1980:
	s_andn2_b64 vcc, exec, s[0:1]
	s_cbranch_vccnz .LBB6_1985
; %bb.1981:
	s_sext_i32_i16 s0, s22
	s_cmp_gt_i32 s0, 0
	s_mov_b64 s[0:1], -1
	s_cbranch_scc0 .LBB6_1983
; %bb.1982:
	s_waitcnt vmcnt(0)
	global_store_byte v[0:1], v2, off
	s_mov_b64 s[0:1], 0
.LBB6_1983:
	s_andn2_b64 vcc, exec, s[0:1]
	s_cbranch_vccnz .LBB6_1985
; %bb.1984:
	s_waitcnt vmcnt(0)
	global_store_byte v[0:1], v2, off
	s_endpgm
.LBB6_1985:
	s_endpgm
.LBB6_1986:
	s_mov_b64 s[2:3], 0
	s_mov_b64 s[0:1], -1
	s_branch .LBB6_1942
.LBB6_1987:
	s_trap 2
	s_or_b64 s[20:21], s[20:21], exec
	s_cbranch_execz .LBB6_1456
	s_branch .LBB6_1457
.LBB6_1988:
	s_andn2_saveexec_b64 s[14:15], s[14:15]
	s_cbranch_execz .LBB6_1536
.LBB6_1989:
	v_add_f32_e32 v7, 0x46000000, v8
	v_and_b32_e32 v7, 0xff, v7
	v_cmp_ne_u32_e32 vcc, 0, v7
	s_andn2_b64 s[10:11], s[10:11], exec
	s_and_b64 s[24:25], vcc, exec
	s_or_b64 s[10:11], s[10:11], s[24:25]
	s_or_b64 exec, exec, s[14:15]
	v_mov_b32_e32 v9, 0
	s_and_saveexec_b64 s[14:15], s[10:11]
	s_cbranch_execnz .LBB6_1537
	s_branch .LBB6_1538
.LBB6_1990:
	s_trap 2
	s_or_b64 s[20:21], s[20:21], exec
	s_cbranch_execz .LBB6_1584
	s_branch .LBB6_1585
.LBB6_1991:
	s_andn2_saveexec_b64 s[10:11], s[10:11]
	s_cbranch_execz .LBB6_1549
.LBB6_1992:
	v_add_f32_e32 v7, 0x42800000, v8
	v_and_b32_e32 v7, 0xff, v7
	v_cmp_ne_u32_e32 vcc, 0, v7
	s_andn2_b64 s[6:7], s[6:7], exec
	s_and_b64 s[14:15], vcc, exec
	s_or_b64 s[6:7], s[6:7], s[14:15]
	s_or_b64 exec, exec, s[10:11]
	v_mov_b32_e32 v9, 0
	s_and_saveexec_b64 s[10:11], s[6:7]
	s_cbranch_execnz .LBB6_1550
	s_branch .LBB6_1551
.LBB6_1993:
	s_andn2_saveexec_b64 s[12:13], s[12:13]
	s_cbranch_execz .LBB6_1655
.LBB6_1994:
	v_add_f32_e32 v6, 0x46000000, v7
	v_and_b32_e32 v6, 0xff, v6
	v_cmp_ne_u32_e32 vcc, 0, v6
	s_andn2_b64 s[10:11], s[10:11], exec
	s_and_b64 s[24:25], vcc, exec
	s_or_b64 s[10:11], s[10:11], s[24:25]
	s_or_b64 exec, exec, s[12:13]
	v_mov_b32_e32 v8, 0
	s_and_saveexec_b64 s[12:13], s[10:11]
	s_cbranch_execnz .LBB6_1656
	s_branch .LBB6_1657
.LBB6_1995:
	s_trap 2
	s_or_b64 s[20:21], s[20:21], exec
	s_cbranch_execz .LBB6_1703
	s_branch .LBB6_1704
.LBB6_1996:
	s_andn2_saveexec_b64 s[10:11], s[10:11]
	s_cbranch_execz .LBB6_1668
.LBB6_1997:
	v_add_f32_e32 v6, 0x42800000, v7
	v_and_b32_e32 v6, 0xff, v6
	v_cmp_ne_u32_e32 vcc, 0, v6
	s_andn2_b64 s[6:7], s[6:7], exec
	s_and_b64 s[12:13], vcc, exec
	s_or_b64 s[6:7], s[6:7], s[12:13]
	s_or_b64 exec, exec, s[10:11]
	v_mov_b32_e32 v8, 0
	s_and_saveexec_b64 s[10:11], s[6:7]
	s_cbranch_execnz .LBB6_1669
	s_branch .LBB6_1670
.LBB6_1998:
	s_andn2_saveexec_b64 s[12:13], s[12:13]
	s_cbranch_execz .LBB6_1774
.LBB6_1999:
	v_add_f32_e32 v5, 0x46000000, v6
	v_and_b32_e32 v5, 0xff, v5
	v_cmp_ne_u32_e32 vcc, 0, v5
	s_andn2_b64 s[10:11], s[10:11], exec
	s_and_b64 s[24:25], vcc, exec
	s_or_b64 s[10:11], s[10:11], s[24:25]
	s_or_b64 exec, exec, s[12:13]
	v_mov_b32_e32 v7, 0
	s_and_saveexec_b64 s[12:13], s[10:11]
	s_cbranch_execnz .LBB6_1775
	s_branch .LBB6_1776
.LBB6_2000:
	s_trap 2
	s_or_b64 s[20:21], s[20:21], exec
	s_cbranch_execz .LBB6_1822
	s_branch .LBB6_1823
.LBB6_2001:
	s_andn2_saveexec_b64 s[10:11], s[10:11]
	s_cbranch_execz .LBB6_1787
.LBB6_2002:
	v_add_f32_e32 v5, 0x42800000, v6
	v_and_b32_e32 v5, 0xff, v5
	v_cmp_ne_u32_e32 vcc, 0, v5
	s_andn2_b64 s[6:7], s[6:7], exec
	s_and_b64 s[12:13], vcc, exec
	s_or_b64 s[6:7], s[6:7], s[12:13]
	s_or_b64 exec, exec, s[10:11]
	v_mov_b32_e32 v7, 0
	s_and_saveexec_b64 s[10:11], s[6:7]
	s_cbranch_execnz .LBB6_1788
	s_branch .LBB6_1789
.LBB6_2003:
	s_andn2_saveexec_b64 s[8:9], s[8:9]
	s_cbranch_execz .LBB6_1894
.LBB6_2004:
	v_add_f32_e32 v3, 0x46000000, v4
	v_and_b32_e32 v3, 0xff, v3
	v_cmp_ne_u32_e32 vcc, 0, v3
	s_andn2_b64 s[6:7], s[6:7], exec
	s_and_b64 s[12:13], vcc, exec
	s_or_b64 s[6:7], s[6:7], s[12:13]
	s_or_b64 exec, exec, s[8:9]
	v_mov_b32_e32 v5, 0
	s_and_saveexec_b64 s[8:9], s[6:7]
	s_cbranch_execnz .LBB6_1895
	s_branch .LBB6_1896
.LBB6_2005:
	s_mov_b64 s[2:3], 0
	s_or_b64 s[20:21], s[20:21], exec
	s_trap 2
	s_branch .LBB6_1940
.LBB6_2006:
	s_andn2_saveexec_b64 s[6:7], s[6:7]
	s_cbranch_execz .LBB6_1906
.LBB6_2007:
	v_add_f32_e32 v3, 0x42800000, v4
	v_and_b32_e32 v3, 0xff, v3
	v_cmp_ne_u32_e32 vcc, 0, v3
	s_andn2_b64 s[4:5], s[4:5], exec
	s_and_b64 s[8:9], vcc, exec
	s_or_b64 s[4:5], s[4:5], s[8:9]
	s_or_b64 exec, exec, s[6:7]
	v_mov_b32_e32 v5, 0
	s_and_saveexec_b64 s[6:7], s[4:5]
	s_cbranch_execnz .LBB6_1907
	s_branch .LBB6_1908
	.section	.rodata,"a",@progbits
	.p2align	6, 0x0
	.amdhsa_kernel _ZN2at6native32elementwise_kernel_manual_unrollILi128ELi4EZNS0_15gpu_kernel_implINS0_13AUnaryFunctorIhhhZNS0_12_GLOBAL__N_121threshold_kernel_implIhEEvRNS_18TensorIteratorBaseET_S8_EUlhhE_EEEEvS7_RKS8_EUlibE_EEviT1_
		.amdhsa_group_segment_fixed_size 0
		.amdhsa_private_segment_fixed_size 0
		.amdhsa_kernarg_size 40
		.amdhsa_user_sgpr_count 6
		.amdhsa_user_sgpr_private_segment_buffer 1
		.amdhsa_user_sgpr_dispatch_ptr 0
		.amdhsa_user_sgpr_queue_ptr 0
		.amdhsa_user_sgpr_kernarg_segment_ptr 1
		.amdhsa_user_sgpr_dispatch_id 0
		.amdhsa_user_sgpr_flat_scratch_init 0
		.amdhsa_user_sgpr_private_segment_size 0
		.amdhsa_uses_dynamic_stack 0
		.amdhsa_system_sgpr_private_segment_wavefront_offset 0
		.amdhsa_system_sgpr_workgroup_id_x 1
		.amdhsa_system_sgpr_workgroup_id_y 0
		.amdhsa_system_sgpr_workgroup_id_z 0
		.amdhsa_system_sgpr_workgroup_info 0
		.amdhsa_system_vgpr_workitem_id 0
		.amdhsa_next_free_vgpr 12
		.amdhsa_next_free_sgpr 52
		.amdhsa_reserve_vcc 1
		.amdhsa_reserve_flat_scratch 0
		.amdhsa_float_round_mode_32 0
		.amdhsa_float_round_mode_16_64 0
		.amdhsa_float_denorm_mode_32 3
		.amdhsa_float_denorm_mode_16_64 3
		.amdhsa_dx10_clamp 1
		.amdhsa_ieee_mode 1
		.amdhsa_fp16_overflow 0
		.amdhsa_exception_fp_ieee_invalid_op 0
		.amdhsa_exception_fp_denorm_src 0
		.amdhsa_exception_fp_ieee_div_zero 0
		.amdhsa_exception_fp_ieee_overflow 0
		.amdhsa_exception_fp_ieee_underflow 0
		.amdhsa_exception_fp_ieee_inexact 0
		.amdhsa_exception_int_div_zero 0
	.end_amdhsa_kernel
	.section	.text._ZN2at6native32elementwise_kernel_manual_unrollILi128ELi4EZNS0_15gpu_kernel_implINS0_13AUnaryFunctorIhhhZNS0_12_GLOBAL__N_121threshold_kernel_implIhEEvRNS_18TensorIteratorBaseET_S8_EUlhhE_EEEEvS7_RKS8_EUlibE_EEviT1_,"axG",@progbits,_ZN2at6native32elementwise_kernel_manual_unrollILi128ELi4EZNS0_15gpu_kernel_implINS0_13AUnaryFunctorIhhhZNS0_12_GLOBAL__N_121threshold_kernel_implIhEEvRNS_18TensorIteratorBaseET_S8_EUlhhE_EEEEvS7_RKS8_EUlibE_EEviT1_,comdat
.Lfunc_end6:
	.size	_ZN2at6native32elementwise_kernel_manual_unrollILi128ELi4EZNS0_15gpu_kernel_implINS0_13AUnaryFunctorIhhhZNS0_12_GLOBAL__N_121threshold_kernel_implIhEEvRNS_18TensorIteratorBaseET_S8_EUlhhE_EEEEvS7_RKS8_EUlibE_EEviT1_, .Lfunc_end6-_ZN2at6native32elementwise_kernel_manual_unrollILi128ELi4EZNS0_15gpu_kernel_implINS0_13AUnaryFunctorIhhhZNS0_12_GLOBAL__N_121threshold_kernel_implIhEEvRNS_18TensorIteratorBaseET_S8_EUlhhE_EEEEvS7_RKS8_EUlibE_EEviT1_
                                        ; -- End function
	.set _ZN2at6native32elementwise_kernel_manual_unrollILi128ELi4EZNS0_15gpu_kernel_implINS0_13AUnaryFunctorIhhhZNS0_12_GLOBAL__N_121threshold_kernel_implIhEEvRNS_18TensorIteratorBaseET_S8_EUlhhE_EEEEvS7_RKS8_EUlibE_EEviT1_.num_vgpr, 12
	.set _ZN2at6native32elementwise_kernel_manual_unrollILi128ELi4EZNS0_15gpu_kernel_implINS0_13AUnaryFunctorIhhhZNS0_12_GLOBAL__N_121threshold_kernel_implIhEEvRNS_18TensorIteratorBaseET_S8_EUlhhE_EEEEvS7_RKS8_EUlibE_EEviT1_.num_agpr, 0
	.set _ZN2at6native32elementwise_kernel_manual_unrollILi128ELi4EZNS0_15gpu_kernel_implINS0_13AUnaryFunctorIhhhZNS0_12_GLOBAL__N_121threshold_kernel_implIhEEvRNS_18TensorIteratorBaseET_S8_EUlhhE_EEEEvS7_RKS8_EUlibE_EEviT1_.numbered_sgpr, 52
	.set _ZN2at6native32elementwise_kernel_manual_unrollILi128ELi4EZNS0_15gpu_kernel_implINS0_13AUnaryFunctorIhhhZNS0_12_GLOBAL__N_121threshold_kernel_implIhEEvRNS_18TensorIteratorBaseET_S8_EUlhhE_EEEEvS7_RKS8_EUlibE_EEviT1_.num_named_barrier, 0
	.set _ZN2at6native32elementwise_kernel_manual_unrollILi128ELi4EZNS0_15gpu_kernel_implINS0_13AUnaryFunctorIhhhZNS0_12_GLOBAL__N_121threshold_kernel_implIhEEvRNS_18TensorIteratorBaseET_S8_EUlhhE_EEEEvS7_RKS8_EUlibE_EEviT1_.private_seg_size, 0
	.set _ZN2at6native32elementwise_kernel_manual_unrollILi128ELi4EZNS0_15gpu_kernel_implINS0_13AUnaryFunctorIhhhZNS0_12_GLOBAL__N_121threshold_kernel_implIhEEvRNS_18TensorIteratorBaseET_S8_EUlhhE_EEEEvS7_RKS8_EUlibE_EEviT1_.uses_vcc, 1
	.set _ZN2at6native32elementwise_kernel_manual_unrollILi128ELi4EZNS0_15gpu_kernel_implINS0_13AUnaryFunctorIhhhZNS0_12_GLOBAL__N_121threshold_kernel_implIhEEvRNS_18TensorIteratorBaseET_S8_EUlhhE_EEEEvS7_RKS8_EUlibE_EEviT1_.uses_flat_scratch, 0
	.set _ZN2at6native32elementwise_kernel_manual_unrollILi128ELi4EZNS0_15gpu_kernel_implINS0_13AUnaryFunctorIhhhZNS0_12_GLOBAL__N_121threshold_kernel_implIhEEvRNS_18TensorIteratorBaseET_S8_EUlhhE_EEEEvS7_RKS8_EUlibE_EEviT1_.has_dyn_sized_stack, 0
	.set _ZN2at6native32elementwise_kernel_manual_unrollILi128ELi4EZNS0_15gpu_kernel_implINS0_13AUnaryFunctorIhhhZNS0_12_GLOBAL__N_121threshold_kernel_implIhEEvRNS_18TensorIteratorBaseET_S8_EUlhhE_EEEEvS7_RKS8_EUlibE_EEviT1_.has_recursion, 0
	.set _ZN2at6native32elementwise_kernel_manual_unrollILi128ELi4EZNS0_15gpu_kernel_implINS0_13AUnaryFunctorIhhhZNS0_12_GLOBAL__N_121threshold_kernel_implIhEEvRNS_18TensorIteratorBaseET_S8_EUlhhE_EEEEvS7_RKS8_EUlibE_EEviT1_.has_indirect_call, 0
	.section	.AMDGPU.csdata,"",@progbits
; Kernel info:
; codeLenInByte = 33572
; TotalNumSgprs: 56
; NumVgprs: 12
; ScratchSize: 0
; MemoryBound: 1
; FloatMode: 240
; IeeeMode: 1
; LDSByteSize: 0 bytes/workgroup (compile time only)
; SGPRBlocks: 6
; VGPRBlocks: 2
; NumSGPRsForWavesPerEU: 56
; NumVGPRsForWavesPerEU: 12
; Occupancy: 10
; WaveLimiterHint : 0
; COMPUTE_PGM_RSRC2:SCRATCH_EN: 0
; COMPUTE_PGM_RSRC2:USER_SGPR: 6
; COMPUTE_PGM_RSRC2:TRAP_HANDLER: 0
; COMPUTE_PGM_RSRC2:TGID_X_EN: 1
; COMPUTE_PGM_RSRC2:TGID_Y_EN: 0
; COMPUTE_PGM_RSRC2:TGID_Z_EN: 0
; COMPUTE_PGM_RSRC2:TIDIG_COMP_CNT: 0
	.section	.text._ZN2at6native32elementwise_kernel_manual_unrollILi128ELi4EZNS0_15gpu_kernel_implINS0_13AUnaryFunctorIhhhZNS0_12_GLOBAL__N_121threshold_kernel_implIhEEvRNS_18TensorIteratorBaseET_S8_EUlhhE_EEEEvS7_RKS8_EUlibE0_EEviT1_,"axG",@progbits,_ZN2at6native32elementwise_kernel_manual_unrollILi128ELi4EZNS0_15gpu_kernel_implINS0_13AUnaryFunctorIhhhZNS0_12_GLOBAL__N_121threshold_kernel_implIhEEvRNS_18TensorIteratorBaseET_S8_EUlhhE_EEEEvS7_RKS8_EUlibE0_EEviT1_,comdat
	.globl	_ZN2at6native32elementwise_kernel_manual_unrollILi128ELi4EZNS0_15gpu_kernel_implINS0_13AUnaryFunctorIhhhZNS0_12_GLOBAL__N_121threshold_kernel_implIhEEvRNS_18TensorIteratorBaseET_S8_EUlhhE_EEEEvS7_RKS8_EUlibE0_EEviT1_ ; -- Begin function _ZN2at6native32elementwise_kernel_manual_unrollILi128ELi4EZNS0_15gpu_kernel_implINS0_13AUnaryFunctorIhhhZNS0_12_GLOBAL__N_121threshold_kernel_implIhEEvRNS_18TensorIteratorBaseET_S8_EUlhhE_EEEEvS7_RKS8_EUlibE0_EEviT1_
	.p2align	8
	.type	_ZN2at6native32elementwise_kernel_manual_unrollILi128ELi4EZNS0_15gpu_kernel_implINS0_13AUnaryFunctorIhhhZNS0_12_GLOBAL__N_121threshold_kernel_implIhEEvRNS_18TensorIteratorBaseET_S8_EUlhhE_EEEEvS7_RKS8_EUlibE0_EEviT1_,@function
_ZN2at6native32elementwise_kernel_manual_unrollILi128ELi4EZNS0_15gpu_kernel_implINS0_13AUnaryFunctorIhhhZNS0_12_GLOBAL__N_121threshold_kernel_implIhEEvRNS_18TensorIteratorBaseET_S8_EUlhhE_EEEEvS7_RKS8_EUlibE0_EEviT1_: ; @_ZN2at6native32elementwise_kernel_manual_unrollILi128ELi4EZNS0_15gpu_kernel_implINS0_13AUnaryFunctorIhhhZNS0_12_GLOBAL__N_121threshold_kernel_implIhEEvRNS_18TensorIteratorBaseET_S8_EUlhhE_EEEEvS7_RKS8_EUlibE0_EEviT1_
; %bb.0:
	s_load_dword s76, s[4:5], 0x0
	s_load_dword s33, s[4:5], 0x8
	s_add_u32 s34, s4, 8
	s_addc_u32 s35, s5, 0
	v_lshl_or_b32 v11, s6, 9, v0
	v_or_b32_e32 v13, 0x180, v11
	s_waitcnt lgkmcnt(0)
	s_add_i32 s78, s33, -1
	s_cmp_gt_u32 s78, 1
	v_cmp_le_i32_e32 vcc, s76, v13
	s_cselect_b64 s[44:45], -1, 0
	s_mov_b64 s[6:7], 0
	s_mov_b64 s[28:29], 0
	s_and_saveexec_b64 s[0:1], vcc
	s_xor_b64 s[46:47], exec, s[0:1]
	s_cbranch_execz .LBB7_1070
; %bb.1:
	s_load_dwordx4 s[28:31], s[34:35], 0x4
	s_load_dwordx2 s[52:53], s[34:35], 0x14
	s_load_dwordx2 s[50:51], s[34:35], 0x158
	s_cmp_lg_u32 s33, 0
	s_cselect_b64 s[58:59], -1, 0
	s_add_u32 s56, s34, 0xc4
	s_addc_u32 s57, s35, 0
	s_min_u32 s80, s78, 15
	s_load_dwordx4 s[36:39], s[34:35], 0xc4
	s_load_dwordx4 s[24:27], s[34:35], 0x148
	s_cmp_gt_u32 s33, 1
	s_cselect_b64 s[54:55], -1, 0
	s_waitcnt lgkmcnt(0)
	s_lshr_b32 s79, s50, 8
	s_lshr_b64 s[48:49], s[50:51], 24
	s_and_b32 s0, s50, 0xff
	s_bfe_u32 s1, s50, 0x80010
	s_cmp_gt_u32 s1, s0
	s_cselect_b64 s[0:1], -1, 0
	v_cmp_gt_i32_e32 vcc, s76, v11
	s_mov_b64 s[2:3], -1
	s_mov_b64 s[68:69], 0
	s_mov_b64 s[62:63], 0
	;; [unrolled: 1-line block ×3, first 2 shown]
	s_and_saveexec_b64 s[64:65], vcc
	s_cbranch_execz .LBB7_262
; %bb.2:
	s_andn2_b64 vcc, exec, s[44:45]
	s_cbranch_vccnz .LBB7_7
; %bb.3:
	s_andn2_b64 vcc, exec, s[58:59]
	s_cbranch_vccnz .LBB7_8
; %bb.4:
	s_add_i32 s50, s80, 1
	s_cmp_eq_u32 s78, 2
	s_cbranch_scc1 .LBB7_9
; %bb.5:
	s_and_b32 s49, s50, 28
	v_mov_b32_e32 v2, 0
	s_mov_b32 s62, 0
	s_mov_b64 s[2:3], s[34:35]
	s_mov_b64 s[60:61], s[56:57]
	v_mov_b32_e32 v0, 0
	v_mov_b32_e32 v1, v11
.LBB7_6:                                ; =>This Inner Loop Header: Depth=1
	s_load_dwordx8 s[16:23], s[2:3], 0x4
	s_load_dwordx4 s[40:43], s[2:3], 0x24
	s_load_dwordx8 s[8:15], s[60:61], 0x0
	s_add_u32 s2, s2, 48
	s_addc_u32 s3, s3, 0
	s_waitcnt lgkmcnt(0)
	v_mul_hi_u32 v3, s17, v1
	s_add_i32 s62, s62, 4
	s_add_u32 s60, s60, 32
	s_addc_u32 s61, s61, 0
	v_add_u32_e32 v3, v1, v3
	v_lshrrev_b32_e32 v3, s18, v3
	v_mul_lo_u32 v4, v3, s16
	v_mul_hi_u32 v5, s20, v3
	s_cmp_lg_u32 s49, s62
	v_sub_u32_e32 v1, v1, v4
	v_add_u32_e32 v4, v3, v5
	v_mul_lo_u32 v5, v1, s8
	v_mul_lo_u32 v6, v1, s9
	v_lshrrev_b32_e32 v1, s21, v4
	v_mul_lo_u32 v4, v1, s19
	v_mul_hi_u32 v7, s23, v1
	v_sub_u32_e32 v3, v3, v4
	v_add_u32_e32 v4, v1, v7
	v_lshrrev_b32_e32 v4, s40, v4
	v_mul_hi_u32 v8, s42, v4
	v_mul_lo_u32 v9, v4, s22
	v_mul_lo_u32 v7, v3, s10
	;; [unrolled: 1-line block ×3, first 2 shown]
	v_sub_u32_e32 v9, v1, v9
	v_add_u32_e32 v1, v4, v8
	v_lshrrev_b32_e32 v1, s43, v1
	v_mul_lo_u32 v8, v1, s41
	v_mul_lo_u32 v10, v9, s12
	;; [unrolled: 1-line block ×3, first 2 shown]
	v_add3_u32 v0, v5, v0, v7
	v_sub_u32_e32 v4, v4, v8
	v_mul_lo_u32 v8, v4, s14
	v_mul_lo_u32 v4, v4, s15
	v_add3_u32 v2, v6, v2, v3
	v_add3_u32 v0, v10, v0, v8
	;; [unrolled: 1-line block ×3, first 2 shown]
	s_cbranch_scc1 .LBB7_6
	s_branch .LBB7_10
.LBB7_7:
                                        ; implicit-def: $vgpr0
                                        ; implicit-def: $vgpr2
	s_andn2_b64 vcc, exec, s[2:3]
	s_cbranch_vccz .LBB7_14
	s_branch .LBB7_16
.LBB7_8:
	v_mov_b32_e32 v0, 0
	v_mov_b32_e32 v2, 0
	s_branch .LBB7_13
.LBB7_9:
	s_mov_b32 s49, 0
	v_mov_b32_e32 v0, 0
	v_mov_b32_e32 v2, 0
	;; [unrolled: 1-line block ×3, first 2 shown]
.LBB7_10:
	s_and_b32 s10, s50, 3
	s_cmp_eq_u32 s10, 0
	s_cbranch_scc1 .LBB7_13
; %bb.11:
	s_lshl_b32 s2, s49, 3
	s_add_u32 s2, s34, s2
	s_addc_u32 s3, s35, 0
	s_add_u32 s2, s2, 0xc4
	s_addc_u32 s3, s3, 0
	s_mul_i32 s8, s49, 12
	s_add_u32 s8, s34, s8
	s_addc_u32 s9, s35, 0
.LBB7_12:                               ; =>This Inner Loop Header: Depth=1
	s_load_dwordx2 s[12:13], s[8:9], 0x4
	s_load_dword s11, s[8:9], 0xc
	s_load_dwordx2 s[14:15], s[2:3], 0x0
	s_add_u32 s8, s8, 12
	s_addc_u32 s9, s9, 0
	s_waitcnt lgkmcnt(0)
	v_mul_hi_u32 v3, s13, v1
	s_add_u32 s2, s2, 8
	s_addc_u32 s3, s3, 0
	s_add_i32 s10, s10, -1
	v_add_u32_e32 v3, v1, v3
	v_lshrrev_b32_e32 v4, s11, v3
	v_mul_lo_u32 v3, v4, s12
	s_cmp_lg_u32 s10, 0
	v_sub_u32_e32 v3, v1, v3
	v_mad_u64_u32 v[0:1], s[12:13], v3, s14, v[0:1]
	v_mad_u64_u32 v[2:3], s[12:13], v3, s15, v[2:3]
	v_mov_b32_e32 v1, v4
	s_cbranch_scc1 .LBB7_12
.LBB7_13:
	s_cbranch_execnz .LBB7_16
.LBB7_14:
	v_mul_hi_u32 v0, s29, v11
	s_andn2_b64 vcc, exec, s[54:55]
	v_add_u32_e32 v0, v11, v0
	v_lshrrev_b32_e32 v1, s30, v0
	v_mul_lo_u32 v0, v1, s28
	v_sub_u32_e32 v2, v11, v0
	v_mul_lo_u32 v0, v2, s36
	v_mul_lo_u32 v2, v2, s37
	s_cbranch_vccnz .LBB7_16
; %bb.15:
	v_mul_hi_u32 v3, s52, v1
	v_add_u32_e32 v3, v1, v3
	v_lshrrev_b32_e32 v3, s53, v3
	v_mul_lo_u32 v3, v3, s31
	v_sub_u32_e32 v3, v1, v3
	v_mad_u64_u32 v[0:1], s[2:3], v3, s38, v[0:1]
	v_mad_u64_u32 v[2:3], s[2:3], v3, s39, v[2:3]
.LBB7_16:
	v_mov_b32_e32 v3, s27
	s_and_b32 s12, s51, 0xff
	v_add_co_u32_e32 v1, vcc, s26, v2
	s_cmp_lt_i32 s12, 11
	v_addc_co_u32_e32 v2, vcc, 0, v3, vcc
	s_cbranch_scc1 .LBB7_23
; %bb.17:
	s_and_b32 s13, 0xffff, s12
	s_cmp_gt_i32 s13, 25
	s_cbranch_scc0 .LBB7_32
; %bb.18:
	s_cmp_gt_i32 s13, 28
	s_cbranch_scc0 .LBB7_35
; %bb.19:
	;; [unrolled: 3-line block ×4, first 2 shown]
	s_cmp_eq_u32 s13, 46
	s_mov_b64 s[10:11], 0
	s_cbranch_scc0 .LBB7_41
; %bb.22:
	global_load_dword v3, v[1:2], off
	s_mov_b32 s2, 0x2f800000
	s_mov_b32 s3, 0xcf800000
	s_mov_b64 s[8:9], 0
	s_waitcnt vmcnt(0)
	v_lshlrev_b32_e32 v3, 16, v3
	v_trunc_f32_e32 v3, v3
	v_mul_f32_e64 v4, |v3|, s2
	v_floor_f32_e32 v4, v4
	v_fma_f32 v4, v4, s3, |v3|
	v_cvt_u32_f32_e32 v4, v4
	v_ashrrev_i32_e32 v3, 31, v3
	s_mov_b64 s[2:3], -1
	v_xor_b32_e32 v4, v4, v3
	v_sub_u32_e32 v3, v4, v3
	s_branch .LBB7_43
.LBB7_23:
	s_mov_b64 s[8:9], 0
                                        ; implicit-def: $vgpr3
	s_mov_b64 s[2:3], 0
	s_cbranch_execnz .LBB7_212
.LBB7_24:
	s_andn2_b64 vcc, exec, s[2:3]
	s_cbranch_vccnz .LBB7_259
.LBB7_25:
	v_mov_b32_e32 v1, s79
	s_waitcnt vmcnt(0)
	v_cndmask_b32_e64 v2, v1, v3, s[0:1]
	v_mov_b32_e32 v1, s25
	s_and_b32 s16, s48, 0xff
	v_add_co_u32_e32 v0, vcc, s24, v0
	s_cmp_lt_i32 s16, 11
	v_addc_co_u32_e32 v1, vcc, 0, v1, vcc
	s_cbranch_scc1 .LBB7_33
; %bb.26:
	s_and_b32 s17, 0xffff, s16
	s_cmp_gt_i32 s17, 25
	s_cbranch_scc0 .LBB7_36
; %bb.27:
	s_cmp_gt_i32 s17, 28
	s_cbranch_scc0 .LBB7_38
; %bb.28:
	;; [unrolled: 3-line block ×4, first 2 shown]
	s_mov_b64 s[12:13], 0
	s_mov_b64 s[2:3], -1
	s_cmp_eq_u32 s17, 46
	s_mov_b64 s[10:11], 0
	s_cbranch_scc0 .LBB7_47
; %bb.31:
	v_cvt_f32_ubyte0_e32 v3, v2
	v_bfe_u32 v4, v3, 16, 1
	s_movk_i32 s2, 0x7fff
	v_add3_u32 v3, v3, v4, s2
	v_lshrrev_b32_e32 v3, 16, v3
	global_store_dword v[0:1], v3, off
	s_mov_b64 s[10:11], -1
	s_mov_b64 s[2:3], 0
	s_branch .LBB7_47
.LBB7_32:
	s_mov_b64 s[8:9], 0
	s_mov_b64 s[2:3], 0
                                        ; implicit-def: $vgpr3
	s_cbranch_execnz .LBB7_179
	s_branch .LBB7_211
.LBB7_33:
	s_mov_b64 s[2:3], 0
	s_mov_b64 s[10:11], 0
	s_cbranch_execnz .LBB7_116
.LBB7_34:
	s_andn2_b64 vcc, exec, s[10:11]
	s_cbranch_vccnz .LBB7_260
	s_branch .LBB7_154
.LBB7_35:
	s_mov_b64 s[10:11], -1
	s_mov_b64 s[8:9], 0
	s_mov_b64 s[2:3], 0
                                        ; implicit-def: $vgpr3
	s_branch .LBB7_162
.LBB7_36:
	s_mov_b64 s[12:13], -1
	s_mov_b64 s[2:3], 0
	s_mov_b64 s[10:11], 0
	s_branch .LBB7_74
.LBB7_37:
	s_mov_b64 s[10:11], -1
	s_mov_b64 s[8:9], 0
	s_mov_b64 s[2:3], 0
                                        ; implicit-def: $vgpr3
	s_branch .LBB7_157
.LBB7_38:
	s_mov_b64 s[12:13], -1
	s_mov_b64 s[2:3], 0
	s_mov_b64 s[10:11], 0
	s_branch .LBB7_57
.LBB7_39:
	s_mov_b64 s[10:11], -1
	s_mov_b64 s[8:9], 0
	s_branch .LBB7_42
.LBB7_40:
	s_mov_b64 s[12:13], -1
	s_mov_b64 s[2:3], 0
	s_mov_b64 s[10:11], 0
	s_branch .LBB7_53
.LBB7_41:
	s_mov_b64 s[8:9], -1
.LBB7_42:
	s_mov_b64 s[2:3], 0
                                        ; implicit-def: $vgpr3
.LBB7_43:
	s_and_b64 vcc, exec, s[10:11]
	s_cbranch_vccz .LBB7_156
; %bb.44:
	s_cmp_eq_u32 s13, 44
	s_cbranch_scc0 .LBB7_155
; %bb.45:
	global_load_ubyte v3, v[1:2], off
	s_mov_b32 s2, 0x2f800000
	s_mov_b32 s3, 0xcf800000
	s_mov_b64 s[8:9], 0
	s_waitcnt vmcnt(0)
	v_lshlrev_b32_e32 v4, 23, v3
	v_trunc_f32_e32 v4, v4
	v_mul_f32_e64 v5, |v4|, s2
	v_floor_f32_e32 v5, v5
	v_fma_f32 v5, v5, s3, |v4|
	v_cvt_u32_f32_e32 v5, v5
	v_ashrrev_i32_e32 v4, 31, v4
	v_cmp_ne_u32_e32 vcc, 0, v3
	s_mov_b64 s[2:3], -1
	v_xor_b32_e32 v5, v5, v4
	v_sub_u32_e32 v4, v5, v4
	v_cndmask_b32_e32 v3, 0, v4, vcc
	s_branch .LBB7_156
.LBB7_46:
	s_mov_b64 s[12:13], -1
	s_mov_b64 s[2:3], 0
	s_mov_b64 s[10:11], 0
.LBB7_47:
	s_and_b64 vcc, exec, s[12:13]
	s_cbranch_vccz .LBB7_52
; %bb.48:
	s_cmp_eq_u32 s17, 44
	s_mov_b64 s[2:3], -1
	s_cbranch_scc0 .LBB7_52
; %bb.49:
	v_cvt_f32_ubyte0_e32 v4, v2
	v_lshrrev_b32_e32 v3, 23, v4
	s_movk_i32 s2, 0xff
	v_cmp_ne_u32_e32 vcc, s2, v3
	v_mov_b32_e32 v5, 0xff
	s_and_saveexec_b64 s[10:11], vcc
; %bb.50:
	s_mov_b32 s2, 0x3fffff
	v_and_b32_e32 v5, 0x400000, v4
	v_and_or_b32 v4, v4, s2, v3
	v_cmp_ne_u32_e32 vcc, 0, v5
	v_cmp_ne_u32_e64 s[2:3], 0, v4
	s_and_b64 s[2:3], vcc, s[2:3]
	v_cndmask_b32_e64 v4, 0, 1, s[2:3]
	v_add_u32_e32 v5, v3, v4
; %bb.51:
	s_or_b64 exec, exec, s[10:11]
	s_mov_b64 s[10:11], -1
	s_mov_b64 s[2:3], 0
	global_store_byte v[0:1], v5, off
.LBB7_52:
	s_mov_b64 s[12:13], 0
.LBB7_53:
	s_and_b64 vcc, exec, s[12:13]
	s_cbranch_vccz .LBB7_56
; %bb.54:
	s_cmp_eq_u32 s17, 29
	s_mov_b64 s[2:3], -1
	s_cbranch_scc0 .LBB7_56
; %bb.55:
	v_and_b32_e32 v3, 0xff, v2
	v_mov_b32_e32 v4, 0
	global_store_dwordx2 v[0:1], v[3:4], off
	s_mov_b64 s[10:11], -1
	s_mov_b64 s[2:3], 0
.LBB7_56:
	s_mov_b64 s[12:13], 0
.LBB7_57:
	s_and_b64 vcc, exec, s[12:13]
	s_cbranch_vccz .LBB7_73
; %bb.58:
	s_cmp_lt_i32 s17, 27
	s_mov_b64 s[10:11], -1
	s_cbranch_scc1 .LBB7_64
; %bb.59:
	s_cmp_gt_i32 s17, 27
	s_cbranch_scc0 .LBB7_61
; %bb.60:
	v_and_b32_e32 v3, 0xff, v2
	s_mov_b64 s[10:11], 0
	global_store_dword v[0:1], v3, off
.LBB7_61:
	s_andn2_b64 vcc, exec, s[10:11]
	s_cbranch_vccnz .LBB7_63
; %bb.62:
	v_and_b32_e32 v3, 0xff, v2
	global_store_short v[0:1], v3, off
.LBB7_63:
	s_mov_b64 s[10:11], 0
.LBB7_64:
	s_andn2_b64 vcc, exec, s[10:11]
	s_cbranch_vccnz .LBB7_72
; %bb.65:
	v_cvt_f32_ubyte0_e32 v4, v2
	s_mov_b32 s10, 0x43800000
	v_cmp_gt_u32_e32 vcc, s10, v4
	v_mov_b32_e32 v5, 0x80
	s_and_saveexec_b64 s[10:11], vcc
	s_cbranch_execz .LBB7_71
; %bb.66:
	s_mov_b32 s12, 0x3bffffff
	v_cmp_lt_u32_e32 vcc, s12, v4
	s_mov_b64 s[12:13], 0
                                        ; implicit-def: $vgpr3
	s_and_saveexec_b64 s[14:15], vcc
	s_xor_b64 s[14:15], exec, s[14:15]
	s_cbranch_execz .LBB7_303
; %bb.67:
	v_bfe_u32 v3, v4, 20, 1
	s_mov_b32 s18, 0x487ffff
	v_add3_u32 v3, v4, v3, s18
	s_mov_b64 s[12:13], exec
	v_lshrrev_b32_e32 v3, 20, v3
                                        ; implicit-def: $vgpr4
	s_andn2_saveexec_b64 s[14:15], s[14:15]
	s_cbranch_execnz .LBB7_304
.LBB7_68:
	s_or_b64 exec, exec, s[14:15]
	v_mov_b32_e32 v5, 0
	s_and_saveexec_b64 s[14:15], s[12:13]
.LBB7_69:
	v_mov_b32_e32 v5, v3
.LBB7_70:
	s_or_b64 exec, exec, s[14:15]
.LBB7_71:
	s_or_b64 exec, exec, s[10:11]
	global_store_byte v[0:1], v5, off
.LBB7_72:
	s_mov_b64 s[10:11], -1
.LBB7_73:
	s_mov_b64 s[12:13], 0
.LBB7_74:
	s_and_b64 vcc, exec, s[12:13]
	s_cbranch_vccz .LBB7_115
; %bb.75:
	s_cmp_gt_i32 s17, 22
	s_mov_b64 s[12:13], -1
	s_cbranch_scc0 .LBB7_107
; %bb.76:
	s_cmp_lt_i32 s17, 24
	s_mov_b64 s[10:11], -1
	s_cbranch_scc1 .LBB7_96
; %bb.77:
	s_cmp_gt_i32 s17, 24
	s_cbranch_scc0 .LBB7_85
; %bb.78:
	v_cvt_f32_ubyte0_e32 v4, v2
	s_mov_b32 s10, 0x47800000
	v_cmp_gt_u32_e32 vcc, s10, v4
	v_mov_b32_e32 v5, 0x80
	s_and_saveexec_b64 s[10:11], vcc
	s_cbranch_execz .LBB7_84
; %bb.79:
	s_mov_b32 s12, 0x37ffffff
	v_cmp_lt_u32_e32 vcc, s12, v4
	s_mov_b64 s[12:13], 0
                                        ; implicit-def: $vgpr3
	s_and_saveexec_b64 s[14:15], vcc
	s_xor_b64 s[14:15], exec, s[14:15]
	s_cbranch_execz .LBB7_307
; %bb.80:
	v_bfe_u32 v3, v4, 21, 1
	s_mov_b32 s18, 0x88fffff
	v_add3_u32 v3, v4, v3, s18
	s_mov_b64 s[12:13], exec
	v_lshrrev_b32_e32 v3, 21, v3
                                        ; implicit-def: $vgpr4
	s_andn2_saveexec_b64 s[14:15], s[14:15]
	s_cbranch_execnz .LBB7_308
.LBB7_81:
	s_or_b64 exec, exec, s[14:15]
	v_mov_b32_e32 v5, 0
	s_and_saveexec_b64 s[14:15], s[12:13]
.LBB7_82:
	v_mov_b32_e32 v5, v3
.LBB7_83:
	s_or_b64 exec, exec, s[14:15]
.LBB7_84:
	s_or_b64 exec, exec, s[10:11]
	s_mov_b64 s[10:11], 0
	global_store_byte v[0:1], v5, off
.LBB7_85:
	s_and_b64 vcc, exec, s[10:11]
	s_cbranch_vccz .LBB7_95
; %bb.86:
	v_cvt_f32_ubyte0_e32 v3, v2
	s_mov_b32 s10, 0x43f00000
	v_cmp_gt_u32_e32 vcc, s10, v3
                                        ; implicit-def: $vgpr4
	s_and_saveexec_b64 s[10:11], vcc
	s_xor_b64 s[10:11], exec, s[10:11]
	s_cbranch_execz .LBB7_92
; %bb.87:
	s_mov_b32 s12, 0x3c7fffff
	v_cmp_lt_u32_e32 vcc, s12, v3
                                        ; implicit-def: $vgpr4
	s_and_saveexec_b64 s[12:13], vcc
	s_xor_b64 s[12:13], exec, s[12:13]
; %bb.88:
	v_bfe_u32 v4, v3, 20, 1
	s_mov_b32 s14, 0x407ffff
	v_add3_u32 v3, v3, v4, s14
	v_lshrrev_b32_e32 v4, 20, v3
	v_and_b32_e32 v3, 0xff00000, v3
	s_mov_b32 s14, 0x7f00000
	v_mov_b32_e32 v5, 0x7e
	v_cmp_ne_u32_e32 vcc, s14, v3
	v_cndmask_b32_e32 v4, v5, v4, vcc
                                        ; implicit-def: $vgpr3
; %bb.89:
	s_andn2_saveexec_b64 s[12:13], s[12:13]
; %bb.90:
	v_add_f32_e32 v4, 0x46800000, v3
; %bb.91:
	s_or_b64 exec, exec, s[12:13]
                                        ; implicit-def: $vgpr3
.LBB7_92:
	s_andn2_saveexec_b64 s[10:11], s[10:11]
; %bb.93:
	s_mov_b32 s12, 0x7f800000
	v_mov_b32_e32 v4, 0x7e
	v_mov_b32_e32 v5, 0x7f
	v_cmp_lt_u32_e32 vcc, s12, v3
	v_cndmask_b32_e32 v4, v4, v5, vcc
; %bb.94:
	s_or_b64 exec, exec, s[10:11]
	global_store_byte v[0:1], v4, off
.LBB7_95:
	s_mov_b64 s[10:11], 0
.LBB7_96:
	s_andn2_b64 vcc, exec, s[10:11]
	s_cbranch_vccnz .LBB7_106
; %bb.97:
	v_cvt_f32_ubyte0_e32 v3, v2
	s_mov_b32 s10, 0x47800000
	v_cmp_gt_u32_e32 vcc, s10, v3
                                        ; implicit-def: $vgpr4
	s_and_saveexec_b64 s[10:11], vcc
	s_xor_b64 s[10:11], exec, s[10:11]
	s_cbranch_execz .LBB7_103
; %bb.98:
	s_mov_b32 s12, 0x387fffff
	v_cmp_lt_u32_e32 vcc, s12, v3
                                        ; implicit-def: $vgpr4
	s_and_saveexec_b64 s[12:13], vcc
	s_xor_b64 s[12:13], exec, s[12:13]
; %bb.99:
	v_bfe_u32 v4, v3, 21, 1
	s_mov_b32 s14, 0x80fffff
	v_add3_u32 v3, v3, v4, s14
	v_lshrrev_b32_e32 v4, 21, v3
                                        ; implicit-def: $vgpr3
; %bb.100:
	s_andn2_saveexec_b64 s[12:13], s[12:13]
; %bb.101:
	v_add_f32_e32 v4, 0x43000000, v3
; %bb.102:
	s_or_b64 exec, exec, s[12:13]
                                        ; implicit-def: $vgpr3
.LBB7_103:
	s_andn2_saveexec_b64 s[10:11], s[10:11]
; %bb.104:
	s_mov_b32 s12, 0x7f800000
	v_mov_b32_e32 v4, 0x7c
	v_mov_b32_e32 v5, 0x7f
	v_cmp_lt_u32_e32 vcc, s12, v3
	v_cndmask_b32_e32 v4, v4, v5, vcc
; %bb.105:
	s_or_b64 exec, exec, s[10:11]
	global_store_byte v[0:1], v4, off
.LBB7_106:
	s_mov_b64 s[12:13], 0
	s_mov_b64 s[10:11], -1
.LBB7_107:
	s_andn2_b64 vcc, exec, s[12:13]
	s_cbranch_vccnz .LBB7_115
; %bb.108:
	s_cmp_gt_i32 s17, 14
	s_mov_b64 s[12:13], -1
	s_cbranch_scc0 .LBB7_112
; %bb.109:
	s_cmp_eq_u32 s17, 15
	s_mov_b64 s[2:3], -1
	s_cbranch_scc0 .LBB7_111
; %bb.110:
	v_cvt_f32_ubyte0_e32 v3, v2
	v_bfe_u32 v4, v3, 16, 1
	s_movk_i32 s2, 0x7fff
	v_add3_u32 v3, v3, v4, s2
	global_store_short_d16_hi v[0:1], v3, off
	s_mov_b64 s[10:11], -1
	s_mov_b64 s[2:3], 0
.LBB7_111:
	s_mov_b64 s[12:13], 0
.LBB7_112:
	s_and_b64 vcc, exec, s[12:13]
	s_cbranch_vccz .LBB7_115
; %bb.113:
	s_cmp_eq_u32 s17, 11
	s_mov_b64 s[2:3], -1
	s_cbranch_scc0 .LBB7_115
; %bb.114:
	v_mov_b32_e32 v3, 0
	v_cmp_ne_u16_sdwa s[2:3], v2, v3 src0_sel:BYTE_0 src1_sel:DWORD
	v_cndmask_b32_e64 v3, 0, 1, s[2:3]
	s_mov_b64 s[10:11], -1
	s_mov_b64 s[2:3], 0
	global_store_byte v[0:1], v3, off
.LBB7_115:
	s_branch .LBB7_34
.LBB7_116:
	s_and_b32 s12, 0xffff, s16
	s_cmp_lt_i32 s12, 5
	s_mov_b64 s[10:11], -1
	s_cbranch_scc1 .LBB7_137
; %bb.117:
	s_cmp_lt_i32 s12, 8
	s_cbranch_scc1 .LBB7_127
; %bb.118:
	s_cmp_lt_i32 s12, 9
	s_cbranch_scc1 .LBB7_124
; %bb.119:
	s_cmp_gt_i32 s12, 9
	s_cbranch_scc0 .LBB7_121
; %bb.120:
	s_mov_b32 s10, 0xffff
	v_and_b32_sdwa v3, s10, v2 dst_sel:DWORD dst_unused:UNUSED_PAD src0_sel:DWORD src1_sel:BYTE_0
	v_cvt_f64_u32_e32 v[3:4], v3
	v_mov_b32_e32 v5, 0
	v_mov_b32_e32 v6, v5
	s_mov_b64 s[10:11], 0
	global_store_dwordx4 v[0:1], v[3:6], off
.LBB7_121:
	s_andn2_b64 vcc, exec, s[10:11]
	s_cbranch_vccnz .LBB7_123
; %bb.122:
	v_cvt_f32_ubyte0_e32 v3, v2
	v_mov_b32_e32 v4, 0
	global_store_dwordx2 v[0:1], v[3:4], off
.LBB7_123:
	s_mov_b64 s[10:11], 0
.LBB7_124:
	s_andn2_b64 vcc, exec, s[10:11]
	s_cbranch_vccnz .LBB7_126
; %bb.125:
	v_cvt_f16_u16_sdwa v3, v2 dst_sel:DWORD dst_unused:UNUSED_PAD src0_sel:BYTE_0
	global_store_dword v[0:1], v3, off
.LBB7_126:
	s_mov_b64 s[10:11], 0
.LBB7_127:
	s_andn2_b64 vcc, exec, s[10:11]
	s_cbranch_vccnz .LBB7_136
; %bb.128:
	s_cmp_lt_i32 s12, 6
	s_mov_b64 s[10:11], -1
	s_cbranch_scc1 .LBB7_134
; %bb.129:
	s_cmp_gt_i32 s12, 6
	s_cbranch_scc0 .LBB7_131
; %bb.130:
	s_mov_b32 s10, 0xffff
	v_and_b32_sdwa v3, s10, v2 dst_sel:DWORD dst_unused:UNUSED_PAD src0_sel:DWORD src1_sel:BYTE_0
	v_cvt_f64_u32_e32 v[3:4], v3
	s_mov_b64 s[10:11], 0
	global_store_dwordx2 v[0:1], v[3:4], off
.LBB7_131:
	s_andn2_b64 vcc, exec, s[10:11]
	s_cbranch_vccnz .LBB7_133
; %bb.132:
	v_cvt_f32_ubyte0_e32 v3, v2
	global_store_dword v[0:1], v3, off
.LBB7_133:
	s_mov_b64 s[10:11], 0
.LBB7_134:
	s_andn2_b64 vcc, exec, s[10:11]
	s_cbranch_vccnz .LBB7_136
; %bb.135:
	v_cvt_f16_u16_sdwa v3, v2 dst_sel:DWORD dst_unused:UNUSED_PAD src0_sel:BYTE_0
	global_store_short v[0:1], v3, off
.LBB7_136:
	s_mov_b64 s[10:11], 0
.LBB7_137:
	s_andn2_b64 vcc, exec, s[10:11]
	s_cbranch_vccnz .LBB7_153
; %bb.138:
	s_cmp_lt_i32 s12, 2
	s_mov_b64 s[10:11], -1
	s_cbranch_scc1 .LBB7_148
; %bb.139:
	s_cmp_lt_i32 s12, 3
	s_cbranch_scc1 .LBB7_145
; %bb.140:
	s_cmp_gt_i32 s12, 3
	s_cbranch_scc0 .LBB7_142
; %bb.141:
	v_and_b32_e32 v3, 0xff, v2
	v_mov_b32_e32 v4, 0
	global_store_dwordx2 v[0:1], v[3:4], off
	s_mov_b64 s[10:11], 0
.LBB7_142:
	s_andn2_b64 vcc, exec, s[10:11]
	s_cbranch_vccnz .LBB7_144
; %bb.143:
	v_and_b32_e32 v3, 0xff, v2
	global_store_dword v[0:1], v3, off
.LBB7_144:
	s_mov_b64 s[10:11], 0
.LBB7_145:
	s_andn2_b64 vcc, exec, s[10:11]
	s_cbranch_vccnz .LBB7_147
; %bb.146:
	v_and_b32_e32 v3, 0xff, v2
	global_store_short v[0:1], v3, off
.LBB7_147:
	s_mov_b64 s[10:11], 0
.LBB7_148:
	s_andn2_b64 vcc, exec, s[10:11]
	s_cbranch_vccnz .LBB7_153
; %bb.149:
	s_cmp_gt_i32 s12, 0
	s_mov_b64 s[10:11], -1
	s_cbranch_scc0 .LBB7_151
; %bb.150:
	global_store_byte v[0:1], v2, off
	s_mov_b64 s[10:11], 0
.LBB7_151:
	s_andn2_b64 vcc, exec, s[10:11]
	s_cbranch_vccnz .LBB7_153
; %bb.152:
	global_store_byte v[0:1], v2, off
.LBB7_153:
.LBB7_154:
	v_add_u32_e32 v11, 0x80, v11
	s_mov_b64 s[10:11], -1
	s_branch .LBB7_261
.LBB7_155:
	s_mov_b64 s[8:9], -1
                                        ; implicit-def: $vgpr3
.LBB7_156:
	s_mov_b64 s[10:11], 0
.LBB7_157:
	s_and_b64 vcc, exec, s[10:11]
	s_cbranch_vccz .LBB7_161
; %bb.158:
	s_cmp_eq_u32 s13, 29
	s_cbranch_scc0 .LBB7_160
; %bb.159:
	global_load_dwordx2 v[3:4], v[1:2], off
	s_mov_b64 s[2:3], -1
	s_mov_b64 s[8:9], 0
	s_branch .LBB7_161
.LBB7_160:
	s_mov_b64 s[8:9], -1
                                        ; implicit-def: $vgpr3
.LBB7_161:
	s_mov_b64 s[10:11], 0
.LBB7_162:
	s_and_b64 vcc, exec, s[10:11]
	s_cbranch_vccz .LBB7_178
; %bb.163:
	s_cmp_lt_i32 s13, 27
	s_cbranch_scc1 .LBB7_166
; %bb.164:
	s_cmp_gt_i32 s13, 27
	s_cbranch_scc0 .LBB7_167
; %bb.165:
	global_load_dword v3, v[1:2], off
	s_mov_b64 s[2:3], 0
	s_branch .LBB7_168
.LBB7_166:
	s_mov_b64 s[2:3], -1
                                        ; implicit-def: $vgpr3
	s_branch .LBB7_171
.LBB7_167:
	s_mov_b64 s[2:3], -1
                                        ; implicit-def: $vgpr3
.LBB7_168:
	s_andn2_b64 vcc, exec, s[2:3]
	s_cbranch_vccnz .LBB7_170
; %bb.169:
	global_load_ushort v3, v[1:2], off
.LBB7_170:
	s_mov_b64 s[2:3], 0
.LBB7_171:
	s_andn2_b64 vcc, exec, s[2:3]
	s_cbranch_vccnz .LBB7_177
; %bb.172:
	global_load_ubyte v4, v[1:2], off
	s_movk_i32 s2, 0x7f
	s_mov_b64 s[10:11], 0
	s_waitcnt vmcnt(0)
	v_cmp_lt_i16_e32 vcc, s2, v4
	s_and_saveexec_b64 s[2:3], vcc
	s_xor_b64 s[2:3], exec, s[2:3]
	s_cbranch_execz .LBB7_188
; %bb.173:
	s_movk_i32 s10, 0x80
	v_cmp_ne_u16_e32 vcc, s10, v4
	s_and_b64 s[10:11], vcc, exec
	s_andn2_saveexec_b64 s[2:3], s[2:3]
	s_cbranch_execnz .LBB7_189
.LBB7_174:
	s_or_b64 exec, exec, s[2:3]
	v_mov_b32_e32 v3, 0
	s_and_saveexec_b64 s[2:3], s[10:11]
	s_cbranch_execz .LBB7_176
.LBB7_175:
	v_lshlrev_b32_e32 v3, 24, v4
	v_and_b32_e32 v4, 0xffff, v4
	v_and_b32_e32 v5, 7, v4
	v_ffbh_u32_e32 v7, v5
	v_min_u32_e32 v7, 32, v7
	v_subrev_u32_e32 v8, 28, v7
	v_bfe_u32 v6, v4, 3, 4
	v_lshlrev_b32_e32 v4, v8, v4
	v_sub_u32_e32 v7, 29, v7
	v_and_b32_e32 v4, 7, v4
	v_cmp_eq_u32_e32 vcc, 0, v6
	v_cndmask_b32_e32 v6, v6, v7, vcc
	v_cndmask_b32_e32 v4, v5, v4, vcc
	v_mov_b32_e32 v5, 0x3b800000
	v_lshlrev_b32_e32 v4, 20, v4
	v_and_b32_e32 v3, 0x80000000, v3
	v_lshl_add_u32 v5, v6, 23, v5
	v_or3_b32 v3, v3, v5, v4
	v_trunc_f32_e32 v3, v3
	s_mov_b32 s10, 0x2f800000
	v_mul_f32_e64 v4, |v3|, s10
	v_floor_f32_e32 v4, v4
	s_mov_b32 s10, 0xcf800000
	v_fma_f32 v4, v4, s10, |v3|
	v_cvt_u32_f32_e32 v4, v4
	v_ashrrev_i32_e32 v3, 31, v3
	v_xor_b32_e32 v4, v4, v3
	v_sub_u32_e32 v3, v4, v3
.LBB7_176:
	s_or_b64 exec, exec, s[2:3]
.LBB7_177:
	s_mov_b64 s[2:3], -1
.LBB7_178:
	s_branch .LBB7_211
.LBB7_179:
	s_cmp_gt_i32 s13, 22
	s_cbranch_scc0 .LBB7_187
; %bb.180:
	s_cmp_lt_i32 s13, 24
	s_cbranch_scc1 .LBB7_190
; %bb.181:
	s_cmp_gt_i32 s13, 24
	s_cbranch_scc0 .LBB7_191
; %bb.182:
	global_load_ubyte v4, v[1:2], off
	s_movk_i32 s2, 0x7f
	s_mov_b64 s[10:11], 0
	s_waitcnt vmcnt(0)
	v_cmp_lt_i16_e32 vcc, s2, v4
	s_and_saveexec_b64 s[2:3], vcc
	s_xor_b64 s[2:3], exec, s[2:3]
	s_cbranch_execz .LBB7_203
; %bb.183:
	s_movk_i32 s10, 0x80
	v_cmp_ne_u16_e32 vcc, s10, v4
	s_and_b64 s[10:11], vcc, exec
	s_andn2_saveexec_b64 s[2:3], s[2:3]
	s_cbranch_execnz .LBB7_204
.LBB7_184:
	s_or_b64 exec, exec, s[2:3]
	v_mov_b32_e32 v3, 0
	s_and_saveexec_b64 s[2:3], s[10:11]
	s_cbranch_execz .LBB7_186
.LBB7_185:
	v_lshlrev_b32_e32 v3, 24, v4
	v_and_b32_e32 v4, 0xffff, v4
	v_and_b32_e32 v5, 3, v4
	v_ffbh_u32_e32 v7, v5
	v_min_u32_e32 v7, 32, v7
	v_subrev_u32_e32 v8, 29, v7
	v_bfe_u32 v6, v4, 2, 5
	v_lshlrev_b32_e32 v4, v8, v4
	v_sub_u32_e32 v7, 30, v7
	v_and_b32_e32 v4, 3, v4
	v_cmp_eq_u32_e32 vcc, 0, v6
	v_cndmask_b32_e32 v6, v6, v7, vcc
	v_cndmask_b32_e32 v4, v5, v4, vcc
	v_mov_b32_e32 v5, 0x37800000
	v_lshlrev_b32_e32 v4, 21, v4
	v_and_b32_e32 v3, 0x80000000, v3
	v_lshl_add_u32 v5, v6, 23, v5
	v_or3_b32 v3, v3, v5, v4
	v_trunc_f32_e32 v3, v3
	s_mov_b32 s10, 0x2f800000
	v_mul_f32_e64 v4, |v3|, s10
	v_floor_f32_e32 v4, v4
	s_mov_b32 s10, 0xcf800000
	v_fma_f32 v4, v4, s10, |v3|
	v_cvt_u32_f32_e32 v4, v4
	v_ashrrev_i32_e32 v3, 31, v3
	v_xor_b32_e32 v4, v4, v3
	v_sub_u32_e32 v3, v4, v3
.LBB7_186:
	s_or_b64 exec, exec, s[2:3]
	s_mov_b64 s[2:3], 0
	s_branch .LBB7_192
.LBB7_187:
	s_mov_b64 s[10:11], -1
                                        ; implicit-def: $vgpr3
	s_branch .LBB7_198
.LBB7_188:
	s_andn2_saveexec_b64 s[2:3], s[2:3]
	s_cbranch_execz .LBB7_174
.LBB7_189:
	v_cmp_ne_u16_e32 vcc, 0, v4
	s_andn2_b64 s[10:11], s[10:11], exec
	s_and_b64 s[14:15], vcc, exec
	s_or_b64 s[10:11], s[10:11], s[14:15]
	s_or_b64 exec, exec, s[2:3]
	v_mov_b32_e32 v3, 0
	s_and_saveexec_b64 s[2:3], s[10:11]
	s_cbranch_execnz .LBB7_175
	s_branch .LBB7_176
.LBB7_190:
	s_mov_b64 s[2:3], -1
                                        ; implicit-def: $vgpr3
	s_branch .LBB7_195
.LBB7_191:
	s_mov_b64 s[2:3], -1
                                        ; implicit-def: $vgpr3
.LBB7_192:
	s_and_b64 vcc, exec, s[2:3]
	s_cbranch_vccz .LBB7_194
; %bb.193:
	global_load_ubyte v3, v[1:2], off
	s_mov_b32 s2, 0x7f800000
	s_brev_b32 s3, 1
	s_mov_b32 s10, 0x2f800000
	s_waitcnt vmcnt(0)
	v_lshlrev_b32_e32 v3, 24, v3
	v_and_b32_e32 v4, 0x7f000000, v3
	v_ffbh_u32_e32 v5, v4
	v_min_u32_e32 v5, 32, v5
	v_sub_u32_e64 v5, v5, 4 clamp
	v_lshlrev_b32_e32 v7, v5, v4
	v_lshlrev_b32_e32 v5, 23, v5
	v_lshrrev_b32_e32 v7, 4, v7
	v_add_u32_e32 v6, 0x1000000, v4
	v_sub_u32_e32 v5, v7, v5
	v_ashrrev_i32_e32 v6, 8, v6
	v_add_u32_e32 v5, 0x3c000000, v5
	v_and_or_b32 v5, v6, s2, v5
	v_cmp_ne_u32_e32 vcc, 0, v4
	v_cndmask_b32_e32 v4, 0, v5, vcc
	v_and_or_b32 v3, v3, s3, v4
	v_trunc_f32_e32 v3, v3
	v_mul_f32_e64 v4, |v3|, s10
	v_floor_f32_e32 v4, v4
	s_mov_b32 s2, 0xcf800000
	v_fma_f32 v4, v4, s2, |v3|
	v_cvt_u32_f32_e32 v4, v4
	v_ashrrev_i32_e32 v3, 31, v3
	v_xor_b32_e32 v4, v4, v3
	v_sub_u32_e32 v3, v4, v3
.LBB7_194:
	s_mov_b64 s[2:3], 0
.LBB7_195:
	s_andn2_b64 vcc, exec, s[2:3]
	s_cbranch_vccnz .LBB7_197
; %bb.196:
	global_load_ubyte v3, v[1:2], off
	s_movk_i32 s2, 0x7f00
	s_brev_b32 s3, 16
	s_brev_b32 s10, 1
	s_mov_b32 s11, 0x2f800000
	s_waitcnt vmcnt(0)
	v_lshlrev_b16_e32 v4, 8, v3
	v_lshlrev_b32_e32 v3, 25, v3
	v_lshrrev_b32_e32 v5, 4, v3
	v_and_or_b32 v6, v4, s2, 0.5
	v_or_b32_e32 v5, 0x70000000, v5
	v_add_f32_e32 v6, -0.5, v6
	v_mul_f32_e32 v5, 0x7800000, v5
	v_cmp_gt_u32_e32 vcc, s3, v3
	v_bfe_i32 v4, v4, 0, 16
	v_cndmask_b32_e32 v3, v5, v6, vcc
	v_and_or_b32 v3, v4, s10, v3
	v_trunc_f32_e32 v3, v3
	v_mul_f32_e64 v4, |v3|, s11
	v_floor_f32_e32 v4, v4
	s_mov_b32 s2, 0xcf800000
	v_fma_f32 v4, v4, s2, |v3|
	v_cvt_u32_f32_e32 v4, v4
	v_ashrrev_i32_e32 v3, 31, v3
	v_xor_b32_e32 v4, v4, v3
	v_sub_u32_e32 v3, v4, v3
.LBB7_197:
	s_mov_b64 s[10:11], 0
	s_mov_b64 s[2:3], -1
.LBB7_198:
	s_andn2_b64 vcc, exec, s[10:11]
	s_cbranch_vccnz .LBB7_211
; %bb.199:
	s_cmp_gt_i32 s13, 14
	s_cbranch_scc0 .LBB7_202
; %bb.200:
	s_cmp_eq_u32 s13, 15
	s_cbranch_scc0 .LBB7_205
; %bb.201:
	global_load_ushort v3, v[1:2], off
	s_mov_b32 s2, 0x2f800000
	s_mov_b32 s3, 0xcf800000
	s_mov_b64 s[8:9], 0
	s_waitcnt vmcnt(0)
	v_lshlrev_b32_e32 v3, 16, v3
	v_trunc_f32_e32 v3, v3
	v_mul_f32_e64 v4, |v3|, s2
	v_floor_f32_e32 v4, v4
	v_fma_f32 v4, v4, s3, |v3|
	v_cvt_u32_f32_e32 v4, v4
	v_ashrrev_i32_e32 v3, 31, v3
	s_mov_b64 s[2:3], -1
	v_xor_b32_e32 v4, v4, v3
	v_sub_u32_e32 v3, v4, v3
	s_branch .LBB7_206
.LBB7_202:
	s_mov_b64 s[10:11], -1
                                        ; implicit-def: $vgpr3
	s_branch .LBB7_207
.LBB7_203:
	s_andn2_saveexec_b64 s[2:3], s[2:3]
	s_cbranch_execz .LBB7_184
.LBB7_204:
	v_cmp_ne_u16_e32 vcc, 0, v4
	s_andn2_b64 s[10:11], s[10:11], exec
	s_and_b64 s[14:15], vcc, exec
	s_or_b64 s[10:11], s[10:11], s[14:15]
	s_or_b64 exec, exec, s[2:3]
	v_mov_b32_e32 v3, 0
	s_and_saveexec_b64 s[2:3], s[10:11]
	s_cbranch_execnz .LBB7_185
	s_branch .LBB7_186
.LBB7_205:
	s_mov_b64 s[8:9], -1
                                        ; implicit-def: $vgpr3
.LBB7_206:
	s_mov_b64 s[10:11], 0
.LBB7_207:
	s_and_b64 vcc, exec, s[10:11]
	s_cbranch_vccz .LBB7_211
; %bb.208:
	s_cmp_eq_u32 s13, 11
	s_cbranch_scc0 .LBB7_210
; %bb.209:
	global_load_ubyte v3, v[1:2], off
	s_mov_b64 s[2:3], -1
	s_mov_b64 s[8:9], 0
	s_waitcnt vmcnt(0)
	v_cmp_ne_u16_e32 vcc, 0, v3
	v_cndmask_b32_e64 v3, 0, 1, vcc
	s_branch .LBB7_211
.LBB7_210:
	s_mov_b64 s[8:9], -1
                                        ; implicit-def: $vgpr3
.LBB7_211:
	s_branch .LBB7_24
.LBB7_212:
	s_and_b32 s10, 0xffff, s12
	s_cmp_lt_i32 s10, 5
	s_cbranch_scc1 .LBB7_217
; %bb.213:
	s_cmp_lt_i32 s10, 8
	s_cbranch_scc1 .LBB7_218
; %bb.214:
	;; [unrolled: 3-line block ×3, first 2 shown]
	s_cmp_gt_i32 s10, 9
	s_cbranch_scc0 .LBB7_220
; %bb.216:
	global_load_dwordx2 v[3:4], v[1:2], off
	s_movk_i32 s2, 0xffe0
	s_waitcnt vmcnt(0)
	v_trunc_f64_e32 v[3:4], v[3:4]
	v_ldexp_f64 v[5:6], v[3:4], s2
	s_mov_b32 s2, 0
	s_mov_b32 s3, 0xc1f00000
	v_floor_f64_e32 v[5:6], v[5:6]
	v_fma_f64 v[3:4], v[5:6], s[2:3], v[3:4]
	s_mov_b64 s[2:3], 0
	v_cvt_u32_f64_e32 v3, v[3:4]
	s_branch .LBB7_221
.LBB7_217:
                                        ; implicit-def: $vgpr3
	s_branch .LBB7_239
.LBB7_218:
	s_mov_b64 s[2:3], -1
                                        ; implicit-def: $vgpr3
	s_branch .LBB7_227
.LBB7_219:
	s_mov_b64 s[2:3], -1
                                        ; implicit-def: $vgpr3
	s_branch .LBB7_224
.LBB7_220:
	s_mov_b64 s[2:3], -1
                                        ; implicit-def: $vgpr3
.LBB7_221:
	s_andn2_b64 vcc, exec, s[2:3]
	s_cbranch_vccnz .LBB7_223
; %bb.222:
	global_load_dword v3, v[1:2], off
	s_mov_b32 s2, 0x2f800000
	s_waitcnt vmcnt(0)
	v_trunc_f32_e32 v3, v3
	v_mul_f32_e64 v4, |v3|, s2
	v_floor_f32_e32 v4, v4
	s_mov_b32 s2, 0xcf800000
	v_fma_f32 v4, v4, s2, |v3|
	v_cvt_u32_f32_e32 v4, v4
	v_ashrrev_i32_e32 v3, 31, v3
	v_xor_b32_e32 v4, v4, v3
	v_sub_u32_e32 v3, v4, v3
.LBB7_223:
	s_mov_b64 s[2:3], 0
.LBB7_224:
	s_andn2_b64 vcc, exec, s[2:3]
	s_cbranch_vccnz .LBB7_226
; %bb.225:
	global_load_dword v3, v[1:2], off
	s_waitcnt vmcnt(0)
	v_cvt_f32_f16_e32 v3, v3
	v_cvt_i32_f32_e32 v3, v3
.LBB7_226:
	s_mov_b64 s[2:3], 0
.LBB7_227:
	s_andn2_b64 vcc, exec, s[2:3]
	s_cbranch_vccnz .LBB7_238
; %bb.228:
	s_cmp_lt_i32 s10, 6
	s_cbranch_scc1 .LBB7_231
; %bb.229:
	s_cmp_gt_i32 s10, 6
	s_cbranch_scc0 .LBB7_232
; %bb.230:
	global_load_dwordx2 v[3:4], v[1:2], off
	s_movk_i32 s2, 0xffe0
	s_waitcnt vmcnt(0)
	v_trunc_f64_e32 v[3:4], v[3:4]
	v_ldexp_f64 v[5:6], v[3:4], s2
	s_mov_b32 s2, 0
	s_mov_b32 s3, 0xc1f00000
	v_floor_f64_e32 v[5:6], v[5:6]
	v_fma_f64 v[3:4], v[5:6], s[2:3], v[3:4]
	s_mov_b64 s[2:3], 0
	v_cvt_u32_f64_e32 v3, v[3:4]
	s_branch .LBB7_233
.LBB7_231:
	s_mov_b64 s[2:3], -1
                                        ; implicit-def: $vgpr3
	s_branch .LBB7_236
.LBB7_232:
	s_mov_b64 s[2:3], -1
                                        ; implicit-def: $vgpr3
.LBB7_233:
	s_andn2_b64 vcc, exec, s[2:3]
	s_cbranch_vccnz .LBB7_235
; %bb.234:
	global_load_dword v3, v[1:2], off
	s_mov_b32 s2, 0x2f800000
	s_waitcnt vmcnt(0)
	v_trunc_f32_e32 v3, v3
	v_mul_f32_e64 v4, |v3|, s2
	v_floor_f32_e32 v4, v4
	s_mov_b32 s2, 0xcf800000
	v_fma_f32 v4, v4, s2, |v3|
	v_cvt_u32_f32_e32 v4, v4
	v_ashrrev_i32_e32 v3, 31, v3
	v_xor_b32_e32 v4, v4, v3
	v_sub_u32_e32 v3, v4, v3
.LBB7_235:
	s_mov_b64 s[2:3], 0
.LBB7_236:
	s_andn2_b64 vcc, exec, s[2:3]
	s_cbranch_vccnz .LBB7_238
; %bb.237:
	global_load_ushort v3, v[1:2], off
	s_waitcnt vmcnt(0)
	v_cvt_f32_f16_e32 v3, v3
	v_cvt_i32_f32_e32 v3, v3
.LBB7_238:
	s_cbranch_execnz .LBB7_258
.LBB7_239:
	s_cmp_lt_i32 s10, 2
	s_cbranch_scc1 .LBB7_243
; %bb.240:
	s_cmp_lt_i32 s10, 3
	s_cbranch_scc1 .LBB7_244
; %bb.241:
	s_cmp_gt_i32 s10, 3
	s_cbranch_scc0 .LBB7_245
; %bb.242:
	global_load_dwordx2 v[3:4], v[1:2], off
	s_mov_b64 s[2:3], 0
	s_branch .LBB7_246
.LBB7_243:
	s_mov_b64 s[2:3], -1
                                        ; implicit-def: $vgpr3
	s_branch .LBB7_252
.LBB7_244:
	s_mov_b64 s[2:3], -1
                                        ; implicit-def: $vgpr3
	s_branch .LBB7_249
.LBB7_245:
	s_mov_b64 s[2:3], -1
                                        ; implicit-def: $vgpr3
.LBB7_246:
	s_andn2_b64 vcc, exec, s[2:3]
	s_cbranch_vccnz .LBB7_248
; %bb.247:
	global_load_dword v3, v[1:2], off
.LBB7_248:
	s_mov_b64 s[2:3], 0
.LBB7_249:
	s_andn2_b64 vcc, exec, s[2:3]
	s_cbranch_vccnz .LBB7_251
; %bb.250:
	global_load_ushort v3, v[1:2], off
.LBB7_251:
	s_mov_b64 s[2:3], 0
.LBB7_252:
	s_andn2_b64 vcc, exec, s[2:3]
	s_cbranch_vccnz .LBB7_258
; %bb.253:
	s_cmp_gt_i32 s10, 0
	s_cbranch_scc0 .LBB7_255
; %bb.254:
	global_load_ubyte v3, v[1:2], off
	s_mov_b64 s[2:3], 0
	s_branch .LBB7_256
.LBB7_255:
	s_mov_b64 s[2:3], -1
                                        ; implicit-def: $vgpr3
.LBB7_256:
	s_andn2_b64 vcc, exec, s[2:3]
	s_cbranch_vccnz .LBB7_258
; %bb.257:
	global_load_ubyte v3, v[1:2], off
.LBB7_258:
	s_branch .LBB7_25
.LBB7_259:
	s_mov_b64 s[2:3], 0
.LBB7_260:
	s_mov_b64 s[10:11], 0
                                        ; implicit-def: $vgpr11
.LBB7_261:
	s_and_b64 s[60:61], s[2:3], exec
	s_and_b64 s[62:63], s[8:9], exec
	s_orn2_b64 s[2:3], s[10:11], exec
.LBB7_262:
	s_or_b64 exec, exec, s[64:65]
	s_mov_b64 s[12:13], 0
	s_mov_b64 s[10:11], 0
                                        ; implicit-def: $sgpr18
                                        ; implicit-def: $vgpr1_vgpr2
                                        ; implicit-def: $vgpr0
                                        ; implicit-def: $vgpr3
	s_and_saveexec_b64 s[64:65], s[2:3]
	s_cbranch_execz .LBB7_269
; %bb.263:
	v_cmp_gt_i32_e32 vcc, s76, v11
	s_mov_b64 s[2:3], -1
	s_mov_b64 s[66:67], s[62:63]
	s_mov_b64 s[68:69], s[60:61]
	s_and_saveexec_b64 s[70:71], vcc
	s_cbranch_execz .LBB7_534
; %bb.264:
	s_andn2_b64 vcc, exec, s[44:45]
	s_cbranch_vccnz .LBB7_272
; %bb.265:
	s_andn2_b64 vcc, exec, s[58:59]
	s_cbranch_vccnz .LBB7_273
; %bb.266:
	s_add_i32 s50, s80, 1
	s_cmp_eq_u32 s78, 2
	s_cbranch_scc1 .LBB7_274
; %bb.267:
	s_and_b32 s49, s50, 28
	v_mov_b32_e32 v2, 0
	s_mov_b32 s68, 0
	s_mov_b64 s[2:3], s[34:35]
	s_mov_b64 s[66:67], s[56:57]
	v_mov_b32_e32 v0, 0
	v_mov_b32_e32 v1, v11
.LBB7_268:                              ; =>This Inner Loop Header: Depth=1
	s_load_dwordx8 s[16:23], s[2:3], 0x4
	s_load_dwordx4 s[40:43], s[2:3], 0x24
	s_load_dwordx8 s[8:15], s[66:67], 0x0
	s_add_u32 s2, s2, 48
	s_addc_u32 s3, s3, 0
	s_waitcnt vmcnt(0) lgkmcnt(0)
	v_mul_hi_u32 v3, s17, v1
	s_add_i32 s68, s68, 4
	s_add_u32 s66, s66, 32
	s_addc_u32 s67, s67, 0
	v_add_u32_e32 v3, v1, v3
	v_lshrrev_b32_e32 v3, s18, v3
	v_mul_lo_u32 v4, v3, s16
	v_mul_hi_u32 v5, s20, v3
	s_cmp_eq_u32 s49, s68
	v_sub_u32_e32 v1, v1, v4
	v_add_u32_e32 v4, v3, v5
	v_mul_lo_u32 v5, v1, s8
	v_mul_lo_u32 v6, v1, s9
	v_lshrrev_b32_e32 v1, s21, v4
	v_mul_lo_u32 v4, v1, s19
	v_mul_hi_u32 v7, s23, v1
	v_sub_u32_e32 v3, v3, v4
	v_add_u32_e32 v4, v1, v7
	v_lshrrev_b32_e32 v4, s40, v4
	v_mul_hi_u32 v8, s42, v4
	v_mul_lo_u32 v9, v4, s22
	v_mul_lo_u32 v7, v3, s10
	;; [unrolled: 1-line block ×3, first 2 shown]
	v_sub_u32_e32 v9, v1, v9
	v_add_u32_e32 v1, v4, v8
	v_lshrrev_b32_e32 v1, s43, v1
	v_mul_lo_u32 v8, v1, s41
	v_mul_lo_u32 v10, v9, s12
	;; [unrolled: 1-line block ×3, first 2 shown]
	v_add3_u32 v0, v5, v0, v7
	v_sub_u32_e32 v4, v4, v8
	v_mul_lo_u32 v8, v4, s14
	v_mul_lo_u32 v4, v4, s15
	v_add3_u32 v2, v6, v2, v3
	v_add3_u32 v0, v10, v0, v8
	;; [unrolled: 1-line block ×3, first 2 shown]
	s_cbranch_scc0 .LBB7_268
	s_branch .LBB7_275
.LBB7_269:
	s_or_b64 exec, exec, s[64:65]
	s_mov_b64 s[2:3], 0
	s_and_saveexec_b64 s[8:9], s[62:63]
	s_cbranch_execnz .LBB7_902
.LBB7_270:
	s_or_b64 exec, exec, s[8:9]
	s_and_saveexec_b64 s[8:9], s[68:69]
	s_xor_b64 s[8:9], exec, s[8:9]
	s_cbranch_execz .LBB7_903
.LBB7_271:
	global_load_ubyte v3, v[1:2], off
	s_or_b64 s[10:11], s[10:11], exec
	s_waitcnt vmcnt(0)
	v_cmp_ne_u16_e32 vcc, 0, v3
	v_cndmask_b32_e64 v3, 0, 1, vcc
	s_or_b64 exec, exec, s[8:9]
	s_and_saveexec_b64 s[8:9], s[12:13]
	s_cbranch_execz .LBB7_949
	s_branch .LBB7_904
.LBB7_272:
                                        ; implicit-def: $vgpr0
                                        ; implicit-def: $vgpr2
	s_andn2_b64 vcc, exec, s[2:3]
	s_cbranch_vccz .LBB7_279
	s_branch .LBB7_281
.LBB7_273:
	v_mov_b32_e32 v0, 0
	v_mov_b32_e32 v2, 0
	s_branch .LBB7_278
.LBB7_274:
	s_mov_b32 s49, 0
	v_mov_b32_e32 v0, 0
	v_mov_b32_e32 v2, 0
	;; [unrolled: 1-line block ×3, first 2 shown]
.LBB7_275:
	s_and_b32 s10, s50, 3
	s_cmp_eq_u32 s10, 0
	s_cbranch_scc1 .LBB7_278
; %bb.276:
	s_lshl_b32 s2, s49, 3
	s_add_u32 s2, s34, s2
	s_addc_u32 s3, s35, 0
	s_add_u32 s2, s2, 0xc4
	s_addc_u32 s3, s3, 0
	s_mul_i32 s8, s49, 12
	s_add_u32 s8, s34, s8
	s_addc_u32 s9, s35, 0
.LBB7_277:                              ; =>This Inner Loop Header: Depth=1
	s_load_dwordx2 s[12:13], s[8:9], 0x4
	s_load_dword s11, s[8:9], 0xc
	s_load_dwordx2 s[14:15], s[2:3], 0x0
	s_add_u32 s8, s8, 12
	s_addc_u32 s9, s9, 0
	s_waitcnt vmcnt(0) lgkmcnt(0)
	v_mul_hi_u32 v3, s13, v1
	s_add_u32 s2, s2, 8
	s_addc_u32 s3, s3, 0
	s_add_i32 s10, s10, -1
	v_add_u32_e32 v3, v1, v3
	v_lshrrev_b32_e32 v4, s11, v3
	v_mul_lo_u32 v3, v4, s12
	s_cmp_lg_u32 s10, 0
	v_sub_u32_e32 v3, v1, v3
	v_mad_u64_u32 v[0:1], s[12:13], v3, s14, v[0:1]
	v_mad_u64_u32 v[2:3], s[12:13], v3, s15, v[2:3]
	v_mov_b32_e32 v1, v4
	s_cbranch_scc1 .LBB7_277
.LBB7_278:
	s_cbranch_execnz .LBB7_281
.LBB7_279:
	v_mul_hi_u32 v0, s29, v11
	s_andn2_b64 vcc, exec, s[54:55]
	v_add_u32_e32 v0, v11, v0
	v_lshrrev_b32_e32 v1, s30, v0
	v_mul_lo_u32 v0, v1, s28
	v_sub_u32_e32 v2, v11, v0
	v_mul_lo_u32 v0, v2, s36
	v_mul_lo_u32 v2, v2, s37
	s_cbranch_vccnz .LBB7_281
; %bb.280:
	s_waitcnt vmcnt(0)
	v_mul_hi_u32 v3, s52, v1
	v_add_u32_e32 v3, v1, v3
	v_lshrrev_b32_e32 v3, s53, v3
	v_mul_lo_u32 v3, v3, s31
	v_sub_u32_e32 v3, v1, v3
	v_mad_u64_u32 v[0:1], s[2:3], v3, s38, v[0:1]
	v_mad_u64_u32 v[2:3], s[2:3], v3, s39, v[2:3]
.LBB7_281:
	s_waitcnt vmcnt(0)
	v_mov_b32_e32 v3, s27
	s_and_b32 s12, s51, 0xff
	v_add_co_u32_e32 v1, vcc, s26, v2
	s_cmp_lt_i32 s12, 11
	v_addc_co_u32_e32 v2, vcc, 0, v3, vcc
	s_cbranch_scc1 .LBB7_288
; %bb.282:
	s_and_b32 s13, 0xffff, s12
	s_cmp_gt_i32 s13, 25
	s_cbranch_scc0 .LBB7_297
; %bb.283:
	s_cmp_gt_i32 s13, 28
	s_cbranch_scc0 .LBB7_299
; %bb.284:
	s_cmp_gt_i32 s13, 43
	s_cbranch_scc0 .LBB7_301
; %bb.285:
	s_cmp_gt_i32 s13, 45
	s_cbranch_scc0 .LBB7_305
; %bb.286:
	s_cmp_eq_u32 s13, 46
	s_mov_b64 s[10:11], 0
	s_cbranch_scc0 .LBB7_309
; %bb.287:
	global_load_dword v3, v[1:2], off
	s_mov_b32 s2, 0x2f800000
	s_mov_b32 s3, 0xcf800000
	s_mov_b64 s[8:9], 0
	s_waitcnt vmcnt(0)
	v_lshlrev_b32_e32 v3, 16, v3
	v_trunc_f32_e32 v3, v3
	v_mul_f32_e64 v4, |v3|, s2
	v_floor_f32_e32 v4, v4
	v_fma_f32 v4, v4, s3, |v3|
	v_cvt_u32_f32_e32 v4, v4
	v_ashrrev_i32_e32 v3, 31, v3
	s_mov_b64 s[2:3], -1
	v_xor_b32_e32 v4, v4, v3
	v_sub_u32_e32 v3, v4, v3
	s_branch .LBB7_310
.LBB7_288:
	s_mov_b64 s[2:3], 0
                                        ; implicit-def: $vgpr3
	s_mov_b64 s[8:9], s[62:63]
	s_cbranch_execnz .LBB7_483
.LBB7_289:
	s_andn2_b64 vcc, exec, s[2:3]
	s_cbranch_vccnz .LBB7_531
.LBB7_290:
	v_mov_b32_e32 v1, s79
	s_waitcnt vmcnt(0)
	v_cndmask_b32_e64 v2, v1, v3, s[0:1]
	v_mov_b32_e32 v1, s25
	s_and_b32 s16, s48, 0xff
	v_add_co_u32_e32 v0, vcc, s24, v0
	s_cmp_lt_i32 s16, 11
	v_addc_co_u32_e32 v1, vcc, 0, v1, vcc
	s_cbranch_scc1 .LBB7_298
; %bb.291:
	s_and_b32 s17, 0xffff, s16
	s_cmp_gt_i32 s17, 25
	s_cbranch_scc0 .LBB7_300
; %bb.292:
	s_cmp_gt_i32 s17, 28
	s_cbranch_scc0 .LBB7_302
; %bb.293:
	;; [unrolled: 3-line block ×4, first 2 shown]
	s_mov_b64 s[12:13], 0
	s_mov_b64 s[2:3], -1
	s_cmp_eq_u32 s17, 46
	s_mov_b64 s[10:11], 0
	s_cbranch_scc0 .LBB7_314
; %bb.296:
	v_cvt_f32_ubyte0_e32 v3, v2
	v_bfe_u32 v4, v3, 16, 1
	s_movk_i32 s2, 0x7fff
	v_add3_u32 v3, v3, v4, s2
	v_lshrrev_b32_e32 v3, 16, v3
	global_store_dword v[0:1], v3, off
	s_mov_b64 s[10:11], -1
	s_mov_b64 s[2:3], 0
	s_branch .LBB7_314
.LBB7_297:
	s_mov_b64 s[10:11], -1
	s_mov_b64 s[2:3], 0
	s_mov_b64 s[8:9], s[62:63]
                                        ; implicit-def: $vgpr3
	s_branch .LBB7_449
.LBB7_298:
	s_mov_b64 s[12:13], -1
	s_mov_b64 s[10:11], 0
	s_mov_b64 s[2:3], s[60:61]
	s_branch .LBB7_383
.LBB7_299:
	s_mov_b64 s[10:11], -1
	s_mov_b64 s[2:3], 0
	s_mov_b64 s[8:9], s[62:63]
                                        ; implicit-def: $vgpr3
	s_branch .LBB7_432
.LBB7_300:
	s_mov_b64 s[12:13], -1
	s_mov_b64 s[10:11], 0
	s_mov_b64 s[2:3], s[60:61]
	s_branch .LBB7_341
.LBB7_301:
	s_mov_b64 s[10:11], -1
	s_mov_b64 s[2:3], 0
	s_mov_b64 s[8:9], s[62:63]
                                        ; implicit-def: $vgpr3
	s_branch .LBB7_427
.LBB7_302:
	s_mov_b64 s[12:13], -1
	s_mov_b64 s[10:11], 0
	s_mov_b64 s[2:3], s[60:61]
	s_branch .LBB7_324
.LBB7_303:
	s_andn2_saveexec_b64 s[14:15], s[14:15]
	s_cbranch_execz .LBB7_68
.LBB7_304:
	v_add_f32_e32 v3, 0x46000000, v4
	v_and_b32_e32 v3, 0xff, v3
	v_cmp_ne_u32_e32 vcc, 0, v3
	s_andn2_b64 s[12:13], s[12:13], exec
	s_and_b64 s[18:19], vcc, exec
	s_or_b64 s[12:13], s[12:13], s[18:19]
	s_or_b64 exec, exec, s[14:15]
	v_mov_b32_e32 v5, 0
	s_and_saveexec_b64 s[14:15], s[12:13]
	s_cbranch_execnz .LBB7_69
	s_branch .LBB7_70
.LBB7_305:
	s_mov_b64 s[10:11], -1
	s_mov_b64 s[2:3], 0
	s_mov_b64 s[8:9], s[62:63]
                                        ; implicit-def: $vgpr3
	s_branch .LBB7_310
.LBB7_306:
	s_mov_b64 s[12:13], -1
	s_mov_b64 s[10:11], 0
	s_mov_b64 s[2:3], s[60:61]
	s_branch .LBB7_320
.LBB7_307:
	s_andn2_saveexec_b64 s[14:15], s[14:15]
	s_cbranch_execz .LBB7_81
.LBB7_308:
	v_add_f32_e32 v3, 0x42800000, v4
	v_and_b32_e32 v3, 0xff, v3
	v_cmp_ne_u32_e32 vcc, 0, v3
	s_andn2_b64 s[12:13], s[12:13], exec
	s_and_b64 s[18:19], vcc, exec
	s_or_b64 s[12:13], s[12:13], s[18:19]
	s_or_b64 exec, exec, s[14:15]
	v_mov_b32_e32 v5, 0
	s_and_saveexec_b64 s[14:15], s[12:13]
	s_cbranch_execnz .LBB7_82
	s_branch .LBB7_83
.LBB7_309:
	s_mov_b64 s[8:9], -1
                                        ; implicit-def: $vgpr3
	s_mov_b64 s[2:3], 0
.LBB7_310:
	s_and_b64 vcc, exec, s[10:11]
	s_cbranch_vccz .LBB7_426
; %bb.311:
	s_cmp_eq_u32 s13, 44
	s_cbranch_scc0 .LBB7_425
; %bb.312:
	global_load_ubyte v3, v[1:2], off
	s_mov_b32 s2, 0x2f800000
	s_mov_b32 s3, 0xcf800000
	s_mov_b64 s[8:9], 0
	s_waitcnt vmcnt(0)
	v_lshlrev_b32_e32 v4, 23, v3
	v_trunc_f32_e32 v4, v4
	v_mul_f32_e64 v5, |v4|, s2
	v_floor_f32_e32 v5, v5
	v_fma_f32 v5, v5, s3, |v4|
	v_cvt_u32_f32_e32 v5, v5
	v_ashrrev_i32_e32 v4, 31, v4
	v_cmp_ne_u32_e32 vcc, 0, v3
	s_mov_b64 s[2:3], -1
	v_xor_b32_e32 v5, v5, v4
	v_sub_u32_e32 v4, v5, v4
	v_cndmask_b32_e32 v3, 0, v4, vcc
	s_branch .LBB7_426
.LBB7_313:
	s_mov_b64 s[12:13], -1
	s_mov_b64 s[10:11], 0
	s_mov_b64 s[2:3], s[60:61]
.LBB7_314:
	s_and_b64 vcc, exec, s[12:13]
	s_cbranch_vccz .LBB7_319
; %bb.315:
	s_cmp_eq_u32 s17, 44
	s_mov_b64 s[2:3], -1
	s_cbranch_scc0 .LBB7_319
; %bb.316:
	v_cvt_f32_ubyte0_e32 v4, v2
	v_lshrrev_b32_e32 v3, 23, v4
	s_movk_i32 s2, 0xff
	v_cmp_ne_u32_e32 vcc, s2, v3
	v_mov_b32_e32 v5, 0xff
	s_and_saveexec_b64 s[10:11], vcc
; %bb.317:
	s_mov_b32 s2, 0x3fffff
	v_and_b32_e32 v5, 0x400000, v4
	v_and_or_b32 v4, v4, s2, v3
	v_cmp_ne_u32_e32 vcc, 0, v5
	v_cmp_ne_u32_e64 s[2:3], 0, v4
	s_and_b64 s[2:3], vcc, s[2:3]
	v_cndmask_b32_e64 v4, 0, 1, s[2:3]
	v_add_u32_e32 v5, v3, v4
; %bb.318:
	s_or_b64 exec, exec, s[10:11]
	s_mov_b64 s[10:11], -1
	s_mov_b64 s[2:3], 0
	global_store_byte v[0:1], v5, off
.LBB7_319:
	s_mov_b64 s[12:13], 0
.LBB7_320:
	s_and_b64 vcc, exec, s[12:13]
	s_cbranch_vccz .LBB7_323
; %bb.321:
	s_cmp_eq_u32 s17, 29
	s_mov_b64 s[2:3], -1
	s_cbranch_scc0 .LBB7_323
; %bb.322:
	v_and_b32_e32 v3, 0xff, v2
	v_mov_b32_e32 v4, 0
	global_store_dwordx2 v[0:1], v[3:4], off
	s_mov_b64 s[10:11], -1
	s_mov_b64 s[2:3], 0
.LBB7_323:
	s_mov_b64 s[12:13], 0
.LBB7_324:
	s_and_b64 vcc, exec, s[12:13]
	s_cbranch_vccz .LBB7_340
; %bb.325:
	s_cmp_lt_i32 s17, 27
	s_mov_b64 s[10:11], -1
	s_cbranch_scc1 .LBB7_331
; %bb.326:
	s_cmp_gt_i32 s17, 27
	s_cbranch_scc0 .LBB7_328
; %bb.327:
	v_and_b32_e32 v3, 0xff, v2
	s_mov_b64 s[10:11], 0
	global_store_dword v[0:1], v3, off
.LBB7_328:
	s_andn2_b64 vcc, exec, s[10:11]
	s_cbranch_vccnz .LBB7_330
; %bb.329:
	v_and_b32_e32 v3, 0xff, v2
	global_store_short v[0:1], v3, off
.LBB7_330:
	s_mov_b64 s[10:11], 0
.LBB7_331:
	s_andn2_b64 vcc, exec, s[10:11]
	s_cbranch_vccnz .LBB7_339
; %bb.332:
	v_cvt_f32_ubyte0_e32 v4, v2
	s_mov_b32 s10, 0x43800000
	v_cmp_gt_u32_e32 vcc, s10, v4
	v_mov_b32_e32 v5, 0x80
	s_and_saveexec_b64 s[10:11], vcc
	s_cbranch_execz .LBB7_338
; %bb.333:
	s_mov_b32 s12, 0x3bffffff
	v_cmp_lt_u32_e32 vcc, s12, v4
	s_mov_b64 s[12:13], 0
                                        ; implicit-def: $vgpr3
	s_and_saveexec_b64 s[14:15], vcc
	s_xor_b64 s[14:15], exec, s[14:15]
	s_cbranch_execz .LBB7_562
; %bb.334:
	v_bfe_u32 v3, v4, 20, 1
	s_mov_b32 s18, 0x487ffff
	v_add3_u32 v3, v4, v3, s18
	s_mov_b64 s[12:13], exec
	v_lshrrev_b32_e32 v3, 20, v3
                                        ; implicit-def: $vgpr4
	s_andn2_saveexec_b64 s[14:15], s[14:15]
	s_cbranch_execnz .LBB7_563
.LBB7_335:
	s_or_b64 exec, exec, s[14:15]
	v_mov_b32_e32 v5, 0
	s_and_saveexec_b64 s[14:15], s[12:13]
.LBB7_336:
	v_mov_b32_e32 v5, v3
.LBB7_337:
	s_or_b64 exec, exec, s[14:15]
.LBB7_338:
	s_or_b64 exec, exec, s[10:11]
	global_store_byte v[0:1], v5, off
.LBB7_339:
	s_mov_b64 s[10:11], -1
.LBB7_340:
	s_mov_b64 s[12:13], 0
.LBB7_341:
	s_and_b64 vcc, exec, s[12:13]
	s_cbranch_vccz .LBB7_382
; %bb.342:
	s_cmp_gt_i32 s17, 22
	s_mov_b64 s[12:13], -1
	s_cbranch_scc0 .LBB7_374
; %bb.343:
	s_cmp_lt_i32 s17, 24
	s_mov_b64 s[10:11], -1
	s_cbranch_scc1 .LBB7_363
; %bb.344:
	s_cmp_gt_i32 s17, 24
	s_cbranch_scc0 .LBB7_352
; %bb.345:
	v_cvt_f32_ubyte0_e32 v4, v2
	s_mov_b32 s10, 0x47800000
	v_cmp_gt_u32_e32 vcc, s10, v4
	v_mov_b32_e32 v5, 0x80
	s_and_saveexec_b64 s[10:11], vcc
	s_cbranch_execz .LBB7_351
; %bb.346:
	s_mov_b32 s12, 0x37ffffff
	v_cmp_lt_u32_e32 vcc, s12, v4
	s_mov_b64 s[12:13], 0
                                        ; implicit-def: $vgpr3
	s_and_saveexec_b64 s[14:15], vcc
	s_xor_b64 s[14:15], exec, s[14:15]
	s_cbranch_execz .LBB7_565
; %bb.347:
	v_bfe_u32 v3, v4, 21, 1
	s_mov_b32 s18, 0x88fffff
	v_add3_u32 v3, v4, v3, s18
	s_mov_b64 s[12:13], exec
	v_lshrrev_b32_e32 v3, 21, v3
                                        ; implicit-def: $vgpr4
	s_andn2_saveexec_b64 s[14:15], s[14:15]
	s_cbranch_execnz .LBB7_566
.LBB7_348:
	s_or_b64 exec, exec, s[14:15]
	v_mov_b32_e32 v5, 0
	s_and_saveexec_b64 s[14:15], s[12:13]
.LBB7_349:
	v_mov_b32_e32 v5, v3
.LBB7_350:
	s_or_b64 exec, exec, s[14:15]
.LBB7_351:
	s_or_b64 exec, exec, s[10:11]
	s_mov_b64 s[10:11], 0
	global_store_byte v[0:1], v5, off
.LBB7_352:
	s_and_b64 vcc, exec, s[10:11]
	s_cbranch_vccz .LBB7_362
; %bb.353:
	v_cvt_f32_ubyte0_e32 v3, v2
	s_mov_b32 s10, 0x43f00000
	v_cmp_gt_u32_e32 vcc, s10, v3
                                        ; implicit-def: $vgpr4
	s_and_saveexec_b64 s[10:11], vcc
	s_xor_b64 s[10:11], exec, s[10:11]
	s_cbranch_execz .LBB7_359
; %bb.354:
	s_mov_b32 s12, 0x3c7fffff
	v_cmp_lt_u32_e32 vcc, s12, v3
                                        ; implicit-def: $vgpr4
	s_and_saveexec_b64 s[12:13], vcc
	s_xor_b64 s[12:13], exec, s[12:13]
; %bb.355:
	v_bfe_u32 v4, v3, 20, 1
	s_mov_b32 s14, 0x407ffff
	v_add3_u32 v3, v3, v4, s14
	v_lshrrev_b32_e32 v4, 20, v3
	v_and_b32_e32 v3, 0xff00000, v3
	s_mov_b32 s14, 0x7f00000
	v_mov_b32_e32 v5, 0x7e
	v_cmp_ne_u32_e32 vcc, s14, v3
	v_cndmask_b32_e32 v4, v5, v4, vcc
                                        ; implicit-def: $vgpr3
; %bb.356:
	s_andn2_saveexec_b64 s[12:13], s[12:13]
; %bb.357:
	v_add_f32_e32 v4, 0x46800000, v3
; %bb.358:
	s_or_b64 exec, exec, s[12:13]
                                        ; implicit-def: $vgpr3
.LBB7_359:
	s_andn2_saveexec_b64 s[10:11], s[10:11]
; %bb.360:
	s_mov_b32 s12, 0x7f800000
	v_mov_b32_e32 v4, 0x7e
	v_mov_b32_e32 v5, 0x7f
	v_cmp_lt_u32_e32 vcc, s12, v3
	v_cndmask_b32_e32 v4, v4, v5, vcc
; %bb.361:
	s_or_b64 exec, exec, s[10:11]
	global_store_byte v[0:1], v4, off
.LBB7_362:
	s_mov_b64 s[10:11], 0
.LBB7_363:
	s_andn2_b64 vcc, exec, s[10:11]
	s_cbranch_vccnz .LBB7_373
; %bb.364:
	v_cvt_f32_ubyte0_e32 v3, v2
	s_mov_b32 s10, 0x47800000
	v_cmp_gt_u32_e32 vcc, s10, v3
                                        ; implicit-def: $vgpr4
	s_and_saveexec_b64 s[10:11], vcc
	s_xor_b64 s[10:11], exec, s[10:11]
	s_cbranch_execz .LBB7_370
; %bb.365:
	s_mov_b32 s12, 0x387fffff
	v_cmp_lt_u32_e32 vcc, s12, v3
                                        ; implicit-def: $vgpr4
	s_and_saveexec_b64 s[12:13], vcc
	s_xor_b64 s[12:13], exec, s[12:13]
; %bb.366:
	v_bfe_u32 v4, v3, 21, 1
	s_mov_b32 s14, 0x80fffff
	v_add3_u32 v3, v3, v4, s14
	v_lshrrev_b32_e32 v4, 21, v3
                                        ; implicit-def: $vgpr3
; %bb.367:
	s_andn2_saveexec_b64 s[12:13], s[12:13]
; %bb.368:
	v_add_f32_e32 v4, 0x43000000, v3
; %bb.369:
	s_or_b64 exec, exec, s[12:13]
                                        ; implicit-def: $vgpr3
.LBB7_370:
	s_andn2_saveexec_b64 s[10:11], s[10:11]
; %bb.371:
	s_mov_b32 s12, 0x7f800000
	v_mov_b32_e32 v4, 0x7c
	v_mov_b32_e32 v5, 0x7f
	v_cmp_lt_u32_e32 vcc, s12, v3
	v_cndmask_b32_e32 v4, v4, v5, vcc
; %bb.372:
	s_or_b64 exec, exec, s[10:11]
	global_store_byte v[0:1], v4, off
.LBB7_373:
	s_mov_b64 s[12:13], 0
	s_mov_b64 s[10:11], -1
.LBB7_374:
	s_andn2_b64 vcc, exec, s[12:13]
	s_cbranch_vccnz .LBB7_382
; %bb.375:
	s_cmp_gt_i32 s17, 14
	s_mov_b64 s[12:13], -1
	s_cbranch_scc0 .LBB7_379
; %bb.376:
	s_cmp_eq_u32 s17, 15
	s_mov_b64 s[2:3], -1
	s_cbranch_scc0 .LBB7_378
; %bb.377:
	v_cvt_f32_ubyte0_e32 v3, v2
	v_bfe_u32 v4, v3, 16, 1
	s_movk_i32 s2, 0x7fff
	v_add3_u32 v3, v3, v4, s2
	global_store_short_d16_hi v[0:1], v3, off
	s_mov_b64 s[10:11], -1
	s_mov_b64 s[2:3], 0
.LBB7_378:
	s_mov_b64 s[12:13], 0
.LBB7_379:
	s_and_b64 vcc, exec, s[12:13]
	s_cbranch_vccz .LBB7_382
; %bb.380:
	s_cmp_eq_u32 s17, 11
	s_mov_b64 s[2:3], -1
	s_cbranch_scc0 .LBB7_382
; %bb.381:
	v_mov_b32_e32 v3, 0
	v_cmp_ne_u16_sdwa s[2:3], v2, v3 src0_sel:BYTE_0 src1_sel:DWORD
	v_cndmask_b32_e64 v3, 0, 1, s[2:3]
	s_mov_b64 s[10:11], -1
	s_mov_b64 s[2:3], 0
	global_store_byte v[0:1], v3, off
.LBB7_382:
	s_mov_b64 s[12:13], 0
.LBB7_383:
	s_and_b64 vcc, exec, s[12:13]
	s_cbranch_vccz .LBB7_422
; %bb.384:
	s_and_b32 s12, 0xffff, s16
	s_cmp_lt_i32 s12, 5
	s_mov_b64 s[10:11], -1
	s_cbranch_scc1 .LBB7_405
; %bb.385:
	s_cmp_lt_i32 s12, 8
	s_cbranch_scc1 .LBB7_395
; %bb.386:
	s_cmp_lt_i32 s12, 9
	s_cbranch_scc1 .LBB7_392
; %bb.387:
	s_cmp_gt_i32 s12, 9
	s_cbranch_scc0 .LBB7_389
; %bb.388:
	s_mov_b32 s10, 0xffff
	v_and_b32_sdwa v3, s10, v2 dst_sel:DWORD dst_unused:UNUSED_PAD src0_sel:DWORD src1_sel:BYTE_0
	v_cvt_f64_u32_e32 v[3:4], v3
	v_mov_b32_e32 v5, 0
	v_mov_b32_e32 v6, v5
	s_mov_b64 s[10:11], 0
	global_store_dwordx4 v[0:1], v[3:6], off
.LBB7_389:
	s_andn2_b64 vcc, exec, s[10:11]
	s_cbranch_vccnz .LBB7_391
; %bb.390:
	v_cvt_f32_ubyte0_e32 v3, v2
	v_mov_b32_e32 v4, 0
	global_store_dwordx2 v[0:1], v[3:4], off
.LBB7_391:
	s_mov_b64 s[10:11], 0
.LBB7_392:
	s_andn2_b64 vcc, exec, s[10:11]
	s_cbranch_vccnz .LBB7_394
; %bb.393:
	v_cvt_f16_u16_sdwa v3, v2 dst_sel:DWORD dst_unused:UNUSED_PAD src0_sel:BYTE_0
	global_store_dword v[0:1], v3, off
.LBB7_394:
	s_mov_b64 s[10:11], 0
.LBB7_395:
	s_andn2_b64 vcc, exec, s[10:11]
	s_cbranch_vccnz .LBB7_404
; %bb.396:
	s_cmp_lt_i32 s12, 6
	s_mov_b64 s[10:11], -1
	s_cbranch_scc1 .LBB7_402
; %bb.397:
	s_cmp_gt_i32 s12, 6
	s_cbranch_scc0 .LBB7_399
; %bb.398:
	s_mov_b32 s10, 0xffff
	v_and_b32_sdwa v3, s10, v2 dst_sel:DWORD dst_unused:UNUSED_PAD src0_sel:DWORD src1_sel:BYTE_0
	v_cvt_f64_u32_e32 v[3:4], v3
	s_mov_b64 s[10:11], 0
	global_store_dwordx2 v[0:1], v[3:4], off
.LBB7_399:
	s_andn2_b64 vcc, exec, s[10:11]
	s_cbranch_vccnz .LBB7_401
; %bb.400:
	v_cvt_f32_ubyte0_e32 v3, v2
	global_store_dword v[0:1], v3, off
.LBB7_401:
	s_mov_b64 s[10:11], 0
.LBB7_402:
	s_andn2_b64 vcc, exec, s[10:11]
	s_cbranch_vccnz .LBB7_404
; %bb.403:
	v_cvt_f16_u16_sdwa v3, v2 dst_sel:DWORD dst_unused:UNUSED_PAD src0_sel:BYTE_0
	global_store_short v[0:1], v3, off
.LBB7_404:
	s_mov_b64 s[10:11], 0
.LBB7_405:
	s_andn2_b64 vcc, exec, s[10:11]
	s_cbranch_vccnz .LBB7_421
; %bb.406:
	s_cmp_lt_i32 s12, 2
	s_mov_b64 s[10:11], -1
	s_cbranch_scc1 .LBB7_416
; %bb.407:
	s_cmp_lt_i32 s12, 3
	s_cbranch_scc1 .LBB7_413
; %bb.408:
	s_cmp_gt_i32 s12, 3
	s_cbranch_scc0 .LBB7_410
; %bb.409:
	v_and_b32_e32 v3, 0xff, v2
	v_mov_b32_e32 v4, 0
	s_mov_b64 s[10:11], 0
	global_store_dwordx2 v[0:1], v[3:4], off
.LBB7_410:
	s_andn2_b64 vcc, exec, s[10:11]
	s_cbranch_vccnz .LBB7_412
; %bb.411:
	v_and_b32_e32 v3, 0xff, v2
	global_store_dword v[0:1], v3, off
.LBB7_412:
	s_mov_b64 s[10:11], 0
.LBB7_413:
	s_andn2_b64 vcc, exec, s[10:11]
	s_cbranch_vccnz .LBB7_415
; %bb.414:
	v_and_b32_e32 v3, 0xff, v2
	global_store_short v[0:1], v3, off
.LBB7_415:
	s_mov_b64 s[10:11], 0
.LBB7_416:
	s_andn2_b64 vcc, exec, s[10:11]
	s_cbranch_vccnz .LBB7_421
; %bb.417:
	s_cmp_gt_i32 s12, 0
	s_mov_b64 s[10:11], -1
	s_cbranch_scc0 .LBB7_419
; %bb.418:
	s_mov_b64 s[10:11], 0
	global_store_byte v[0:1], v2, off
.LBB7_419:
	s_andn2_b64 vcc, exec, s[10:11]
	s_cbranch_vccnz .LBB7_421
; %bb.420:
	global_store_byte v[0:1], v2, off
.LBB7_421:
	s_mov_b64 s[10:11], -1
.LBB7_422:
	s_andn2_b64 vcc, exec, s[10:11]
	s_cbranch_vccnz .LBB7_424
; %bb.423:
	v_add_u32_e32 v11, 0x80, v11
	s_mov_b64 s[10:11], -1
	s_branch .LBB7_533
.LBB7_424:
	s_mov_b64 s[10:11], 0
	s_branch .LBB7_532
.LBB7_425:
	s_mov_b64 s[8:9], -1
                                        ; implicit-def: $vgpr3
.LBB7_426:
	s_mov_b64 s[10:11], 0
.LBB7_427:
	s_and_b64 vcc, exec, s[10:11]
	s_cbranch_vccz .LBB7_431
; %bb.428:
	s_cmp_eq_u32 s13, 29
	s_cbranch_scc0 .LBB7_430
; %bb.429:
	global_load_dwordx2 v[3:4], v[1:2], off
	s_mov_b64 s[2:3], -1
	s_mov_b64 s[8:9], 0
	s_branch .LBB7_431
.LBB7_430:
	s_mov_b64 s[8:9], -1
                                        ; implicit-def: $vgpr3
.LBB7_431:
	s_mov_b64 s[10:11], 0
.LBB7_432:
	s_and_b64 vcc, exec, s[10:11]
	s_cbranch_vccz .LBB7_448
; %bb.433:
	s_cmp_lt_i32 s13, 27
	s_cbranch_scc1 .LBB7_436
; %bb.434:
	s_cmp_gt_i32 s13, 27
	s_cbranch_scc0 .LBB7_437
; %bb.435:
	global_load_dword v3, v[1:2], off
	s_mov_b64 s[2:3], 0
	s_branch .LBB7_438
.LBB7_436:
	s_mov_b64 s[2:3], -1
                                        ; implicit-def: $vgpr3
	s_branch .LBB7_441
.LBB7_437:
	s_mov_b64 s[2:3], -1
                                        ; implicit-def: $vgpr3
.LBB7_438:
	s_andn2_b64 vcc, exec, s[2:3]
	s_cbranch_vccnz .LBB7_440
; %bb.439:
	global_load_ushort v3, v[1:2], off
.LBB7_440:
	s_mov_b64 s[2:3], 0
.LBB7_441:
	s_andn2_b64 vcc, exec, s[2:3]
	s_cbranch_vccnz .LBB7_447
; %bb.442:
	global_load_ubyte v4, v[1:2], off
	s_movk_i32 s2, 0x7f
	s_mov_b64 s[10:11], 0
	s_waitcnt vmcnt(0)
	v_cmp_lt_i16_e32 vcc, s2, v4
	s_and_saveexec_b64 s[2:3], vcc
	s_xor_b64 s[2:3], exec, s[2:3]
	s_cbranch_execz .LBB7_459
; %bb.443:
	s_movk_i32 s10, 0x80
	v_cmp_ne_u16_e32 vcc, s10, v4
	s_and_b64 s[10:11], vcc, exec
	s_andn2_saveexec_b64 s[2:3], s[2:3]
	s_cbranch_execnz .LBB7_460
.LBB7_444:
	s_or_b64 exec, exec, s[2:3]
	v_mov_b32_e32 v3, 0
	s_and_saveexec_b64 s[2:3], s[10:11]
	s_cbranch_execz .LBB7_446
.LBB7_445:
	v_lshlrev_b32_e32 v3, 24, v4
	v_and_b32_e32 v4, 0xffff, v4
	v_and_b32_e32 v5, 7, v4
	v_ffbh_u32_e32 v7, v5
	v_min_u32_e32 v7, 32, v7
	v_subrev_u32_e32 v8, 28, v7
	v_bfe_u32 v6, v4, 3, 4
	v_lshlrev_b32_e32 v4, v8, v4
	v_sub_u32_e32 v7, 29, v7
	v_and_b32_e32 v4, 7, v4
	v_cmp_eq_u32_e32 vcc, 0, v6
	v_cndmask_b32_e32 v6, v6, v7, vcc
	v_cndmask_b32_e32 v4, v5, v4, vcc
	v_mov_b32_e32 v5, 0x3b800000
	v_lshlrev_b32_e32 v4, 20, v4
	v_and_b32_e32 v3, 0x80000000, v3
	v_lshl_add_u32 v5, v6, 23, v5
	v_or3_b32 v3, v3, v5, v4
	v_trunc_f32_e32 v3, v3
	s_mov_b32 s10, 0x2f800000
	v_mul_f32_e64 v4, |v3|, s10
	v_floor_f32_e32 v4, v4
	s_mov_b32 s10, 0xcf800000
	v_fma_f32 v4, v4, s10, |v3|
	v_cvt_u32_f32_e32 v4, v4
	v_ashrrev_i32_e32 v3, 31, v3
	v_xor_b32_e32 v4, v4, v3
	v_sub_u32_e32 v3, v4, v3
.LBB7_446:
	s_or_b64 exec, exec, s[2:3]
.LBB7_447:
	s_mov_b64 s[2:3], -1
.LBB7_448:
	s_mov_b64 s[10:11], 0
.LBB7_449:
	s_and_b64 vcc, exec, s[10:11]
	s_cbranch_vccz .LBB7_482
; %bb.450:
	s_cmp_gt_i32 s13, 22
	s_cbranch_scc0 .LBB7_458
; %bb.451:
	s_cmp_lt_i32 s13, 24
	s_cbranch_scc1 .LBB7_461
; %bb.452:
	s_cmp_gt_i32 s13, 24
	s_cbranch_scc0 .LBB7_462
; %bb.453:
	global_load_ubyte v4, v[1:2], off
	s_movk_i32 s2, 0x7f
	s_mov_b64 s[10:11], 0
	s_waitcnt vmcnt(0)
	v_cmp_lt_i16_e32 vcc, s2, v4
	s_and_saveexec_b64 s[2:3], vcc
	s_xor_b64 s[2:3], exec, s[2:3]
	s_cbranch_execz .LBB7_474
; %bb.454:
	s_movk_i32 s10, 0x80
	v_cmp_ne_u16_e32 vcc, s10, v4
	s_and_b64 s[10:11], vcc, exec
	s_andn2_saveexec_b64 s[2:3], s[2:3]
	s_cbranch_execnz .LBB7_475
.LBB7_455:
	s_or_b64 exec, exec, s[2:3]
	v_mov_b32_e32 v3, 0
	s_and_saveexec_b64 s[2:3], s[10:11]
	s_cbranch_execz .LBB7_457
.LBB7_456:
	v_lshlrev_b32_e32 v3, 24, v4
	v_and_b32_e32 v4, 0xffff, v4
	v_and_b32_e32 v5, 3, v4
	v_ffbh_u32_e32 v7, v5
	v_min_u32_e32 v7, 32, v7
	v_subrev_u32_e32 v8, 29, v7
	v_bfe_u32 v6, v4, 2, 5
	v_lshlrev_b32_e32 v4, v8, v4
	v_sub_u32_e32 v7, 30, v7
	v_and_b32_e32 v4, 3, v4
	v_cmp_eq_u32_e32 vcc, 0, v6
	v_cndmask_b32_e32 v6, v6, v7, vcc
	v_cndmask_b32_e32 v4, v5, v4, vcc
	v_mov_b32_e32 v5, 0x37800000
	v_lshlrev_b32_e32 v4, 21, v4
	v_and_b32_e32 v3, 0x80000000, v3
	v_lshl_add_u32 v5, v6, 23, v5
	v_or3_b32 v3, v3, v5, v4
	v_trunc_f32_e32 v3, v3
	s_mov_b32 s10, 0x2f800000
	v_mul_f32_e64 v4, |v3|, s10
	v_floor_f32_e32 v4, v4
	s_mov_b32 s10, 0xcf800000
	v_fma_f32 v4, v4, s10, |v3|
	v_cvt_u32_f32_e32 v4, v4
	v_ashrrev_i32_e32 v3, 31, v3
	v_xor_b32_e32 v4, v4, v3
	v_sub_u32_e32 v3, v4, v3
.LBB7_457:
	s_or_b64 exec, exec, s[2:3]
	s_mov_b64 s[2:3], 0
	s_branch .LBB7_463
.LBB7_458:
	s_mov_b64 s[10:11], -1
                                        ; implicit-def: $vgpr3
	s_branch .LBB7_469
.LBB7_459:
	s_andn2_saveexec_b64 s[2:3], s[2:3]
	s_cbranch_execz .LBB7_444
.LBB7_460:
	v_cmp_ne_u16_e32 vcc, 0, v4
	s_andn2_b64 s[10:11], s[10:11], exec
	s_and_b64 s[14:15], vcc, exec
	s_or_b64 s[10:11], s[10:11], s[14:15]
	s_or_b64 exec, exec, s[2:3]
	v_mov_b32_e32 v3, 0
	s_and_saveexec_b64 s[2:3], s[10:11]
	s_cbranch_execnz .LBB7_445
	s_branch .LBB7_446
.LBB7_461:
	s_mov_b64 s[2:3], -1
                                        ; implicit-def: $vgpr3
	s_branch .LBB7_466
.LBB7_462:
	s_mov_b64 s[2:3], -1
                                        ; implicit-def: $vgpr3
.LBB7_463:
	s_and_b64 vcc, exec, s[2:3]
	s_cbranch_vccz .LBB7_465
; %bb.464:
	global_load_ubyte v3, v[1:2], off
	s_mov_b32 s2, 0x7f800000
	s_brev_b32 s3, 1
	s_mov_b32 s10, 0x2f800000
	s_waitcnt vmcnt(0)
	v_lshlrev_b32_e32 v3, 24, v3
	v_and_b32_e32 v4, 0x7f000000, v3
	v_ffbh_u32_e32 v5, v4
	v_min_u32_e32 v5, 32, v5
	v_sub_u32_e64 v5, v5, 4 clamp
	v_lshlrev_b32_e32 v7, v5, v4
	v_lshlrev_b32_e32 v5, 23, v5
	v_lshrrev_b32_e32 v7, 4, v7
	v_add_u32_e32 v6, 0x1000000, v4
	v_sub_u32_e32 v5, v7, v5
	v_ashrrev_i32_e32 v6, 8, v6
	v_add_u32_e32 v5, 0x3c000000, v5
	v_and_or_b32 v5, v6, s2, v5
	v_cmp_ne_u32_e32 vcc, 0, v4
	v_cndmask_b32_e32 v4, 0, v5, vcc
	v_and_or_b32 v3, v3, s3, v4
	v_trunc_f32_e32 v3, v3
	v_mul_f32_e64 v4, |v3|, s10
	v_floor_f32_e32 v4, v4
	s_mov_b32 s2, 0xcf800000
	v_fma_f32 v4, v4, s2, |v3|
	v_cvt_u32_f32_e32 v4, v4
	v_ashrrev_i32_e32 v3, 31, v3
	v_xor_b32_e32 v4, v4, v3
	v_sub_u32_e32 v3, v4, v3
.LBB7_465:
	s_mov_b64 s[2:3], 0
.LBB7_466:
	s_andn2_b64 vcc, exec, s[2:3]
	s_cbranch_vccnz .LBB7_468
; %bb.467:
	global_load_ubyte v3, v[1:2], off
	s_movk_i32 s2, 0x7f00
	s_brev_b32 s3, 16
	s_brev_b32 s10, 1
	s_mov_b32 s11, 0x2f800000
	s_waitcnt vmcnt(0)
	v_lshlrev_b16_e32 v4, 8, v3
	v_lshlrev_b32_e32 v3, 25, v3
	v_lshrrev_b32_e32 v5, 4, v3
	v_and_or_b32 v6, v4, s2, 0.5
	v_or_b32_e32 v5, 0x70000000, v5
	v_add_f32_e32 v6, -0.5, v6
	v_mul_f32_e32 v5, 0x7800000, v5
	v_cmp_gt_u32_e32 vcc, s3, v3
	v_bfe_i32 v4, v4, 0, 16
	v_cndmask_b32_e32 v3, v5, v6, vcc
	v_and_or_b32 v3, v4, s10, v3
	v_trunc_f32_e32 v3, v3
	v_mul_f32_e64 v4, |v3|, s11
	v_floor_f32_e32 v4, v4
	s_mov_b32 s2, 0xcf800000
	v_fma_f32 v4, v4, s2, |v3|
	v_cvt_u32_f32_e32 v4, v4
	v_ashrrev_i32_e32 v3, 31, v3
	v_xor_b32_e32 v4, v4, v3
	v_sub_u32_e32 v3, v4, v3
.LBB7_468:
	s_mov_b64 s[10:11], 0
	s_mov_b64 s[2:3], -1
.LBB7_469:
	s_andn2_b64 vcc, exec, s[10:11]
	s_cbranch_vccnz .LBB7_482
; %bb.470:
	s_cmp_gt_i32 s13, 14
	s_cbranch_scc0 .LBB7_473
; %bb.471:
	s_cmp_eq_u32 s13, 15
	s_cbranch_scc0 .LBB7_476
; %bb.472:
	global_load_ushort v3, v[1:2], off
	s_mov_b32 s2, 0x2f800000
	s_mov_b32 s3, 0xcf800000
	s_mov_b64 s[8:9], 0
	s_waitcnt vmcnt(0)
	v_lshlrev_b32_e32 v3, 16, v3
	v_trunc_f32_e32 v3, v3
	v_mul_f32_e64 v4, |v3|, s2
	v_floor_f32_e32 v4, v4
	v_fma_f32 v4, v4, s3, |v3|
	v_cvt_u32_f32_e32 v4, v4
	v_ashrrev_i32_e32 v3, 31, v3
	s_mov_b64 s[2:3], -1
	v_xor_b32_e32 v4, v4, v3
	v_sub_u32_e32 v3, v4, v3
	s_branch .LBB7_477
.LBB7_473:
	s_mov_b64 s[10:11], -1
                                        ; implicit-def: $vgpr3
	s_branch .LBB7_478
.LBB7_474:
	s_andn2_saveexec_b64 s[2:3], s[2:3]
	s_cbranch_execz .LBB7_455
.LBB7_475:
	v_cmp_ne_u16_e32 vcc, 0, v4
	s_andn2_b64 s[10:11], s[10:11], exec
	s_and_b64 s[14:15], vcc, exec
	s_or_b64 s[10:11], s[10:11], s[14:15]
	s_or_b64 exec, exec, s[2:3]
	v_mov_b32_e32 v3, 0
	s_and_saveexec_b64 s[2:3], s[10:11]
	s_cbranch_execnz .LBB7_456
	s_branch .LBB7_457
.LBB7_476:
	s_mov_b64 s[8:9], -1
                                        ; implicit-def: $vgpr3
.LBB7_477:
	s_mov_b64 s[10:11], 0
.LBB7_478:
	s_and_b64 vcc, exec, s[10:11]
	s_cbranch_vccz .LBB7_482
; %bb.479:
	s_cmp_eq_u32 s13, 11
	s_cbranch_scc0 .LBB7_481
; %bb.480:
	global_load_ubyte v3, v[1:2], off
	s_mov_b64 s[2:3], -1
	s_mov_b64 s[8:9], 0
	s_waitcnt vmcnt(0)
	v_cmp_ne_u16_e32 vcc, 0, v3
	v_cndmask_b32_e64 v3, 0, 1, vcc
	s_branch .LBB7_482
.LBB7_481:
	s_mov_b64 s[8:9], -1
                                        ; implicit-def: $vgpr3
.LBB7_482:
	s_branch .LBB7_289
.LBB7_483:
	s_and_b32 s10, 0xffff, s12
	s_cmp_lt_i32 s10, 5
	s_cbranch_scc1 .LBB7_488
; %bb.484:
	s_cmp_lt_i32 s10, 8
	s_cbranch_scc1 .LBB7_489
; %bb.485:
	;; [unrolled: 3-line block ×3, first 2 shown]
	s_cmp_gt_i32 s10, 9
	s_cbranch_scc0 .LBB7_491
; %bb.487:
	global_load_dwordx2 v[3:4], v[1:2], off
	s_movk_i32 s2, 0xffe0
	s_waitcnt vmcnt(0)
	v_trunc_f64_e32 v[3:4], v[3:4]
	v_ldexp_f64 v[5:6], v[3:4], s2
	s_mov_b32 s2, 0
	s_mov_b32 s3, 0xc1f00000
	v_floor_f64_e32 v[5:6], v[5:6]
	v_fma_f64 v[3:4], v[5:6], s[2:3], v[3:4]
	s_mov_b64 s[2:3], 0
	v_cvt_u32_f64_e32 v3, v[3:4]
	s_branch .LBB7_492
.LBB7_488:
	s_mov_b64 s[2:3], -1
                                        ; implicit-def: $vgpr3
	s_branch .LBB7_510
.LBB7_489:
	s_mov_b64 s[2:3], -1
                                        ; implicit-def: $vgpr3
	s_branch .LBB7_498
.LBB7_490:
	s_mov_b64 s[2:3], -1
                                        ; implicit-def: $vgpr3
	s_branch .LBB7_495
.LBB7_491:
	s_mov_b64 s[2:3], -1
                                        ; implicit-def: $vgpr3
.LBB7_492:
	s_andn2_b64 vcc, exec, s[2:3]
	s_cbranch_vccnz .LBB7_494
; %bb.493:
	global_load_dword v3, v[1:2], off
	s_mov_b32 s2, 0x2f800000
	s_waitcnt vmcnt(0)
	v_trunc_f32_e32 v3, v3
	v_mul_f32_e64 v4, |v3|, s2
	v_floor_f32_e32 v4, v4
	s_mov_b32 s2, 0xcf800000
	v_fma_f32 v4, v4, s2, |v3|
	v_cvt_u32_f32_e32 v4, v4
	v_ashrrev_i32_e32 v3, 31, v3
	v_xor_b32_e32 v4, v4, v3
	v_sub_u32_e32 v3, v4, v3
.LBB7_494:
	s_mov_b64 s[2:3], 0
.LBB7_495:
	s_andn2_b64 vcc, exec, s[2:3]
	s_cbranch_vccnz .LBB7_497
; %bb.496:
	global_load_dword v3, v[1:2], off
	s_waitcnt vmcnt(0)
	v_cvt_f32_f16_e32 v3, v3
	v_cvt_i32_f32_e32 v3, v3
.LBB7_497:
	s_mov_b64 s[2:3], 0
.LBB7_498:
	s_andn2_b64 vcc, exec, s[2:3]
	s_cbranch_vccnz .LBB7_509
; %bb.499:
	s_cmp_lt_i32 s10, 6
	s_cbranch_scc1 .LBB7_502
; %bb.500:
	s_cmp_gt_i32 s10, 6
	s_cbranch_scc0 .LBB7_503
; %bb.501:
	global_load_dwordx2 v[3:4], v[1:2], off
	s_movk_i32 s2, 0xffe0
	s_waitcnt vmcnt(0)
	v_trunc_f64_e32 v[3:4], v[3:4]
	v_ldexp_f64 v[5:6], v[3:4], s2
	s_mov_b32 s2, 0
	s_mov_b32 s3, 0xc1f00000
	v_floor_f64_e32 v[5:6], v[5:6]
	v_fma_f64 v[3:4], v[5:6], s[2:3], v[3:4]
	s_mov_b64 s[2:3], 0
	v_cvt_u32_f64_e32 v3, v[3:4]
	s_branch .LBB7_504
.LBB7_502:
	s_mov_b64 s[2:3], -1
                                        ; implicit-def: $vgpr3
	s_branch .LBB7_507
.LBB7_503:
	s_mov_b64 s[2:3], -1
                                        ; implicit-def: $vgpr3
.LBB7_504:
	s_andn2_b64 vcc, exec, s[2:3]
	s_cbranch_vccnz .LBB7_506
; %bb.505:
	global_load_dword v3, v[1:2], off
	s_mov_b32 s2, 0x2f800000
	s_waitcnt vmcnt(0)
	v_trunc_f32_e32 v3, v3
	v_mul_f32_e64 v4, |v3|, s2
	v_floor_f32_e32 v4, v4
	s_mov_b32 s2, 0xcf800000
	v_fma_f32 v4, v4, s2, |v3|
	v_cvt_u32_f32_e32 v4, v4
	v_ashrrev_i32_e32 v3, 31, v3
	v_xor_b32_e32 v4, v4, v3
	v_sub_u32_e32 v3, v4, v3
.LBB7_506:
	s_mov_b64 s[2:3], 0
.LBB7_507:
	s_andn2_b64 vcc, exec, s[2:3]
	s_cbranch_vccnz .LBB7_509
; %bb.508:
	global_load_ushort v3, v[1:2], off
	s_waitcnt vmcnt(0)
	v_cvt_f32_f16_e32 v3, v3
	v_cvt_i32_f32_e32 v3, v3
.LBB7_509:
	s_mov_b64 s[2:3], 0
.LBB7_510:
	s_andn2_b64 vcc, exec, s[2:3]
	s_cbranch_vccnz .LBB7_530
; %bb.511:
	s_cmp_lt_i32 s10, 2
	s_cbranch_scc1 .LBB7_515
; %bb.512:
	s_cmp_lt_i32 s10, 3
	s_cbranch_scc1 .LBB7_516
; %bb.513:
	s_cmp_gt_i32 s10, 3
	s_cbranch_scc0 .LBB7_517
; %bb.514:
	global_load_dwordx2 v[3:4], v[1:2], off
	s_mov_b64 s[2:3], 0
	s_branch .LBB7_518
.LBB7_515:
	s_mov_b64 s[2:3], -1
                                        ; implicit-def: $vgpr3
	s_branch .LBB7_524
.LBB7_516:
	s_mov_b64 s[2:3], -1
                                        ; implicit-def: $vgpr3
	s_branch .LBB7_521
.LBB7_517:
	s_mov_b64 s[2:3], -1
                                        ; implicit-def: $vgpr3
.LBB7_518:
	s_andn2_b64 vcc, exec, s[2:3]
	s_cbranch_vccnz .LBB7_520
; %bb.519:
	global_load_dword v3, v[1:2], off
.LBB7_520:
	s_mov_b64 s[2:3], 0
.LBB7_521:
	s_andn2_b64 vcc, exec, s[2:3]
	s_cbranch_vccnz .LBB7_523
; %bb.522:
	global_load_ushort v3, v[1:2], off
.LBB7_523:
	s_mov_b64 s[2:3], 0
.LBB7_524:
	s_andn2_b64 vcc, exec, s[2:3]
	s_cbranch_vccnz .LBB7_530
; %bb.525:
	s_cmp_gt_i32 s10, 0
	s_cbranch_scc0 .LBB7_527
; %bb.526:
	global_load_ubyte v3, v[1:2], off
	s_mov_b64 s[2:3], 0
	s_branch .LBB7_528
.LBB7_527:
	s_mov_b64 s[2:3], -1
                                        ; implicit-def: $vgpr3
.LBB7_528:
	s_andn2_b64 vcc, exec, s[2:3]
	s_cbranch_vccnz .LBB7_530
; %bb.529:
	global_load_ubyte v3, v[1:2], off
.LBB7_530:
	s_branch .LBB7_290
.LBB7_531:
	s_mov_b64 s[10:11], 0
	s_mov_b64 s[2:3], s[60:61]
.LBB7_532:
                                        ; implicit-def: $vgpr11
.LBB7_533:
	s_andn2_b64 s[12:13], s[60:61], exec
	s_and_b64 s[2:3], s[2:3], exec
	s_or_b64 s[68:69], s[12:13], s[2:3]
	s_andn2_b64 s[2:3], s[62:63], exec
	s_and_b64 s[8:9], s[8:9], exec
	s_or_b64 s[66:67], s[2:3], s[8:9]
	s_orn2_b64 s[2:3], s[10:11], exec
.LBB7_534:
	s_or_b64 exec, exec, s[70:71]
	s_mov_b64 s[8:9], 0
	s_mov_b64 s[12:13], 0
	;; [unrolled: 1-line block ×3, first 2 shown]
                                        ; implicit-def: $sgpr18
                                        ; implicit-def: $vgpr1_vgpr2
                                        ; implicit-def: $vgpr0
                                        ; implicit-def: $vgpr3
	s_and_saveexec_b64 s[70:71], s[2:3]
	s_cbranch_execz .LBB7_901
; %bb.535:
	v_cmp_gt_i32_e32 vcc, s76, v11
	s_mov_b64 s[10:11], -1
	s_mov_b64 s[2:3], s[66:67]
	s_mov_b64 s[74:75], s[68:69]
	s_and_saveexec_b64 s[72:73], vcc
	s_cbranch_execz .LBB7_805
; %bb.536:
	s_andn2_b64 vcc, exec, s[44:45]
	s_cbranch_vccnz .LBB7_541
; %bb.537:
	s_andn2_b64 vcc, exec, s[58:59]
	s_cbranch_vccnz .LBB7_542
; %bb.538:
	s_add_i32 s50, s80, 1
	s_cmp_eq_u32 s78, 2
	s_cbranch_scc1 .LBB7_543
; %bb.539:
	s_and_b32 s49, s50, 28
	v_mov_b32_e32 v2, 0
	s_mov_b32 s77, 0
	s_mov_b64 s[2:3], s[34:35]
	s_mov_b64 s[74:75], s[56:57]
	v_mov_b32_e32 v0, 0
	v_mov_b32_e32 v1, v11
.LBB7_540:                              ; =>This Inner Loop Header: Depth=1
	s_load_dwordx8 s[16:23], s[2:3], 0x4
	s_load_dwordx4 s[40:43], s[2:3], 0x24
	s_load_dwordx8 s[8:15], s[74:75], 0x0
	s_add_u32 s2, s2, 48
	s_addc_u32 s3, s3, 0
	s_waitcnt vmcnt(0) lgkmcnt(0)
	v_mul_hi_u32 v3, s17, v1
	s_add_i32 s77, s77, 4
	s_add_u32 s74, s74, 32
	s_addc_u32 s75, s75, 0
	v_add_u32_e32 v3, v1, v3
	v_lshrrev_b32_e32 v3, s18, v3
	v_mul_lo_u32 v4, v3, s16
	v_mul_hi_u32 v5, s20, v3
	s_cmp_eq_u32 s49, s77
	v_sub_u32_e32 v1, v1, v4
	v_add_u32_e32 v4, v3, v5
	v_mul_lo_u32 v5, v1, s8
	v_mul_lo_u32 v6, v1, s9
	v_lshrrev_b32_e32 v1, s21, v4
	v_mul_lo_u32 v4, v1, s19
	v_mul_hi_u32 v7, s23, v1
	v_sub_u32_e32 v3, v3, v4
	v_add_u32_e32 v4, v1, v7
	v_lshrrev_b32_e32 v4, s40, v4
	v_mul_hi_u32 v8, s42, v4
	v_mul_lo_u32 v9, v4, s22
	v_mul_lo_u32 v7, v3, s10
	;; [unrolled: 1-line block ×3, first 2 shown]
	v_sub_u32_e32 v9, v1, v9
	v_add_u32_e32 v1, v4, v8
	v_lshrrev_b32_e32 v1, s43, v1
	v_mul_lo_u32 v8, v1, s41
	v_mul_lo_u32 v10, v9, s12
	;; [unrolled: 1-line block ×3, first 2 shown]
	v_add3_u32 v0, v5, v0, v7
	v_sub_u32_e32 v4, v4, v8
	v_mul_lo_u32 v8, v4, s14
	v_mul_lo_u32 v4, v4, s15
	v_add3_u32 v2, v6, v2, v3
	v_add3_u32 v0, v10, v0, v8
	;; [unrolled: 1-line block ×3, first 2 shown]
	s_cbranch_scc0 .LBB7_540
	s_branch .LBB7_544
.LBB7_541:
	s_mov_b64 s[2:3], -1
                                        ; implicit-def: $vgpr0
                                        ; implicit-def: $vgpr2
	s_branch .LBB7_548
.LBB7_542:
	v_mov_b32_e32 v0, 0
	v_mov_b32_e32 v2, 0
	s_branch .LBB7_547
.LBB7_543:
	s_mov_b32 s49, 0
	v_mov_b32_e32 v0, 0
	v_mov_b32_e32 v2, 0
	;; [unrolled: 1-line block ×3, first 2 shown]
.LBB7_544:
	s_and_b32 s10, s50, 3
	s_cmp_eq_u32 s10, 0
	s_cbranch_scc1 .LBB7_547
; %bb.545:
	s_lshl_b32 s2, s49, 3
	s_add_u32 s2, s34, s2
	s_addc_u32 s3, s35, 0
	s_add_u32 s2, s2, 0xc4
	s_addc_u32 s3, s3, 0
	s_mul_i32 s8, s49, 12
	s_add_u32 s8, s34, s8
	s_addc_u32 s9, s35, 0
.LBB7_546:                              ; =>This Inner Loop Header: Depth=1
	s_load_dwordx2 s[12:13], s[8:9], 0x4
	s_load_dword s11, s[8:9], 0xc
	s_load_dwordx2 s[14:15], s[2:3], 0x0
	s_add_u32 s8, s8, 12
	s_addc_u32 s9, s9, 0
	s_waitcnt vmcnt(0) lgkmcnt(0)
	v_mul_hi_u32 v3, s13, v1
	s_add_u32 s2, s2, 8
	s_addc_u32 s3, s3, 0
	s_add_i32 s10, s10, -1
	v_add_u32_e32 v3, v1, v3
	v_lshrrev_b32_e32 v4, s11, v3
	v_mul_lo_u32 v3, v4, s12
	s_cmp_lg_u32 s10, 0
	v_sub_u32_e32 v3, v1, v3
	v_mad_u64_u32 v[0:1], s[12:13], v3, s14, v[0:1]
	v_mad_u64_u32 v[2:3], s[12:13], v3, s15, v[2:3]
	v_mov_b32_e32 v1, v4
	s_cbranch_scc1 .LBB7_546
.LBB7_547:
	s_mov_b64 s[2:3], 0
.LBB7_548:
	s_andn2_b64 vcc, exec, s[2:3]
	s_cbranch_vccnz .LBB7_551
; %bb.549:
	v_mul_hi_u32 v0, s29, v11
	s_andn2_b64 vcc, exec, s[54:55]
	v_add_u32_e32 v0, v11, v0
	v_lshrrev_b32_e32 v1, s30, v0
	v_mul_lo_u32 v0, v1, s28
	v_sub_u32_e32 v2, v11, v0
	v_mul_lo_u32 v0, v2, s36
	v_mul_lo_u32 v2, v2, s37
	s_cbranch_vccnz .LBB7_551
; %bb.550:
	s_waitcnt vmcnt(0)
	v_mul_hi_u32 v3, s52, v1
	v_add_u32_e32 v3, v1, v3
	v_lshrrev_b32_e32 v3, s53, v3
	v_mul_lo_u32 v3, v3, s31
	v_sub_u32_e32 v3, v1, v3
	v_mad_u64_u32 v[0:1], s[2:3], v3, s38, v[0:1]
	v_mad_u64_u32 v[2:3], s[2:3], v3, s39, v[2:3]
.LBB7_551:
	s_waitcnt vmcnt(0)
	v_mov_b32_e32 v3, s27
	s_and_b32 s12, s51, 0xff
	v_add_co_u32_e32 v1, vcc, s26, v2
	s_cmp_lt_i32 s12, 11
	v_addc_co_u32_e32 v2, vcc, 0, v3, vcc
	s_cbranch_scc1 .LBB7_558
; %bb.552:
	s_and_b32 s13, 0xffff, s12
	s_cmp_gt_i32 s13, 25
	s_cbranch_scc0 .LBB7_559
; %bb.553:
	s_cmp_gt_i32 s13, 28
	s_cbranch_scc0 .LBB7_560
; %bb.554:
	s_cmp_gt_i32 s13, 43
	s_cbranch_scc0 .LBB7_561
; %bb.555:
	s_cmp_gt_i32 s13, 45
	s_cbranch_scc0 .LBB7_564
; %bb.556:
	s_cmp_eq_u32 s13, 46
	s_mov_b64 s[10:11], 0
	s_cbranch_scc0 .LBB7_567
; %bb.557:
	global_load_dword v3, v[1:2], off
	s_mov_b32 s2, 0x2f800000
	s_mov_b32 s3, 0xcf800000
	s_mov_b64 s[8:9], 0
	s_waitcnt vmcnt(0)
	v_lshlrev_b32_e32 v3, 16, v3
	v_trunc_f32_e32 v3, v3
	v_mul_f32_e64 v4, |v3|, s2
	v_floor_f32_e32 v4, v4
	v_fma_f32 v4, v4, s3, |v3|
	v_cvt_u32_f32_e32 v4, v4
	v_ashrrev_i32_e32 v3, 31, v3
	s_mov_b64 s[2:3], -1
	v_xor_b32_e32 v4, v4, v3
	v_sub_u32_e32 v3, v4, v3
	s_branch .LBB7_568
.LBB7_558:
	s_mov_b64 s[10:11], -1
	s_mov_b64 s[2:3], 0
                                        ; implicit-def: $vgpr3
	s_mov_b64 s[8:9], s[66:67]
	s_branch .LBB7_629
.LBB7_559:
	s_mov_b64 s[10:11], -1
	s_mov_b64 s[2:3], 0
	s_mov_b64 s[8:9], s[66:67]
                                        ; implicit-def: $vgpr3
	s_branch .LBB7_595
.LBB7_560:
	s_mov_b64 s[10:11], -1
	s_mov_b64 s[2:3], 0
	s_mov_b64 s[8:9], s[66:67]
                                        ; implicit-def: $vgpr3
	s_branch .LBB7_578
.LBB7_561:
	s_mov_b64 s[10:11], -1
	s_mov_b64 s[2:3], 0
	s_mov_b64 s[8:9], s[66:67]
                                        ; implicit-def: $vgpr3
	s_branch .LBB7_573
.LBB7_562:
	s_andn2_saveexec_b64 s[14:15], s[14:15]
	s_cbranch_execz .LBB7_335
.LBB7_563:
	v_add_f32_e32 v3, 0x46000000, v4
	v_and_b32_e32 v3, 0xff, v3
	v_cmp_ne_u32_e32 vcc, 0, v3
	s_andn2_b64 s[12:13], s[12:13], exec
	s_and_b64 s[18:19], vcc, exec
	s_or_b64 s[12:13], s[12:13], s[18:19]
	s_or_b64 exec, exec, s[14:15]
	v_mov_b32_e32 v5, 0
	s_and_saveexec_b64 s[14:15], s[12:13]
	s_cbranch_execnz .LBB7_336
	s_branch .LBB7_337
.LBB7_564:
	s_mov_b64 s[10:11], -1
	s_mov_b64 s[2:3], 0
	s_mov_b64 s[8:9], s[66:67]
                                        ; implicit-def: $vgpr3
	s_branch .LBB7_568
.LBB7_565:
	s_andn2_saveexec_b64 s[14:15], s[14:15]
	s_cbranch_execz .LBB7_348
.LBB7_566:
	v_add_f32_e32 v3, 0x42800000, v4
	v_and_b32_e32 v3, 0xff, v3
	v_cmp_ne_u32_e32 vcc, 0, v3
	s_andn2_b64 s[12:13], s[12:13], exec
	s_and_b64 s[18:19], vcc, exec
	s_or_b64 s[12:13], s[12:13], s[18:19]
	s_or_b64 exec, exec, s[14:15]
	v_mov_b32_e32 v5, 0
	s_and_saveexec_b64 s[14:15], s[12:13]
	s_cbranch_execnz .LBB7_349
	s_branch .LBB7_350
.LBB7_567:
	s_mov_b64 s[8:9], -1
                                        ; implicit-def: $vgpr3
	s_mov_b64 s[2:3], 0
.LBB7_568:
	s_and_b64 vcc, exec, s[10:11]
	s_cbranch_vccz .LBB7_572
; %bb.569:
	s_cmp_eq_u32 s13, 44
	s_cbranch_scc0 .LBB7_571
; %bb.570:
	global_load_ubyte v3, v[1:2], off
	s_mov_b32 s2, 0x2f800000
	s_mov_b32 s3, 0xcf800000
	s_mov_b64 s[8:9], 0
	s_waitcnt vmcnt(0)
	v_lshlrev_b32_e32 v4, 23, v3
	v_trunc_f32_e32 v4, v4
	v_mul_f32_e64 v5, |v4|, s2
	v_floor_f32_e32 v5, v5
	v_fma_f32 v5, v5, s3, |v4|
	v_cvt_u32_f32_e32 v5, v5
	v_ashrrev_i32_e32 v4, 31, v4
	v_cmp_ne_u32_e32 vcc, 0, v3
	s_mov_b64 s[2:3], -1
	v_xor_b32_e32 v5, v5, v4
	v_sub_u32_e32 v4, v5, v4
	v_cndmask_b32_e32 v3, 0, v4, vcc
	s_branch .LBB7_572
.LBB7_571:
	s_mov_b64 s[8:9], -1
                                        ; implicit-def: $vgpr3
.LBB7_572:
	s_mov_b64 s[10:11], 0
.LBB7_573:
	s_and_b64 vcc, exec, s[10:11]
	s_cbranch_vccz .LBB7_577
; %bb.574:
	s_cmp_eq_u32 s13, 29
	s_cbranch_scc0 .LBB7_576
; %bb.575:
	global_load_dwordx2 v[3:4], v[1:2], off
	s_mov_b64 s[2:3], -1
	s_mov_b64 s[8:9], 0
	s_branch .LBB7_577
.LBB7_576:
	s_mov_b64 s[8:9], -1
                                        ; implicit-def: $vgpr3
.LBB7_577:
	s_mov_b64 s[10:11], 0
.LBB7_578:
	s_and_b64 vcc, exec, s[10:11]
	s_cbranch_vccz .LBB7_594
; %bb.579:
	s_cmp_lt_i32 s13, 27
	s_cbranch_scc1 .LBB7_582
; %bb.580:
	s_cmp_gt_i32 s13, 27
	s_cbranch_scc0 .LBB7_583
; %bb.581:
	global_load_dword v3, v[1:2], off
	s_mov_b64 s[2:3], 0
	s_branch .LBB7_584
.LBB7_582:
	s_mov_b64 s[2:3], -1
                                        ; implicit-def: $vgpr3
	s_branch .LBB7_587
.LBB7_583:
	s_mov_b64 s[2:3], -1
                                        ; implicit-def: $vgpr3
.LBB7_584:
	s_andn2_b64 vcc, exec, s[2:3]
	s_cbranch_vccnz .LBB7_586
; %bb.585:
	global_load_ushort v3, v[1:2], off
.LBB7_586:
	s_mov_b64 s[2:3], 0
.LBB7_587:
	s_andn2_b64 vcc, exec, s[2:3]
	s_cbranch_vccnz .LBB7_593
; %bb.588:
	global_load_ubyte v4, v[1:2], off
	s_movk_i32 s2, 0x7f
	s_mov_b64 s[10:11], 0
	s_waitcnt vmcnt(0)
	v_cmp_lt_i16_e32 vcc, s2, v4
	s_and_saveexec_b64 s[2:3], vcc
	s_xor_b64 s[2:3], exec, s[2:3]
	s_cbranch_execz .LBB7_605
; %bb.589:
	s_movk_i32 s10, 0x80
	v_cmp_ne_u16_e32 vcc, s10, v4
	s_and_b64 s[10:11], vcc, exec
	s_andn2_saveexec_b64 s[2:3], s[2:3]
	s_cbranch_execnz .LBB7_606
.LBB7_590:
	s_or_b64 exec, exec, s[2:3]
	v_mov_b32_e32 v3, 0
	s_and_saveexec_b64 s[2:3], s[10:11]
	s_cbranch_execz .LBB7_592
.LBB7_591:
	v_lshlrev_b32_e32 v3, 24, v4
	v_and_b32_e32 v4, 0xffff, v4
	v_and_b32_e32 v5, 7, v4
	v_ffbh_u32_e32 v7, v5
	v_min_u32_e32 v7, 32, v7
	v_subrev_u32_e32 v8, 28, v7
	v_bfe_u32 v6, v4, 3, 4
	v_lshlrev_b32_e32 v4, v8, v4
	v_sub_u32_e32 v7, 29, v7
	v_and_b32_e32 v4, 7, v4
	v_cmp_eq_u32_e32 vcc, 0, v6
	v_cndmask_b32_e32 v6, v6, v7, vcc
	v_cndmask_b32_e32 v4, v5, v4, vcc
	v_mov_b32_e32 v5, 0x3b800000
	v_lshlrev_b32_e32 v4, 20, v4
	v_and_b32_e32 v3, 0x80000000, v3
	v_lshl_add_u32 v5, v6, 23, v5
	v_or3_b32 v3, v3, v5, v4
	v_trunc_f32_e32 v3, v3
	s_mov_b32 s10, 0x2f800000
	v_mul_f32_e64 v4, |v3|, s10
	v_floor_f32_e32 v4, v4
	s_mov_b32 s10, 0xcf800000
	v_fma_f32 v4, v4, s10, |v3|
	v_cvt_u32_f32_e32 v4, v4
	v_ashrrev_i32_e32 v3, 31, v3
	v_xor_b32_e32 v4, v4, v3
	v_sub_u32_e32 v3, v4, v3
.LBB7_592:
	s_or_b64 exec, exec, s[2:3]
.LBB7_593:
	s_mov_b64 s[2:3], -1
.LBB7_594:
	s_mov_b64 s[10:11], 0
.LBB7_595:
	s_and_b64 vcc, exec, s[10:11]
	s_cbranch_vccz .LBB7_628
; %bb.596:
	s_cmp_gt_i32 s13, 22
	s_cbranch_scc0 .LBB7_604
; %bb.597:
	s_cmp_lt_i32 s13, 24
	s_cbranch_scc1 .LBB7_607
; %bb.598:
	s_cmp_gt_i32 s13, 24
	s_cbranch_scc0 .LBB7_608
; %bb.599:
	global_load_ubyte v4, v[1:2], off
	s_movk_i32 s2, 0x7f
	s_mov_b64 s[10:11], 0
	s_waitcnt vmcnt(0)
	v_cmp_lt_i16_e32 vcc, s2, v4
	s_and_saveexec_b64 s[2:3], vcc
	s_xor_b64 s[2:3], exec, s[2:3]
	s_cbranch_execz .LBB7_620
; %bb.600:
	s_movk_i32 s10, 0x80
	v_cmp_ne_u16_e32 vcc, s10, v4
	s_and_b64 s[10:11], vcc, exec
	s_andn2_saveexec_b64 s[2:3], s[2:3]
	s_cbranch_execnz .LBB7_621
.LBB7_601:
	s_or_b64 exec, exec, s[2:3]
	v_mov_b32_e32 v3, 0
	s_and_saveexec_b64 s[2:3], s[10:11]
	s_cbranch_execz .LBB7_603
.LBB7_602:
	v_lshlrev_b32_e32 v3, 24, v4
	v_and_b32_e32 v4, 0xffff, v4
	v_and_b32_e32 v5, 3, v4
	v_ffbh_u32_e32 v7, v5
	v_min_u32_e32 v7, 32, v7
	v_subrev_u32_e32 v8, 29, v7
	v_bfe_u32 v6, v4, 2, 5
	v_lshlrev_b32_e32 v4, v8, v4
	v_sub_u32_e32 v7, 30, v7
	v_and_b32_e32 v4, 3, v4
	v_cmp_eq_u32_e32 vcc, 0, v6
	v_cndmask_b32_e32 v6, v6, v7, vcc
	v_cndmask_b32_e32 v4, v5, v4, vcc
	v_mov_b32_e32 v5, 0x37800000
	v_lshlrev_b32_e32 v4, 21, v4
	v_and_b32_e32 v3, 0x80000000, v3
	v_lshl_add_u32 v5, v6, 23, v5
	v_or3_b32 v3, v3, v5, v4
	v_trunc_f32_e32 v3, v3
	s_mov_b32 s10, 0x2f800000
	v_mul_f32_e64 v4, |v3|, s10
	v_floor_f32_e32 v4, v4
	s_mov_b32 s10, 0xcf800000
	v_fma_f32 v4, v4, s10, |v3|
	v_cvt_u32_f32_e32 v4, v4
	v_ashrrev_i32_e32 v3, 31, v3
	v_xor_b32_e32 v4, v4, v3
	v_sub_u32_e32 v3, v4, v3
.LBB7_603:
	s_or_b64 exec, exec, s[2:3]
	s_mov_b64 s[2:3], 0
	s_branch .LBB7_609
.LBB7_604:
	s_mov_b64 s[10:11], -1
                                        ; implicit-def: $vgpr3
	s_branch .LBB7_615
.LBB7_605:
	s_andn2_saveexec_b64 s[2:3], s[2:3]
	s_cbranch_execz .LBB7_590
.LBB7_606:
	v_cmp_ne_u16_e32 vcc, 0, v4
	s_andn2_b64 s[10:11], s[10:11], exec
	s_and_b64 s[14:15], vcc, exec
	s_or_b64 s[10:11], s[10:11], s[14:15]
	s_or_b64 exec, exec, s[2:3]
	v_mov_b32_e32 v3, 0
	s_and_saveexec_b64 s[2:3], s[10:11]
	s_cbranch_execnz .LBB7_591
	s_branch .LBB7_592
.LBB7_607:
	s_mov_b64 s[2:3], -1
                                        ; implicit-def: $vgpr3
	s_branch .LBB7_612
.LBB7_608:
	s_mov_b64 s[2:3], -1
                                        ; implicit-def: $vgpr3
.LBB7_609:
	s_and_b64 vcc, exec, s[2:3]
	s_cbranch_vccz .LBB7_611
; %bb.610:
	global_load_ubyte v3, v[1:2], off
	s_mov_b32 s2, 0x7f800000
	s_brev_b32 s3, 1
	s_mov_b32 s10, 0x2f800000
	s_waitcnt vmcnt(0)
	v_lshlrev_b32_e32 v3, 24, v3
	v_and_b32_e32 v4, 0x7f000000, v3
	v_ffbh_u32_e32 v5, v4
	v_min_u32_e32 v5, 32, v5
	v_sub_u32_e64 v5, v5, 4 clamp
	v_lshlrev_b32_e32 v7, v5, v4
	v_lshlrev_b32_e32 v5, 23, v5
	v_lshrrev_b32_e32 v7, 4, v7
	v_add_u32_e32 v6, 0x1000000, v4
	v_sub_u32_e32 v5, v7, v5
	v_ashrrev_i32_e32 v6, 8, v6
	v_add_u32_e32 v5, 0x3c000000, v5
	v_and_or_b32 v5, v6, s2, v5
	v_cmp_ne_u32_e32 vcc, 0, v4
	v_cndmask_b32_e32 v4, 0, v5, vcc
	v_and_or_b32 v3, v3, s3, v4
	v_trunc_f32_e32 v3, v3
	v_mul_f32_e64 v4, |v3|, s10
	v_floor_f32_e32 v4, v4
	s_mov_b32 s2, 0xcf800000
	v_fma_f32 v4, v4, s2, |v3|
	v_cvt_u32_f32_e32 v4, v4
	v_ashrrev_i32_e32 v3, 31, v3
	v_xor_b32_e32 v4, v4, v3
	v_sub_u32_e32 v3, v4, v3
.LBB7_611:
	s_mov_b64 s[2:3], 0
.LBB7_612:
	s_andn2_b64 vcc, exec, s[2:3]
	s_cbranch_vccnz .LBB7_614
; %bb.613:
	global_load_ubyte v3, v[1:2], off
	s_movk_i32 s2, 0x7f00
	s_brev_b32 s3, 16
	s_brev_b32 s10, 1
	s_mov_b32 s11, 0x2f800000
	s_waitcnt vmcnt(0)
	v_lshlrev_b16_e32 v4, 8, v3
	v_lshlrev_b32_e32 v3, 25, v3
	v_lshrrev_b32_e32 v5, 4, v3
	v_and_or_b32 v6, v4, s2, 0.5
	v_or_b32_e32 v5, 0x70000000, v5
	v_add_f32_e32 v6, -0.5, v6
	v_mul_f32_e32 v5, 0x7800000, v5
	v_cmp_gt_u32_e32 vcc, s3, v3
	v_bfe_i32 v4, v4, 0, 16
	v_cndmask_b32_e32 v3, v5, v6, vcc
	v_and_or_b32 v3, v4, s10, v3
	v_trunc_f32_e32 v3, v3
	v_mul_f32_e64 v4, |v3|, s11
	v_floor_f32_e32 v4, v4
	s_mov_b32 s2, 0xcf800000
	v_fma_f32 v4, v4, s2, |v3|
	v_cvt_u32_f32_e32 v4, v4
	v_ashrrev_i32_e32 v3, 31, v3
	v_xor_b32_e32 v4, v4, v3
	v_sub_u32_e32 v3, v4, v3
.LBB7_614:
	s_mov_b64 s[10:11], 0
	s_mov_b64 s[2:3], -1
.LBB7_615:
	s_andn2_b64 vcc, exec, s[10:11]
	s_cbranch_vccnz .LBB7_628
; %bb.616:
	s_cmp_gt_i32 s13, 14
	s_cbranch_scc0 .LBB7_619
; %bb.617:
	s_cmp_eq_u32 s13, 15
	s_cbranch_scc0 .LBB7_622
; %bb.618:
	global_load_ushort v3, v[1:2], off
	s_mov_b32 s2, 0x2f800000
	s_mov_b32 s3, 0xcf800000
	s_mov_b64 s[8:9], 0
	s_waitcnt vmcnt(0)
	v_lshlrev_b32_e32 v3, 16, v3
	v_trunc_f32_e32 v3, v3
	v_mul_f32_e64 v4, |v3|, s2
	v_floor_f32_e32 v4, v4
	v_fma_f32 v4, v4, s3, |v3|
	v_cvt_u32_f32_e32 v4, v4
	v_ashrrev_i32_e32 v3, 31, v3
	s_mov_b64 s[2:3], -1
	v_xor_b32_e32 v4, v4, v3
	v_sub_u32_e32 v3, v4, v3
	s_branch .LBB7_623
.LBB7_619:
	s_mov_b64 s[10:11], -1
                                        ; implicit-def: $vgpr3
	s_branch .LBB7_624
.LBB7_620:
	s_andn2_saveexec_b64 s[2:3], s[2:3]
	s_cbranch_execz .LBB7_601
.LBB7_621:
	v_cmp_ne_u16_e32 vcc, 0, v4
	s_andn2_b64 s[10:11], s[10:11], exec
	s_and_b64 s[14:15], vcc, exec
	s_or_b64 s[10:11], s[10:11], s[14:15]
	s_or_b64 exec, exec, s[2:3]
	v_mov_b32_e32 v3, 0
	s_and_saveexec_b64 s[2:3], s[10:11]
	s_cbranch_execnz .LBB7_602
	s_branch .LBB7_603
.LBB7_622:
	s_mov_b64 s[8:9], -1
                                        ; implicit-def: $vgpr3
.LBB7_623:
	s_mov_b64 s[10:11], 0
.LBB7_624:
	s_and_b64 vcc, exec, s[10:11]
	s_cbranch_vccz .LBB7_628
; %bb.625:
	s_cmp_eq_u32 s13, 11
	s_cbranch_scc0 .LBB7_627
; %bb.626:
	global_load_ubyte v3, v[1:2], off
	s_mov_b64 s[2:3], -1
	s_mov_b64 s[8:9], 0
	s_waitcnt vmcnt(0)
	v_cmp_ne_u16_e32 vcc, 0, v3
	v_cndmask_b32_e64 v3, 0, 1, vcc
	s_branch .LBB7_628
.LBB7_627:
	s_mov_b64 s[8:9], -1
                                        ; implicit-def: $vgpr3
.LBB7_628:
	s_mov_b64 s[10:11], 0
.LBB7_629:
	s_and_b64 vcc, exec, s[10:11]
	s_cbranch_vccz .LBB7_678
; %bb.630:
	s_and_b32 s10, 0xffff, s12
	s_cmp_lt_i32 s10, 5
	s_cbranch_scc1 .LBB7_635
; %bb.631:
	s_cmp_lt_i32 s10, 8
	s_cbranch_scc1 .LBB7_636
; %bb.632:
	;; [unrolled: 3-line block ×3, first 2 shown]
	s_cmp_gt_i32 s10, 9
	s_cbranch_scc0 .LBB7_638
; %bb.634:
	global_load_dwordx2 v[3:4], v[1:2], off
	s_movk_i32 s2, 0xffe0
	s_waitcnt vmcnt(0)
	v_trunc_f64_e32 v[3:4], v[3:4]
	v_ldexp_f64 v[5:6], v[3:4], s2
	s_mov_b32 s2, 0
	s_mov_b32 s3, 0xc1f00000
	v_floor_f64_e32 v[5:6], v[5:6]
	v_fma_f64 v[3:4], v[5:6], s[2:3], v[3:4]
	s_mov_b64 s[2:3], 0
	v_cvt_u32_f64_e32 v3, v[3:4]
	s_branch .LBB7_639
.LBB7_635:
	s_mov_b64 s[2:3], -1
                                        ; implicit-def: $vgpr3
	s_branch .LBB7_657
.LBB7_636:
	s_mov_b64 s[2:3], -1
                                        ; implicit-def: $vgpr3
	s_branch .LBB7_645
.LBB7_637:
	s_mov_b64 s[2:3], -1
                                        ; implicit-def: $vgpr3
	s_branch .LBB7_642
.LBB7_638:
	s_mov_b64 s[2:3], -1
                                        ; implicit-def: $vgpr3
.LBB7_639:
	s_andn2_b64 vcc, exec, s[2:3]
	s_cbranch_vccnz .LBB7_641
; %bb.640:
	global_load_dword v3, v[1:2], off
	s_mov_b32 s2, 0x2f800000
	s_waitcnt vmcnt(0)
	v_trunc_f32_e32 v3, v3
	v_mul_f32_e64 v4, |v3|, s2
	v_floor_f32_e32 v4, v4
	s_mov_b32 s2, 0xcf800000
	v_fma_f32 v4, v4, s2, |v3|
	v_cvt_u32_f32_e32 v4, v4
	v_ashrrev_i32_e32 v3, 31, v3
	v_xor_b32_e32 v4, v4, v3
	v_sub_u32_e32 v3, v4, v3
.LBB7_641:
	s_mov_b64 s[2:3], 0
.LBB7_642:
	s_andn2_b64 vcc, exec, s[2:3]
	s_cbranch_vccnz .LBB7_644
; %bb.643:
	global_load_dword v3, v[1:2], off
	s_waitcnt vmcnt(0)
	v_cvt_f32_f16_e32 v3, v3
	v_cvt_i32_f32_e32 v3, v3
.LBB7_644:
	s_mov_b64 s[2:3], 0
.LBB7_645:
	s_andn2_b64 vcc, exec, s[2:3]
	s_cbranch_vccnz .LBB7_656
; %bb.646:
	s_cmp_lt_i32 s10, 6
	s_cbranch_scc1 .LBB7_649
; %bb.647:
	s_cmp_gt_i32 s10, 6
	s_cbranch_scc0 .LBB7_650
; %bb.648:
	global_load_dwordx2 v[3:4], v[1:2], off
	s_movk_i32 s2, 0xffe0
	s_waitcnt vmcnt(0)
	v_trunc_f64_e32 v[3:4], v[3:4]
	v_ldexp_f64 v[5:6], v[3:4], s2
	s_mov_b32 s2, 0
	s_mov_b32 s3, 0xc1f00000
	v_floor_f64_e32 v[5:6], v[5:6]
	v_fma_f64 v[3:4], v[5:6], s[2:3], v[3:4]
	s_mov_b64 s[2:3], 0
	v_cvt_u32_f64_e32 v3, v[3:4]
	s_branch .LBB7_651
.LBB7_649:
	s_mov_b64 s[2:3], -1
                                        ; implicit-def: $vgpr3
	s_branch .LBB7_654
.LBB7_650:
	s_mov_b64 s[2:3], -1
                                        ; implicit-def: $vgpr3
.LBB7_651:
	s_andn2_b64 vcc, exec, s[2:3]
	s_cbranch_vccnz .LBB7_653
; %bb.652:
	global_load_dword v3, v[1:2], off
	s_mov_b32 s2, 0x2f800000
	s_waitcnt vmcnt(0)
	v_trunc_f32_e32 v3, v3
	v_mul_f32_e64 v4, |v3|, s2
	v_floor_f32_e32 v4, v4
	s_mov_b32 s2, 0xcf800000
	v_fma_f32 v4, v4, s2, |v3|
	v_cvt_u32_f32_e32 v4, v4
	v_ashrrev_i32_e32 v3, 31, v3
	v_xor_b32_e32 v4, v4, v3
	v_sub_u32_e32 v3, v4, v3
.LBB7_653:
	s_mov_b64 s[2:3], 0
.LBB7_654:
	s_andn2_b64 vcc, exec, s[2:3]
	s_cbranch_vccnz .LBB7_656
; %bb.655:
	global_load_ushort v3, v[1:2], off
	s_waitcnt vmcnt(0)
	v_cvt_f32_f16_e32 v3, v3
	v_cvt_i32_f32_e32 v3, v3
.LBB7_656:
	s_mov_b64 s[2:3], 0
.LBB7_657:
	s_andn2_b64 vcc, exec, s[2:3]
	s_cbranch_vccnz .LBB7_677
; %bb.658:
	s_cmp_lt_i32 s10, 2
	s_cbranch_scc1 .LBB7_662
; %bb.659:
	s_cmp_lt_i32 s10, 3
	s_cbranch_scc1 .LBB7_663
; %bb.660:
	s_cmp_gt_i32 s10, 3
	s_cbranch_scc0 .LBB7_664
; %bb.661:
	global_load_dwordx2 v[3:4], v[1:2], off
	s_mov_b64 s[2:3], 0
	s_branch .LBB7_665
.LBB7_662:
	s_mov_b64 s[2:3], -1
                                        ; implicit-def: $vgpr3
	s_branch .LBB7_671
.LBB7_663:
	s_mov_b64 s[2:3], -1
                                        ; implicit-def: $vgpr3
	s_branch .LBB7_668
.LBB7_664:
	s_mov_b64 s[2:3], -1
                                        ; implicit-def: $vgpr3
.LBB7_665:
	s_andn2_b64 vcc, exec, s[2:3]
	s_cbranch_vccnz .LBB7_667
; %bb.666:
	global_load_dword v3, v[1:2], off
.LBB7_667:
	s_mov_b64 s[2:3], 0
.LBB7_668:
	s_andn2_b64 vcc, exec, s[2:3]
	s_cbranch_vccnz .LBB7_670
; %bb.669:
	global_load_ushort v3, v[1:2], off
.LBB7_670:
	s_mov_b64 s[2:3], 0
.LBB7_671:
	s_andn2_b64 vcc, exec, s[2:3]
	s_cbranch_vccnz .LBB7_677
; %bb.672:
	s_cmp_gt_i32 s10, 0
	s_cbranch_scc0 .LBB7_674
; %bb.673:
	global_load_ubyte v3, v[1:2], off
	s_mov_b64 s[2:3], 0
	s_branch .LBB7_675
.LBB7_674:
	s_mov_b64 s[2:3], -1
                                        ; implicit-def: $vgpr3
.LBB7_675:
	s_andn2_b64 vcc, exec, s[2:3]
	s_cbranch_vccnz .LBB7_677
; %bb.676:
	global_load_ubyte v3, v[1:2], off
.LBB7_677:
	s_mov_b64 s[2:3], -1
.LBB7_678:
	s_andn2_b64 vcc, exec, s[2:3]
	s_cbranch_vccnz .LBB7_686
; %bb.679:
	v_mov_b32_e32 v1, s79
	s_waitcnt vmcnt(0)
	v_cndmask_b32_e64 v2, v1, v3, s[0:1]
	v_mov_b32_e32 v1, s25
	s_and_b32 s16, s48, 0xff
	v_add_co_u32_e32 v0, vcc, s24, v0
	s_cmp_lt_i32 s16, 11
	v_addc_co_u32_e32 v1, vcc, 0, v1, vcc
	s_cbranch_scc1 .LBB7_687
; %bb.680:
	s_and_b32 s17, 0xffff, s16
	s_cmp_gt_i32 s17, 25
	s_cbranch_scc0 .LBB7_688
; %bb.681:
	s_cmp_gt_i32 s17, 28
	s_cbranch_scc0 .LBB7_689
; %bb.682:
	;; [unrolled: 3-line block ×4, first 2 shown]
	s_mov_b64 s[12:13], 0
	s_mov_b64 s[2:3], -1
	s_cmp_eq_u32 s17, 46
	s_mov_b64 s[10:11], 0
	s_cbranch_scc0 .LBB7_692
; %bb.685:
	v_cvt_f32_ubyte0_e32 v3, v2
	v_bfe_u32 v4, v3, 16, 1
	s_movk_i32 s2, 0x7fff
	v_add3_u32 v3, v3, v4, s2
	v_lshrrev_b32_e32 v3, 16, v3
	global_store_dword v[0:1], v3, off
	s_mov_b64 s[10:11], -1
	s_mov_b64 s[2:3], 0
	s_branch .LBB7_692
.LBB7_686:
	s_mov_b64 s[10:11], 0
	s_mov_b64 s[2:3], s[68:69]
	s_branch .LBB7_803
.LBB7_687:
	s_mov_b64 s[12:13], -1
	s_mov_b64 s[10:11], 0
	s_mov_b64 s[2:3], s[68:69]
	s_branch .LBB7_761
.LBB7_688:
	s_mov_b64 s[12:13], -1
	s_mov_b64 s[10:11], 0
	s_mov_b64 s[2:3], s[68:69]
	s_branch .LBB7_719
.LBB7_689:
	s_mov_b64 s[12:13], -1
	s_mov_b64 s[10:11], 0
	s_mov_b64 s[2:3], s[68:69]
	s_branch .LBB7_702
.LBB7_690:
	s_mov_b64 s[12:13], -1
	s_mov_b64 s[10:11], 0
	s_mov_b64 s[2:3], s[68:69]
	s_branch .LBB7_698
.LBB7_691:
	s_mov_b64 s[12:13], -1
	s_mov_b64 s[10:11], 0
	s_mov_b64 s[2:3], s[68:69]
.LBB7_692:
	s_and_b64 vcc, exec, s[12:13]
	s_cbranch_vccz .LBB7_697
; %bb.693:
	s_cmp_eq_u32 s17, 44
	s_mov_b64 s[2:3], -1
	s_cbranch_scc0 .LBB7_697
; %bb.694:
	v_cvt_f32_ubyte0_e32 v4, v2
	v_lshrrev_b32_e32 v3, 23, v4
	s_movk_i32 s2, 0xff
	v_cmp_ne_u32_e32 vcc, s2, v3
	v_mov_b32_e32 v5, 0xff
	s_and_saveexec_b64 s[10:11], vcc
; %bb.695:
	s_mov_b32 s2, 0x3fffff
	v_and_b32_e32 v5, 0x400000, v4
	v_and_or_b32 v4, v4, s2, v3
	v_cmp_ne_u32_e32 vcc, 0, v5
	v_cmp_ne_u32_e64 s[2:3], 0, v4
	s_and_b64 s[2:3], vcc, s[2:3]
	v_cndmask_b32_e64 v4, 0, 1, s[2:3]
	v_add_u32_e32 v5, v3, v4
; %bb.696:
	s_or_b64 exec, exec, s[10:11]
	s_mov_b64 s[10:11], -1
	s_mov_b64 s[2:3], 0
	global_store_byte v[0:1], v5, off
.LBB7_697:
	s_mov_b64 s[12:13], 0
.LBB7_698:
	s_and_b64 vcc, exec, s[12:13]
	s_cbranch_vccz .LBB7_701
; %bb.699:
	s_cmp_eq_u32 s17, 29
	s_mov_b64 s[2:3], -1
	s_cbranch_scc0 .LBB7_701
; %bb.700:
	v_and_b32_e32 v3, 0xff, v2
	v_mov_b32_e32 v4, 0
	global_store_dwordx2 v[0:1], v[3:4], off
	s_mov_b64 s[10:11], -1
	s_mov_b64 s[2:3], 0
.LBB7_701:
	s_mov_b64 s[12:13], 0
.LBB7_702:
	s_and_b64 vcc, exec, s[12:13]
	s_cbranch_vccz .LBB7_718
; %bb.703:
	s_cmp_lt_i32 s17, 27
	s_mov_b64 s[10:11], -1
	s_cbranch_scc1 .LBB7_709
; %bb.704:
	s_cmp_gt_i32 s17, 27
	s_cbranch_scc0 .LBB7_706
; %bb.705:
	v_and_b32_e32 v3, 0xff, v2
	s_mov_b64 s[10:11], 0
	global_store_dword v[0:1], v3, off
.LBB7_706:
	s_andn2_b64 vcc, exec, s[10:11]
	s_cbranch_vccnz .LBB7_708
; %bb.707:
	v_and_b32_e32 v3, 0xff, v2
	global_store_short v[0:1], v3, off
.LBB7_708:
	s_mov_b64 s[10:11], 0
.LBB7_709:
	s_andn2_b64 vcc, exec, s[10:11]
	s_cbranch_vccnz .LBB7_717
; %bb.710:
	v_cvt_f32_ubyte0_e32 v4, v2
	s_mov_b32 s10, 0x43800000
	v_cmp_gt_u32_e32 vcc, s10, v4
	v_mov_b32_e32 v5, 0x80
	s_and_saveexec_b64 s[10:11], vcc
	s_cbranch_execz .LBB7_716
; %bb.711:
	s_mov_b32 s12, 0x3bffffff
	v_cmp_lt_u32_e32 vcc, s12, v4
	s_mov_b64 s[12:13], 0
                                        ; implicit-def: $vgpr3
	s_and_saveexec_b64 s[14:15], vcc
	s_xor_b64 s[14:15], exec, s[14:15]
	s_cbranch_execz .LBB7_833
; %bb.712:
	v_bfe_u32 v3, v4, 20, 1
	s_mov_b32 s18, 0x487ffff
	v_add3_u32 v3, v4, v3, s18
	s_mov_b64 s[12:13], exec
	v_lshrrev_b32_e32 v3, 20, v3
                                        ; implicit-def: $vgpr4
	s_andn2_saveexec_b64 s[14:15], s[14:15]
	s_cbranch_execnz .LBB7_834
.LBB7_713:
	s_or_b64 exec, exec, s[14:15]
	v_mov_b32_e32 v5, 0
	s_and_saveexec_b64 s[14:15], s[12:13]
.LBB7_714:
	v_mov_b32_e32 v5, v3
.LBB7_715:
	s_or_b64 exec, exec, s[14:15]
.LBB7_716:
	s_or_b64 exec, exec, s[10:11]
	global_store_byte v[0:1], v5, off
.LBB7_717:
	s_mov_b64 s[10:11], -1
.LBB7_718:
	s_mov_b64 s[12:13], 0
.LBB7_719:
	s_and_b64 vcc, exec, s[12:13]
	s_cbranch_vccz .LBB7_760
; %bb.720:
	s_cmp_gt_i32 s17, 22
	s_mov_b64 s[12:13], -1
	s_cbranch_scc0 .LBB7_752
; %bb.721:
	s_cmp_lt_i32 s17, 24
	s_mov_b64 s[10:11], -1
	s_cbranch_scc1 .LBB7_741
; %bb.722:
	s_cmp_gt_i32 s17, 24
	s_cbranch_scc0 .LBB7_730
; %bb.723:
	v_cvt_f32_ubyte0_e32 v4, v2
	s_mov_b32 s10, 0x47800000
	v_cmp_gt_u32_e32 vcc, s10, v4
	v_mov_b32_e32 v5, 0x80
	s_and_saveexec_b64 s[10:11], vcc
	s_cbranch_execz .LBB7_729
; %bb.724:
	s_mov_b32 s12, 0x37ffffff
	v_cmp_lt_u32_e32 vcc, s12, v4
	s_mov_b64 s[12:13], 0
                                        ; implicit-def: $vgpr3
	s_and_saveexec_b64 s[14:15], vcc
	s_xor_b64 s[14:15], exec, s[14:15]
	s_cbranch_execz .LBB7_836
; %bb.725:
	v_bfe_u32 v3, v4, 21, 1
	s_mov_b32 s18, 0x88fffff
	v_add3_u32 v3, v4, v3, s18
	s_mov_b64 s[12:13], exec
	v_lshrrev_b32_e32 v3, 21, v3
                                        ; implicit-def: $vgpr4
	s_andn2_saveexec_b64 s[14:15], s[14:15]
	s_cbranch_execnz .LBB7_837
.LBB7_726:
	s_or_b64 exec, exec, s[14:15]
	v_mov_b32_e32 v5, 0
	s_and_saveexec_b64 s[14:15], s[12:13]
.LBB7_727:
	v_mov_b32_e32 v5, v3
.LBB7_728:
	s_or_b64 exec, exec, s[14:15]
.LBB7_729:
	s_or_b64 exec, exec, s[10:11]
	s_mov_b64 s[10:11], 0
	global_store_byte v[0:1], v5, off
.LBB7_730:
	s_and_b64 vcc, exec, s[10:11]
	s_cbranch_vccz .LBB7_740
; %bb.731:
	v_cvt_f32_ubyte0_e32 v3, v2
	s_mov_b32 s10, 0x43f00000
	v_cmp_gt_u32_e32 vcc, s10, v3
                                        ; implicit-def: $vgpr4
	s_and_saveexec_b64 s[10:11], vcc
	s_xor_b64 s[10:11], exec, s[10:11]
	s_cbranch_execz .LBB7_737
; %bb.732:
	s_mov_b32 s12, 0x3c7fffff
	v_cmp_lt_u32_e32 vcc, s12, v3
                                        ; implicit-def: $vgpr4
	s_and_saveexec_b64 s[12:13], vcc
	s_xor_b64 s[12:13], exec, s[12:13]
; %bb.733:
	v_bfe_u32 v4, v3, 20, 1
	s_mov_b32 s14, 0x407ffff
	v_add3_u32 v3, v3, v4, s14
	v_lshrrev_b32_e32 v4, 20, v3
	v_and_b32_e32 v3, 0xff00000, v3
	s_mov_b32 s14, 0x7f00000
	v_mov_b32_e32 v5, 0x7e
	v_cmp_ne_u32_e32 vcc, s14, v3
	v_cndmask_b32_e32 v4, v5, v4, vcc
                                        ; implicit-def: $vgpr3
; %bb.734:
	s_andn2_saveexec_b64 s[12:13], s[12:13]
; %bb.735:
	v_add_f32_e32 v4, 0x46800000, v3
; %bb.736:
	s_or_b64 exec, exec, s[12:13]
                                        ; implicit-def: $vgpr3
.LBB7_737:
	s_andn2_saveexec_b64 s[10:11], s[10:11]
; %bb.738:
	s_mov_b32 s12, 0x7f800000
	v_mov_b32_e32 v4, 0x7e
	v_mov_b32_e32 v5, 0x7f
	v_cmp_lt_u32_e32 vcc, s12, v3
	v_cndmask_b32_e32 v4, v4, v5, vcc
; %bb.739:
	s_or_b64 exec, exec, s[10:11]
	global_store_byte v[0:1], v4, off
.LBB7_740:
	s_mov_b64 s[10:11], 0
.LBB7_741:
	s_andn2_b64 vcc, exec, s[10:11]
	s_cbranch_vccnz .LBB7_751
; %bb.742:
	v_cvt_f32_ubyte0_e32 v3, v2
	s_mov_b32 s10, 0x47800000
	v_cmp_gt_u32_e32 vcc, s10, v3
                                        ; implicit-def: $vgpr4
	s_and_saveexec_b64 s[10:11], vcc
	s_xor_b64 s[10:11], exec, s[10:11]
	s_cbranch_execz .LBB7_748
; %bb.743:
	s_mov_b32 s12, 0x387fffff
	v_cmp_lt_u32_e32 vcc, s12, v3
                                        ; implicit-def: $vgpr4
	s_and_saveexec_b64 s[12:13], vcc
	s_xor_b64 s[12:13], exec, s[12:13]
; %bb.744:
	v_bfe_u32 v4, v3, 21, 1
	s_mov_b32 s14, 0x80fffff
	v_add3_u32 v3, v3, v4, s14
	v_lshrrev_b32_e32 v4, 21, v3
                                        ; implicit-def: $vgpr3
; %bb.745:
	s_andn2_saveexec_b64 s[12:13], s[12:13]
; %bb.746:
	v_add_f32_e32 v4, 0x43000000, v3
; %bb.747:
	s_or_b64 exec, exec, s[12:13]
                                        ; implicit-def: $vgpr3
.LBB7_748:
	s_andn2_saveexec_b64 s[10:11], s[10:11]
; %bb.749:
	s_mov_b32 s12, 0x7f800000
	v_mov_b32_e32 v4, 0x7c
	v_mov_b32_e32 v5, 0x7f
	v_cmp_lt_u32_e32 vcc, s12, v3
	v_cndmask_b32_e32 v4, v4, v5, vcc
; %bb.750:
	s_or_b64 exec, exec, s[10:11]
	global_store_byte v[0:1], v4, off
.LBB7_751:
	s_mov_b64 s[12:13], 0
	s_mov_b64 s[10:11], -1
.LBB7_752:
	s_andn2_b64 vcc, exec, s[12:13]
	s_cbranch_vccnz .LBB7_760
; %bb.753:
	s_cmp_gt_i32 s17, 14
	s_mov_b64 s[12:13], -1
	s_cbranch_scc0 .LBB7_757
; %bb.754:
	s_cmp_eq_u32 s17, 15
	s_mov_b64 s[2:3], -1
	s_cbranch_scc0 .LBB7_756
; %bb.755:
	v_cvt_f32_ubyte0_e32 v3, v2
	v_bfe_u32 v4, v3, 16, 1
	s_movk_i32 s2, 0x7fff
	v_add3_u32 v3, v3, v4, s2
	global_store_short_d16_hi v[0:1], v3, off
	s_mov_b64 s[10:11], -1
	s_mov_b64 s[2:3], 0
.LBB7_756:
	s_mov_b64 s[12:13], 0
.LBB7_757:
	s_and_b64 vcc, exec, s[12:13]
	s_cbranch_vccz .LBB7_760
; %bb.758:
	s_cmp_eq_u32 s17, 11
	s_mov_b64 s[2:3], -1
	s_cbranch_scc0 .LBB7_760
; %bb.759:
	v_mov_b32_e32 v3, 0
	v_cmp_ne_u16_sdwa s[2:3], v2, v3 src0_sel:BYTE_0 src1_sel:DWORD
	v_cndmask_b32_e64 v3, 0, 1, s[2:3]
	s_mov_b64 s[10:11], -1
	s_mov_b64 s[2:3], 0
	global_store_byte v[0:1], v3, off
.LBB7_760:
	s_mov_b64 s[12:13], 0
.LBB7_761:
	s_and_b64 vcc, exec, s[12:13]
	s_cbranch_vccz .LBB7_800
; %bb.762:
	s_and_b32 s12, 0xffff, s16
	s_cmp_lt_i32 s12, 5
	s_mov_b64 s[10:11], -1
	s_cbranch_scc1 .LBB7_783
; %bb.763:
	s_cmp_lt_i32 s12, 8
	s_cbranch_scc1 .LBB7_773
; %bb.764:
	s_cmp_lt_i32 s12, 9
	s_cbranch_scc1 .LBB7_770
; %bb.765:
	s_cmp_gt_i32 s12, 9
	s_cbranch_scc0 .LBB7_767
; %bb.766:
	s_mov_b32 s10, 0xffff
	v_and_b32_sdwa v3, s10, v2 dst_sel:DWORD dst_unused:UNUSED_PAD src0_sel:DWORD src1_sel:BYTE_0
	v_cvt_f64_u32_e32 v[3:4], v3
	v_mov_b32_e32 v5, 0
	v_mov_b32_e32 v6, v5
	s_mov_b64 s[10:11], 0
	global_store_dwordx4 v[0:1], v[3:6], off
.LBB7_767:
	s_andn2_b64 vcc, exec, s[10:11]
	s_cbranch_vccnz .LBB7_769
; %bb.768:
	v_cvt_f32_ubyte0_e32 v3, v2
	v_mov_b32_e32 v4, 0
	global_store_dwordx2 v[0:1], v[3:4], off
.LBB7_769:
	s_mov_b64 s[10:11], 0
.LBB7_770:
	s_andn2_b64 vcc, exec, s[10:11]
	s_cbranch_vccnz .LBB7_772
; %bb.771:
	v_cvt_f16_u16_sdwa v3, v2 dst_sel:DWORD dst_unused:UNUSED_PAD src0_sel:BYTE_0
	global_store_dword v[0:1], v3, off
.LBB7_772:
	s_mov_b64 s[10:11], 0
.LBB7_773:
	s_andn2_b64 vcc, exec, s[10:11]
	s_cbranch_vccnz .LBB7_782
; %bb.774:
	s_cmp_lt_i32 s12, 6
	s_mov_b64 s[10:11], -1
	s_cbranch_scc1 .LBB7_780
; %bb.775:
	s_cmp_gt_i32 s12, 6
	s_cbranch_scc0 .LBB7_777
; %bb.776:
	s_mov_b32 s10, 0xffff
	v_and_b32_sdwa v3, s10, v2 dst_sel:DWORD dst_unused:UNUSED_PAD src0_sel:DWORD src1_sel:BYTE_0
	v_cvt_f64_u32_e32 v[3:4], v3
	s_mov_b64 s[10:11], 0
	global_store_dwordx2 v[0:1], v[3:4], off
.LBB7_777:
	s_andn2_b64 vcc, exec, s[10:11]
	s_cbranch_vccnz .LBB7_779
; %bb.778:
	v_cvt_f32_ubyte0_e32 v3, v2
	global_store_dword v[0:1], v3, off
.LBB7_779:
	s_mov_b64 s[10:11], 0
.LBB7_780:
	s_andn2_b64 vcc, exec, s[10:11]
	s_cbranch_vccnz .LBB7_782
; %bb.781:
	v_cvt_f16_u16_sdwa v3, v2 dst_sel:DWORD dst_unused:UNUSED_PAD src0_sel:BYTE_0
	global_store_short v[0:1], v3, off
.LBB7_782:
	s_mov_b64 s[10:11], 0
.LBB7_783:
	s_andn2_b64 vcc, exec, s[10:11]
	s_cbranch_vccnz .LBB7_799
; %bb.784:
	s_cmp_lt_i32 s12, 2
	s_mov_b64 s[10:11], -1
	s_cbranch_scc1 .LBB7_794
; %bb.785:
	s_cmp_lt_i32 s12, 3
	s_cbranch_scc1 .LBB7_791
; %bb.786:
	s_cmp_gt_i32 s12, 3
	s_cbranch_scc0 .LBB7_788
; %bb.787:
	v_and_b32_e32 v3, 0xff, v2
	v_mov_b32_e32 v4, 0
	s_mov_b64 s[10:11], 0
	global_store_dwordx2 v[0:1], v[3:4], off
.LBB7_788:
	s_andn2_b64 vcc, exec, s[10:11]
	s_cbranch_vccnz .LBB7_790
; %bb.789:
	v_and_b32_e32 v3, 0xff, v2
	global_store_dword v[0:1], v3, off
.LBB7_790:
	s_mov_b64 s[10:11], 0
.LBB7_791:
	s_andn2_b64 vcc, exec, s[10:11]
	s_cbranch_vccnz .LBB7_793
; %bb.792:
	v_and_b32_e32 v3, 0xff, v2
	global_store_short v[0:1], v3, off
.LBB7_793:
	s_mov_b64 s[10:11], 0
.LBB7_794:
	s_andn2_b64 vcc, exec, s[10:11]
	s_cbranch_vccnz .LBB7_799
; %bb.795:
	s_cmp_gt_i32 s12, 0
	s_mov_b64 s[10:11], -1
	s_cbranch_scc0 .LBB7_797
; %bb.796:
	s_mov_b64 s[10:11], 0
	global_store_byte v[0:1], v2, off
.LBB7_797:
	s_andn2_b64 vcc, exec, s[10:11]
	s_cbranch_vccnz .LBB7_799
; %bb.798:
	global_store_byte v[0:1], v2, off
.LBB7_799:
	s_mov_b64 s[10:11], -1
.LBB7_800:
	s_andn2_b64 vcc, exec, s[10:11]
	s_cbranch_vccnz .LBB7_802
; %bb.801:
	v_add_u32_e32 v11, 0x80, v11
	s_mov_b64 s[10:11], -1
	s_branch .LBB7_804
.LBB7_802:
	s_mov_b64 s[10:11], 0
.LBB7_803:
                                        ; implicit-def: $vgpr11
.LBB7_804:
	s_andn2_b64 s[12:13], s[68:69], exec
	s_and_b64 s[2:3], s[2:3], exec
	s_or_b64 s[74:75], s[12:13], s[2:3]
	s_andn2_b64 s[2:3], s[66:67], exec
	s_and_b64 s[8:9], s[8:9], exec
	s_or_b64 s[2:3], s[2:3], s[8:9]
	s_orn2_b64 s[10:11], s[10:11], exec
.LBB7_805:
	s_or_b64 exec, exec, s[72:73]
	s_mov_b64 s[8:9], 0
	s_mov_b64 s[12:13], 0
	;; [unrolled: 1-line block ×3, first 2 shown]
                                        ; implicit-def: $sgpr18
                                        ; implicit-def: $vgpr1_vgpr2
                                        ; implicit-def: $vgpr0
                                        ; implicit-def: $vgpr3
	s_and_saveexec_b64 s[72:73], s[10:11]
	s_cbranch_execz .LBB7_900
; %bb.806:
	v_cmp_gt_i32_e32 vcc, s76, v11
	s_mov_b64 s[10:11], 0
	s_mov_b64 s[16:17], s[2:3]
                                        ; implicit-def: $sgpr18
                                        ; implicit-def: $vgpr1_vgpr2
                                        ; implicit-def: $vgpr0
                                        ; implicit-def: $vgpr3
	s_and_saveexec_b64 s[76:77], vcc
	s_cbranch_execz .LBB7_899
; %bb.807:
	s_andn2_b64 vcc, exec, s[44:45]
	s_cbranch_vccnz .LBB7_812
; %bb.808:
	s_andn2_b64 vcc, exec, s[58:59]
	s_cbranch_vccnz .LBB7_813
; %bb.809:
	s_add_i32 s80, s80, 1
	s_cmp_eq_u32 s78, 2
	s_cbranch_scc1 .LBB7_814
; %bb.810:
	s_and_b32 s49, s80, 28
	v_mov_b32_e32 v2, 0
	s_mov_b32 s50, 0
	s_mov_b64 s[58:59], s[34:35]
	v_mov_b32_e32 v0, 0
	v_mov_b32_e32 v1, v11
.LBB7_811:                              ; =>This Inner Loop Header: Depth=1
	s_load_dwordx8 s[16:23], s[58:59], 0x4
	s_load_dwordx4 s[40:43], s[58:59], 0x24
	s_load_dwordx8 s[8:15], s[56:57], 0x0
	s_add_u32 s58, s58, 48
	s_addc_u32 s59, s59, 0
	s_waitcnt vmcnt(0) lgkmcnt(0)
	v_mul_hi_u32 v3, s17, v1
	s_add_i32 s50, s50, 4
	s_add_u32 s56, s56, 32
	s_addc_u32 s57, s57, 0
	v_add_u32_e32 v3, v1, v3
	v_lshrrev_b32_e32 v3, s18, v3
	v_mul_lo_u32 v4, v3, s16
	v_mul_hi_u32 v5, s20, v3
	s_cmp_eq_u32 s49, s50
	v_sub_u32_e32 v1, v1, v4
	v_add_u32_e32 v4, v3, v5
	v_mul_lo_u32 v5, v1, s8
	v_mul_lo_u32 v6, v1, s9
	v_lshrrev_b32_e32 v1, s21, v4
	v_mul_lo_u32 v4, v1, s19
	v_mul_hi_u32 v7, s23, v1
	v_sub_u32_e32 v3, v3, v4
	v_add_u32_e32 v4, v1, v7
	v_lshrrev_b32_e32 v4, s40, v4
	v_mul_hi_u32 v8, s42, v4
	v_mul_lo_u32 v9, v4, s22
	v_mul_lo_u32 v7, v3, s10
	;; [unrolled: 1-line block ×3, first 2 shown]
	v_sub_u32_e32 v9, v1, v9
	v_add_u32_e32 v1, v4, v8
	v_lshrrev_b32_e32 v1, s43, v1
	v_mul_lo_u32 v8, v1, s41
	v_mul_lo_u32 v10, v9, s12
	;; [unrolled: 1-line block ×3, first 2 shown]
	v_add3_u32 v0, v5, v0, v7
	v_sub_u32_e32 v4, v4, v8
	v_mul_lo_u32 v8, v4, s14
	v_mul_lo_u32 v4, v4, s15
	v_add3_u32 v2, v6, v2, v3
	v_add3_u32 v0, v10, v0, v8
	;; [unrolled: 1-line block ×3, first 2 shown]
	s_cbranch_scc0 .LBB7_811
	s_branch .LBB7_815
.LBB7_812:
	s_mov_b64 s[8:9], -1
                                        ; implicit-def: $vgpr0
                                        ; implicit-def: $vgpr2
	s_branch .LBB7_819
.LBB7_813:
	v_mov_b32_e32 v0, 0
	v_mov_b32_e32 v2, 0
	s_branch .LBB7_818
.LBB7_814:
	s_mov_b32 s49, 0
	v_mov_b32_e32 v0, 0
	v_mov_b32_e32 v2, 0
	;; [unrolled: 1-line block ×3, first 2 shown]
.LBB7_815:
	s_and_b32 s12, s80, 3
	s_cmp_eq_u32 s12, 0
	s_cbranch_scc1 .LBB7_818
; %bb.816:
	s_lshl_b32 s8, s49, 3
	s_add_u32 s8, s34, s8
	s_addc_u32 s9, s35, 0
	s_add_u32 s8, s8, 0xc4
	s_addc_u32 s9, s9, 0
	s_mul_i32 s10, s49, 12
	s_add_u32 s10, s34, s10
	s_addc_u32 s11, s35, 0
.LBB7_817:                              ; =>This Inner Loop Header: Depth=1
	s_load_dwordx2 s[14:15], s[10:11], 0x4
	s_load_dword s13, s[10:11], 0xc
	s_load_dwordx2 s[16:17], s[8:9], 0x0
	s_add_u32 s10, s10, 12
	s_addc_u32 s11, s11, 0
	s_waitcnt vmcnt(0) lgkmcnt(0)
	v_mul_hi_u32 v3, s15, v1
	s_add_u32 s8, s8, 8
	s_addc_u32 s9, s9, 0
	s_add_i32 s12, s12, -1
	v_add_u32_e32 v3, v1, v3
	v_lshrrev_b32_e32 v4, s13, v3
	v_mul_lo_u32 v3, v4, s14
	s_cmp_lg_u32 s12, 0
	v_sub_u32_e32 v3, v1, v3
	v_mad_u64_u32 v[0:1], s[14:15], v3, s16, v[0:1]
	v_mad_u64_u32 v[2:3], s[14:15], v3, s17, v[2:3]
	v_mov_b32_e32 v1, v4
	s_cbranch_scc1 .LBB7_817
.LBB7_818:
	s_mov_b64 s[8:9], 0
.LBB7_819:
	s_andn2_b64 vcc, exec, s[8:9]
	s_cbranch_vccnz .LBB7_822
; %bb.820:
	v_mul_hi_u32 v0, s29, v11
	s_andn2_b64 vcc, exec, s[54:55]
	v_add_u32_e32 v0, v11, v0
	v_lshrrev_b32_e32 v1, s30, v0
	v_mul_lo_u32 v0, v1, s28
	v_sub_u32_e32 v2, v11, v0
	v_mul_lo_u32 v0, v2, s36
	v_mul_lo_u32 v2, v2, s37
	s_cbranch_vccnz .LBB7_822
; %bb.821:
	s_waitcnt vmcnt(0)
	v_mul_hi_u32 v3, s52, v1
	v_add_u32_e32 v3, v1, v3
	v_lshrrev_b32_e32 v3, s53, v3
	v_mul_lo_u32 v3, v3, s31
	v_sub_u32_e32 v3, v1, v3
	v_mad_u64_u32 v[0:1], s[8:9], v3, s38, v[0:1]
	v_mad_u64_u32 v[2:3], s[8:9], v3, s39, v[2:3]
.LBB7_822:
	s_waitcnt vmcnt(0)
	v_mov_b32_e32 v3, s27
	s_and_b32 s18, s51, 0xff
	v_add_co_u32_e32 v1, vcc, s26, v2
	s_cmp_lt_i32 s18, 11
	v_addc_co_u32_e32 v2, vcc, 0, v3, vcc
	s_cbranch_scc1 .LBB7_829
; %bb.823:
	s_and_b32 s16, 0xffff, s18
	s_cmp_gt_i32 s16, 25
	s_mov_b64 s[10:11], 0
	s_cbranch_scc0 .LBB7_830
; %bb.824:
	s_cmp_gt_i32 s16, 28
	s_cbranch_scc0 .LBB7_831
; %bb.825:
	s_cmp_gt_i32 s16, 43
	;; [unrolled: 3-line block ×3, first 2 shown]
	s_cbranch_scc0 .LBB7_835
; %bb.827:
	s_cmp_eq_u32 s16, 46
	s_mov_b64 s[14:15], 0
	s_cbranch_scc0 .LBB7_838
; %bb.828:
	global_load_dword v3, v[1:2], off
	s_mov_b32 s8, 0x2f800000
	s_mov_b32 s9, 0xcf800000
	s_mov_b64 s[12:13], -1
	s_waitcnt vmcnt(0)
	v_lshlrev_b32_e32 v3, 16, v3
	v_trunc_f32_e32 v3, v3
	v_mul_f32_e64 v4, |v3|, s8
	v_floor_f32_e32 v4, v4
	v_fma_f32 v4, v4, s9, |v3|
	v_cvt_u32_f32_e32 v4, v4
	v_ashrrev_i32_e32 v3, 31, v3
	s_mov_b64 s[8:9], 0
	v_xor_b32_e32 v4, v4, v3
	v_sub_u32_e32 v3, v4, v3
	s_branch .LBB7_839
.LBB7_829:
	s_mov_b64 s[16:17], -1
	s_mov_b64 s[12:13], 0
	s_mov_b64 s[10:11], 0
	;; [unrolled: 1-line block ×3, first 2 shown]
                                        ; implicit-def: $vgpr3
	s_branch .LBB7_898
.LBB7_830:
	s_mov_b64 s[14:15], -1
	s_mov_b64 s[12:13], 0
	s_mov_b64 s[8:9], s[2:3]
                                        ; implicit-def: $vgpr3
	s_branch .LBB7_866
.LBB7_831:
	s_mov_b64 s[14:15], -1
	s_mov_b64 s[12:13], 0
	s_mov_b64 s[8:9], s[2:3]
                                        ; implicit-def: $vgpr3
	s_branch .LBB7_849
.LBB7_832:
	s_mov_b64 s[14:15], -1
	s_mov_b64 s[12:13], 0
	s_mov_b64 s[8:9], s[2:3]
                                        ; implicit-def: $vgpr3
	s_branch .LBB7_844
.LBB7_833:
	s_andn2_saveexec_b64 s[14:15], s[14:15]
	s_cbranch_execz .LBB7_713
.LBB7_834:
	v_add_f32_e32 v3, 0x46000000, v4
	v_and_b32_e32 v3, 0xff, v3
	v_cmp_ne_u32_e32 vcc, 0, v3
	s_andn2_b64 s[12:13], s[12:13], exec
	s_and_b64 s[18:19], vcc, exec
	s_or_b64 s[12:13], s[12:13], s[18:19]
	s_or_b64 exec, exec, s[14:15]
	v_mov_b32_e32 v5, 0
	s_and_saveexec_b64 s[14:15], s[12:13]
	s_cbranch_execnz .LBB7_714
	s_branch .LBB7_715
.LBB7_835:
	s_mov_b64 s[14:15], -1
	s_mov_b64 s[12:13], 0
	s_mov_b64 s[8:9], s[2:3]
                                        ; implicit-def: $vgpr3
	s_branch .LBB7_839
.LBB7_836:
	s_andn2_saveexec_b64 s[14:15], s[14:15]
	s_cbranch_execz .LBB7_726
.LBB7_837:
	v_add_f32_e32 v3, 0x42800000, v4
	v_and_b32_e32 v3, 0xff, v3
	v_cmp_ne_u32_e32 vcc, 0, v3
	s_andn2_b64 s[12:13], s[12:13], exec
	s_and_b64 s[18:19], vcc, exec
	s_or_b64 s[12:13], s[12:13], s[18:19]
	s_or_b64 exec, exec, s[14:15]
	v_mov_b32_e32 v5, 0
	s_and_saveexec_b64 s[14:15], s[12:13]
	s_cbranch_execnz .LBB7_727
	s_branch .LBB7_728
.LBB7_838:
	s_mov_b64 s[8:9], -1
                                        ; implicit-def: $vgpr3
	s_mov_b64 s[12:13], 0
.LBB7_839:
	s_and_b64 vcc, exec, s[14:15]
	s_cbranch_vccz .LBB7_843
; %bb.840:
	s_cmp_eq_u32 s16, 44
	s_cbranch_scc0 .LBB7_842
; %bb.841:
	global_load_ubyte v3, v[1:2], off
	s_mov_b32 s8, 0x2f800000
	s_mov_b32 s9, 0xcf800000
	s_mov_b64 s[12:13], -1
	s_waitcnt vmcnt(0)
	v_lshlrev_b32_e32 v4, 23, v3
	v_trunc_f32_e32 v4, v4
	v_mul_f32_e64 v5, |v4|, s8
	v_floor_f32_e32 v5, v5
	v_fma_f32 v5, v5, s9, |v4|
	v_cvt_u32_f32_e32 v5, v5
	v_ashrrev_i32_e32 v4, 31, v4
	v_cmp_ne_u32_e32 vcc, 0, v3
	s_mov_b64 s[8:9], 0
	v_xor_b32_e32 v5, v5, v4
	v_sub_u32_e32 v4, v5, v4
	v_cndmask_b32_e32 v3, 0, v4, vcc
	s_branch .LBB7_843
.LBB7_842:
	s_mov_b64 s[8:9], -1
                                        ; implicit-def: $vgpr3
.LBB7_843:
	s_mov_b64 s[14:15], 0
.LBB7_844:
	s_and_b64 vcc, exec, s[14:15]
	s_cbranch_vccz .LBB7_848
; %bb.845:
	s_cmp_eq_u32 s16, 29
	s_cbranch_scc0 .LBB7_847
; %bb.846:
	global_load_dwordx2 v[3:4], v[1:2], off
	s_mov_b64 s[8:9], 0
	s_mov_b64 s[12:13], -1
	s_branch .LBB7_848
.LBB7_847:
	s_mov_b64 s[8:9], -1
                                        ; implicit-def: $vgpr3
.LBB7_848:
	s_mov_b64 s[14:15], 0
.LBB7_849:
	s_and_b64 vcc, exec, s[14:15]
	s_cbranch_vccz .LBB7_865
; %bb.850:
	s_cmp_lt_i32 s16, 27
	s_cbranch_scc1 .LBB7_853
; %bb.851:
	s_cmp_gt_i32 s16, 27
	s_cbranch_scc0 .LBB7_854
; %bb.852:
	global_load_dword v3, v[1:2], off
	s_mov_b64 s[12:13], 0
	s_branch .LBB7_855
.LBB7_853:
	s_mov_b64 s[12:13], -1
                                        ; implicit-def: $vgpr3
	s_branch .LBB7_858
.LBB7_854:
	s_mov_b64 s[12:13], -1
                                        ; implicit-def: $vgpr3
.LBB7_855:
	s_andn2_b64 vcc, exec, s[12:13]
	s_cbranch_vccnz .LBB7_857
; %bb.856:
	global_load_ushort v3, v[1:2], off
.LBB7_857:
	s_mov_b64 s[12:13], 0
.LBB7_858:
	s_andn2_b64 vcc, exec, s[12:13]
	s_cbranch_vccnz .LBB7_864
; %bb.859:
	global_load_ubyte v4, v[1:2], off
	s_movk_i32 s12, 0x7f
	s_mov_b64 s[14:15], 0
	s_waitcnt vmcnt(0)
	v_cmp_lt_i16_e32 vcc, s12, v4
	s_and_saveexec_b64 s[12:13], vcc
	s_xor_b64 s[12:13], exec, s[12:13]
	s_cbranch_execz .LBB7_876
; %bb.860:
	s_movk_i32 s14, 0x80
	v_cmp_ne_u16_e32 vcc, s14, v4
	s_and_b64 s[14:15], vcc, exec
	s_andn2_saveexec_b64 s[12:13], s[12:13]
	s_cbranch_execnz .LBB7_877
.LBB7_861:
	s_or_b64 exec, exec, s[12:13]
	v_mov_b32_e32 v3, 0
	s_and_saveexec_b64 s[12:13], s[14:15]
	s_cbranch_execz .LBB7_863
.LBB7_862:
	v_lshlrev_b32_e32 v3, 24, v4
	v_and_b32_e32 v4, 0xffff, v4
	v_and_b32_e32 v5, 7, v4
	v_ffbh_u32_e32 v7, v5
	v_min_u32_e32 v7, 32, v7
	v_subrev_u32_e32 v8, 28, v7
	v_bfe_u32 v6, v4, 3, 4
	v_lshlrev_b32_e32 v4, v8, v4
	v_sub_u32_e32 v7, 29, v7
	v_and_b32_e32 v4, 7, v4
	v_cmp_eq_u32_e32 vcc, 0, v6
	v_cndmask_b32_e32 v6, v6, v7, vcc
	v_cndmask_b32_e32 v4, v5, v4, vcc
	v_mov_b32_e32 v5, 0x3b800000
	v_lshlrev_b32_e32 v4, 20, v4
	v_and_b32_e32 v3, 0x80000000, v3
	v_lshl_add_u32 v5, v6, 23, v5
	v_or3_b32 v3, v3, v5, v4
	v_trunc_f32_e32 v3, v3
	s_mov_b32 s14, 0x2f800000
	v_mul_f32_e64 v4, |v3|, s14
	v_floor_f32_e32 v4, v4
	s_mov_b32 s14, 0xcf800000
	v_fma_f32 v4, v4, s14, |v3|
	v_cvt_u32_f32_e32 v4, v4
	v_ashrrev_i32_e32 v3, 31, v3
	v_xor_b32_e32 v4, v4, v3
	v_sub_u32_e32 v3, v4, v3
.LBB7_863:
	s_or_b64 exec, exec, s[12:13]
.LBB7_864:
	s_mov_b64 s[12:13], -1
.LBB7_865:
	s_mov_b64 s[14:15], 0
.LBB7_866:
	s_and_b64 vcc, exec, s[14:15]
	s_cbranch_vccz .LBB7_897
; %bb.867:
	s_cmp_gt_i32 s16, 22
	s_cbranch_scc0 .LBB7_875
; %bb.868:
	s_cmp_lt_i32 s16, 24
	s_cbranch_scc1 .LBB7_878
; %bb.869:
	s_cmp_gt_i32 s16, 24
	s_cbranch_scc0 .LBB7_879
; %bb.870:
	global_load_ubyte v4, v[1:2], off
	s_movk_i32 s10, 0x7f
	s_mov_b64 s[12:13], 0
	s_waitcnt vmcnt(0)
	v_cmp_lt_i16_e32 vcc, s10, v4
	s_and_saveexec_b64 s[10:11], vcc
	s_xor_b64 s[10:11], exec, s[10:11]
	s_cbranch_execz .LBB7_891
; %bb.871:
	s_movk_i32 s12, 0x80
	v_cmp_ne_u16_e32 vcc, s12, v4
	s_and_b64 s[12:13], vcc, exec
	s_andn2_saveexec_b64 s[10:11], s[10:11]
	s_cbranch_execnz .LBB7_892
.LBB7_872:
	s_or_b64 exec, exec, s[10:11]
	v_mov_b32_e32 v3, 0
	s_and_saveexec_b64 s[10:11], s[12:13]
	s_cbranch_execz .LBB7_874
.LBB7_873:
	v_lshlrev_b32_e32 v3, 24, v4
	v_and_b32_e32 v4, 0xffff, v4
	v_and_b32_e32 v5, 3, v4
	v_ffbh_u32_e32 v7, v5
	v_min_u32_e32 v7, 32, v7
	v_subrev_u32_e32 v8, 29, v7
	v_bfe_u32 v6, v4, 2, 5
	v_lshlrev_b32_e32 v4, v8, v4
	v_sub_u32_e32 v7, 30, v7
	v_and_b32_e32 v4, 3, v4
	v_cmp_eq_u32_e32 vcc, 0, v6
	v_cndmask_b32_e32 v6, v6, v7, vcc
	v_cndmask_b32_e32 v4, v5, v4, vcc
	v_mov_b32_e32 v5, 0x37800000
	v_lshlrev_b32_e32 v4, 21, v4
	v_and_b32_e32 v3, 0x80000000, v3
	v_lshl_add_u32 v5, v6, 23, v5
	v_or3_b32 v3, v3, v5, v4
	v_trunc_f32_e32 v3, v3
	s_mov_b32 s12, 0x2f800000
	v_mul_f32_e64 v4, |v3|, s12
	v_floor_f32_e32 v4, v4
	s_mov_b32 s12, 0xcf800000
	v_fma_f32 v4, v4, s12, |v3|
	v_cvt_u32_f32_e32 v4, v4
	v_ashrrev_i32_e32 v3, 31, v3
	v_xor_b32_e32 v4, v4, v3
	v_sub_u32_e32 v3, v4, v3
.LBB7_874:
	s_or_b64 exec, exec, s[10:11]
	s_mov_b64 s[10:11], 0
	s_branch .LBB7_880
.LBB7_875:
	s_mov_b64 s[10:11], -1
                                        ; implicit-def: $vgpr3
	s_branch .LBB7_886
.LBB7_876:
	s_andn2_saveexec_b64 s[12:13], s[12:13]
	s_cbranch_execz .LBB7_861
.LBB7_877:
	v_cmp_ne_u16_e32 vcc, 0, v4
	s_andn2_b64 s[14:15], s[14:15], exec
	s_and_b64 s[20:21], vcc, exec
	s_or_b64 s[14:15], s[14:15], s[20:21]
	s_or_b64 exec, exec, s[12:13]
	v_mov_b32_e32 v3, 0
	s_and_saveexec_b64 s[12:13], s[14:15]
	s_cbranch_execnz .LBB7_862
	s_branch .LBB7_863
.LBB7_878:
	s_mov_b64 s[10:11], -1
                                        ; implicit-def: $vgpr3
	s_branch .LBB7_883
.LBB7_879:
	s_mov_b64 s[10:11], -1
                                        ; implicit-def: $vgpr3
.LBB7_880:
	s_and_b64 vcc, exec, s[10:11]
	s_cbranch_vccz .LBB7_882
; %bb.881:
	global_load_ubyte v3, v[1:2], off
	s_mov_b32 s10, 0x7f800000
	s_brev_b32 s11, 1
	s_mov_b32 s12, 0x2f800000
	s_waitcnt vmcnt(0)
	v_lshlrev_b32_e32 v3, 24, v3
	v_and_b32_e32 v4, 0x7f000000, v3
	v_ffbh_u32_e32 v5, v4
	v_min_u32_e32 v5, 32, v5
	v_sub_u32_e64 v5, v5, 4 clamp
	v_lshlrev_b32_e32 v7, v5, v4
	v_lshlrev_b32_e32 v5, 23, v5
	v_lshrrev_b32_e32 v7, 4, v7
	v_add_u32_e32 v6, 0x1000000, v4
	v_sub_u32_e32 v5, v7, v5
	v_ashrrev_i32_e32 v6, 8, v6
	v_add_u32_e32 v5, 0x3c000000, v5
	v_and_or_b32 v5, v6, s10, v5
	v_cmp_ne_u32_e32 vcc, 0, v4
	v_cndmask_b32_e32 v4, 0, v5, vcc
	v_and_or_b32 v3, v3, s11, v4
	v_trunc_f32_e32 v3, v3
	v_mul_f32_e64 v4, |v3|, s12
	v_floor_f32_e32 v4, v4
	s_mov_b32 s10, 0xcf800000
	v_fma_f32 v4, v4, s10, |v3|
	v_cvt_u32_f32_e32 v4, v4
	v_ashrrev_i32_e32 v3, 31, v3
	v_xor_b32_e32 v4, v4, v3
	v_sub_u32_e32 v3, v4, v3
.LBB7_882:
	s_mov_b64 s[10:11], 0
.LBB7_883:
	s_andn2_b64 vcc, exec, s[10:11]
	s_cbranch_vccnz .LBB7_885
; %bb.884:
	global_load_ubyte v3, v[1:2], off
	s_movk_i32 s10, 0x7f00
	s_brev_b32 s11, 16
	s_brev_b32 s12, 1
	s_mov_b32 s13, 0x2f800000
	s_waitcnt vmcnt(0)
	v_lshlrev_b16_e32 v4, 8, v3
	v_lshlrev_b32_e32 v3, 25, v3
	v_lshrrev_b32_e32 v5, 4, v3
	v_and_or_b32 v6, v4, s10, 0.5
	v_or_b32_e32 v5, 0x70000000, v5
	v_add_f32_e32 v6, -0.5, v6
	v_mul_f32_e32 v5, 0x7800000, v5
	v_cmp_gt_u32_e32 vcc, s11, v3
	v_bfe_i32 v4, v4, 0, 16
	v_cndmask_b32_e32 v3, v5, v6, vcc
	v_and_or_b32 v3, v4, s12, v3
	v_trunc_f32_e32 v3, v3
	v_mul_f32_e64 v4, |v3|, s13
	v_floor_f32_e32 v4, v4
	s_mov_b32 s10, 0xcf800000
	v_fma_f32 v4, v4, s10, |v3|
	v_cvt_u32_f32_e32 v4, v4
	v_ashrrev_i32_e32 v3, 31, v3
	v_xor_b32_e32 v4, v4, v3
	v_sub_u32_e32 v3, v4, v3
.LBB7_885:
	s_mov_b64 s[10:11], 0
	s_mov_b64 s[12:13], -1
.LBB7_886:
	s_andn2_b64 vcc, exec, s[10:11]
	s_mov_b64 s[10:11], 0
	s_cbranch_vccnz .LBB7_897
; %bb.887:
	s_cmp_gt_i32 s16, 14
	s_cbranch_scc0 .LBB7_890
; %bb.888:
	s_cmp_eq_u32 s16, 15
	s_cbranch_scc0 .LBB7_893
; %bb.889:
	global_load_ushort v3, v[1:2], off
	s_mov_b32 s8, 0x2f800000
	s_mov_b32 s9, 0xcf800000
	s_mov_b64 s[12:13], -1
	s_waitcnt vmcnt(0)
	v_lshlrev_b32_e32 v3, 16, v3
	v_trunc_f32_e32 v3, v3
	v_mul_f32_e64 v4, |v3|, s8
	v_floor_f32_e32 v4, v4
	v_fma_f32 v4, v4, s9, |v3|
	v_cvt_u32_f32_e32 v4, v4
	v_ashrrev_i32_e32 v3, 31, v3
	s_mov_b64 s[8:9], 0
	v_xor_b32_e32 v4, v4, v3
	v_sub_u32_e32 v3, v4, v3
	s_branch .LBB7_894
.LBB7_890:
	s_mov_b64 s[14:15], -1
                                        ; implicit-def: $vgpr3
	s_branch .LBB7_895
.LBB7_891:
	s_andn2_saveexec_b64 s[10:11], s[10:11]
	s_cbranch_execz .LBB7_872
.LBB7_892:
	v_cmp_ne_u16_e32 vcc, 0, v4
	s_andn2_b64 s[12:13], s[12:13], exec
	s_and_b64 s[14:15], vcc, exec
	s_or_b64 s[12:13], s[12:13], s[14:15]
	s_or_b64 exec, exec, s[10:11]
	v_mov_b32_e32 v3, 0
	s_and_saveexec_b64 s[10:11], s[12:13]
	s_cbranch_execnz .LBB7_873
	s_branch .LBB7_874
.LBB7_893:
	s_mov_b64 s[8:9], -1
                                        ; implicit-def: $vgpr3
.LBB7_894:
	s_mov_b64 s[14:15], 0
.LBB7_895:
	s_and_b64 vcc, exec, s[14:15]
	s_cbranch_vccz .LBB7_897
; %bb.896:
	s_cmp_lg_u32 s16, 11
	s_cselect_b64 s[14:15], -1, 0
	s_andn2_b64 s[8:9], s[8:9], exec
	s_and_b64 s[14:15], s[14:15], exec
	s_mov_b64 s[10:11], -1
	s_or_b64 s[8:9], s[8:9], s[14:15]
.LBB7_897:
	s_mov_b64 s[16:17], 0
.LBB7_898:
	s_and_b64 s[14:15], s[12:13], exec
	s_and_b64 s[12:13], s[16:17], exec
	s_andn2_b64 s[16:17], s[2:3], exec
	s_and_b64 s[8:9], s[8:9], exec
	s_and_b64 s[10:11], s[10:11], exec
	s_or_b64 s[16:17], s[16:17], s[8:9]
.LBB7_899:
	s_or_b64 exec, exec, s[76:77]
	s_and_b64 s[8:9], s[10:11], exec
	s_andn2_b64 s[2:3], s[2:3], exec
	s_and_b64 s[10:11], s[16:17], exec
	s_and_b64 s[14:15], s[14:15], exec
	;; [unrolled: 1-line block ×3, first 2 shown]
	s_or_b64 s[2:3], s[2:3], s[10:11]
.LBB7_900:
	s_or_b64 exec, exec, s[72:73]
	s_andn2_b64 s[10:11], s[68:69], exec
	s_and_b64 s[16:17], s[74:75], exec
	s_or_b64 s[68:69], s[10:11], s[16:17]
	s_and_b64 s[10:11], s[14:15], exec
	s_andn2_b64 s[14:15], s[66:67], exec
	s_and_b64 s[2:3], s[2:3], exec
	s_and_b64 s[12:13], s[12:13], exec
	;; [unrolled: 1-line block ×3, first 2 shown]
	s_or_b64 s[66:67], s[14:15], s[2:3]
.LBB7_901:
	s_or_b64 exec, exec, s[70:71]
	s_andn2_b64 s[2:3], s[60:61], exec
	s_and_b64 s[14:15], s[68:69], exec
	s_or_b64 s[60:61], s[2:3], s[14:15]
	s_and_b64 s[68:69], s[8:9], exec
	s_andn2_b64 s[2:3], s[62:63], exec
	s_and_b64 s[8:9], s[66:67], exec
	s_and_b64 s[10:11], s[10:11], exec
	;; [unrolled: 1-line block ×3, first 2 shown]
	s_or_b64 s[62:63], s[2:3], s[8:9]
	s_or_b64 exec, exec, s[64:65]
	s_mov_b64 s[2:3], 0
	s_and_saveexec_b64 s[8:9], s[62:63]
	s_cbranch_execz .LBB7_270
.LBB7_902:
	s_mov_b64 s[2:3], exec
	s_andn2_b64 s[68:69], s[68:69], exec
	s_trap 2
	s_or_b64 exec, exec, s[8:9]
	s_and_saveexec_b64 s[8:9], s[68:69]
	s_xor_b64 s[8:9], exec, s[8:9]
	s_cbranch_execnz .LBB7_271
.LBB7_903:
	s_or_b64 exec, exec, s[8:9]
	s_and_saveexec_b64 s[8:9], s[12:13]
	s_cbranch_execz .LBB7_949
.LBB7_904:
	s_sext_i32_i16 s12, s18
	s_cmp_lt_i32 s12, 5
	s_cbranch_scc1 .LBB7_909
; %bb.905:
	s_cmp_lt_i32 s12, 8
	s_cbranch_scc1 .LBB7_910
; %bb.906:
	;; [unrolled: 3-line block ×3, first 2 shown]
	s_cmp_gt_i32 s12, 9
	s_cbranch_scc0 .LBB7_912
; %bb.908:
	global_load_dwordx2 v[3:4], v[1:2], off
	s_movk_i32 s12, 0xffe0
	s_waitcnt vmcnt(0)
	v_trunc_f64_e32 v[3:4], v[3:4]
	v_ldexp_f64 v[5:6], v[3:4], s12
	s_mov_b32 s12, 0
	s_mov_b32 s13, 0xc1f00000
	v_floor_f64_e32 v[5:6], v[5:6]
	v_fma_f64 v[3:4], v[5:6], s[12:13], v[3:4]
	s_mov_b64 s[12:13], 0
	v_cvt_u32_f64_e32 v3, v[3:4]
	s_branch .LBB7_913
.LBB7_909:
                                        ; implicit-def: $vgpr3
	s_branch .LBB7_930
.LBB7_910:
                                        ; implicit-def: $vgpr3
	s_branch .LBB7_919
.LBB7_911:
	s_mov_b64 s[12:13], -1
                                        ; implicit-def: $vgpr3
	s_branch .LBB7_916
.LBB7_912:
	s_mov_b64 s[12:13], -1
                                        ; implicit-def: $vgpr3
.LBB7_913:
	s_andn2_b64 vcc, exec, s[12:13]
	s_cbranch_vccnz .LBB7_915
; %bb.914:
	global_load_dword v3, v[1:2], off
	s_mov_b32 s12, 0x2f800000
	s_waitcnt vmcnt(0)
	v_trunc_f32_e32 v3, v3
	v_mul_f32_e64 v4, |v3|, s12
	v_floor_f32_e32 v4, v4
	s_mov_b32 s12, 0xcf800000
	v_fma_f32 v4, v4, s12, |v3|
	v_cvt_u32_f32_e32 v4, v4
	v_ashrrev_i32_e32 v3, 31, v3
	v_xor_b32_e32 v4, v4, v3
	v_sub_u32_e32 v3, v4, v3
.LBB7_915:
	s_mov_b64 s[12:13], 0
.LBB7_916:
	s_andn2_b64 vcc, exec, s[12:13]
	s_cbranch_vccnz .LBB7_918
; %bb.917:
	global_load_dword v3, v[1:2], off
	s_waitcnt vmcnt(0)
	v_cvt_f32_f16_e32 v3, v3
	v_cvt_i32_f32_e32 v3, v3
.LBB7_918:
	s_cbranch_execnz .LBB7_929
.LBB7_919:
	s_sext_i32_i16 s12, s18
	s_cmp_lt_i32 s12, 6
	s_cbranch_scc1 .LBB7_922
; %bb.920:
	s_cmp_gt_i32 s12, 6
	s_cbranch_scc0 .LBB7_923
; %bb.921:
	global_load_dwordx2 v[3:4], v[1:2], off
	s_movk_i32 s12, 0xffe0
	s_waitcnt vmcnt(0)
	v_trunc_f64_e32 v[3:4], v[3:4]
	v_ldexp_f64 v[5:6], v[3:4], s12
	s_mov_b32 s12, 0
	s_mov_b32 s13, 0xc1f00000
	v_floor_f64_e32 v[5:6], v[5:6]
	v_fma_f64 v[3:4], v[5:6], s[12:13], v[3:4]
	s_mov_b64 s[12:13], 0
	v_cvt_u32_f64_e32 v3, v[3:4]
	s_branch .LBB7_924
.LBB7_922:
	s_mov_b64 s[12:13], -1
                                        ; implicit-def: $vgpr3
	s_branch .LBB7_927
.LBB7_923:
	s_mov_b64 s[12:13], -1
                                        ; implicit-def: $vgpr3
.LBB7_924:
	s_andn2_b64 vcc, exec, s[12:13]
	s_cbranch_vccnz .LBB7_926
; %bb.925:
	global_load_dword v3, v[1:2], off
	s_mov_b32 s12, 0x2f800000
	s_waitcnt vmcnt(0)
	v_trunc_f32_e32 v3, v3
	v_mul_f32_e64 v4, |v3|, s12
	v_floor_f32_e32 v4, v4
	s_mov_b32 s12, 0xcf800000
	v_fma_f32 v4, v4, s12, |v3|
	v_cvt_u32_f32_e32 v4, v4
	v_ashrrev_i32_e32 v3, 31, v3
	v_xor_b32_e32 v4, v4, v3
	v_sub_u32_e32 v3, v4, v3
.LBB7_926:
	s_mov_b64 s[12:13], 0
.LBB7_927:
	s_andn2_b64 vcc, exec, s[12:13]
	s_cbranch_vccnz .LBB7_929
; %bb.928:
	global_load_ushort v3, v[1:2], off
	s_waitcnt vmcnt(0)
	v_cvt_f32_f16_e32 v3, v3
	v_cvt_i32_f32_e32 v3, v3
.LBB7_929:
	s_cbranch_execnz .LBB7_948
.LBB7_930:
	s_sext_i32_i16 s12, s18
	s_cmp_lt_i32 s12, 2
	s_cbranch_scc1 .LBB7_934
; %bb.931:
	s_cmp_lt_i32 s12, 3
	s_cbranch_scc1 .LBB7_935
; %bb.932:
	s_cmp_gt_i32 s12, 3
	s_cbranch_scc0 .LBB7_936
; %bb.933:
	global_load_dwordx2 v[3:4], v[1:2], off
	s_mov_b64 s[12:13], 0
	s_branch .LBB7_937
.LBB7_934:
                                        ; implicit-def: $vgpr3
	s_branch .LBB7_943
.LBB7_935:
	s_mov_b64 s[12:13], -1
                                        ; implicit-def: $vgpr3
	s_branch .LBB7_940
.LBB7_936:
	s_mov_b64 s[12:13], -1
                                        ; implicit-def: $vgpr3
.LBB7_937:
	s_andn2_b64 vcc, exec, s[12:13]
	s_cbranch_vccnz .LBB7_939
; %bb.938:
	global_load_dword v3, v[1:2], off
.LBB7_939:
	s_mov_b64 s[12:13], 0
.LBB7_940:
	s_andn2_b64 vcc, exec, s[12:13]
	s_cbranch_vccnz .LBB7_942
; %bb.941:
	global_load_ushort v3, v[1:2], off
.LBB7_942:
	s_cbranch_execnz .LBB7_948
.LBB7_943:
	s_sext_i32_i16 s12, s18
	s_cmp_gt_i32 s12, 0
	s_cbranch_scc0 .LBB7_945
; %bb.944:
	global_load_ubyte v3, v[1:2], off
	s_mov_b64 s[12:13], 0
	s_branch .LBB7_946
.LBB7_945:
	s_mov_b64 s[12:13], -1
                                        ; implicit-def: $vgpr3
.LBB7_946:
	s_andn2_b64 vcc, exec, s[12:13]
	s_cbranch_vccnz .LBB7_948
; %bb.947:
	global_load_ubyte v3, v[1:2], off
.LBB7_948:
	s_or_b64 s[10:11], s[10:11], exec
.LBB7_949:
	s_or_b64 exec, exec, s[8:9]
	s_mov_b64 s[14:15], 0
	s_mov_b64 s[12:13], 0
                                        ; implicit-def: $sgpr18
                                        ; implicit-def: $vgpr1_vgpr2
                                        ; implicit-def: $vgpr4
	s_and_saveexec_b64 s[8:9], s[10:11]
	s_cbranch_execz .LBB7_1024
; %bb.950:
	v_mov_b32_e32 v1, s79
	s_waitcnt vmcnt(0)
	v_cndmask_b32_e64 v4, v1, v3, s[0:1]
	v_mov_b32_e32 v2, s25
	s_and_b32 s18, s48, 0xff
	v_add_co_u32_e32 v1, vcc, s24, v0
	s_cmp_lt_i32 s18, 11
	v_addc_co_u32_e32 v2, vcc, 0, v2, vcc
	s_cbranch_scc1 .LBB7_1027
; %bb.951:
	s_and_b32 s19, 0xffff, s18
	s_mov_b64 s[12:13], -1
	s_cmp_gt_i32 s19, 25
	s_mov_b64 s[0:1], s[60:61]
	s_cbranch_scc0 .LBB7_984
; %bb.952:
	s_mov_b64 s[10:11], -1
	s_cmp_gt_i32 s19, 28
	s_mov_b64 s[0:1], s[60:61]
	s_cbranch_scc0 .LBB7_968
; %bb.953:
	s_cmp_gt_i32 s19, 43
	s_mov_b64 s[0:1], s[60:61]
	s_cbranch_scc0 .LBB7_964
; %bb.954:
	;; [unrolled: 4-line block ×3, first 2 shown]
	s_cmp_eq_u32 s19, 46
	s_mov_b64 s[0:1], -1
	s_cbranch_scc0 .LBB7_957
; %bb.956:
	v_cvt_f32_ubyte0_e32 v0, v4
	v_bfe_u32 v3, v0, 16, 1
	s_movk_i32 s0, 0x7fff
	v_add3_u32 v0, v0, v3, s0
	v_lshrrev_b32_e32 v0, 16, v0
	global_store_dword v[1:2], v0, off
	s_mov_b64 s[0:1], 0
.LBB7_957:
	s_mov_b64 s[10:11], 0
.LBB7_958:
	s_and_b64 vcc, exec, s[10:11]
	s_cbranch_vccz .LBB7_963
; %bb.959:
	s_cmp_eq_u32 s19, 44
	s_mov_b64 s[0:1], -1
	s_cbranch_scc0 .LBB7_963
; %bb.960:
	v_cvt_f32_ubyte0_e32 v3, v4
	v_lshrrev_b32_e32 v0, 23, v3
	s_movk_i32 s0, 0xff
	v_cmp_ne_u32_e32 vcc, s0, v0
	v_mov_b32_e32 v5, 0xff
	s_and_saveexec_b64 s[10:11], vcc
; %bb.961:
	s_mov_b32 s0, 0x3fffff
	v_and_b32_e32 v5, 0x400000, v3
	v_and_or_b32 v3, v3, s0, v0
	v_cmp_ne_u32_e32 vcc, 0, v5
	v_cmp_ne_u32_e64 s[0:1], 0, v3
	s_and_b64 s[0:1], vcc, s[0:1]
	v_cndmask_b32_e64 v3, 0, 1, s[0:1]
	v_add_u32_e32 v5, v0, v3
; %bb.962:
	s_or_b64 exec, exec, s[10:11]
	s_mov_b64 s[0:1], 0
	global_store_byte v[1:2], v5, off
.LBB7_963:
	s_mov_b64 s[10:11], 0
.LBB7_964:
	s_and_b64 vcc, exec, s[10:11]
	s_cbranch_vccz .LBB7_967
; %bb.965:
	s_cmp_eq_u32 s19, 29
	s_mov_b64 s[0:1], -1
	s_cbranch_scc0 .LBB7_967
; %bb.966:
	v_and_b32_e32 v5, 0xff, v4
	v_mov_b32_e32 v6, 0
	global_store_dwordx2 v[1:2], v[5:6], off
	s_mov_b64 s[0:1], 0
.LBB7_967:
	s_mov_b64 s[10:11], 0
.LBB7_968:
	s_and_b64 vcc, exec, s[10:11]
	s_cbranch_vccz .LBB7_983
; %bb.969:
	s_cmp_lt_i32 s19, 27
	s_mov_b64 s[10:11], -1
	s_cbranch_scc1 .LBB7_975
; %bb.970:
	s_cmp_gt_i32 s19, 27
	s_cbranch_scc0 .LBB7_972
; %bb.971:
	v_and_b32_e32 v0, 0xff, v4
	s_mov_b64 s[10:11], 0
	global_store_dword v[1:2], v0, off
.LBB7_972:
	s_andn2_b64 vcc, exec, s[10:11]
	s_cbranch_vccnz .LBB7_974
; %bb.973:
	v_and_b32_e32 v0, 0xff, v4
	global_store_short v[1:2], v0, off
.LBB7_974:
	s_mov_b64 s[10:11], 0
.LBB7_975:
	s_andn2_b64 vcc, exec, s[10:11]
	s_cbranch_vccnz .LBB7_983
; %bb.976:
	v_cvt_f32_ubyte0_e32 v3, v4
	s_mov_b32 s10, 0x43800000
	v_cmp_gt_u32_e32 vcc, s10, v3
	v_mov_b32_e32 v5, 0x80
	s_and_saveexec_b64 s[10:11], vcc
	s_cbranch_execz .LBB7_982
; %bb.977:
	s_mov_b32 s12, 0x3bffffff
	v_cmp_lt_u32_e32 vcc, s12, v3
	s_mov_b64 s[12:13], 0
                                        ; implicit-def: $vgpr0
	s_and_saveexec_b64 s[14:15], vcc
	s_xor_b64 s[14:15], exec, s[14:15]
	s_cbranch_execz .LBB7_1140
; %bb.978:
	v_bfe_u32 v0, v3, 20, 1
	s_mov_b32 s16, 0x487ffff
	v_add3_u32 v0, v3, v0, s16
	s_mov_b64 s[12:13], exec
	v_lshrrev_b32_e32 v0, 20, v0
                                        ; implicit-def: $vgpr3
	s_andn2_saveexec_b64 s[14:15], s[14:15]
	s_cbranch_execnz .LBB7_1141
.LBB7_979:
	s_or_b64 exec, exec, s[14:15]
	v_mov_b32_e32 v5, 0
	s_and_saveexec_b64 s[14:15], s[12:13]
.LBB7_980:
	v_mov_b32_e32 v5, v0
.LBB7_981:
	s_or_b64 exec, exec, s[14:15]
.LBB7_982:
	s_or_b64 exec, exec, s[10:11]
	global_store_byte v[1:2], v5, off
.LBB7_983:
	s_mov_b64 s[12:13], 0
.LBB7_984:
	s_mov_b64 s[10:11], 0
	s_and_b64 vcc, exec, s[12:13]
	s_cbranch_vccz .LBB7_1028
; %bb.985:
	s_cmp_gt_i32 s19, 22
	s_mov_b64 s[12:13], -1
	s_cbranch_scc0 .LBB7_1017
; %bb.986:
	s_cmp_lt_i32 s19, 24
	s_cbranch_scc1 .LBB7_1006
; %bb.987:
	s_cmp_gt_i32 s19, 24
	s_cbranch_scc0 .LBB7_995
; %bb.988:
	v_cvt_f32_ubyte0_e32 v3, v4
	s_mov_b32 s12, 0x47800000
	v_cmp_gt_u32_e32 vcc, s12, v3
	v_mov_b32_e32 v5, 0x80
	s_and_saveexec_b64 s[12:13], vcc
	s_cbranch_execz .LBB7_994
; %bb.989:
	s_mov_b32 s14, 0x37ffffff
	v_cmp_lt_u32_e32 vcc, s14, v3
	s_mov_b64 s[14:15], 0
                                        ; implicit-def: $vgpr0
	s_and_saveexec_b64 s[16:17], vcc
	s_xor_b64 s[16:17], exec, s[16:17]
	s_cbranch_execz .LBB7_1260
; %bb.990:
	v_bfe_u32 v0, v3, 21, 1
	s_mov_b32 s20, 0x88fffff
	v_add3_u32 v0, v3, v0, s20
	s_mov_b64 s[14:15], exec
	v_lshrrev_b32_e32 v0, 21, v0
                                        ; implicit-def: $vgpr3
	s_andn2_saveexec_b64 s[16:17], s[16:17]
	s_cbranch_execnz .LBB7_1261
.LBB7_991:
	s_or_b64 exec, exec, s[16:17]
	v_mov_b32_e32 v5, 0
	s_and_saveexec_b64 s[16:17], s[14:15]
.LBB7_992:
	v_mov_b32_e32 v5, v0
.LBB7_993:
	s_or_b64 exec, exec, s[16:17]
.LBB7_994:
	s_or_b64 exec, exec, s[12:13]
	s_mov_b64 s[12:13], 0
	global_store_byte v[1:2], v5, off
.LBB7_995:
	s_and_b64 vcc, exec, s[12:13]
	s_cbranch_vccz .LBB7_1005
; %bb.996:
	v_cvt_f32_ubyte0_e32 v0, v4
	s_mov_b32 s12, 0x43f00000
	v_cmp_gt_u32_e32 vcc, s12, v0
                                        ; implicit-def: $vgpr3
	s_and_saveexec_b64 s[12:13], vcc
	s_xor_b64 s[12:13], exec, s[12:13]
	s_cbranch_execz .LBB7_1002
; %bb.997:
	s_mov_b32 s14, 0x3c7fffff
	v_cmp_lt_u32_e32 vcc, s14, v0
                                        ; implicit-def: $vgpr3
	s_and_saveexec_b64 s[14:15], vcc
	s_xor_b64 s[14:15], exec, s[14:15]
; %bb.998:
	v_bfe_u32 v3, v0, 20, 1
	s_mov_b32 s16, 0x407ffff
	v_add3_u32 v0, v0, v3, s16
	v_lshrrev_b32_e32 v3, 20, v0
	v_and_b32_e32 v0, 0xff00000, v0
	s_mov_b32 s16, 0x7f00000
	v_mov_b32_e32 v5, 0x7e
	v_cmp_ne_u32_e32 vcc, s16, v0
	v_cndmask_b32_e32 v3, v5, v3, vcc
                                        ; implicit-def: $vgpr0
; %bb.999:
	s_andn2_saveexec_b64 s[14:15], s[14:15]
; %bb.1000:
	v_add_f32_e32 v3, 0x46800000, v0
; %bb.1001:
	s_or_b64 exec, exec, s[14:15]
                                        ; implicit-def: $vgpr0
.LBB7_1002:
	s_andn2_saveexec_b64 s[12:13], s[12:13]
; %bb.1003:
	s_mov_b32 s14, 0x7f800000
	v_mov_b32_e32 v3, 0x7e
	v_mov_b32_e32 v5, 0x7f
	v_cmp_lt_u32_e32 vcc, s14, v0
	v_cndmask_b32_e32 v3, v3, v5, vcc
; %bb.1004:
	s_or_b64 exec, exec, s[12:13]
	global_store_byte v[1:2], v3, off
.LBB7_1005:
	s_mov_b64 s[12:13], 0
.LBB7_1006:
	s_andn2_b64 vcc, exec, s[12:13]
	s_cbranch_vccnz .LBB7_1016
; %bb.1007:
	v_cvt_f32_ubyte0_e32 v0, v4
	s_mov_b32 s12, 0x47800000
	v_cmp_gt_u32_e32 vcc, s12, v0
                                        ; implicit-def: $vgpr3
	s_and_saveexec_b64 s[12:13], vcc
	s_xor_b64 s[12:13], exec, s[12:13]
	s_cbranch_execz .LBB7_1013
; %bb.1008:
	s_mov_b32 s14, 0x387fffff
	v_cmp_lt_u32_e32 vcc, s14, v0
                                        ; implicit-def: $vgpr3
	s_and_saveexec_b64 s[14:15], vcc
	s_xor_b64 s[14:15], exec, s[14:15]
; %bb.1009:
	v_bfe_u32 v3, v0, 21, 1
	s_mov_b32 s16, 0x80fffff
	v_add3_u32 v0, v0, v3, s16
	v_lshrrev_b32_e32 v3, 21, v0
                                        ; implicit-def: $vgpr0
; %bb.1010:
	s_andn2_saveexec_b64 s[14:15], s[14:15]
; %bb.1011:
	v_add_f32_e32 v3, 0x43000000, v0
; %bb.1012:
	s_or_b64 exec, exec, s[14:15]
                                        ; implicit-def: $vgpr0
.LBB7_1013:
	s_andn2_saveexec_b64 s[12:13], s[12:13]
; %bb.1014:
	s_mov_b32 s14, 0x7f800000
	v_mov_b32_e32 v3, 0x7c
	v_mov_b32_e32 v5, 0x7f
	v_cmp_lt_u32_e32 vcc, s14, v0
	v_cndmask_b32_e32 v3, v3, v5, vcc
; %bb.1015:
	s_or_b64 exec, exec, s[12:13]
	global_store_byte v[1:2], v3, off
.LBB7_1016:
	s_mov_b64 s[12:13], 0
.LBB7_1017:
	s_andn2_b64 vcc, exec, s[12:13]
	s_mov_b64 s[14:15], 0
	s_cbranch_vccnz .LBB7_1029
; %bb.1018:
	s_cmp_gt_i32 s19, 14
	s_mov_b64 s[12:13], -1
	s_cbranch_scc0 .LBB7_1022
; %bb.1019:
	s_cmp_eq_u32 s19, 15
	s_mov_b64 s[0:1], -1
	s_cbranch_scc0 .LBB7_1021
; %bb.1020:
	v_cvt_f32_ubyte0_e32 v0, v4
	v_bfe_u32 v3, v0, 16, 1
	s_movk_i32 s0, 0x7fff
	v_add3_u32 v0, v0, v3, s0
	global_store_short_d16_hi v[1:2], v0, off
	s_mov_b64 s[0:1], 0
.LBB7_1021:
	s_mov_b64 s[12:13], 0
.LBB7_1022:
	s_and_b64 vcc, exec, s[12:13]
	s_cbranch_vccz .LBB7_1029
; %bb.1023:
	s_cmp_lg_u32 s19, 11
	s_cselect_b64 s[12:13], -1, 0
	s_andn2_b64 s[0:1], s[0:1], exec
	s_and_b64 s[12:13], s[12:13], exec
	s_mov_b64 s[14:15], -1
	s_or_b64 s[0:1], s[0:1], s[12:13]
	s_branch .LBB7_1029
.LBB7_1024:
	s_or_b64 exec, exec, s[8:9]
	s_and_saveexec_b64 s[0:1], s[60:61]
	s_cbranch_execnz .LBB7_1030
.LBB7_1025:
	s_or_b64 exec, exec, s[0:1]
	s_and_saveexec_b64 s[0:1], s[14:15]
	s_xor_b64 s[0:1], exec, s[0:1]
	s_cbranch_execz .LBB7_1031
.LBB7_1026:
	v_mov_b32_e32 v0, 0
	s_waitcnt vmcnt(0)
	v_cmp_ne_u16_sdwa s[8:9], v4, v0 src0_sel:BYTE_0 src1_sel:DWORD
	v_cndmask_b32_e64 v0, 0, 1, s[8:9]
	global_store_byte v[1:2], v0, off
	s_or_b64 exec, exec, s[0:1]
	s_and_saveexec_b64 s[0:1], s[12:13]
	s_xor_b64 s[0:1], exec, s[0:1]
	s_cbranch_execz .LBB7_1069
	s_branch .LBB7_1032
.LBB7_1027:
	s_mov_b64 s[10:11], -1
	s_mov_b64 s[0:1], s[60:61]
	s_branch .LBB7_1029
.LBB7_1028:
	s_mov_b64 s[14:15], 0
.LBB7_1029:
	s_and_b64 s[12:13], s[10:11], exec
	s_andn2_b64 s[10:11], s[60:61], exec
	s_and_b64 s[0:1], s[0:1], exec
	s_and_b64 s[14:15], s[14:15], exec
	s_or_b64 s[60:61], s[10:11], s[0:1]
	s_or_b64 exec, exec, s[8:9]
	s_and_saveexec_b64 s[0:1], s[60:61]
	s_cbranch_execz .LBB7_1025
.LBB7_1030:
	s_or_b64 s[2:3], s[2:3], exec
	s_andn2_b64 s[14:15], s[14:15], exec
	s_trap 2
	s_or_b64 exec, exec, s[0:1]
	s_and_saveexec_b64 s[0:1], s[14:15]
	s_xor_b64 s[0:1], exec, s[0:1]
	s_cbranch_execnz .LBB7_1026
.LBB7_1031:
	s_or_b64 exec, exec, s[0:1]
	s_and_saveexec_b64 s[0:1], s[12:13]
	s_xor_b64 s[0:1], exec, s[0:1]
	s_cbranch_execz .LBB7_1069
.LBB7_1032:
	s_sext_i32_i16 s10, s18
	s_cmp_lt_i32 s10, 5
	s_mov_b64 s[8:9], -1
	s_cbranch_scc1 .LBB7_1053
; %bb.1033:
	s_cmp_lt_i32 s10, 8
	s_cbranch_scc1 .LBB7_1043
; %bb.1034:
	s_cmp_lt_i32 s10, 9
	s_cbranch_scc1 .LBB7_1040
; %bb.1035:
	s_cmp_gt_i32 s10, 9
	s_cbranch_scc0 .LBB7_1037
; %bb.1036:
	s_mov_b32 s8, 0xffff
	s_waitcnt vmcnt(0)
	v_and_b32_sdwa v0, s8, v4 dst_sel:DWORD dst_unused:UNUSED_PAD src0_sel:DWORD src1_sel:BYTE_0
	v_cvt_f64_u32_e32 v[5:6], v0
	v_mov_b32_e32 v7, 0
	v_mov_b32_e32 v8, v7
	s_mov_b64 s[8:9], 0
	global_store_dwordx4 v[1:2], v[5:8], off
.LBB7_1037:
	s_andn2_b64 vcc, exec, s[8:9]
	s_cbranch_vccnz .LBB7_1039
; %bb.1038:
	s_waitcnt vmcnt(0)
	v_cvt_f32_ubyte0_e32 v5, v4
	v_mov_b32_e32 v6, 0
	global_store_dwordx2 v[1:2], v[5:6], off
.LBB7_1039:
	s_mov_b64 s[8:9], 0
.LBB7_1040:
	s_andn2_b64 vcc, exec, s[8:9]
	s_cbranch_vccnz .LBB7_1042
; %bb.1041:
	s_waitcnt vmcnt(0)
	v_cvt_f16_u16_sdwa v0, v4 dst_sel:DWORD dst_unused:UNUSED_PAD src0_sel:BYTE_0
	global_store_dword v[1:2], v0, off
.LBB7_1042:
	s_mov_b64 s[8:9], 0
.LBB7_1043:
	s_andn2_b64 vcc, exec, s[8:9]
	s_cbranch_vccnz .LBB7_1052
; %bb.1044:
	s_sext_i32_i16 s10, s18
	s_cmp_lt_i32 s10, 6
	s_mov_b64 s[8:9], -1
	s_cbranch_scc1 .LBB7_1050
; %bb.1045:
	s_cmp_gt_i32 s10, 6
	s_cbranch_scc0 .LBB7_1047
; %bb.1046:
	s_mov_b32 s8, 0xffff
	s_waitcnt vmcnt(0)
	v_and_b32_sdwa v0, s8, v4 dst_sel:DWORD dst_unused:UNUSED_PAD src0_sel:DWORD src1_sel:BYTE_0
	v_cvt_f64_u32_e32 v[5:6], v0
	s_mov_b64 s[8:9], 0
	global_store_dwordx2 v[1:2], v[5:6], off
.LBB7_1047:
	s_andn2_b64 vcc, exec, s[8:9]
	s_cbranch_vccnz .LBB7_1049
; %bb.1048:
	s_waitcnt vmcnt(0)
	v_cvt_f32_ubyte0_e32 v0, v4
	global_store_dword v[1:2], v0, off
.LBB7_1049:
	s_mov_b64 s[8:9], 0
.LBB7_1050:
	s_andn2_b64 vcc, exec, s[8:9]
	s_cbranch_vccnz .LBB7_1052
; %bb.1051:
	s_waitcnt vmcnt(0)
	v_cvt_f16_u16_sdwa v0, v4 dst_sel:DWORD dst_unused:UNUSED_PAD src0_sel:BYTE_0
	global_store_short v[1:2], v0, off
.LBB7_1052:
	s_mov_b64 s[8:9], 0
.LBB7_1053:
	s_andn2_b64 vcc, exec, s[8:9]
	s_cbranch_vccnz .LBB7_1069
; %bb.1054:
	s_sext_i32_i16 s10, s18
	s_cmp_lt_i32 s10, 2
	s_mov_b64 s[8:9], -1
	s_cbranch_scc1 .LBB7_1064
; %bb.1055:
	s_cmp_lt_i32 s10, 3
	s_cbranch_scc1 .LBB7_1061
; %bb.1056:
	s_cmp_gt_i32 s10, 3
	s_cbranch_scc0 .LBB7_1058
; %bb.1057:
	s_waitcnt vmcnt(0)
	v_and_b32_e32 v5, 0xff, v4
	v_mov_b32_e32 v6, 0
	s_mov_b64 s[8:9], 0
	global_store_dwordx2 v[1:2], v[5:6], off
.LBB7_1058:
	s_andn2_b64 vcc, exec, s[8:9]
	s_cbranch_vccnz .LBB7_1060
; %bb.1059:
	s_waitcnt vmcnt(0)
	v_and_b32_e32 v0, 0xff, v4
	global_store_dword v[1:2], v0, off
.LBB7_1060:
	s_mov_b64 s[8:9], 0
.LBB7_1061:
	s_andn2_b64 vcc, exec, s[8:9]
	s_cbranch_vccnz .LBB7_1063
; %bb.1062:
	s_waitcnt vmcnt(0)
	v_and_b32_e32 v0, 0xff, v4
	global_store_short v[1:2], v0, off
.LBB7_1063:
	s_mov_b64 s[8:9], 0
.LBB7_1064:
	s_andn2_b64 vcc, exec, s[8:9]
	s_cbranch_vccnz .LBB7_1069
; %bb.1065:
	s_sext_i32_i16 s8, s18
	s_cmp_gt_i32 s8, 0
	s_mov_b64 s[8:9], -1
	s_cbranch_scc0 .LBB7_1067
; %bb.1066:
	s_mov_b64 s[8:9], 0
	s_waitcnt vmcnt(0)
	global_store_byte v[1:2], v4, off
.LBB7_1067:
	s_andn2_b64 vcc, exec, s[8:9]
	s_cbranch_vccnz .LBB7_1069
; %bb.1068:
	s_waitcnt vmcnt(0)
	global_store_byte v[1:2], v4, off
.LBB7_1069:
	s_or_b64 exec, exec, s[0:1]
	s_and_b64 s[28:29], s[2:3], exec
                                        ; implicit-def: $vgpr13
                                        ; implicit-def: $vgpr11
.LBB7_1070:
	s_or_saveexec_b64 s[30:31], s[46:47]
	s_mov_b64 s[0:1], 0
                                        ; implicit-def: $vgpr0_vgpr1
                                        ; implicit-def: $sgpr16
                                        ; implicit-def: $vgpr2
	s_xor_b64 exec, exec, s[30:31]
	s_cbranch_execz .LBB7_2057
; %bb.1071:
	v_cndmask_b32_e64 v0, 0, 1, s[44:45]
	v_cmp_ne_u32_e64 s[0:1], 1, v0
	s_andn2_b64 vcc, exec, s[44:45]
	s_cbranch_vccnz .LBB7_1077
; %bb.1072:
	s_cmp_lg_u32 s33, 0
	s_mov_b32 s36, 0
	s_cbranch_scc0 .LBB7_1078
; %bb.1073:
	s_min_u32 s37, s78, 15
	s_add_i32 s37, s37, 1
	s_cmp_eq_u32 s78, 2
	s_cbranch_scc1 .LBB7_1079
; %bb.1074:
	s_and_b32 s36, s37, 28
	s_add_u32 s2, s34, 0xc4
	s_addc_u32 s3, s35, 0
	v_mov_b32_e32 v8, 0
	s_mov_b32 s38, 0
	s_mov_b64 s[6:7], s[34:35]
	v_mov_b32_e32 v6, 0
	v_mov_b32_e32 v0, v11
.LBB7_1075:                             ; =>This Inner Loop Header: Depth=1
	s_load_dwordx8 s[16:23], s[6:7], 0x4
	s_load_dwordx4 s[24:27], s[6:7], 0x24
	s_load_dwordx8 s[8:15], s[2:3], 0x0
	s_add_u32 s6, s6, 48
	s_addc_u32 s7, s7, 0
	s_waitcnt lgkmcnt(0)
	v_mul_hi_u32 v1, s17, v0
	s_add_i32 s38, s38, 4
	s_add_u32 s2, s2, 32
	s_addc_u32 s3, s3, 0
	v_add_u32_e32 v1, v0, v1
	v_lshrrev_b32_e32 v1, s18, v1
	v_mul_lo_u32 v2, v1, s16
	s_waitcnt vmcnt(0)
	v_mul_hi_u32 v3, s20, v1
	s_cmp_lg_u32 s36, s38
	v_sub_u32_e32 v0, v0, v2
	v_add_u32_e32 v2, v1, v3
	v_mul_lo_u32 v3, v0, s8
	v_mul_lo_u32 v4, v0, s9
	v_lshrrev_b32_e32 v0, s21, v2
	v_mul_lo_u32 v2, v0, s19
	v_mul_hi_u32 v5, s23, v0
	v_sub_u32_e32 v1, v1, v2
	v_add_u32_e32 v2, v0, v5
	v_lshrrev_b32_e32 v2, s24, v2
	v_mul_hi_u32 v7, s26, v2
	v_mul_lo_u32 v9, v2, s22
	v_mul_lo_u32 v5, v1, s10
	;; [unrolled: 1-line block ×3, first 2 shown]
	v_sub_u32_e32 v9, v0, v9
	v_add_u32_e32 v0, v2, v7
	v_lshrrev_b32_e32 v0, s27, v0
	v_mul_lo_u32 v7, v0, s25
	v_mul_lo_u32 v10, v9, s12
	;; [unrolled: 1-line block ×3, first 2 shown]
	v_add3_u32 v3, v3, v6, v5
	v_sub_u32_e32 v2, v2, v7
	v_mul_lo_u32 v7, v2, s14
	v_mul_lo_u32 v2, v2, s15
	v_add3_u32 v1, v4, v8, v1
	v_add3_u32 v6, v10, v3, v7
	;; [unrolled: 1-line block ×3, first 2 shown]
	s_cbranch_scc1 .LBB7_1075
; %bb.1076:
	s_and_b32 s8, s37, 3
	s_cmp_eq_u32 s8, 0
	s_cbranch_scc0 .LBB7_1080
	s_branch .LBB7_1082
.LBB7_1077:
                                        ; implicit-def: $vgpr6
                                        ; implicit-def: $vgpr8
	s_branch .LBB7_1083
.LBB7_1078:
	v_mov_b32_e32 v6, 0
	v_mov_b32_e32 v8, 0
	s_branch .LBB7_1082
.LBB7_1079:
	v_mov_b32_e32 v6, 0
	v_mov_b32_e32 v8, 0
	v_mov_b32_e32 v0, v11
	s_and_b32 s8, s37, 3
	s_cmp_eq_u32 s8, 0
	s_cbranch_scc1 .LBB7_1082
.LBB7_1080:
	s_lshl_b32 s2, s36, 3
	s_add_u32 s2, s34, s2
	s_addc_u32 s3, s35, 0
	s_add_u32 s2, s2, 0xc4
	s_addc_u32 s3, s3, 0
	s_mul_i32 s6, s36, 12
	s_add_u32 s6, s34, s6
	s_addc_u32 s7, s35, 0
.LBB7_1081:                             ; =>This Inner Loop Header: Depth=1
	s_load_dwordx2 s[10:11], s[6:7], 0x4
	s_load_dword s9, s[6:7], 0xc
	s_load_dwordx2 s[12:13], s[2:3], 0x0
	s_add_u32 s6, s6, 12
	s_addc_u32 s7, s7, 0
	s_waitcnt lgkmcnt(0)
	v_mul_hi_u32 v1, s11, v0
	s_add_u32 s2, s2, 8
	s_addc_u32 s3, s3, 0
	s_add_i32 s8, s8, -1
	v_add_u32_e32 v1, v0, v1
	v_lshrrev_b32_e32 v1, s9, v1
	v_mul_lo_u32 v2, v1, s10
	s_cmp_lg_u32 s8, 0
	v_sub_u32_e32 v0, v0, v2
	v_mad_u64_u32 v[6:7], s[10:11], v0, s12, v[6:7]
	v_mad_u64_u32 v[8:9], s[10:11], v0, s13, v[8:9]
	v_mov_b32_e32 v0, v1
	s_cbranch_scc1 .LBB7_1081
.LBB7_1082:
	s_cbranch_execnz .LBB7_1085
.LBB7_1083:
	s_load_dwordx4 s[8:11], s[34:35], 0x4
	s_load_dwordx2 s[2:3], s[34:35], 0xc4
	s_cmp_lt_u32 s33, 2
	s_waitcnt lgkmcnt(0)
	v_mul_hi_u32 v0, s9, v11
	v_add_u32_e32 v0, v11, v0
	v_lshrrev_b32_e32 v0, s10, v0
	v_mul_lo_u32 v1, v0, s8
	v_sub_u32_e32 v1, v11, v1
	v_mul_lo_u32 v6, v1, s2
	v_mul_lo_u32 v8, v1, s3
	s_cbranch_scc1 .LBB7_1085
; %bb.1084:
	s_load_dwordx4 s[8:11], s[34:35], 0x10
	s_load_dwordx2 s[2:3], s[34:35], 0xcc
	s_waitcnt lgkmcnt(0)
	v_mul_hi_u32 v1, s9, v0
	v_add_u32_e32 v1, v0, v1
	v_lshrrev_b32_e32 v1, s10, v1
	v_mul_lo_u32 v1, v1, s8
	v_sub_u32_e32 v0, v0, v1
	v_mad_u64_u32 v[6:7], s[6:7], v0, s2, v[6:7]
	v_mad_u64_u32 v[8:9], s[2:3], v0, s3, v[8:9]
.LBB7_1085:
	s_and_b64 vcc, exec, s[0:1]
	v_add_u32_e32 v0, 0x80, v11
	s_cbranch_vccnz .LBB7_1091
; %bb.1086:
	s_cmp_lg_u32 s33, 0
	s_mov_b32 s36, 0
	s_cbranch_scc0 .LBB7_1092
; %bb.1087:
	s_min_u32 s37, s78, 15
	s_add_i32 s37, s37, 1
	s_cmp_eq_u32 s78, 2
	s_cbranch_scc1 .LBB7_1093
; %bb.1088:
	s_and_b32 s36, s37, 28
	s_add_u32 s2, s34, 0xc4
	s_addc_u32 s3, s35, 0
	v_mov_b32_e32 v9, 0
	s_mov_b32 s38, 0
	s_mov_b64 s[6:7], s[34:35]
	s_waitcnt vmcnt(0)
	v_mov_b32_e32 v4, 0
	v_mov_b32_e32 v1, v0
.LBB7_1089:                             ; =>This Inner Loop Header: Depth=1
	s_load_dwordx8 s[16:23], s[6:7], 0x4
	s_load_dwordx4 s[24:27], s[6:7], 0x24
	s_load_dwordx8 s[8:15], s[2:3], 0x0
	s_add_u32 s6, s6, 48
	s_addc_u32 s7, s7, 0
	s_waitcnt lgkmcnt(0)
	v_mul_hi_u32 v2, s17, v1
	s_add_i32 s38, s38, 4
	s_add_u32 s2, s2, 32
	s_addc_u32 s3, s3, 0
	v_add_u32_e32 v2, v1, v2
	v_lshrrev_b32_e32 v2, s18, v2
	v_mul_lo_u32 v3, v2, s16
	v_mul_hi_u32 v5, s20, v2
	s_cmp_lg_u32 s36, s38
	v_sub_u32_e32 v1, v1, v3
	v_add_u32_e32 v3, v2, v5
	v_mul_lo_u32 v5, v1, s8
	v_mul_lo_u32 v7, v1, s9
	v_lshrrev_b32_e32 v1, s21, v3
	v_mul_lo_u32 v3, v1, s19
	v_mul_hi_u32 v10, s23, v1
	v_sub_u32_e32 v2, v2, v3
	v_add_u32_e32 v3, v1, v10
	v_lshrrev_b32_e32 v3, s24, v3
	v_mul_hi_u32 v12, s26, v3
	v_mul_lo_u32 v14, v3, s22
	v_mul_lo_u32 v10, v2, s10
	;; [unrolled: 1-line block ×3, first 2 shown]
	v_sub_u32_e32 v14, v1, v14
	v_add_u32_e32 v1, v3, v12
	v_lshrrev_b32_e32 v1, s27, v1
	v_mul_lo_u32 v12, v1, s25
	v_mul_lo_u32 v15, v14, s12
	;; [unrolled: 1-line block ×3, first 2 shown]
	v_add3_u32 v4, v5, v4, v10
	v_sub_u32_e32 v3, v3, v12
	v_mul_lo_u32 v12, v3, s14
	v_mul_lo_u32 v3, v3, s15
	v_add3_u32 v2, v7, v9, v2
	v_add3_u32 v4, v15, v4, v12
	;; [unrolled: 1-line block ×3, first 2 shown]
	s_cbranch_scc1 .LBB7_1089
; %bb.1090:
	s_and_b32 s8, s37, 3
	s_cmp_eq_u32 s8, 0
	s_cbranch_scc0 .LBB7_1094
	s_branch .LBB7_1096
.LBB7_1091:
                                        ; implicit-def: $vgpr4
                                        ; implicit-def: $vgpr9
	s_branch .LBB7_1097
.LBB7_1092:
	s_waitcnt vmcnt(0)
	v_mov_b32_e32 v4, 0
	v_mov_b32_e32 v9, 0
	s_branch .LBB7_1096
.LBB7_1093:
	s_waitcnt vmcnt(0)
	v_mov_b32_e32 v4, 0
	v_mov_b32_e32 v9, 0
	;; [unrolled: 1-line block ×3, first 2 shown]
	s_and_b32 s8, s37, 3
	s_cmp_eq_u32 s8, 0
	s_cbranch_scc1 .LBB7_1096
.LBB7_1094:
	s_lshl_b32 s2, s36, 3
	s_add_u32 s2, s34, s2
	s_addc_u32 s3, s35, 0
	s_add_u32 s2, s2, 0xc4
	s_addc_u32 s3, s3, 0
	s_mul_i32 s6, s36, 12
	s_add_u32 s6, s34, s6
	s_addc_u32 s7, s35, 0
.LBB7_1095:                             ; =>This Inner Loop Header: Depth=1
	s_load_dwordx2 s[10:11], s[6:7], 0x4
	s_load_dword s9, s[6:7], 0xc
	s_load_dwordx2 s[12:13], s[2:3], 0x0
	s_add_u32 s6, s6, 12
	s_addc_u32 s7, s7, 0
	s_waitcnt lgkmcnt(0)
	v_mul_hi_u32 v2, s11, v1
	s_add_u32 s2, s2, 8
	s_addc_u32 s3, s3, 0
	s_add_i32 s8, s8, -1
	v_add_u32_e32 v2, v1, v2
	v_lshrrev_b32_e32 v2, s9, v2
	v_mul_lo_u32 v3, v2, s10
	s_cmp_lg_u32 s8, 0
	v_sub_u32_e32 v1, v1, v3
	v_mad_u64_u32 v[4:5], s[10:11], v1, s12, v[4:5]
	v_mad_u64_u32 v[9:10], s[10:11], v1, s13, v[9:10]
	v_mov_b32_e32 v1, v2
	s_cbranch_scc1 .LBB7_1095
.LBB7_1096:
	s_cbranch_execnz .LBB7_1099
.LBB7_1097:
	s_load_dwordx4 s[8:11], s[34:35], 0x4
	s_load_dwordx2 s[2:3], s[34:35], 0xc4
	s_cmp_lt_u32 s33, 2
	s_waitcnt lgkmcnt(0)
	v_mul_hi_u32 v1, s9, v0
	v_add_u32_e32 v1, v0, v1
	v_lshrrev_b32_e32 v1, s10, v1
	v_mul_lo_u32 v2, v1, s8
	v_sub_u32_e32 v0, v0, v2
	s_waitcnt vmcnt(0)
	v_mul_lo_u32 v4, v0, s2
	v_mul_lo_u32 v9, v0, s3
	s_cbranch_scc1 .LBB7_1099
; %bb.1098:
	s_load_dwordx4 s[8:11], s[34:35], 0x10
	s_load_dwordx2 s[2:3], s[34:35], 0xcc
	s_waitcnt lgkmcnt(0)
	v_mul_hi_u32 v0, s9, v1
	v_add_u32_e32 v0, v1, v0
	v_lshrrev_b32_e32 v0, s10, v0
	v_mul_lo_u32 v0, v0, s8
	v_sub_u32_e32 v0, v1, v0
	v_mad_u64_u32 v[4:5], s[6:7], v0, s2, v[4:5]
	v_mad_u64_u32 v[9:10], s[2:3], v0, s3, v[9:10]
.LBB7_1099:
	s_and_b64 vcc, exec, s[0:1]
	v_add_u32_e32 v0, 0x100, v11
	s_cbranch_vccnz .LBB7_1105
; %bb.1100:
	s_cmp_lg_u32 s33, 0
	s_mov_b32 s36, 0
	s_cbranch_scc0 .LBB7_1106
; %bb.1101:
	s_min_u32 s37, s78, 15
	s_add_i32 s37, s37, 1
	s_cmp_eq_u32 s78, 2
	s_cbranch_scc1 .LBB7_1107
; %bb.1102:
	s_and_b32 s36, s37, 28
	s_add_u32 s2, s34, 0xc4
	s_addc_u32 s3, s35, 0
	v_mov_b32_e32 v10, 0
	s_mov_b32 s38, 0
	s_mov_b64 s[6:7], s[34:35]
	v_mov_b32_e32 v2, 0
	v_mov_b32_e32 v1, v0
.LBB7_1103:                             ; =>This Inner Loop Header: Depth=1
	s_load_dwordx8 s[16:23], s[6:7], 0x4
	s_load_dwordx4 s[24:27], s[6:7], 0x24
	s_load_dwordx8 s[8:15], s[2:3], 0x0
	s_add_u32 s6, s6, 48
	s_addc_u32 s7, s7, 0
	s_waitcnt vmcnt(0) lgkmcnt(0)
	v_mul_hi_u32 v3, s17, v1
	s_add_i32 s38, s38, 4
	s_add_u32 s2, s2, 32
	s_addc_u32 s3, s3, 0
	v_add_u32_e32 v3, v1, v3
	v_lshrrev_b32_e32 v3, s18, v3
	v_mul_lo_u32 v5, v3, s16
	v_mul_hi_u32 v7, s20, v3
	s_cmp_lg_u32 s36, s38
	v_sub_u32_e32 v1, v1, v5
	v_add_u32_e32 v5, v3, v7
	v_mul_lo_u32 v7, v1, s8
	v_mul_lo_u32 v11, v1, s9
	v_lshrrev_b32_e32 v1, s21, v5
	v_mul_lo_u32 v5, v1, s19
	v_mul_hi_u32 v12, s23, v1
	v_sub_u32_e32 v3, v3, v5
	v_add_u32_e32 v5, v1, v12
	v_lshrrev_b32_e32 v5, s24, v5
	v_mul_hi_u32 v14, s26, v5
	v_mul_lo_u32 v15, v5, s22
	v_mul_lo_u32 v12, v3, s10
	;; [unrolled: 1-line block ×3, first 2 shown]
	v_sub_u32_e32 v15, v1, v15
	v_add_u32_e32 v1, v5, v14
	v_lshrrev_b32_e32 v1, s27, v1
	v_mul_lo_u32 v14, v1, s25
	v_mul_lo_u32 v16, v15, s12
	;; [unrolled: 1-line block ×3, first 2 shown]
	v_add3_u32 v2, v7, v2, v12
	v_sub_u32_e32 v5, v5, v14
	v_mul_lo_u32 v14, v5, s14
	v_mul_lo_u32 v5, v5, s15
	v_add3_u32 v3, v11, v10, v3
	v_add3_u32 v2, v16, v2, v14
	;; [unrolled: 1-line block ×3, first 2 shown]
	s_cbranch_scc1 .LBB7_1103
; %bb.1104:
	s_and_b32 s8, s37, 3
	s_cmp_eq_u32 s8, 0
	s_cbranch_scc0 .LBB7_1108
	s_branch .LBB7_1110
.LBB7_1105:
                                        ; implicit-def: $vgpr2
                                        ; implicit-def: $vgpr10
	s_branch .LBB7_1111
.LBB7_1106:
	v_mov_b32_e32 v2, 0
	v_mov_b32_e32 v10, 0
	s_branch .LBB7_1110
.LBB7_1107:
	v_mov_b32_e32 v2, 0
	v_mov_b32_e32 v10, 0
	v_mov_b32_e32 v1, v0
	s_and_b32 s8, s37, 3
	s_cmp_eq_u32 s8, 0
	s_cbranch_scc1 .LBB7_1110
.LBB7_1108:
	s_lshl_b32 s2, s36, 3
	s_add_u32 s2, s34, s2
	s_addc_u32 s3, s35, 0
	s_add_u32 s2, s2, 0xc4
	s_addc_u32 s3, s3, 0
	s_mul_i32 s6, s36, 12
	s_add_u32 s6, s34, s6
	s_addc_u32 s7, s35, 0
.LBB7_1109:                             ; =>This Inner Loop Header: Depth=1
	s_load_dwordx2 s[10:11], s[6:7], 0x4
	s_load_dword s9, s[6:7], 0xc
	s_load_dwordx2 s[12:13], s[2:3], 0x0
	s_add_u32 s6, s6, 12
	s_addc_u32 s7, s7, 0
	s_waitcnt vmcnt(0) lgkmcnt(0)
	v_mul_hi_u32 v3, s11, v1
	s_add_u32 s2, s2, 8
	s_addc_u32 s3, s3, 0
	s_add_i32 s8, s8, -1
	v_add_u32_e32 v3, v1, v3
	v_lshrrev_b32_e32 v5, s9, v3
	v_mul_lo_u32 v3, v5, s10
	s_cmp_lg_u32 s8, 0
	v_sub_u32_e32 v1, v1, v3
	v_mad_u64_u32 v[2:3], s[10:11], v1, s12, v[2:3]
	v_mad_u64_u32 v[10:11], s[10:11], v1, s13, v[10:11]
	v_mov_b32_e32 v1, v5
	s_cbranch_scc1 .LBB7_1109
.LBB7_1110:
	s_cbranch_execnz .LBB7_1113
.LBB7_1111:
	s_load_dwordx4 s[8:11], s[34:35], 0x4
	s_load_dwordx2 s[2:3], s[34:35], 0xc4
	s_cmp_lt_u32 s33, 2
	s_waitcnt lgkmcnt(0)
	v_mul_hi_u32 v1, s9, v0
	v_add_u32_e32 v1, v0, v1
	v_lshrrev_b32_e32 v1, s10, v1
	v_mul_lo_u32 v2, v1, s8
	v_sub_u32_e32 v0, v0, v2
	v_mul_lo_u32 v2, v0, s2
	v_mul_lo_u32 v10, v0, s3
	s_cbranch_scc1 .LBB7_1113
; %bb.1112:
	s_load_dwordx4 s[8:11], s[34:35], 0x10
	s_load_dwordx2 s[2:3], s[34:35], 0xcc
	s_waitcnt lgkmcnt(0)
	v_mul_hi_u32 v0, s9, v1
	v_add_u32_e32 v0, v1, v0
	v_lshrrev_b32_e32 v0, s10, v0
	v_mul_lo_u32 v0, v0, s8
	v_sub_u32_e32 v0, v1, v0
	s_waitcnt vmcnt(0)
	v_mad_u64_u32 v[2:3], s[6:7], v0, s2, v[2:3]
	v_mad_u64_u32 v[10:11], s[2:3], v0, s3, v[10:11]
.LBB7_1113:
	s_and_b64 vcc, exec, s[0:1]
	s_cbranch_vccnz .LBB7_1119
; %bb.1114:
	s_cmp_lg_u32 s33, 0
	s_mov_b32 s26, 0
	s_cbranch_scc0 .LBB7_1120
; %bb.1115:
	s_min_u32 s27, s78, 15
	s_add_i32 s27, s27, 1
	s_cmp_eq_u32 s78, 2
	s_cbranch_scc1 .LBB7_1121
; %bb.1116:
	s_and_b32 s26, s27, 28
	s_add_u32 s6, s34, 0xc4
	s_addc_u32 s7, s35, 0
	v_mov_b32_e32 v11, 0
	s_mov_b32 s36, 0
	s_mov_b64 s[24:25], s[34:35]
	v_mov_b32_e32 v0, 0
	v_mov_b32_e32 v1, v13
.LBB7_1117:                             ; =>This Inner Loop Header: Depth=1
	s_load_dwordx8 s[16:23], s[24:25], 0x4
	s_load_dwordx4 s[0:3], s[24:25], 0x24
	s_load_dwordx8 s[8:15], s[6:7], 0x0
	s_add_u32 s24, s24, 48
	s_addc_u32 s25, s25, 0
	s_waitcnt vmcnt(0) lgkmcnt(0)
	v_mul_hi_u32 v3, s17, v1
	s_add_i32 s36, s36, 4
	s_add_u32 s6, s6, 32
	s_addc_u32 s7, s7, 0
	v_add_u32_e32 v3, v1, v3
	v_lshrrev_b32_e32 v3, s18, v3
	v_mul_lo_u32 v5, v3, s16
	v_mul_hi_u32 v7, s20, v3
	s_cmp_lg_u32 s26, s36
	v_sub_u32_e32 v1, v1, v5
	v_add_u32_e32 v5, v3, v7
	v_mul_lo_u32 v7, v1, s8
	v_mul_lo_u32 v12, v1, s9
	v_lshrrev_b32_e32 v1, s21, v5
	v_mul_lo_u32 v5, v1, s19
	v_mul_hi_u32 v14, s23, v1
	v_sub_u32_e32 v3, v3, v5
	v_add_u32_e32 v5, v1, v14
	v_lshrrev_b32_e32 v5, s0, v5
	v_mul_hi_u32 v15, s2, v5
	v_mul_lo_u32 v16, v5, s22
	v_mul_lo_u32 v14, v3, s10
	;; [unrolled: 1-line block ×3, first 2 shown]
	v_sub_u32_e32 v16, v1, v16
	v_add_u32_e32 v1, v5, v15
	v_lshrrev_b32_e32 v1, s3, v1
	v_mul_lo_u32 v15, v1, s1
	v_mul_lo_u32 v17, v16, s12
	;; [unrolled: 1-line block ×3, first 2 shown]
	v_add3_u32 v0, v7, v0, v14
	v_sub_u32_e32 v5, v5, v15
	v_mul_lo_u32 v15, v5, s14
	v_mul_lo_u32 v5, v5, s15
	v_add3_u32 v3, v12, v11, v3
	v_add3_u32 v0, v17, v0, v15
	;; [unrolled: 1-line block ×3, first 2 shown]
	s_cbranch_scc1 .LBB7_1117
; %bb.1118:
	s_and_b32 s6, s27, 3
	s_cmp_eq_u32 s6, 0
	s_cbranch_scc0 .LBB7_1122
	s_branch .LBB7_1124
.LBB7_1119:
                                        ; implicit-def: $vgpr0
                                        ; implicit-def: $vgpr11
	s_branch .LBB7_1125
.LBB7_1120:
	v_mov_b32_e32 v0, 0
	v_mov_b32_e32 v11, 0
	s_branch .LBB7_1124
.LBB7_1121:
	v_mov_b32_e32 v0, 0
	v_mov_b32_e32 v11, 0
	;; [unrolled: 1-line block ×3, first 2 shown]
	s_and_b32 s6, s27, 3
	s_cmp_eq_u32 s6, 0
	s_cbranch_scc1 .LBB7_1124
.LBB7_1122:
	s_lshl_b32 s0, s26, 3
	s_add_u32 s0, s34, s0
	s_addc_u32 s1, s35, 0
	s_add_u32 s0, s0, 0xc4
	s_addc_u32 s1, s1, 0
	s_mul_i32 s2, s26, 12
	s_add_u32 s2, s34, s2
	s_addc_u32 s3, s35, 0
.LBB7_1123:                             ; =>This Inner Loop Header: Depth=1
	s_load_dwordx2 s[8:9], s[2:3], 0x4
	s_load_dword s7, s[2:3], 0xc
	s_load_dwordx2 s[10:11], s[0:1], 0x0
	s_add_u32 s2, s2, 12
	s_addc_u32 s3, s3, 0
	s_waitcnt vmcnt(0) lgkmcnt(0)
	v_mul_hi_u32 v3, s9, v1
	s_add_u32 s0, s0, 8
	s_addc_u32 s1, s1, 0
	s_add_i32 s6, s6, -1
	v_add_u32_e32 v3, v1, v3
	v_lshrrev_b32_e32 v3, s7, v3
	v_mul_lo_u32 v5, v3, s8
	s_cmp_lg_u32 s6, 0
	v_sub_u32_e32 v5, v1, v5
	v_mad_u64_u32 v[0:1], s[8:9], v5, s10, v[0:1]
	v_mad_u64_u32 v[11:12], s[8:9], v5, s11, v[11:12]
	v_mov_b32_e32 v1, v3
	s_cbranch_scc1 .LBB7_1123
.LBB7_1124:
	s_cbranch_execnz .LBB7_1127
.LBB7_1125:
	s_load_dwordx4 s[0:3], s[34:35], 0x4
	s_load_dwordx2 s[6:7], s[34:35], 0xc4
	s_cmp_lt_u32 s33, 2
	s_waitcnt lgkmcnt(0)
	v_mul_hi_u32 v0, s1, v13
	v_add_u32_e32 v0, v13, v0
	v_lshrrev_b32_e32 v1, s2, v0
	v_mul_lo_u32 v0, v1, s0
	s_waitcnt vmcnt(0)
	v_sub_u32_e32 v3, v13, v0
	v_mul_lo_u32 v0, v3, s6
	v_mul_lo_u32 v11, v3, s7
	s_cbranch_scc1 .LBB7_1127
; %bb.1126:
	s_load_dwordx4 s[0:3], s[34:35], 0x10
	s_load_dwordx2 s[6:7], s[34:35], 0xcc
	s_waitcnt lgkmcnt(0)
	v_mul_hi_u32 v3, s1, v1
	v_add_u32_e32 v3, v1, v3
	v_lshrrev_b32_e32 v3, s2, v3
	v_mul_lo_u32 v3, v3, s0
	v_sub_u32_e32 v3, v1, v3
	v_mad_u64_u32 v[0:1], s[0:1], v3, s6, v[0:1]
	v_mad_u64_u32 v[11:12], s[0:1], v3, s7, v[11:12]
.LBB7_1127:
	s_load_dword s0, s[34:35], 0x15c
	s_load_dwordx4 s[8:11], s[34:35], 0x148
	s_waitcnt lgkmcnt(0)
	s_and_b32 s14, s0, 0xff
	v_mov_b32_e32 v1, s11
	v_add_co_u32_e32 v12, vcc, s10, v8
	s_cmp_lt_i32 s14, 11
	v_addc_co_u32_e32 v13, vcc, 0, v1, vcc
	s_cbranch_scc1 .LBB7_1134
; %bb.1128:
	s_and_b32 s15, 0xffff, s14
	s_cmp_gt_i32 s15, 25
	s_mov_b64 s[2:3], 0
	s_cbranch_scc0 .LBB7_1136
; %bb.1129:
	s_cmp_gt_i32 s15, 28
	s_cbranch_scc0 .LBB7_1137
; %bb.1130:
	s_cmp_gt_i32 s15, 43
	;; [unrolled: 3-line block ×3, first 2 shown]
	s_cbranch_scc0 .LBB7_1139
; %bb.1132:
	s_cmp_eq_u32 s15, 46
	s_mov_b64 s[12:13], 0
	s_cbranch_scc0 .LBB7_1142
; %bb.1133:
	global_load_dword v1, v[12:13], off
	s_mov_b32 s0, 0x2f800000
	s_mov_b32 s1, 0xcf800000
	s_mov_b64 s[6:7], -1
	s_waitcnt vmcnt(0)
	v_lshlrev_b32_e32 v1, 16, v1
	v_trunc_f32_e32 v1, v1
	v_mul_f32_e64 v3, |v1|, s0
	v_floor_f32_e32 v3, v3
	v_fma_f32 v3, v3, s1, |v1|
	v_cvt_u32_f32_e32 v3, v3
	v_ashrrev_i32_e32 v1, 31, v1
	s_mov_b64 s[0:1], 0
	v_xor_b32_e32 v3, v3, v1
	v_sub_u32_e32 v7, v3, v1
	s_branch .LBB7_1143
.LBB7_1134:
	s_mov_b64 s[6:7], 0
                                        ; implicit-def: $vgpr7
	s_mov_b64 s[12:13], s[28:29]
	s_cbranch_execnz .LBB7_1201
.LBB7_1135:
	s_andn2_b64 vcc, exec, s[6:7]
	s_cbranch_vccz .LBB7_1246
	s_branch .LBB7_2055
.LBB7_1136:
	s_mov_b64 s[6:7], 0
	s_mov_b64 s[0:1], 0
                                        ; implicit-def: $vgpr7
	s_cbranch_execnz .LBB7_1168
	s_branch .LBB7_1197
.LBB7_1137:
	s_mov_b64 s[6:7], 0
	s_mov_b64 s[0:1], 0
                                        ; implicit-def: $vgpr7
	s_cbranch_execz .LBB7_1167
	s_branch .LBB7_1152
.LBB7_1138:
	s_mov_b64 s[6:7], 0
	s_mov_b64 s[0:1], 0
                                        ; implicit-def: $vgpr7
	s_cbranch_execnz .LBB7_1148
	s_branch .LBB7_1151
.LBB7_1139:
	s_mov_b64 s[12:13], -1
	s_mov_b64 s[6:7], 0
	s_mov_b64 s[0:1], 0
                                        ; implicit-def: $vgpr7
	s_branch .LBB7_1143
.LBB7_1140:
	s_andn2_saveexec_b64 s[14:15], s[14:15]
	s_cbranch_execz .LBB7_979
.LBB7_1141:
	v_add_f32_e32 v0, 0x46000000, v3
	v_and_b32_e32 v0, 0xff, v0
	v_cmp_ne_u32_e32 vcc, 0, v0
	s_andn2_b64 s[12:13], s[12:13], exec
	s_and_b64 s[16:17], vcc, exec
	s_or_b64 s[12:13], s[12:13], s[16:17]
	s_or_b64 exec, exec, s[14:15]
	v_mov_b32_e32 v5, 0
	s_and_saveexec_b64 s[14:15], s[12:13]
	s_cbranch_execnz .LBB7_980
	s_branch .LBB7_981
.LBB7_1142:
	s_mov_b64 s[0:1], -1
                                        ; implicit-def: $vgpr7
	s_mov_b64 s[6:7], 0
.LBB7_1143:
	s_and_b64 vcc, exec, s[12:13]
	s_cbranch_vccz .LBB7_1146
; %bb.1144:
	s_cmp_eq_u32 s15, 44
	s_cbranch_scc0 .LBB7_1147
; %bb.1145:
	global_load_ubyte v1, v[12:13], off
	s_mov_b32 s0, 0x2f800000
	s_mov_b32 s1, 0xcf800000
	s_mov_b64 s[6:7], -1
	s_waitcnt vmcnt(0)
	v_lshlrev_b32_e32 v3, 23, v1
	v_trunc_f32_e32 v3, v3
	v_mul_f32_e64 v5, |v3|, s0
	v_floor_f32_e32 v5, v5
	v_fma_f32 v5, v5, s1, |v3|
	v_cvt_u32_f32_e32 v5, v5
	v_ashrrev_i32_e32 v3, 31, v3
	v_cmp_ne_u32_e32 vcc, 0, v1
	s_mov_b64 s[0:1], 0
	v_xor_b32_e32 v5, v5, v3
	v_sub_u32_e32 v3, v5, v3
	v_cndmask_b32_e32 v7, 0, v3, vcc
.LBB7_1146:
	s_branch .LBB7_1151
.LBB7_1147:
	s_mov_b64 s[0:1], -1
                                        ; implicit-def: $vgpr7
	s_branch .LBB7_1151
.LBB7_1148:
	s_cmp_eq_u32 s15, 29
	s_cbranch_scc0 .LBB7_1150
; %bb.1149:
	global_load_dwordx2 v[7:8], v[12:13], off
	s_mov_b64 s[0:1], 0
	s_mov_b64 s[6:7], -1
	s_branch .LBB7_1151
.LBB7_1150:
	s_mov_b64 s[0:1], -1
                                        ; implicit-def: $vgpr7
.LBB7_1151:
	s_branch .LBB7_1167
.LBB7_1152:
	s_cmp_lt_i32 s15, 27
	s_cbranch_scc1 .LBB7_1155
; %bb.1153:
	s_cmp_gt_i32 s15, 27
	s_cbranch_scc0 .LBB7_1156
; %bb.1154:
	global_load_dword v7, v[12:13], off
	s_mov_b64 s[6:7], 0
	s_branch .LBB7_1157
.LBB7_1155:
	s_mov_b64 s[6:7], -1
                                        ; implicit-def: $vgpr7
	s_branch .LBB7_1160
.LBB7_1156:
	s_mov_b64 s[6:7], -1
                                        ; implicit-def: $vgpr7
.LBB7_1157:
	s_andn2_b64 vcc, exec, s[6:7]
	s_cbranch_vccnz .LBB7_1159
; %bb.1158:
	global_load_ushort v7, v[12:13], off
.LBB7_1159:
	s_mov_b64 s[6:7], 0
.LBB7_1160:
	s_andn2_b64 vcc, exec, s[6:7]
	s_cbranch_vccnz .LBB7_1166
; %bb.1161:
	global_load_ubyte v1, v[12:13], off
	s_movk_i32 s6, 0x7f
	s_mov_b64 s[12:13], 0
	s_waitcnt vmcnt(0)
	v_cmp_lt_i16_e32 vcc, s6, v1
	s_and_saveexec_b64 s[6:7], vcc
	s_xor_b64 s[6:7], exec, s[6:7]
	s_cbranch_execz .LBB7_1177
; %bb.1162:
	s_movk_i32 s12, 0x80
	v_cmp_ne_u16_e32 vcc, s12, v1
	s_and_b64 s[12:13], vcc, exec
	s_andn2_saveexec_b64 s[6:7], s[6:7]
	s_cbranch_execnz .LBB7_1178
.LBB7_1163:
	s_or_b64 exec, exec, s[6:7]
	v_mov_b32_e32 v7, 0
	s_and_saveexec_b64 s[6:7], s[12:13]
	s_cbranch_execz .LBB7_1165
.LBB7_1164:
	v_lshlrev_b32_e32 v3, 24, v1
	v_and_b32_e32 v1, 0xffff, v1
	v_and_b32_e32 v5, 7, v1
	v_ffbh_u32_e32 v8, v5
	v_min_u32_e32 v8, 32, v8
	v_subrev_u32_e32 v14, 28, v8
	v_bfe_u32 v7, v1, 3, 4
	v_lshlrev_b32_e32 v1, v14, v1
	v_sub_u32_e32 v8, 29, v8
	v_and_b32_e32 v1, 7, v1
	v_cmp_eq_u32_e32 vcc, 0, v7
	v_cndmask_b32_e32 v7, v7, v8, vcc
	v_cndmask_b32_e32 v1, v5, v1, vcc
	v_mov_b32_e32 v5, 0x3b800000
	v_lshlrev_b32_e32 v1, 20, v1
	v_and_b32_e32 v3, 0x80000000, v3
	v_lshl_add_u32 v5, v7, 23, v5
	v_or3_b32 v1, v3, v5, v1
	v_trunc_f32_e32 v1, v1
	s_mov_b32 s12, 0x2f800000
	v_mul_f32_e64 v3, |v1|, s12
	v_floor_f32_e32 v3, v3
	s_mov_b32 s12, 0xcf800000
	v_fma_f32 v3, v3, s12, |v1|
	v_cvt_u32_f32_e32 v3, v3
	v_ashrrev_i32_e32 v1, 31, v1
	v_xor_b32_e32 v3, v3, v1
	v_sub_u32_e32 v7, v3, v1
.LBB7_1165:
	s_or_b64 exec, exec, s[6:7]
.LBB7_1166:
	s_mov_b64 s[6:7], -1
.LBB7_1167:
	s_branch .LBB7_1197
.LBB7_1168:
	s_cmp_gt_i32 s15, 22
	s_cbranch_scc0 .LBB7_1176
; %bb.1169:
	s_cmp_lt_i32 s15, 24
	s_cbranch_scc1 .LBB7_1179
; %bb.1170:
	s_cmp_gt_i32 s15, 24
	s_cbranch_scc0 .LBB7_1180
; %bb.1171:
	global_load_ubyte v1, v[12:13], off
	s_movk_i32 s2, 0x7f
	s_mov_b64 s[6:7], 0
	s_waitcnt vmcnt(0)
	v_cmp_lt_i16_e32 vcc, s2, v1
	s_and_saveexec_b64 s[2:3], vcc
	s_xor_b64 s[2:3], exec, s[2:3]
	s_cbranch_execz .LBB7_1191
; %bb.1172:
	s_movk_i32 s6, 0x80
	v_cmp_ne_u16_e32 vcc, s6, v1
	s_and_b64 s[6:7], vcc, exec
	s_andn2_saveexec_b64 s[2:3], s[2:3]
	s_cbranch_execnz .LBB7_1192
.LBB7_1173:
	s_or_b64 exec, exec, s[2:3]
	v_mov_b32_e32 v7, 0
	s_and_saveexec_b64 s[2:3], s[6:7]
	s_cbranch_execz .LBB7_1175
.LBB7_1174:
	v_lshlrev_b32_e32 v3, 24, v1
	v_and_b32_e32 v1, 0xffff, v1
	v_and_b32_e32 v5, 3, v1
	v_ffbh_u32_e32 v8, v5
	v_min_u32_e32 v8, 32, v8
	v_subrev_u32_e32 v14, 29, v8
	v_bfe_u32 v7, v1, 2, 5
	v_lshlrev_b32_e32 v1, v14, v1
	v_sub_u32_e32 v8, 30, v8
	v_and_b32_e32 v1, 3, v1
	v_cmp_eq_u32_e32 vcc, 0, v7
	v_cndmask_b32_e32 v7, v7, v8, vcc
	v_cndmask_b32_e32 v1, v5, v1, vcc
	v_mov_b32_e32 v5, 0x37800000
	v_lshlrev_b32_e32 v1, 21, v1
	v_and_b32_e32 v3, 0x80000000, v3
	v_lshl_add_u32 v5, v7, 23, v5
	v_or3_b32 v1, v3, v5, v1
	v_trunc_f32_e32 v1, v1
	s_mov_b32 s6, 0x2f800000
	v_mul_f32_e64 v3, |v1|, s6
	v_floor_f32_e32 v3, v3
	s_mov_b32 s6, 0xcf800000
	v_fma_f32 v3, v3, s6, |v1|
	v_cvt_u32_f32_e32 v3, v3
	v_ashrrev_i32_e32 v1, 31, v1
	v_xor_b32_e32 v3, v3, v1
	v_sub_u32_e32 v7, v3, v1
.LBB7_1175:
	s_or_b64 exec, exec, s[2:3]
	s_mov_b64 s[2:3], 0
	s_branch .LBB7_1181
.LBB7_1176:
                                        ; implicit-def: $vgpr7
	s_mov_b64 s[2:3], 0
	s_branch .LBB7_1187
.LBB7_1177:
	s_andn2_saveexec_b64 s[6:7], s[6:7]
	s_cbranch_execz .LBB7_1163
.LBB7_1178:
	v_cmp_ne_u16_e32 vcc, 0, v1
	s_andn2_b64 s[12:13], s[12:13], exec
	s_and_b64 s[16:17], vcc, exec
	s_or_b64 s[12:13], s[12:13], s[16:17]
	s_or_b64 exec, exec, s[6:7]
	v_mov_b32_e32 v7, 0
	s_and_saveexec_b64 s[6:7], s[12:13]
	s_cbranch_execnz .LBB7_1164
	s_branch .LBB7_1165
.LBB7_1179:
	s_mov_b64 s[2:3], -1
                                        ; implicit-def: $vgpr7
	s_branch .LBB7_1184
.LBB7_1180:
	s_mov_b64 s[2:3], -1
                                        ; implicit-def: $vgpr7
.LBB7_1181:
	s_and_b64 vcc, exec, s[2:3]
	s_cbranch_vccz .LBB7_1183
; %bb.1182:
	global_load_ubyte v1, v[12:13], off
	s_mov_b32 s2, 0x7f800000
	s_brev_b32 s3, 1
	s_mov_b32 s6, 0x2f800000
	s_waitcnt vmcnt(0)
	v_lshlrev_b32_e32 v1, 24, v1
	v_and_b32_e32 v3, 0x7f000000, v1
	v_ffbh_u32_e32 v5, v3
	v_min_u32_e32 v5, 32, v5
	v_sub_u32_e64 v5, v5, 4 clamp
	v_lshlrev_b32_e32 v8, v5, v3
	v_lshlrev_b32_e32 v5, 23, v5
	v_lshrrev_b32_e32 v8, 4, v8
	v_add_u32_e32 v7, 0x1000000, v3
	v_sub_u32_e32 v5, v8, v5
	v_ashrrev_i32_e32 v7, 8, v7
	v_add_u32_e32 v5, 0x3c000000, v5
	v_and_or_b32 v5, v7, s2, v5
	v_cmp_ne_u32_e32 vcc, 0, v3
	v_cndmask_b32_e32 v3, 0, v5, vcc
	v_and_or_b32 v1, v1, s3, v3
	v_trunc_f32_e32 v1, v1
	v_mul_f32_e64 v3, |v1|, s6
	v_floor_f32_e32 v3, v3
	s_mov_b32 s2, 0xcf800000
	v_fma_f32 v3, v3, s2, |v1|
	v_cvt_u32_f32_e32 v3, v3
	v_ashrrev_i32_e32 v1, 31, v1
	v_xor_b32_e32 v3, v3, v1
	v_sub_u32_e32 v7, v3, v1
.LBB7_1183:
	s_mov_b64 s[2:3], 0
.LBB7_1184:
	s_andn2_b64 vcc, exec, s[2:3]
	s_cbranch_vccnz .LBB7_1186
; %bb.1185:
	global_load_ubyte v1, v[12:13], off
	s_movk_i32 s2, 0x7f00
	s_brev_b32 s3, 16
	s_brev_b32 s6, 1
	s_mov_b32 s7, 0x2f800000
	s_waitcnt vmcnt(0)
	v_lshlrev_b16_e32 v3, 8, v1
	v_lshlrev_b32_e32 v1, 25, v1
	v_lshrrev_b32_e32 v5, 4, v1
	v_and_or_b32 v7, v3, s2, 0.5
	v_or_b32_e32 v5, 0x70000000, v5
	v_add_f32_e32 v7, -0.5, v7
	v_mul_f32_e32 v5, 0x7800000, v5
	v_cmp_gt_u32_e32 vcc, s3, v1
	v_bfe_i32 v3, v3, 0, 16
	v_cndmask_b32_e32 v1, v5, v7, vcc
	v_and_or_b32 v1, v3, s6, v1
	v_trunc_f32_e32 v1, v1
	v_mul_f32_e64 v3, |v1|, s7
	v_floor_f32_e32 v3, v3
	s_mov_b32 s2, 0xcf800000
	v_fma_f32 v3, v3, s2, |v1|
	v_cvt_u32_f32_e32 v3, v3
	v_ashrrev_i32_e32 v1, 31, v1
	v_xor_b32_e32 v3, v3, v1
	v_sub_u32_e32 v7, v3, v1
.LBB7_1186:
	s_mov_b64 s[6:7], -1
	s_mov_b64 s[2:3], 0
	s_cbranch_execnz .LBB7_1197
.LBB7_1187:
	s_cmp_gt_i32 s15, 14
	s_cbranch_scc0 .LBB7_1190
; %bb.1188:
	s_cmp_eq_u32 s15, 15
	s_cbranch_scc0 .LBB7_1193
; %bb.1189:
	global_load_ushort v1, v[12:13], off
	s_mov_b32 s0, 0x2f800000
	s_mov_b32 s1, 0xcf800000
	s_mov_b64 s[6:7], -1
	s_waitcnt vmcnt(0)
	v_lshlrev_b32_e32 v1, 16, v1
	v_trunc_f32_e32 v1, v1
	v_mul_f32_e64 v3, |v1|, s0
	v_floor_f32_e32 v3, v3
	v_fma_f32 v3, v3, s1, |v1|
	v_cvt_u32_f32_e32 v3, v3
	v_ashrrev_i32_e32 v1, 31, v1
	s_mov_b64 s[0:1], 0
	v_xor_b32_e32 v3, v3, v1
	v_sub_u32_e32 v7, v3, v1
	s_branch .LBB7_1194
.LBB7_1190:
	s_mov_b64 s[12:13], -1
                                        ; implicit-def: $vgpr7
	s_branch .LBB7_1195
.LBB7_1191:
	s_andn2_saveexec_b64 s[2:3], s[2:3]
	s_cbranch_execz .LBB7_1173
.LBB7_1192:
	v_cmp_ne_u16_e32 vcc, 0, v1
	s_andn2_b64 s[6:7], s[6:7], exec
	s_and_b64 s[12:13], vcc, exec
	s_or_b64 s[6:7], s[6:7], s[12:13]
	s_or_b64 exec, exec, s[2:3]
	v_mov_b32_e32 v7, 0
	s_and_saveexec_b64 s[2:3], s[6:7]
	s_cbranch_execnz .LBB7_1174
	s_branch .LBB7_1175
.LBB7_1193:
	s_mov_b64 s[0:1], -1
                                        ; implicit-def: $vgpr7
.LBB7_1194:
	s_mov_b64 s[12:13], 0
.LBB7_1195:
	s_and_b64 vcc, exec, s[12:13]
	s_cbranch_vccz .LBB7_1197
; %bb.1196:
	s_cmp_lg_u32 s15, 11
	s_mov_b64 s[2:3], -1
	s_cselect_b64 s[0:1], -1, 0
.LBB7_1197:
	s_and_b64 vcc, exec, s[0:1]
	s_mov_b64 s[12:13], s[28:29]
	s_cbranch_vccnz .LBB7_1258
; %bb.1198:
	s_andn2_b64 vcc, exec, s[2:3]
	s_cbranch_vccnz .LBB7_1200
.LBB7_1199:
	global_load_ubyte v1, v[12:13], off
	s_mov_b64 s[6:7], -1
	s_waitcnt vmcnt(0)
	v_cmp_ne_u16_e32 vcc, 0, v1
	v_cndmask_b32_e64 v7, 0, 1, vcc
.LBB7_1200:
	s_branch .LBB7_1135
.LBB7_1201:
	s_and_b32 s2, 0xffff, s14
	s_cmp_lt_i32 s2, 5
	s_cbranch_scc1 .LBB7_1206
; %bb.1202:
	s_cmp_lt_i32 s2, 8
	s_cbranch_scc1 .LBB7_1207
; %bb.1203:
	;; [unrolled: 3-line block ×3, first 2 shown]
	s_cmp_gt_i32 s2, 9
	s_cbranch_scc0 .LBB7_1209
; %bb.1205:
	global_load_dwordx2 v[7:8], v[12:13], off
	s_movk_i32 s0, 0xffe0
	s_waitcnt vmcnt(0)
	v_trunc_f64_e32 v[7:8], v[7:8]
	v_ldexp_f64 v[14:15], v[7:8], s0
	s_mov_b32 s0, 0
	s_mov_b32 s1, 0xc1f00000
	v_floor_f64_e32 v[14:15], v[14:15]
	v_fma_f64 v[7:8], v[14:15], s[0:1], v[7:8]
	s_mov_b64 s[0:1], 0
	v_cvt_u32_f64_e32 v7, v[7:8]
	s_branch .LBB7_1210
.LBB7_1206:
                                        ; implicit-def: $vgpr7
	s_branch .LBB7_1227
.LBB7_1207:
                                        ; implicit-def: $vgpr7
	s_branch .LBB7_1216
.LBB7_1208:
	s_mov_b64 s[0:1], -1
                                        ; implicit-def: $vgpr7
	s_branch .LBB7_1213
.LBB7_1209:
	s_mov_b64 s[0:1], -1
                                        ; implicit-def: $vgpr7
.LBB7_1210:
	s_andn2_b64 vcc, exec, s[0:1]
	s_cbranch_vccnz .LBB7_1212
; %bb.1211:
	global_load_dword v1, v[12:13], off
	s_mov_b32 s0, 0x2f800000
	s_waitcnt vmcnt(0)
	v_trunc_f32_e32 v1, v1
	v_mul_f32_e64 v3, |v1|, s0
	v_floor_f32_e32 v3, v3
	s_mov_b32 s0, 0xcf800000
	v_fma_f32 v3, v3, s0, |v1|
	v_cvt_u32_f32_e32 v3, v3
	v_ashrrev_i32_e32 v1, 31, v1
	v_xor_b32_e32 v3, v3, v1
	v_sub_u32_e32 v7, v3, v1
.LBB7_1212:
	s_mov_b64 s[0:1], 0
.LBB7_1213:
	s_andn2_b64 vcc, exec, s[0:1]
	s_cbranch_vccnz .LBB7_1215
; %bb.1214:
	global_load_dword v1, v[12:13], off
	s_waitcnt vmcnt(0)
	v_cvt_f32_f16_e32 v1, v1
	v_cvt_i32_f32_e32 v7, v1
.LBB7_1215:
	s_cbranch_execnz .LBB7_1226
.LBB7_1216:
	s_cmp_lt_i32 s2, 6
	s_cbranch_scc1 .LBB7_1219
; %bb.1217:
	s_cmp_gt_i32 s2, 6
	s_cbranch_scc0 .LBB7_1220
; %bb.1218:
	global_load_dwordx2 v[7:8], v[12:13], off
	s_movk_i32 s0, 0xffe0
	s_waitcnt vmcnt(0)
	v_trunc_f64_e32 v[7:8], v[7:8]
	v_ldexp_f64 v[14:15], v[7:8], s0
	s_mov_b32 s0, 0
	s_mov_b32 s1, 0xc1f00000
	v_floor_f64_e32 v[14:15], v[14:15]
	v_fma_f64 v[7:8], v[14:15], s[0:1], v[7:8]
	s_mov_b64 s[0:1], 0
	v_cvt_u32_f64_e32 v7, v[7:8]
	s_branch .LBB7_1221
.LBB7_1219:
	s_mov_b64 s[0:1], -1
                                        ; implicit-def: $vgpr7
	s_branch .LBB7_1224
.LBB7_1220:
	s_mov_b64 s[0:1], -1
                                        ; implicit-def: $vgpr7
.LBB7_1221:
	s_andn2_b64 vcc, exec, s[0:1]
	s_cbranch_vccnz .LBB7_1223
; %bb.1222:
	global_load_dword v1, v[12:13], off
	s_mov_b32 s0, 0x2f800000
	s_waitcnt vmcnt(0)
	v_trunc_f32_e32 v1, v1
	v_mul_f32_e64 v3, |v1|, s0
	v_floor_f32_e32 v3, v3
	s_mov_b32 s0, 0xcf800000
	v_fma_f32 v3, v3, s0, |v1|
	v_cvt_u32_f32_e32 v3, v3
	v_ashrrev_i32_e32 v1, 31, v1
	v_xor_b32_e32 v3, v3, v1
	v_sub_u32_e32 v7, v3, v1
.LBB7_1223:
	s_mov_b64 s[0:1], 0
.LBB7_1224:
	s_andn2_b64 vcc, exec, s[0:1]
	s_cbranch_vccnz .LBB7_1226
; %bb.1225:
	global_load_ushort v1, v[12:13], off
	s_waitcnt vmcnt(0)
	v_cvt_f32_f16_e32 v1, v1
	v_cvt_i32_f32_e32 v7, v1
.LBB7_1226:
	s_cbranch_execnz .LBB7_1245
.LBB7_1227:
	s_cmp_lt_i32 s2, 2
	s_cbranch_scc1 .LBB7_1231
; %bb.1228:
	s_cmp_lt_i32 s2, 3
	s_cbranch_scc1 .LBB7_1232
; %bb.1229:
	s_cmp_gt_i32 s2, 3
	s_cbranch_scc0 .LBB7_1233
; %bb.1230:
	global_load_dwordx2 v[7:8], v[12:13], off
	s_mov_b64 s[0:1], 0
	s_branch .LBB7_1234
.LBB7_1231:
                                        ; implicit-def: $vgpr7
	s_branch .LBB7_1240
.LBB7_1232:
	s_mov_b64 s[0:1], -1
                                        ; implicit-def: $vgpr7
	s_branch .LBB7_1237
.LBB7_1233:
	s_mov_b64 s[0:1], -1
                                        ; implicit-def: $vgpr7
.LBB7_1234:
	s_andn2_b64 vcc, exec, s[0:1]
	s_cbranch_vccnz .LBB7_1236
; %bb.1235:
	global_load_dword v7, v[12:13], off
.LBB7_1236:
	s_mov_b64 s[0:1], 0
.LBB7_1237:
	s_andn2_b64 vcc, exec, s[0:1]
	s_cbranch_vccnz .LBB7_1239
; %bb.1238:
	global_load_ushort v7, v[12:13], off
.LBB7_1239:
	s_cbranch_execnz .LBB7_1245
.LBB7_1240:
	s_cmp_gt_i32 s2, 0
	s_cbranch_scc0 .LBB7_1242
; %bb.1241:
	global_load_ubyte v7, v[12:13], off
	s_mov_b64 s[0:1], 0
	s_branch .LBB7_1243
.LBB7_1242:
	s_mov_b64 s[0:1], -1
                                        ; implicit-def: $vgpr7
.LBB7_1243:
	s_andn2_b64 vcc, exec, s[0:1]
	s_cbranch_vccnz .LBB7_1245
; %bb.1244:
	global_load_ubyte v7, v[12:13], off
.LBB7_1245:
.LBB7_1246:
	v_mov_b32_e32 v1, s11
	s_and_b32 s16, 0xffff, s14
	v_add_co_u32_e32 v12, vcc, s10, v9
	s_cmp_lt_i32 s16, 11
	v_addc_co_u32_e32 v13, vcc, 0, v1, vcc
	s_cbranch_scc1 .LBB7_1253
; %bb.1247:
	s_cmp_gt_i32 s16, 25
	s_mov_b64 s[2:3], 0
	s_cbranch_scc0 .LBB7_1255
; %bb.1248:
	s_cmp_gt_i32 s16, 28
	s_cbranch_scc0 .LBB7_1256
; %bb.1249:
	s_cmp_gt_i32 s16, 43
	s_cbranch_scc0 .LBB7_1257
; %bb.1250:
	s_cmp_gt_i32 s16, 45
	s_cbranch_scc0 .LBB7_1259
; %bb.1251:
	s_cmp_eq_u32 s16, 46
	s_mov_b64 s[14:15], 0
	s_cbranch_scc0 .LBB7_1262
; %bb.1252:
	global_load_dword v1, v[12:13], off
	s_mov_b32 s0, 0x2f800000
	s_mov_b32 s1, 0xcf800000
	s_mov_b64 s[6:7], -1
	s_waitcnt vmcnt(0)
	v_lshlrev_b32_e32 v1, 16, v1
	v_trunc_f32_e32 v1, v1
	v_mul_f32_e64 v3, |v1|, s0
	v_floor_f32_e32 v3, v3
	v_fma_f32 v3, v3, s1, |v1|
	v_cvt_u32_f32_e32 v3, v3
	v_ashrrev_i32_e32 v1, 31, v1
	s_mov_b64 s[0:1], 0
	v_xor_b32_e32 v3, v3, v1
	v_sub_u32_e32 v8, v3, v1
	s_branch .LBB7_1263
.LBB7_1253:
	s_mov_b64 s[6:7], 0
                                        ; implicit-def: $vgpr8
	s_cbranch_execnz .LBB7_1324
.LBB7_1254:
	s_andn2_b64 vcc, exec, s[6:7]
	s_cbranch_vccnz .LBB7_2055
	s_branch .LBB7_1371
.LBB7_1255:
	s_mov_b64 s[6:7], 0
	s_mov_b64 s[0:1], 0
                                        ; implicit-def: $vgpr8
	s_cbranch_execnz .LBB7_1290
	s_branch .LBB7_1320
.LBB7_1256:
	s_mov_b64 s[14:15], -1
	s_mov_b64 s[6:7], 0
	s_mov_b64 s[0:1], 0
                                        ; implicit-def: $vgpr8
	s_branch .LBB7_1273
.LBB7_1257:
	s_mov_b64 s[14:15], -1
	s_mov_b64 s[6:7], 0
	s_mov_b64 s[0:1], 0
                                        ; implicit-def: $vgpr8
	s_branch .LBB7_1268
.LBB7_1258:
	s_or_b64 s[12:13], s[28:29], exec
	s_trap 2
	s_cbranch_execz .LBB7_1199
	s_branch .LBB7_1200
.LBB7_1259:
	s_mov_b64 s[14:15], -1
	s_mov_b64 s[6:7], 0
	s_mov_b64 s[0:1], 0
                                        ; implicit-def: $vgpr8
	s_branch .LBB7_1263
.LBB7_1260:
	s_andn2_saveexec_b64 s[16:17], s[16:17]
	s_cbranch_execz .LBB7_991
.LBB7_1261:
	v_add_f32_e32 v0, 0x42800000, v3
	v_and_b32_e32 v0, 0xff, v0
	v_cmp_ne_u32_e32 vcc, 0, v0
	s_andn2_b64 s[14:15], s[14:15], exec
	s_and_b64 s[20:21], vcc, exec
	s_or_b64 s[14:15], s[14:15], s[20:21]
	s_or_b64 exec, exec, s[16:17]
	v_mov_b32_e32 v5, 0
	s_and_saveexec_b64 s[16:17], s[14:15]
	s_cbranch_execnz .LBB7_992
	s_branch .LBB7_993
.LBB7_1262:
	s_mov_b64 s[0:1], -1
                                        ; implicit-def: $vgpr8
	s_mov_b64 s[6:7], 0
.LBB7_1263:
	s_and_b64 vcc, exec, s[14:15]
	s_cbranch_vccz .LBB7_1267
; %bb.1264:
	s_cmp_eq_u32 s16, 44
	s_cbranch_scc0 .LBB7_1266
; %bb.1265:
	global_load_ubyte v1, v[12:13], off
	s_mov_b32 s0, 0x2f800000
	s_mov_b32 s1, 0xcf800000
	s_mov_b64 s[6:7], -1
	s_waitcnt vmcnt(0)
	v_lshlrev_b32_e32 v3, 23, v1
	v_trunc_f32_e32 v3, v3
	v_mul_f32_e64 v5, |v3|, s0
	v_floor_f32_e32 v5, v5
	v_fma_f32 v5, v5, s1, |v3|
	v_cvt_u32_f32_e32 v5, v5
	v_ashrrev_i32_e32 v3, 31, v3
	v_cmp_ne_u32_e32 vcc, 0, v1
	s_mov_b64 s[0:1], 0
	v_xor_b32_e32 v5, v5, v3
	v_sub_u32_e32 v3, v5, v3
	v_cndmask_b32_e32 v8, 0, v3, vcc
	s_branch .LBB7_1267
.LBB7_1266:
	s_mov_b64 s[0:1], -1
                                        ; implicit-def: $vgpr8
.LBB7_1267:
	s_mov_b64 s[14:15], 0
.LBB7_1268:
	s_and_b64 vcc, exec, s[14:15]
	s_cbranch_vccz .LBB7_1272
; %bb.1269:
	s_cmp_eq_u32 s16, 29
	s_cbranch_scc0 .LBB7_1271
; %bb.1270:
	global_load_dwordx2 v[8:9], v[12:13], off
	s_mov_b64 s[0:1], 0
	s_mov_b64 s[6:7], -1
	s_branch .LBB7_1272
.LBB7_1271:
	s_mov_b64 s[0:1], -1
                                        ; implicit-def: $vgpr8
.LBB7_1272:
	s_mov_b64 s[14:15], 0
.LBB7_1273:
	s_and_b64 vcc, exec, s[14:15]
	s_cbranch_vccz .LBB7_1289
; %bb.1274:
	s_cmp_lt_i32 s16, 27
	s_cbranch_scc1 .LBB7_1277
; %bb.1275:
	s_cmp_gt_i32 s16, 27
	s_cbranch_scc0 .LBB7_1278
; %bb.1276:
	global_load_dword v8, v[12:13], off
	s_mov_b64 s[6:7], 0
	s_branch .LBB7_1279
.LBB7_1277:
	s_mov_b64 s[6:7], -1
                                        ; implicit-def: $vgpr8
	s_branch .LBB7_1282
.LBB7_1278:
	s_mov_b64 s[6:7], -1
                                        ; implicit-def: $vgpr8
.LBB7_1279:
	s_andn2_b64 vcc, exec, s[6:7]
	s_cbranch_vccnz .LBB7_1281
; %bb.1280:
	global_load_ushort v8, v[12:13], off
.LBB7_1281:
	s_mov_b64 s[6:7], 0
.LBB7_1282:
	s_andn2_b64 vcc, exec, s[6:7]
	s_cbranch_vccnz .LBB7_1288
; %bb.1283:
	global_load_ubyte v1, v[12:13], off
	s_movk_i32 s6, 0x7f
	s_mov_b64 s[14:15], 0
	s_waitcnt vmcnt(0)
	v_cmp_lt_i16_e32 vcc, s6, v1
	s_and_saveexec_b64 s[6:7], vcc
	s_xor_b64 s[6:7], exec, s[6:7]
	s_cbranch_execz .LBB7_1299
; %bb.1284:
	s_movk_i32 s14, 0x80
	v_cmp_ne_u16_e32 vcc, s14, v1
	s_and_b64 s[14:15], vcc, exec
	s_andn2_saveexec_b64 s[6:7], s[6:7]
	s_cbranch_execnz .LBB7_1300
.LBB7_1285:
	s_or_b64 exec, exec, s[6:7]
	v_mov_b32_e32 v8, 0
	s_and_saveexec_b64 s[6:7], s[14:15]
	s_cbranch_execz .LBB7_1287
.LBB7_1286:
	v_lshlrev_b32_e32 v3, 24, v1
	v_and_b32_e32 v1, 0xffff, v1
	v_and_b32_e32 v5, 7, v1
	v_ffbh_u32_e32 v9, v5
	v_min_u32_e32 v9, 32, v9
	v_subrev_u32_e32 v14, 28, v9
	v_bfe_u32 v8, v1, 3, 4
	v_lshlrev_b32_e32 v1, v14, v1
	v_sub_u32_e32 v9, 29, v9
	v_and_b32_e32 v1, 7, v1
	v_cmp_eq_u32_e32 vcc, 0, v8
	v_cndmask_b32_e32 v8, v8, v9, vcc
	v_cndmask_b32_e32 v1, v5, v1, vcc
	v_mov_b32_e32 v5, 0x3b800000
	v_lshlrev_b32_e32 v1, 20, v1
	v_and_b32_e32 v3, 0x80000000, v3
	v_lshl_add_u32 v5, v8, 23, v5
	v_or3_b32 v1, v3, v5, v1
	v_trunc_f32_e32 v1, v1
	s_mov_b32 s14, 0x2f800000
	v_mul_f32_e64 v3, |v1|, s14
	v_floor_f32_e32 v3, v3
	s_mov_b32 s14, 0xcf800000
	v_fma_f32 v3, v3, s14, |v1|
	v_cvt_u32_f32_e32 v3, v3
	v_ashrrev_i32_e32 v1, 31, v1
	v_xor_b32_e32 v3, v3, v1
	v_sub_u32_e32 v8, v3, v1
.LBB7_1287:
	s_or_b64 exec, exec, s[6:7]
.LBB7_1288:
	s_mov_b64 s[6:7], -1
.LBB7_1289:
	s_branch .LBB7_1320
.LBB7_1290:
	s_cmp_gt_i32 s16, 22
	s_cbranch_scc0 .LBB7_1298
; %bb.1291:
	s_cmp_lt_i32 s16, 24
	s_cbranch_scc1 .LBB7_1301
; %bb.1292:
	s_cmp_gt_i32 s16, 24
	s_cbranch_scc0 .LBB7_1302
; %bb.1293:
	global_load_ubyte v1, v[12:13], off
	s_movk_i32 s2, 0x7f
	s_mov_b64 s[6:7], 0
	s_waitcnt vmcnt(0)
	v_cmp_lt_i16_e32 vcc, s2, v1
	s_and_saveexec_b64 s[2:3], vcc
	s_xor_b64 s[2:3], exec, s[2:3]
	s_cbranch_execz .LBB7_1314
; %bb.1294:
	s_movk_i32 s6, 0x80
	v_cmp_ne_u16_e32 vcc, s6, v1
	s_and_b64 s[6:7], vcc, exec
	s_andn2_saveexec_b64 s[2:3], s[2:3]
	s_cbranch_execnz .LBB7_1315
.LBB7_1295:
	s_or_b64 exec, exec, s[2:3]
	v_mov_b32_e32 v8, 0
	s_and_saveexec_b64 s[2:3], s[6:7]
	s_cbranch_execz .LBB7_1297
.LBB7_1296:
	v_lshlrev_b32_e32 v3, 24, v1
	v_and_b32_e32 v1, 0xffff, v1
	v_and_b32_e32 v5, 3, v1
	v_ffbh_u32_e32 v9, v5
	v_min_u32_e32 v9, 32, v9
	v_subrev_u32_e32 v14, 29, v9
	v_bfe_u32 v8, v1, 2, 5
	v_lshlrev_b32_e32 v1, v14, v1
	v_sub_u32_e32 v9, 30, v9
	v_and_b32_e32 v1, 3, v1
	v_cmp_eq_u32_e32 vcc, 0, v8
	v_cndmask_b32_e32 v8, v8, v9, vcc
	v_cndmask_b32_e32 v1, v5, v1, vcc
	v_mov_b32_e32 v5, 0x37800000
	v_lshlrev_b32_e32 v1, 21, v1
	v_and_b32_e32 v3, 0x80000000, v3
	v_lshl_add_u32 v5, v8, 23, v5
	v_or3_b32 v1, v3, v5, v1
	v_trunc_f32_e32 v1, v1
	s_mov_b32 s6, 0x2f800000
	v_mul_f32_e64 v3, |v1|, s6
	v_floor_f32_e32 v3, v3
	s_mov_b32 s6, 0xcf800000
	v_fma_f32 v3, v3, s6, |v1|
	v_cvt_u32_f32_e32 v3, v3
	v_ashrrev_i32_e32 v1, 31, v1
	v_xor_b32_e32 v3, v3, v1
	v_sub_u32_e32 v8, v3, v1
.LBB7_1297:
	s_or_b64 exec, exec, s[2:3]
	s_mov_b64 s[2:3], 0
	s_branch .LBB7_1303
.LBB7_1298:
	s_mov_b64 s[2:3], -1
                                        ; implicit-def: $vgpr8
	s_branch .LBB7_1309
.LBB7_1299:
	s_andn2_saveexec_b64 s[6:7], s[6:7]
	s_cbranch_execz .LBB7_1285
.LBB7_1300:
	v_cmp_ne_u16_e32 vcc, 0, v1
	s_andn2_b64 s[14:15], s[14:15], exec
	s_and_b64 s[18:19], vcc, exec
	s_or_b64 s[14:15], s[14:15], s[18:19]
	s_or_b64 exec, exec, s[6:7]
	v_mov_b32_e32 v8, 0
	s_and_saveexec_b64 s[6:7], s[14:15]
	s_cbranch_execnz .LBB7_1286
	s_branch .LBB7_1287
.LBB7_1301:
	s_mov_b64 s[2:3], -1
                                        ; implicit-def: $vgpr8
	s_branch .LBB7_1306
.LBB7_1302:
	s_mov_b64 s[2:3], -1
                                        ; implicit-def: $vgpr8
.LBB7_1303:
	s_and_b64 vcc, exec, s[2:3]
	s_cbranch_vccz .LBB7_1305
; %bb.1304:
	global_load_ubyte v1, v[12:13], off
	s_mov_b32 s2, 0x7f800000
	s_brev_b32 s3, 1
	s_mov_b32 s6, 0x2f800000
	s_waitcnt vmcnt(0)
	v_lshlrev_b32_e32 v1, 24, v1
	v_and_b32_e32 v3, 0x7f000000, v1
	v_ffbh_u32_e32 v5, v3
	v_min_u32_e32 v5, 32, v5
	v_sub_u32_e64 v5, v5, 4 clamp
	v_lshlrev_b32_e32 v9, v5, v3
	v_lshlrev_b32_e32 v5, 23, v5
	v_lshrrev_b32_e32 v9, 4, v9
	v_add_u32_e32 v8, 0x1000000, v3
	v_sub_u32_e32 v5, v9, v5
	v_ashrrev_i32_e32 v8, 8, v8
	v_add_u32_e32 v5, 0x3c000000, v5
	v_and_or_b32 v5, v8, s2, v5
	v_cmp_ne_u32_e32 vcc, 0, v3
	v_cndmask_b32_e32 v3, 0, v5, vcc
	v_and_or_b32 v1, v1, s3, v3
	v_trunc_f32_e32 v1, v1
	v_mul_f32_e64 v3, |v1|, s6
	v_floor_f32_e32 v3, v3
	s_mov_b32 s2, 0xcf800000
	v_fma_f32 v3, v3, s2, |v1|
	v_cvt_u32_f32_e32 v3, v3
	v_ashrrev_i32_e32 v1, 31, v1
	v_xor_b32_e32 v3, v3, v1
	v_sub_u32_e32 v8, v3, v1
.LBB7_1305:
	s_mov_b64 s[2:3], 0
.LBB7_1306:
	s_andn2_b64 vcc, exec, s[2:3]
	s_cbranch_vccnz .LBB7_1308
; %bb.1307:
	global_load_ubyte v1, v[12:13], off
	s_movk_i32 s2, 0x7f00
	s_brev_b32 s3, 16
	s_brev_b32 s6, 1
	s_mov_b32 s7, 0x2f800000
	s_waitcnt vmcnt(0)
	v_lshlrev_b16_e32 v3, 8, v1
	v_lshlrev_b32_e32 v1, 25, v1
	v_lshrrev_b32_e32 v5, 4, v1
	v_and_or_b32 v8, v3, s2, 0.5
	v_or_b32_e32 v5, 0x70000000, v5
	v_add_f32_e32 v8, -0.5, v8
	v_mul_f32_e32 v5, 0x7800000, v5
	v_cmp_gt_u32_e32 vcc, s3, v1
	v_bfe_i32 v3, v3, 0, 16
	v_cndmask_b32_e32 v1, v5, v8, vcc
	v_and_or_b32 v1, v3, s6, v1
	v_trunc_f32_e32 v1, v1
	v_mul_f32_e64 v3, |v1|, s7
	v_floor_f32_e32 v3, v3
	s_mov_b32 s2, 0xcf800000
	v_fma_f32 v3, v3, s2, |v1|
	v_cvt_u32_f32_e32 v3, v3
	v_ashrrev_i32_e32 v1, 31, v1
	v_xor_b32_e32 v3, v3, v1
	v_sub_u32_e32 v8, v3, v1
.LBB7_1308:
	s_mov_b64 s[2:3], 0
	s_mov_b64 s[6:7], -1
.LBB7_1309:
	s_andn2_b64 vcc, exec, s[2:3]
	s_mov_b64 s[2:3], 0
	s_cbranch_vccnz .LBB7_1320
; %bb.1310:
	s_cmp_gt_i32 s16, 14
	s_cbranch_scc0 .LBB7_1313
; %bb.1311:
	s_cmp_eq_u32 s16, 15
	s_cbranch_scc0 .LBB7_1316
; %bb.1312:
	global_load_ushort v1, v[12:13], off
	s_mov_b32 s0, 0x2f800000
	s_mov_b32 s1, 0xcf800000
	s_mov_b64 s[6:7], -1
	s_waitcnt vmcnt(0)
	v_lshlrev_b32_e32 v1, 16, v1
	v_trunc_f32_e32 v1, v1
	v_mul_f32_e64 v3, |v1|, s0
	v_floor_f32_e32 v3, v3
	v_fma_f32 v3, v3, s1, |v1|
	v_cvt_u32_f32_e32 v3, v3
	v_ashrrev_i32_e32 v1, 31, v1
	s_mov_b64 s[0:1], 0
	v_xor_b32_e32 v3, v3, v1
	v_sub_u32_e32 v8, v3, v1
	s_branch .LBB7_1317
.LBB7_1313:
	s_mov_b64 s[14:15], -1
                                        ; implicit-def: $vgpr8
	s_branch .LBB7_1318
.LBB7_1314:
	s_andn2_saveexec_b64 s[2:3], s[2:3]
	s_cbranch_execz .LBB7_1295
.LBB7_1315:
	v_cmp_ne_u16_e32 vcc, 0, v1
	s_andn2_b64 s[6:7], s[6:7], exec
	s_and_b64 s[14:15], vcc, exec
	s_or_b64 s[6:7], s[6:7], s[14:15]
	s_or_b64 exec, exec, s[2:3]
	v_mov_b32_e32 v8, 0
	s_and_saveexec_b64 s[2:3], s[6:7]
	s_cbranch_execnz .LBB7_1296
	s_branch .LBB7_1297
.LBB7_1316:
	s_mov_b64 s[0:1], -1
                                        ; implicit-def: $vgpr8
.LBB7_1317:
	s_mov_b64 s[14:15], 0
.LBB7_1318:
	s_and_b64 vcc, exec, s[14:15]
	s_cbranch_vccz .LBB7_1320
; %bb.1319:
	s_cmp_lg_u32 s16, 11
	s_mov_b64 s[2:3], -1
	s_cselect_b64 s[0:1], -1, 0
.LBB7_1320:
	s_and_b64 vcc, exec, s[0:1]
	s_cbranch_vccnz .LBB7_1383
; %bb.1321:
	s_andn2_b64 vcc, exec, s[2:3]
	s_cbranch_vccnz .LBB7_1323
.LBB7_1322:
	global_load_ubyte v1, v[12:13], off
	s_mov_b64 s[6:7], -1
	s_waitcnt vmcnt(0)
	v_cmp_ne_u16_e32 vcc, 0, v1
	v_cndmask_b32_e64 v8, 0, 1, vcc
.LBB7_1323:
	s_branch .LBB7_1254
.LBB7_1324:
	s_cmp_lt_i32 s16, 5
	s_cbranch_scc1 .LBB7_1329
; %bb.1325:
	s_cmp_lt_i32 s16, 8
	s_cbranch_scc1 .LBB7_1330
; %bb.1326:
	;; [unrolled: 3-line block ×3, first 2 shown]
	s_cmp_gt_i32 s16, 9
	s_cbranch_scc0 .LBB7_1332
; %bb.1328:
	global_load_dwordx2 v[8:9], v[12:13], off
	s_movk_i32 s0, 0xffe0
	s_waitcnt vmcnt(0)
	v_trunc_f64_e32 v[8:9], v[8:9]
	v_ldexp_f64 v[14:15], v[8:9], s0
	s_mov_b32 s0, 0
	s_mov_b32 s1, 0xc1f00000
	v_floor_f64_e32 v[14:15], v[14:15]
	v_fma_f64 v[8:9], v[14:15], s[0:1], v[8:9]
	s_mov_b64 s[0:1], 0
	v_cvt_u32_f64_e32 v8, v[8:9]
	s_branch .LBB7_1333
.LBB7_1329:
                                        ; implicit-def: $vgpr8
	s_branch .LBB7_1351
.LBB7_1330:
	s_mov_b64 s[0:1], -1
                                        ; implicit-def: $vgpr8
	s_branch .LBB7_1339
.LBB7_1331:
	s_mov_b64 s[0:1], -1
                                        ; implicit-def: $vgpr8
	s_branch .LBB7_1336
.LBB7_1332:
	s_mov_b64 s[0:1], -1
                                        ; implicit-def: $vgpr8
.LBB7_1333:
	s_andn2_b64 vcc, exec, s[0:1]
	s_cbranch_vccnz .LBB7_1335
; %bb.1334:
	global_load_dword v1, v[12:13], off
	s_mov_b32 s0, 0x2f800000
	s_waitcnt vmcnt(0)
	v_trunc_f32_e32 v1, v1
	v_mul_f32_e64 v3, |v1|, s0
	v_floor_f32_e32 v3, v3
	s_mov_b32 s0, 0xcf800000
	v_fma_f32 v3, v3, s0, |v1|
	v_cvt_u32_f32_e32 v3, v3
	v_ashrrev_i32_e32 v1, 31, v1
	v_xor_b32_e32 v3, v3, v1
	v_sub_u32_e32 v8, v3, v1
.LBB7_1335:
	s_mov_b64 s[0:1], 0
.LBB7_1336:
	s_andn2_b64 vcc, exec, s[0:1]
	s_cbranch_vccnz .LBB7_1338
; %bb.1337:
	global_load_dword v1, v[12:13], off
	s_waitcnt vmcnt(0)
	v_cvt_f32_f16_e32 v1, v1
	v_cvt_i32_f32_e32 v8, v1
.LBB7_1338:
	s_mov_b64 s[0:1], 0
.LBB7_1339:
	s_andn2_b64 vcc, exec, s[0:1]
	s_cbranch_vccnz .LBB7_1350
; %bb.1340:
	s_cmp_lt_i32 s16, 6
	s_cbranch_scc1 .LBB7_1343
; %bb.1341:
	s_cmp_gt_i32 s16, 6
	s_cbranch_scc0 .LBB7_1344
; %bb.1342:
	global_load_dwordx2 v[8:9], v[12:13], off
	s_movk_i32 s0, 0xffe0
	s_waitcnt vmcnt(0)
	v_trunc_f64_e32 v[8:9], v[8:9]
	v_ldexp_f64 v[14:15], v[8:9], s0
	s_mov_b32 s0, 0
	s_mov_b32 s1, 0xc1f00000
	v_floor_f64_e32 v[14:15], v[14:15]
	v_fma_f64 v[8:9], v[14:15], s[0:1], v[8:9]
	s_mov_b64 s[0:1], 0
	v_cvt_u32_f64_e32 v8, v[8:9]
	s_branch .LBB7_1345
.LBB7_1343:
	s_mov_b64 s[0:1], -1
                                        ; implicit-def: $vgpr8
	s_branch .LBB7_1348
.LBB7_1344:
	s_mov_b64 s[0:1], -1
                                        ; implicit-def: $vgpr8
.LBB7_1345:
	s_andn2_b64 vcc, exec, s[0:1]
	s_cbranch_vccnz .LBB7_1347
; %bb.1346:
	global_load_dword v1, v[12:13], off
	s_mov_b32 s0, 0x2f800000
	s_waitcnt vmcnt(0)
	v_trunc_f32_e32 v1, v1
	v_mul_f32_e64 v3, |v1|, s0
	v_floor_f32_e32 v3, v3
	s_mov_b32 s0, 0xcf800000
	v_fma_f32 v3, v3, s0, |v1|
	v_cvt_u32_f32_e32 v3, v3
	v_ashrrev_i32_e32 v1, 31, v1
	v_xor_b32_e32 v3, v3, v1
	v_sub_u32_e32 v8, v3, v1
.LBB7_1347:
	s_mov_b64 s[0:1], 0
.LBB7_1348:
	s_andn2_b64 vcc, exec, s[0:1]
	s_cbranch_vccnz .LBB7_1350
; %bb.1349:
	global_load_ushort v1, v[12:13], off
	s_waitcnt vmcnt(0)
	v_cvt_f32_f16_e32 v1, v1
	v_cvt_i32_f32_e32 v8, v1
.LBB7_1350:
	s_cbranch_execnz .LBB7_1370
.LBB7_1351:
	s_cmp_lt_i32 s16, 2
	s_cbranch_scc1 .LBB7_1355
; %bb.1352:
	s_cmp_lt_i32 s16, 3
	s_cbranch_scc1 .LBB7_1356
; %bb.1353:
	s_cmp_gt_i32 s16, 3
	s_cbranch_scc0 .LBB7_1357
; %bb.1354:
	global_load_dwordx2 v[8:9], v[12:13], off
	s_mov_b64 s[0:1], 0
	s_branch .LBB7_1358
.LBB7_1355:
	s_mov_b64 s[0:1], -1
                                        ; implicit-def: $vgpr8
	s_branch .LBB7_1364
.LBB7_1356:
	s_mov_b64 s[0:1], -1
                                        ; implicit-def: $vgpr8
	s_branch .LBB7_1361
.LBB7_1357:
	s_mov_b64 s[0:1], -1
                                        ; implicit-def: $vgpr8
.LBB7_1358:
	s_andn2_b64 vcc, exec, s[0:1]
	s_cbranch_vccnz .LBB7_1360
; %bb.1359:
	global_load_dword v8, v[12:13], off
.LBB7_1360:
	s_mov_b64 s[0:1], 0
.LBB7_1361:
	s_andn2_b64 vcc, exec, s[0:1]
	s_cbranch_vccnz .LBB7_1363
; %bb.1362:
	global_load_ushort v8, v[12:13], off
.LBB7_1363:
	s_mov_b64 s[0:1], 0
.LBB7_1364:
	s_andn2_b64 vcc, exec, s[0:1]
	s_cbranch_vccnz .LBB7_1370
; %bb.1365:
	s_cmp_gt_i32 s16, 0
	s_cbranch_scc0 .LBB7_1367
; %bb.1366:
	global_load_ubyte v8, v[12:13], off
	s_mov_b64 s[0:1], 0
	s_branch .LBB7_1368
.LBB7_1367:
	s_mov_b64 s[0:1], -1
                                        ; implicit-def: $vgpr8
.LBB7_1368:
	s_andn2_b64 vcc, exec, s[0:1]
	s_cbranch_vccnz .LBB7_1370
; %bb.1369:
	global_load_ubyte v8, v[12:13], off
.LBB7_1370:
.LBB7_1371:
	v_mov_b32_e32 v1, s11
	v_add_co_u32_e32 v12, vcc, s10, v10
	s_cmp_lt_i32 s16, 11
	v_addc_co_u32_e32 v13, vcc, 0, v1, vcc
	s_cbranch_scc1 .LBB7_1378
; %bb.1372:
	s_cmp_gt_i32 s16, 25
	s_mov_b64 s[2:3], 0
	s_cbranch_scc0 .LBB7_1380
; %bb.1373:
	s_cmp_gt_i32 s16, 28
	s_cbranch_scc0 .LBB7_1381
; %bb.1374:
	s_cmp_gt_i32 s16, 43
	;; [unrolled: 3-line block ×3, first 2 shown]
	s_cbranch_scc0 .LBB7_1384
; %bb.1376:
	s_cmp_eq_u32 s16, 46
	s_mov_b64 s[14:15], 0
	s_cbranch_scc0 .LBB7_1385
; %bb.1377:
	global_load_dword v1, v[12:13], off
	s_mov_b32 s0, 0x2f800000
	s_mov_b32 s1, 0xcf800000
	s_mov_b64 s[6:7], -1
	s_waitcnt vmcnt(0)
	v_lshlrev_b32_e32 v1, 16, v1
	v_trunc_f32_e32 v1, v1
	v_mul_f32_e64 v3, |v1|, s0
	v_floor_f32_e32 v3, v3
	v_fma_f32 v3, v3, s1, |v1|
	v_cvt_u32_f32_e32 v3, v3
	v_ashrrev_i32_e32 v1, 31, v1
	s_mov_b64 s[0:1], 0
	v_xor_b32_e32 v3, v3, v1
	v_sub_u32_e32 v9, v3, v1
	s_branch .LBB7_1386
.LBB7_1378:
	s_mov_b64 s[6:7], 0
                                        ; implicit-def: $vgpr9
	s_cbranch_execnz .LBB7_1448
.LBB7_1379:
	s_andn2_b64 vcc, exec, s[6:7]
	s_cbranch_vccnz .LBB7_2055
	s_branch .LBB7_1496
.LBB7_1380:
	s_mov_b64 s[14:15], -1
	s_mov_b64 s[6:7], 0
	s_mov_b64 s[0:1], 0
                                        ; implicit-def: $vgpr9
	s_branch .LBB7_1413
.LBB7_1381:
	s_mov_b64 s[14:15], -1
	s_mov_b64 s[6:7], 0
	s_mov_b64 s[0:1], 0
                                        ; implicit-def: $vgpr9
	s_branch .LBB7_1396
.LBB7_1382:
	s_mov_b64 s[14:15], -1
	s_mov_b64 s[6:7], 0
	s_mov_b64 s[0:1], 0
                                        ; implicit-def: $vgpr9
	s_branch .LBB7_1391
.LBB7_1383:
	s_trap 2
	s_or_b64 s[12:13], s[12:13], exec
	s_cbranch_execz .LBB7_1322
	s_branch .LBB7_1323
.LBB7_1384:
	s_mov_b64 s[14:15], -1
	s_mov_b64 s[6:7], 0
	s_mov_b64 s[0:1], 0
                                        ; implicit-def: $vgpr9
	s_branch .LBB7_1386
.LBB7_1385:
	s_mov_b64 s[0:1], -1
                                        ; implicit-def: $vgpr9
	s_mov_b64 s[6:7], 0
.LBB7_1386:
	s_and_b64 vcc, exec, s[14:15]
	s_cbranch_vccz .LBB7_1390
; %bb.1387:
	s_cmp_eq_u32 s16, 44
	s_cbranch_scc0 .LBB7_1389
; %bb.1388:
	global_load_ubyte v1, v[12:13], off
	s_mov_b32 s0, 0x2f800000
	s_mov_b32 s1, 0xcf800000
	s_mov_b64 s[6:7], -1
	s_waitcnt vmcnt(0)
	v_lshlrev_b32_e32 v3, 23, v1
	v_trunc_f32_e32 v3, v3
	v_mul_f32_e64 v5, |v3|, s0
	v_floor_f32_e32 v5, v5
	v_fma_f32 v5, v5, s1, |v3|
	v_cvt_u32_f32_e32 v5, v5
	v_ashrrev_i32_e32 v3, 31, v3
	v_cmp_ne_u32_e32 vcc, 0, v1
	s_mov_b64 s[0:1], 0
	v_xor_b32_e32 v5, v5, v3
	v_sub_u32_e32 v3, v5, v3
	v_cndmask_b32_e32 v9, 0, v3, vcc
	s_branch .LBB7_1390
.LBB7_1389:
	s_mov_b64 s[0:1], -1
                                        ; implicit-def: $vgpr9
.LBB7_1390:
	s_mov_b64 s[14:15], 0
.LBB7_1391:
	s_and_b64 vcc, exec, s[14:15]
	s_cbranch_vccz .LBB7_1395
; %bb.1392:
	s_cmp_eq_u32 s16, 29
	s_cbranch_scc0 .LBB7_1394
; %bb.1393:
	global_load_dwordx2 v[9:10], v[12:13], off
	s_mov_b64 s[0:1], 0
	s_mov_b64 s[6:7], -1
	s_branch .LBB7_1395
.LBB7_1394:
	s_mov_b64 s[0:1], -1
                                        ; implicit-def: $vgpr9
.LBB7_1395:
	s_mov_b64 s[14:15], 0
.LBB7_1396:
	s_and_b64 vcc, exec, s[14:15]
	s_cbranch_vccz .LBB7_1412
; %bb.1397:
	s_cmp_lt_i32 s16, 27
	s_cbranch_scc1 .LBB7_1400
; %bb.1398:
	s_cmp_gt_i32 s16, 27
	s_cbranch_scc0 .LBB7_1401
; %bb.1399:
	global_load_dword v9, v[12:13], off
	s_mov_b64 s[6:7], 0
	s_branch .LBB7_1402
.LBB7_1400:
	s_mov_b64 s[6:7], -1
                                        ; implicit-def: $vgpr9
	s_branch .LBB7_1405
.LBB7_1401:
	s_mov_b64 s[6:7], -1
                                        ; implicit-def: $vgpr9
.LBB7_1402:
	s_andn2_b64 vcc, exec, s[6:7]
	s_cbranch_vccnz .LBB7_1404
; %bb.1403:
	global_load_ushort v9, v[12:13], off
.LBB7_1404:
	s_mov_b64 s[6:7], 0
.LBB7_1405:
	s_andn2_b64 vcc, exec, s[6:7]
	s_cbranch_vccnz .LBB7_1411
; %bb.1406:
	global_load_ubyte v1, v[12:13], off
	s_movk_i32 s6, 0x7f
	s_mov_b64 s[14:15], 0
	s_waitcnt vmcnt(0)
	v_cmp_lt_i16_e32 vcc, s6, v1
	s_and_saveexec_b64 s[6:7], vcc
	s_xor_b64 s[6:7], exec, s[6:7]
	s_cbranch_execz .LBB7_1423
; %bb.1407:
	s_movk_i32 s14, 0x80
	v_cmp_ne_u16_e32 vcc, s14, v1
	s_and_b64 s[14:15], vcc, exec
	s_andn2_saveexec_b64 s[6:7], s[6:7]
	s_cbranch_execnz .LBB7_1424
.LBB7_1408:
	s_or_b64 exec, exec, s[6:7]
	v_mov_b32_e32 v9, 0
	s_and_saveexec_b64 s[6:7], s[14:15]
	s_cbranch_execz .LBB7_1410
.LBB7_1409:
	v_lshlrev_b32_e32 v3, 24, v1
	v_and_b32_e32 v1, 0xffff, v1
	v_and_b32_e32 v5, 7, v1
	v_ffbh_u32_e32 v10, v5
	v_min_u32_e32 v10, 32, v10
	v_subrev_u32_e32 v14, 28, v10
	v_bfe_u32 v9, v1, 3, 4
	v_lshlrev_b32_e32 v1, v14, v1
	v_sub_u32_e32 v10, 29, v10
	v_and_b32_e32 v1, 7, v1
	v_cmp_eq_u32_e32 vcc, 0, v9
	v_cndmask_b32_e32 v9, v9, v10, vcc
	v_cndmask_b32_e32 v1, v5, v1, vcc
	v_mov_b32_e32 v5, 0x3b800000
	v_lshlrev_b32_e32 v1, 20, v1
	v_and_b32_e32 v3, 0x80000000, v3
	v_lshl_add_u32 v5, v9, 23, v5
	v_or3_b32 v1, v3, v5, v1
	v_trunc_f32_e32 v1, v1
	s_mov_b32 s14, 0x2f800000
	v_mul_f32_e64 v3, |v1|, s14
	v_floor_f32_e32 v3, v3
	s_mov_b32 s14, 0xcf800000
	v_fma_f32 v3, v3, s14, |v1|
	v_cvt_u32_f32_e32 v3, v3
	v_ashrrev_i32_e32 v1, 31, v1
	v_xor_b32_e32 v3, v3, v1
	v_sub_u32_e32 v9, v3, v1
.LBB7_1410:
	s_or_b64 exec, exec, s[6:7]
.LBB7_1411:
	s_mov_b64 s[6:7], -1
.LBB7_1412:
	s_mov_b64 s[14:15], 0
.LBB7_1413:
	s_and_b64 vcc, exec, s[14:15]
	s_cbranch_vccz .LBB7_1444
; %bb.1414:
	s_cmp_gt_i32 s16, 22
	s_cbranch_scc0 .LBB7_1422
; %bb.1415:
	s_cmp_lt_i32 s16, 24
	s_cbranch_scc1 .LBB7_1425
; %bb.1416:
	s_cmp_gt_i32 s16, 24
	s_cbranch_scc0 .LBB7_1426
; %bb.1417:
	global_load_ubyte v1, v[12:13], off
	s_movk_i32 s2, 0x7f
	s_mov_b64 s[6:7], 0
	s_waitcnt vmcnt(0)
	v_cmp_lt_i16_e32 vcc, s2, v1
	s_and_saveexec_b64 s[2:3], vcc
	s_xor_b64 s[2:3], exec, s[2:3]
	s_cbranch_execz .LBB7_1438
; %bb.1418:
	s_movk_i32 s6, 0x80
	v_cmp_ne_u16_e32 vcc, s6, v1
	s_and_b64 s[6:7], vcc, exec
	s_andn2_saveexec_b64 s[2:3], s[2:3]
	s_cbranch_execnz .LBB7_1439
.LBB7_1419:
	s_or_b64 exec, exec, s[2:3]
	v_mov_b32_e32 v9, 0
	s_and_saveexec_b64 s[2:3], s[6:7]
	s_cbranch_execz .LBB7_1421
.LBB7_1420:
	v_lshlrev_b32_e32 v3, 24, v1
	v_and_b32_e32 v1, 0xffff, v1
	v_and_b32_e32 v5, 3, v1
	v_ffbh_u32_e32 v10, v5
	v_min_u32_e32 v10, 32, v10
	v_subrev_u32_e32 v14, 29, v10
	v_bfe_u32 v9, v1, 2, 5
	v_lshlrev_b32_e32 v1, v14, v1
	v_sub_u32_e32 v10, 30, v10
	v_and_b32_e32 v1, 3, v1
	v_cmp_eq_u32_e32 vcc, 0, v9
	v_cndmask_b32_e32 v9, v9, v10, vcc
	v_cndmask_b32_e32 v1, v5, v1, vcc
	v_mov_b32_e32 v5, 0x37800000
	v_lshlrev_b32_e32 v1, 21, v1
	v_and_b32_e32 v3, 0x80000000, v3
	v_lshl_add_u32 v5, v9, 23, v5
	v_or3_b32 v1, v3, v5, v1
	v_trunc_f32_e32 v1, v1
	s_mov_b32 s6, 0x2f800000
	v_mul_f32_e64 v3, |v1|, s6
	v_floor_f32_e32 v3, v3
	s_mov_b32 s6, 0xcf800000
	v_fma_f32 v3, v3, s6, |v1|
	v_cvt_u32_f32_e32 v3, v3
	v_ashrrev_i32_e32 v1, 31, v1
	v_xor_b32_e32 v3, v3, v1
	v_sub_u32_e32 v9, v3, v1
.LBB7_1421:
	s_or_b64 exec, exec, s[2:3]
	s_mov_b64 s[2:3], 0
	s_branch .LBB7_1427
.LBB7_1422:
	s_mov_b64 s[2:3], -1
                                        ; implicit-def: $vgpr9
	s_branch .LBB7_1433
.LBB7_1423:
	s_andn2_saveexec_b64 s[6:7], s[6:7]
	s_cbranch_execz .LBB7_1408
.LBB7_1424:
	v_cmp_ne_u16_e32 vcc, 0, v1
	s_andn2_b64 s[14:15], s[14:15], exec
	s_and_b64 s[18:19], vcc, exec
	s_or_b64 s[14:15], s[14:15], s[18:19]
	s_or_b64 exec, exec, s[6:7]
	v_mov_b32_e32 v9, 0
	s_and_saveexec_b64 s[6:7], s[14:15]
	s_cbranch_execnz .LBB7_1409
	s_branch .LBB7_1410
.LBB7_1425:
	s_mov_b64 s[2:3], -1
                                        ; implicit-def: $vgpr9
	s_branch .LBB7_1430
.LBB7_1426:
	s_mov_b64 s[2:3], -1
                                        ; implicit-def: $vgpr9
.LBB7_1427:
	s_and_b64 vcc, exec, s[2:3]
	s_cbranch_vccz .LBB7_1429
; %bb.1428:
	global_load_ubyte v1, v[12:13], off
	s_mov_b32 s2, 0x7f800000
	s_brev_b32 s3, 1
	s_mov_b32 s6, 0x2f800000
	s_waitcnt vmcnt(0)
	v_lshlrev_b32_e32 v1, 24, v1
	v_and_b32_e32 v3, 0x7f000000, v1
	v_ffbh_u32_e32 v5, v3
	v_min_u32_e32 v5, 32, v5
	v_sub_u32_e64 v5, v5, 4 clamp
	v_lshlrev_b32_e32 v10, v5, v3
	v_lshlrev_b32_e32 v5, 23, v5
	v_lshrrev_b32_e32 v10, 4, v10
	v_add_u32_e32 v9, 0x1000000, v3
	v_sub_u32_e32 v5, v10, v5
	v_ashrrev_i32_e32 v9, 8, v9
	v_add_u32_e32 v5, 0x3c000000, v5
	v_and_or_b32 v5, v9, s2, v5
	v_cmp_ne_u32_e32 vcc, 0, v3
	v_cndmask_b32_e32 v3, 0, v5, vcc
	v_and_or_b32 v1, v1, s3, v3
	v_trunc_f32_e32 v1, v1
	v_mul_f32_e64 v3, |v1|, s6
	v_floor_f32_e32 v3, v3
	s_mov_b32 s2, 0xcf800000
	v_fma_f32 v3, v3, s2, |v1|
	v_cvt_u32_f32_e32 v3, v3
	v_ashrrev_i32_e32 v1, 31, v1
	v_xor_b32_e32 v3, v3, v1
	v_sub_u32_e32 v9, v3, v1
.LBB7_1429:
	s_mov_b64 s[2:3], 0
.LBB7_1430:
	s_andn2_b64 vcc, exec, s[2:3]
	s_cbranch_vccnz .LBB7_1432
; %bb.1431:
	global_load_ubyte v1, v[12:13], off
	s_movk_i32 s2, 0x7f00
	s_brev_b32 s3, 16
	s_brev_b32 s6, 1
	s_mov_b32 s7, 0x2f800000
	s_waitcnt vmcnt(0)
	v_lshlrev_b16_e32 v3, 8, v1
	v_lshlrev_b32_e32 v1, 25, v1
	v_lshrrev_b32_e32 v5, 4, v1
	v_and_or_b32 v9, v3, s2, 0.5
	v_or_b32_e32 v5, 0x70000000, v5
	v_add_f32_e32 v9, -0.5, v9
	v_mul_f32_e32 v5, 0x7800000, v5
	v_cmp_gt_u32_e32 vcc, s3, v1
	v_bfe_i32 v3, v3, 0, 16
	v_cndmask_b32_e32 v1, v5, v9, vcc
	v_and_or_b32 v1, v3, s6, v1
	v_trunc_f32_e32 v1, v1
	v_mul_f32_e64 v3, |v1|, s7
	v_floor_f32_e32 v3, v3
	s_mov_b32 s2, 0xcf800000
	v_fma_f32 v3, v3, s2, |v1|
	v_cvt_u32_f32_e32 v3, v3
	v_ashrrev_i32_e32 v1, 31, v1
	v_xor_b32_e32 v3, v3, v1
	v_sub_u32_e32 v9, v3, v1
.LBB7_1432:
	s_mov_b64 s[2:3], 0
	s_mov_b64 s[6:7], -1
.LBB7_1433:
	s_andn2_b64 vcc, exec, s[2:3]
	s_mov_b64 s[2:3], 0
	s_cbranch_vccnz .LBB7_1444
; %bb.1434:
	s_cmp_gt_i32 s16, 14
	s_cbranch_scc0 .LBB7_1437
; %bb.1435:
	s_cmp_eq_u32 s16, 15
	s_cbranch_scc0 .LBB7_1440
; %bb.1436:
	global_load_ushort v1, v[12:13], off
	s_mov_b32 s0, 0x2f800000
	s_mov_b32 s1, 0xcf800000
	s_mov_b64 s[6:7], -1
	s_waitcnt vmcnt(0)
	v_lshlrev_b32_e32 v1, 16, v1
	v_trunc_f32_e32 v1, v1
	v_mul_f32_e64 v3, |v1|, s0
	v_floor_f32_e32 v3, v3
	v_fma_f32 v3, v3, s1, |v1|
	v_cvt_u32_f32_e32 v3, v3
	v_ashrrev_i32_e32 v1, 31, v1
	s_mov_b64 s[0:1], 0
	v_xor_b32_e32 v3, v3, v1
	v_sub_u32_e32 v9, v3, v1
	s_branch .LBB7_1441
.LBB7_1437:
	s_mov_b64 s[14:15], -1
                                        ; implicit-def: $vgpr9
	s_branch .LBB7_1442
.LBB7_1438:
	s_andn2_saveexec_b64 s[2:3], s[2:3]
	s_cbranch_execz .LBB7_1419
.LBB7_1439:
	v_cmp_ne_u16_e32 vcc, 0, v1
	s_andn2_b64 s[6:7], s[6:7], exec
	s_and_b64 s[14:15], vcc, exec
	s_or_b64 s[6:7], s[6:7], s[14:15]
	s_or_b64 exec, exec, s[2:3]
	v_mov_b32_e32 v9, 0
	s_and_saveexec_b64 s[2:3], s[6:7]
	s_cbranch_execnz .LBB7_1420
	s_branch .LBB7_1421
.LBB7_1440:
	s_mov_b64 s[0:1], -1
                                        ; implicit-def: $vgpr9
.LBB7_1441:
	s_mov_b64 s[14:15], 0
.LBB7_1442:
	s_and_b64 vcc, exec, s[14:15]
	s_cbranch_vccz .LBB7_1444
; %bb.1443:
	s_cmp_lg_u32 s16, 11
	s_mov_b64 s[2:3], -1
	s_cselect_b64 s[0:1], -1, 0
.LBB7_1444:
	s_and_b64 vcc, exec, s[0:1]
	s_cbranch_vccnz .LBB7_1507
; %bb.1445:
	s_andn2_b64 vcc, exec, s[2:3]
	s_cbranch_vccnz .LBB7_1447
.LBB7_1446:
	global_load_ubyte v1, v[12:13], off
	s_mov_b64 s[6:7], -1
	s_waitcnt vmcnt(0)
	v_cmp_ne_u16_e32 vcc, 0, v1
	v_cndmask_b32_e64 v9, 0, 1, vcc
.LBB7_1447:
	s_branch .LBB7_1379
.LBB7_1448:
	s_cmp_lt_i32 s16, 5
	s_cbranch_scc1 .LBB7_1453
; %bb.1449:
	s_cmp_lt_i32 s16, 8
	s_cbranch_scc1 .LBB7_1454
; %bb.1450:
	;; [unrolled: 3-line block ×3, first 2 shown]
	s_cmp_gt_i32 s16, 9
	s_cbranch_scc0 .LBB7_1456
; %bb.1452:
	global_load_dwordx2 v[9:10], v[12:13], off
	s_movk_i32 s0, 0xffe0
	s_waitcnt vmcnt(0)
	v_trunc_f64_e32 v[9:10], v[9:10]
	v_ldexp_f64 v[14:15], v[9:10], s0
	s_mov_b32 s0, 0
	s_mov_b32 s1, 0xc1f00000
	v_floor_f64_e32 v[14:15], v[14:15]
	v_fma_f64 v[9:10], v[14:15], s[0:1], v[9:10]
	s_mov_b64 s[0:1], 0
	v_cvt_u32_f64_e32 v9, v[9:10]
	s_branch .LBB7_1457
.LBB7_1453:
	s_mov_b64 s[0:1], -1
                                        ; implicit-def: $vgpr9
	s_branch .LBB7_1475
.LBB7_1454:
	s_mov_b64 s[0:1], -1
                                        ; implicit-def: $vgpr9
	s_branch .LBB7_1463
.LBB7_1455:
	s_mov_b64 s[0:1], -1
                                        ; implicit-def: $vgpr9
	s_branch .LBB7_1460
.LBB7_1456:
	s_mov_b64 s[0:1], -1
                                        ; implicit-def: $vgpr9
.LBB7_1457:
	s_andn2_b64 vcc, exec, s[0:1]
	s_cbranch_vccnz .LBB7_1459
; %bb.1458:
	global_load_dword v1, v[12:13], off
	s_mov_b32 s0, 0x2f800000
	s_waitcnt vmcnt(0)
	v_trunc_f32_e32 v1, v1
	v_mul_f32_e64 v3, |v1|, s0
	v_floor_f32_e32 v3, v3
	s_mov_b32 s0, 0xcf800000
	v_fma_f32 v3, v3, s0, |v1|
	v_cvt_u32_f32_e32 v3, v3
	v_ashrrev_i32_e32 v1, 31, v1
	v_xor_b32_e32 v3, v3, v1
	v_sub_u32_e32 v9, v3, v1
.LBB7_1459:
	s_mov_b64 s[0:1], 0
.LBB7_1460:
	s_andn2_b64 vcc, exec, s[0:1]
	s_cbranch_vccnz .LBB7_1462
; %bb.1461:
	global_load_dword v1, v[12:13], off
	s_waitcnt vmcnt(0)
	v_cvt_f32_f16_e32 v1, v1
	v_cvt_i32_f32_e32 v9, v1
.LBB7_1462:
	s_mov_b64 s[0:1], 0
.LBB7_1463:
	s_andn2_b64 vcc, exec, s[0:1]
	s_cbranch_vccnz .LBB7_1474
; %bb.1464:
	s_cmp_lt_i32 s16, 6
	s_cbranch_scc1 .LBB7_1467
; %bb.1465:
	s_cmp_gt_i32 s16, 6
	s_cbranch_scc0 .LBB7_1468
; %bb.1466:
	global_load_dwordx2 v[9:10], v[12:13], off
	s_movk_i32 s0, 0xffe0
	s_waitcnt vmcnt(0)
	v_trunc_f64_e32 v[9:10], v[9:10]
	v_ldexp_f64 v[14:15], v[9:10], s0
	s_mov_b32 s0, 0
	s_mov_b32 s1, 0xc1f00000
	v_floor_f64_e32 v[14:15], v[14:15]
	v_fma_f64 v[9:10], v[14:15], s[0:1], v[9:10]
	s_mov_b64 s[0:1], 0
	v_cvt_u32_f64_e32 v9, v[9:10]
	s_branch .LBB7_1469
.LBB7_1467:
	s_mov_b64 s[0:1], -1
                                        ; implicit-def: $vgpr9
	s_branch .LBB7_1472
.LBB7_1468:
	s_mov_b64 s[0:1], -1
                                        ; implicit-def: $vgpr9
.LBB7_1469:
	s_andn2_b64 vcc, exec, s[0:1]
	s_cbranch_vccnz .LBB7_1471
; %bb.1470:
	global_load_dword v1, v[12:13], off
	s_mov_b32 s0, 0x2f800000
	s_waitcnt vmcnt(0)
	v_trunc_f32_e32 v1, v1
	v_mul_f32_e64 v3, |v1|, s0
	v_floor_f32_e32 v3, v3
	s_mov_b32 s0, 0xcf800000
	v_fma_f32 v3, v3, s0, |v1|
	v_cvt_u32_f32_e32 v3, v3
	v_ashrrev_i32_e32 v1, 31, v1
	v_xor_b32_e32 v3, v3, v1
	v_sub_u32_e32 v9, v3, v1
.LBB7_1471:
	s_mov_b64 s[0:1], 0
.LBB7_1472:
	s_andn2_b64 vcc, exec, s[0:1]
	s_cbranch_vccnz .LBB7_1474
; %bb.1473:
	global_load_ushort v1, v[12:13], off
	s_waitcnt vmcnt(0)
	v_cvt_f32_f16_e32 v1, v1
	v_cvt_i32_f32_e32 v9, v1
.LBB7_1474:
	s_mov_b64 s[0:1], 0
.LBB7_1475:
	s_andn2_b64 vcc, exec, s[0:1]
	s_cbranch_vccnz .LBB7_1495
; %bb.1476:
	s_cmp_lt_i32 s16, 2
	s_cbranch_scc1 .LBB7_1480
; %bb.1477:
	s_cmp_lt_i32 s16, 3
	s_cbranch_scc1 .LBB7_1481
; %bb.1478:
	s_cmp_gt_i32 s16, 3
	s_cbranch_scc0 .LBB7_1482
; %bb.1479:
	global_load_dwordx2 v[9:10], v[12:13], off
	s_mov_b64 s[0:1], 0
	s_branch .LBB7_1483
.LBB7_1480:
	s_mov_b64 s[0:1], -1
                                        ; implicit-def: $vgpr9
	s_branch .LBB7_1489
.LBB7_1481:
	s_mov_b64 s[0:1], -1
                                        ; implicit-def: $vgpr9
	s_branch .LBB7_1486
.LBB7_1482:
	s_mov_b64 s[0:1], -1
                                        ; implicit-def: $vgpr9
.LBB7_1483:
	s_andn2_b64 vcc, exec, s[0:1]
	s_cbranch_vccnz .LBB7_1485
; %bb.1484:
	global_load_dword v9, v[12:13], off
.LBB7_1485:
	s_mov_b64 s[0:1], 0
.LBB7_1486:
	s_andn2_b64 vcc, exec, s[0:1]
	s_cbranch_vccnz .LBB7_1488
; %bb.1487:
	global_load_ushort v9, v[12:13], off
.LBB7_1488:
	s_mov_b64 s[0:1], 0
.LBB7_1489:
	s_andn2_b64 vcc, exec, s[0:1]
	s_cbranch_vccnz .LBB7_1495
; %bb.1490:
	s_cmp_gt_i32 s16, 0
	s_cbranch_scc0 .LBB7_1492
; %bb.1491:
	global_load_ubyte v9, v[12:13], off
	s_mov_b64 s[0:1], 0
	s_branch .LBB7_1493
.LBB7_1492:
	s_mov_b64 s[0:1], -1
                                        ; implicit-def: $vgpr9
.LBB7_1493:
	s_andn2_b64 vcc, exec, s[0:1]
	s_cbranch_vccnz .LBB7_1495
; %bb.1494:
	global_load_ubyte v9, v[12:13], off
.LBB7_1495:
.LBB7_1496:
	v_mov_b32_e32 v1, s11
	v_add_co_u32_e32 v12, vcc, s10, v11
	s_cmp_lt_i32 s16, 11
	v_addc_co_u32_e32 v13, vcc, 0, v1, vcc
	s_cbranch_scc1 .LBB7_1503
; %bb.1497:
	s_cmp_gt_i32 s16, 25
	s_mov_b64 s[2:3], 0
	s_cbranch_scc0 .LBB7_1504
; %bb.1498:
	s_cmp_gt_i32 s16, 28
	s_cbranch_scc0 .LBB7_1505
; %bb.1499:
	s_cmp_gt_i32 s16, 43
	;; [unrolled: 3-line block ×3, first 2 shown]
	s_cbranch_scc0 .LBB7_1508
; %bb.1501:
	s_cmp_eq_u32 s16, 46
	s_mov_b64 s[10:11], 0
	s_cbranch_scc0 .LBB7_1509
; %bb.1502:
	global_load_dword v1, v[12:13], off
	s_mov_b32 s0, 0x2f800000
	s_mov_b32 s1, 0xcf800000
	s_mov_b64 s[6:7], -1
	s_waitcnt vmcnt(0)
	v_lshlrev_b32_e32 v1, 16, v1
	v_trunc_f32_e32 v1, v1
	v_mul_f32_e64 v3, |v1|, s0
	v_floor_f32_e32 v3, v3
	v_fma_f32 v3, v3, s1, |v1|
	v_cvt_u32_f32_e32 v3, v3
	v_ashrrev_i32_e32 v1, 31, v1
	s_mov_b64 s[0:1], 0
	v_xor_b32_e32 v3, v3, v1
	v_sub_u32_e32 v10, v3, v1
	s_branch .LBB7_1510
.LBB7_1503:
	s_mov_b64 s[0:1], -1
	s_mov_b64 s[6:7], 0
                                        ; implicit-def: $vgpr10
	s_branch .LBB7_1572
.LBB7_1504:
	s_mov_b64 s[10:11], -1
	s_mov_b64 s[6:7], 0
	s_mov_b64 s[0:1], 0
                                        ; implicit-def: $vgpr10
	s_branch .LBB7_1537
.LBB7_1505:
	s_mov_b64 s[10:11], -1
	s_mov_b64 s[6:7], 0
	s_mov_b64 s[0:1], 0
                                        ; implicit-def: $vgpr10
	s_branch .LBB7_1520
.LBB7_1506:
	s_mov_b64 s[10:11], -1
	s_mov_b64 s[6:7], 0
	s_mov_b64 s[0:1], 0
                                        ; implicit-def: $vgpr10
	s_branch .LBB7_1515
.LBB7_1507:
	s_trap 2
	s_or_b64 s[12:13], s[12:13], exec
	s_cbranch_execz .LBB7_1446
	s_branch .LBB7_1447
.LBB7_1508:
	s_mov_b64 s[10:11], -1
	s_mov_b64 s[6:7], 0
	s_mov_b64 s[0:1], 0
                                        ; implicit-def: $vgpr10
	s_branch .LBB7_1510
.LBB7_1509:
	s_mov_b64 s[0:1], -1
                                        ; implicit-def: $vgpr10
	s_mov_b64 s[6:7], 0
.LBB7_1510:
	s_and_b64 vcc, exec, s[10:11]
	s_cbranch_vccz .LBB7_1514
; %bb.1511:
	s_cmp_eq_u32 s16, 44
	s_cbranch_scc0 .LBB7_1513
; %bb.1512:
	global_load_ubyte v1, v[12:13], off
	s_mov_b32 s0, 0x2f800000
	s_mov_b32 s1, 0xcf800000
	s_mov_b64 s[6:7], -1
	s_waitcnt vmcnt(0)
	v_lshlrev_b32_e32 v3, 23, v1
	v_trunc_f32_e32 v3, v3
	v_mul_f32_e64 v5, |v3|, s0
	v_floor_f32_e32 v5, v5
	v_fma_f32 v5, v5, s1, |v3|
	v_cvt_u32_f32_e32 v5, v5
	v_ashrrev_i32_e32 v3, 31, v3
	v_cmp_ne_u32_e32 vcc, 0, v1
	s_mov_b64 s[0:1], 0
	v_xor_b32_e32 v5, v5, v3
	v_sub_u32_e32 v3, v5, v3
	v_cndmask_b32_e32 v10, 0, v3, vcc
	s_branch .LBB7_1514
.LBB7_1513:
	s_mov_b64 s[0:1], -1
                                        ; implicit-def: $vgpr10
.LBB7_1514:
	s_mov_b64 s[10:11], 0
.LBB7_1515:
	s_and_b64 vcc, exec, s[10:11]
	s_cbranch_vccz .LBB7_1519
; %bb.1516:
	s_cmp_eq_u32 s16, 29
	s_cbranch_scc0 .LBB7_1518
; %bb.1517:
	global_load_dwordx2 v[10:11], v[12:13], off
	s_mov_b64 s[0:1], 0
	s_mov_b64 s[6:7], -1
	s_branch .LBB7_1519
.LBB7_1518:
	s_mov_b64 s[0:1], -1
                                        ; implicit-def: $vgpr10
.LBB7_1519:
	s_mov_b64 s[10:11], 0
.LBB7_1520:
	s_and_b64 vcc, exec, s[10:11]
	s_cbranch_vccz .LBB7_1536
; %bb.1521:
	s_cmp_lt_i32 s16, 27
	s_cbranch_scc1 .LBB7_1524
; %bb.1522:
	s_cmp_gt_i32 s16, 27
	s_cbranch_scc0 .LBB7_1525
; %bb.1523:
	global_load_dword v10, v[12:13], off
	s_mov_b64 s[6:7], 0
	s_branch .LBB7_1526
.LBB7_1524:
	s_mov_b64 s[6:7], -1
                                        ; implicit-def: $vgpr10
	s_branch .LBB7_1529
.LBB7_1525:
	s_mov_b64 s[6:7], -1
                                        ; implicit-def: $vgpr10
.LBB7_1526:
	s_andn2_b64 vcc, exec, s[6:7]
	s_cbranch_vccnz .LBB7_1528
; %bb.1527:
	global_load_ushort v10, v[12:13], off
.LBB7_1528:
	s_mov_b64 s[6:7], 0
.LBB7_1529:
	s_andn2_b64 vcc, exec, s[6:7]
	s_cbranch_vccnz .LBB7_1535
; %bb.1530:
	global_load_ubyte v1, v[12:13], off
	s_movk_i32 s6, 0x7f
	s_mov_b64 s[10:11], 0
	s_waitcnt vmcnt(0)
	v_cmp_lt_i16_e32 vcc, s6, v1
	s_and_saveexec_b64 s[6:7], vcc
	s_xor_b64 s[6:7], exec, s[6:7]
	s_cbranch_execz .LBB7_1547
; %bb.1531:
	s_movk_i32 s10, 0x80
	v_cmp_ne_u16_e32 vcc, s10, v1
	s_and_b64 s[10:11], vcc, exec
	s_andn2_saveexec_b64 s[6:7], s[6:7]
	s_cbranch_execnz .LBB7_1548
.LBB7_1532:
	s_or_b64 exec, exec, s[6:7]
	v_mov_b32_e32 v10, 0
	s_and_saveexec_b64 s[6:7], s[10:11]
	s_cbranch_execz .LBB7_1534
.LBB7_1533:
	v_lshlrev_b32_e32 v3, 24, v1
	v_and_b32_e32 v1, 0xffff, v1
	v_and_b32_e32 v5, 7, v1
	v_ffbh_u32_e32 v11, v5
	v_min_u32_e32 v11, 32, v11
	v_subrev_u32_e32 v14, 28, v11
	v_bfe_u32 v10, v1, 3, 4
	v_lshlrev_b32_e32 v1, v14, v1
	v_sub_u32_e32 v11, 29, v11
	v_and_b32_e32 v1, 7, v1
	v_cmp_eq_u32_e32 vcc, 0, v10
	v_cndmask_b32_e32 v10, v10, v11, vcc
	v_cndmask_b32_e32 v1, v5, v1, vcc
	v_mov_b32_e32 v5, 0x3b800000
	v_lshlrev_b32_e32 v1, 20, v1
	v_and_b32_e32 v3, 0x80000000, v3
	v_lshl_add_u32 v5, v10, 23, v5
	v_or3_b32 v1, v3, v5, v1
	v_trunc_f32_e32 v1, v1
	s_mov_b32 s10, 0x2f800000
	v_mul_f32_e64 v3, |v1|, s10
	v_floor_f32_e32 v3, v3
	s_mov_b32 s10, 0xcf800000
	v_fma_f32 v3, v3, s10, |v1|
	v_cvt_u32_f32_e32 v3, v3
	v_ashrrev_i32_e32 v1, 31, v1
	v_xor_b32_e32 v3, v3, v1
	v_sub_u32_e32 v10, v3, v1
.LBB7_1534:
	s_or_b64 exec, exec, s[6:7]
.LBB7_1535:
	s_mov_b64 s[6:7], -1
.LBB7_1536:
	s_mov_b64 s[10:11], 0
.LBB7_1537:
	s_and_b64 vcc, exec, s[10:11]
	s_cbranch_vccz .LBB7_1568
; %bb.1538:
	s_cmp_gt_i32 s16, 22
	s_cbranch_scc0 .LBB7_1546
; %bb.1539:
	s_cmp_lt_i32 s16, 24
	s_cbranch_scc1 .LBB7_1549
; %bb.1540:
	s_cmp_gt_i32 s16, 24
	s_cbranch_scc0 .LBB7_1550
; %bb.1541:
	global_load_ubyte v1, v[12:13], off
	s_movk_i32 s2, 0x7f
	s_mov_b64 s[6:7], 0
	s_waitcnt vmcnt(0)
	v_cmp_lt_i16_e32 vcc, s2, v1
	s_and_saveexec_b64 s[2:3], vcc
	s_xor_b64 s[2:3], exec, s[2:3]
	s_cbranch_execz .LBB7_1562
; %bb.1542:
	s_movk_i32 s6, 0x80
	v_cmp_ne_u16_e32 vcc, s6, v1
	s_and_b64 s[6:7], vcc, exec
	s_andn2_saveexec_b64 s[2:3], s[2:3]
	s_cbranch_execnz .LBB7_1563
.LBB7_1543:
	s_or_b64 exec, exec, s[2:3]
	v_mov_b32_e32 v10, 0
	s_and_saveexec_b64 s[2:3], s[6:7]
	s_cbranch_execz .LBB7_1545
.LBB7_1544:
	v_lshlrev_b32_e32 v3, 24, v1
	v_and_b32_e32 v1, 0xffff, v1
	v_and_b32_e32 v5, 3, v1
	v_ffbh_u32_e32 v11, v5
	v_min_u32_e32 v11, 32, v11
	v_subrev_u32_e32 v14, 29, v11
	v_bfe_u32 v10, v1, 2, 5
	v_lshlrev_b32_e32 v1, v14, v1
	v_sub_u32_e32 v11, 30, v11
	v_and_b32_e32 v1, 3, v1
	v_cmp_eq_u32_e32 vcc, 0, v10
	v_cndmask_b32_e32 v10, v10, v11, vcc
	v_cndmask_b32_e32 v1, v5, v1, vcc
	v_mov_b32_e32 v5, 0x37800000
	v_lshlrev_b32_e32 v1, 21, v1
	v_and_b32_e32 v3, 0x80000000, v3
	v_lshl_add_u32 v5, v10, 23, v5
	v_or3_b32 v1, v3, v5, v1
	v_trunc_f32_e32 v1, v1
	s_mov_b32 s6, 0x2f800000
	v_mul_f32_e64 v3, |v1|, s6
	v_floor_f32_e32 v3, v3
	s_mov_b32 s6, 0xcf800000
	v_fma_f32 v3, v3, s6, |v1|
	v_cvt_u32_f32_e32 v3, v3
	v_ashrrev_i32_e32 v1, 31, v1
	v_xor_b32_e32 v3, v3, v1
	v_sub_u32_e32 v10, v3, v1
.LBB7_1545:
	s_or_b64 exec, exec, s[2:3]
	s_mov_b64 s[2:3], 0
	s_branch .LBB7_1551
.LBB7_1546:
	s_mov_b64 s[2:3], -1
                                        ; implicit-def: $vgpr10
	s_branch .LBB7_1557
.LBB7_1547:
	s_andn2_saveexec_b64 s[6:7], s[6:7]
	s_cbranch_execz .LBB7_1532
.LBB7_1548:
	v_cmp_ne_u16_e32 vcc, 0, v1
	s_andn2_b64 s[10:11], s[10:11], exec
	s_and_b64 s[14:15], vcc, exec
	s_or_b64 s[10:11], s[10:11], s[14:15]
	s_or_b64 exec, exec, s[6:7]
	v_mov_b32_e32 v10, 0
	s_and_saveexec_b64 s[6:7], s[10:11]
	s_cbranch_execnz .LBB7_1533
	s_branch .LBB7_1534
.LBB7_1549:
	s_mov_b64 s[2:3], -1
                                        ; implicit-def: $vgpr10
	s_branch .LBB7_1554
.LBB7_1550:
	s_mov_b64 s[2:3], -1
                                        ; implicit-def: $vgpr10
.LBB7_1551:
	s_and_b64 vcc, exec, s[2:3]
	s_cbranch_vccz .LBB7_1553
; %bb.1552:
	global_load_ubyte v1, v[12:13], off
	s_mov_b32 s2, 0x7f800000
	s_brev_b32 s3, 1
	s_mov_b32 s6, 0x2f800000
	s_waitcnt vmcnt(0)
	v_lshlrev_b32_e32 v1, 24, v1
	v_and_b32_e32 v3, 0x7f000000, v1
	v_ffbh_u32_e32 v5, v3
	v_min_u32_e32 v5, 32, v5
	v_sub_u32_e64 v5, v5, 4 clamp
	v_lshlrev_b32_e32 v11, v5, v3
	v_lshlrev_b32_e32 v5, 23, v5
	v_lshrrev_b32_e32 v11, 4, v11
	v_add_u32_e32 v10, 0x1000000, v3
	v_sub_u32_e32 v5, v11, v5
	v_ashrrev_i32_e32 v10, 8, v10
	v_add_u32_e32 v5, 0x3c000000, v5
	v_and_or_b32 v5, v10, s2, v5
	v_cmp_ne_u32_e32 vcc, 0, v3
	v_cndmask_b32_e32 v3, 0, v5, vcc
	v_and_or_b32 v1, v1, s3, v3
	v_trunc_f32_e32 v1, v1
	v_mul_f32_e64 v3, |v1|, s6
	v_floor_f32_e32 v3, v3
	s_mov_b32 s2, 0xcf800000
	v_fma_f32 v3, v3, s2, |v1|
	v_cvt_u32_f32_e32 v3, v3
	v_ashrrev_i32_e32 v1, 31, v1
	v_xor_b32_e32 v3, v3, v1
	v_sub_u32_e32 v10, v3, v1
.LBB7_1553:
	s_mov_b64 s[2:3], 0
.LBB7_1554:
	s_andn2_b64 vcc, exec, s[2:3]
	s_cbranch_vccnz .LBB7_1556
; %bb.1555:
	global_load_ubyte v1, v[12:13], off
	s_movk_i32 s2, 0x7f00
	s_brev_b32 s3, 16
	s_brev_b32 s6, 1
	s_mov_b32 s7, 0x2f800000
	s_waitcnt vmcnt(0)
	v_lshlrev_b16_e32 v3, 8, v1
	v_lshlrev_b32_e32 v1, 25, v1
	v_lshrrev_b32_e32 v5, 4, v1
	v_and_or_b32 v10, v3, s2, 0.5
	v_or_b32_e32 v5, 0x70000000, v5
	v_add_f32_e32 v10, -0.5, v10
	v_mul_f32_e32 v5, 0x7800000, v5
	v_cmp_gt_u32_e32 vcc, s3, v1
	v_bfe_i32 v3, v3, 0, 16
	v_cndmask_b32_e32 v1, v5, v10, vcc
	v_and_or_b32 v1, v3, s6, v1
	v_trunc_f32_e32 v1, v1
	v_mul_f32_e64 v3, |v1|, s7
	v_floor_f32_e32 v3, v3
	s_mov_b32 s2, 0xcf800000
	v_fma_f32 v3, v3, s2, |v1|
	v_cvt_u32_f32_e32 v3, v3
	v_ashrrev_i32_e32 v1, 31, v1
	v_xor_b32_e32 v3, v3, v1
	v_sub_u32_e32 v10, v3, v1
.LBB7_1556:
	s_mov_b64 s[2:3], 0
	s_mov_b64 s[6:7], -1
.LBB7_1557:
	s_andn2_b64 vcc, exec, s[2:3]
	s_mov_b64 s[2:3], 0
	s_cbranch_vccnz .LBB7_1568
; %bb.1558:
	s_cmp_gt_i32 s16, 14
	s_cbranch_scc0 .LBB7_1561
; %bb.1559:
	s_cmp_eq_u32 s16, 15
	s_cbranch_scc0 .LBB7_1564
; %bb.1560:
	global_load_ushort v1, v[12:13], off
	s_mov_b32 s0, 0x2f800000
	s_mov_b32 s1, 0xcf800000
	s_mov_b64 s[6:7], -1
	s_waitcnt vmcnt(0)
	v_lshlrev_b32_e32 v1, 16, v1
	v_trunc_f32_e32 v1, v1
	v_mul_f32_e64 v3, |v1|, s0
	v_floor_f32_e32 v3, v3
	v_fma_f32 v3, v3, s1, |v1|
	v_cvt_u32_f32_e32 v3, v3
	v_ashrrev_i32_e32 v1, 31, v1
	s_mov_b64 s[0:1], 0
	v_xor_b32_e32 v3, v3, v1
	v_sub_u32_e32 v10, v3, v1
	s_branch .LBB7_1565
.LBB7_1561:
	s_mov_b64 s[10:11], -1
                                        ; implicit-def: $vgpr10
	s_branch .LBB7_1566
.LBB7_1562:
	s_andn2_saveexec_b64 s[2:3], s[2:3]
	s_cbranch_execz .LBB7_1543
.LBB7_1563:
	v_cmp_ne_u16_e32 vcc, 0, v1
	s_andn2_b64 s[6:7], s[6:7], exec
	s_and_b64 s[10:11], vcc, exec
	s_or_b64 s[6:7], s[6:7], s[10:11]
	s_or_b64 exec, exec, s[2:3]
	v_mov_b32_e32 v10, 0
	s_and_saveexec_b64 s[2:3], s[6:7]
	s_cbranch_execnz .LBB7_1544
	s_branch .LBB7_1545
.LBB7_1564:
	s_mov_b64 s[0:1], -1
                                        ; implicit-def: $vgpr10
.LBB7_1565:
	s_mov_b64 s[10:11], 0
.LBB7_1566:
	s_and_b64 vcc, exec, s[10:11]
	s_cbranch_vccz .LBB7_1568
; %bb.1567:
	s_cmp_lg_u32 s16, 11
	s_mov_b64 s[2:3], -1
	s_cselect_b64 s[0:1], -1, 0
.LBB7_1568:
	s_and_b64 vcc, exec, s[0:1]
	s_cbranch_vccnz .LBB7_2101
; %bb.1569:
	s_andn2_b64 vcc, exec, s[2:3]
	s_cbranch_vccnz .LBB7_1571
.LBB7_1570:
	global_load_ubyte v1, v[12:13], off
	s_mov_b64 s[6:7], -1
	s_waitcnt vmcnt(0)
	v_cmp_ne_u16_e32 vcc, 0, v1
	v_cndmask_b32_e64 v10, 0, 1, vcc
.LBB7_1571:
	s_mov_b64 s[0:1], 0
.LBB7_1572:
	s_and_b64 vcc, exec, s[0:1]
	s_cbranch_vccz .LBB7_1621
; %bb.1573:
	s_cmp_lt_i32 s16, 5
	s_cbranch_scc1 .LBB7_1578
; %bb.1574:
	s_cmp_lt_i32 s16, 8
	s_cbranch_scc1 .LBB7_1579
	;; [unrolled: 3-line block ×3, first 2 shown]
; %bb.1576:
	s_cmp_gt_i32 s16, 9
	s_cbranch_scc0 .LBB7_1581
; %bb.1577:
	global_load_dwordx2 v[10:11], v[12:13], off
	s_movk_i32 s0, 0xffe0
	s_waitcnt vmcnt(0)
	v_trunc_f64_e32 v[10:11], v[10:11]
	v_ldexp_f64 v[14:15], v[10:11], s0
	s_mov_b32 s0, 0
	s_mov_b32 s1, 0xc1f00000
	v_floor_f64_e32 v[14:15], v[14:15]
	v_fma_f64 v[10:11], v[14:15], s[0:1], v[10:11]
	s_mov_b64 s[0:1], 0
	v_cvt_u32_f64_e32 v10, v[10:11]
	s_branch .LBB7_1582
.LBB7_1578:
	s_mov_b64 s[0:1], -1
                                        ; implicit-def: $vgpr10
	s_branch .LBB7_1600
.LBB7_1579:
	s_mov_b64 s[0:1], -1
                                        ; implicit-def: $vgpr10
	s_branch .LBB7_1588
.LBB7_1580:
	s_mov_b64 s[0:1], -1
                                        ; implicit-def: $vgpr10
	s_branch .LBB7_1585
.LBB7_1581:
	s_mov_b64 s[0:1], -1
                                        ; implicit-def: $vgpr10
.LBB7_1582:
	s_andn2_b64 vcc, exec, s[0:1]
	s_cbranch_vccnz .LBB7_1584
; %bb.1583:
	global_load_dword v1, v[12:13], off
	s_mov_b32 s0, 0x2f800000
	s_waitcnt vmcnt(0)
	v_trunc_f32_e32 v1, v1
	v_mul_f32_e64 v3, |v1|, s0
	v_floor_f32_e32 v3, v3
	s_mov_b32 s0, 0xcf800000
	v_fma_f32 v3, v3, s0, |v1|
	v_cvt_u32_f32_e32 v3, v3
	v_ashrrev_i32_e32 v1, 31, v1
	v_xor_b32_e32 v3, v3, v1
	v_sub_u32_e32 v10, v3, v1
.LBB7_1584:
	s_mov_b64 s[0:1], 0
.LBB7_1585:
	s_andn2_b64 vcc, exec, s[0:1]
	s_cbranch_vccnz .LBB7_1587
; %bb.1586:
	global_load_dword v1, v[12:13], off
	s_waitcnt vmcnt(0)
	v_cvt_f32_f16_e32 v1, v1
	v_cvt_i32_f32_e32 v10, v1
.LBB7_1587:
	s_mov_b64 s[0:1], 0
.LBB7_1588:
	s_andn2_b64 vcc, exec, s[0:1]
	s_cbranch_vccnz .LBB7_1599
; %bb.1589:
	s_cmp_lt_i32 s16, 6
	s_cbranch_scc1 .LBB7_1592
; %bb.1590:
	s_cmp_gt_i32 s16, 6
	s_cbranch_scc0 .LBB7_1593
; %bb.1591:
	global_load_dwordx2 v[10:11], v[12:13], off
	s_movk_i32 s0, 0xffe0
	s_waitcnt vmcnt(0)
	v_trunc_f64_e32 v[10:11], v[10:11]
	v_ldexp_f64 v[14:15], v[10:11], s0
	s_mov_b32 s0, 0
	s_mov_b32 s1, 0xc1f00000
	v_floor_f64_e32 v[14:15], v[14:15]
	v_fma_f64 v[10:11], v[14:15], s[0:1], v[10:11]
	s_mov_b64 s[0:1], 0
	v_cvt_u32_f64_e32 v10, v[10:11]
	s_branch .LBB7_1594
.LBB7_1592:
	s_mov_b64 s[0:1], -1
                                        ; implicit-def: $vgpr10
	s_branch .LBB7_1597
.LBB7_1593:
	s_mov_b64 s[0:1], -1
                                        ; implicit-def: $vgpr10
.LBB7_1594:
	s_andn2_b64 vcc, exec, s[0:1]
	s_cbranch_vccnz .LBB7_1596
; %bb.1595:
	global_load_dword v1, v[12:13], off
	s_mov_b32 s0, 0x2f800000
	s_waitcnt vmcnt(0)
	v_trunc_f32_e32 v1, v1
	v_mul_f32_e64 v3, |v1|, s0
	v_floor_f32_e32 v3, v3
	s_mov_b32 s0, 0xcf800000
	v_fma_f32 v3, v3, s0, |v1|
	v_cvt_u32_f32_e32 v3, v3
	v_ashrrev_i32_e32 v1, 31, v1
	v_xor_b32_e32 v3, v3, v1
	v_sub_u32_e32 v10, v3, v1
.LBB7_1596:
	s_mov_b64 s[0:1], 0
.LBB7_1597:
	s_andn2_b64 vcc, exec, s[0:1]
	s_cbranch_vccnz .LBB7_1599
; %bb.1598:
	global_load_ushort v1, v[12:13], off
	s_waitcnt vmcnt(0)
	v_cvt_f32_f16_e32 v1, v1
	v_cvt_i32_f32_e32 v10, v1
.LBB7_1599:
	s_mov_b64 s[0:1], 0
.LBB7_1600:
	s_andn2_b64 vcc, exec, s[0:1]
	s_cbranch_vccnz .LBB7_1620
; %bb.1601:
	s_cmp_lt_i32 s16, 2
	s_cbranch_scc1 .LBB7_1605
; %bb.1602:
	s_cmp_lt_i32 s16, 3
	s_cbranch_scc1 .LBB7_1606
; %bb.1603:
	s_cmp_gt_i32 s16, 3
	s_cbranch_scc0 .LBB7_1607
; %bb.1604:
	global_load_dwordx2 v[10:11], v[12:13], off
	s_mov_b64 s[0:1], 0
	s_branch .LBB7_1608
.LBB7_1605:
	s_mov_b64 s[0:1], -1
                                        ; implicit-def: $vgpr10
	s_branch .LBB7_1614
.LBB7_1606:
	s_mov_b64 s[0:1], -1
                                        ; implicit-def: $vgpr10
	s_branch .LBB7_1611
.LBB7_1607:
	s_mov_b64 s[0:1], -1
                                        ; implicit-def: $vgpr10
.LBB7_1608:
	s_andn2_b64 vcc, exec, s[0:1]
	s_cbranch_vccnz .LBB7_1610
; %bb.1609:
	global_load_dword v10, v[12:13], off
.LBB7_1610:
	s_mov_b64 s[0:1], 0
.LBB7_1611:
	s_andn2_b64 vcc, exec, s[0:1]
	s_cbranch_vccnz .LBB7_1613
; %bb.1612:
	global_load_ushort v10, v[12:13], off
.LBB7_1613:
	s_mov_b64 s[0:1], 0
.LBB7_1614:
	s_andn2_b64 vcc, exec, s[0:1]
	s_cbranch_vccnz .LBB7_1620
; %bb.1615:
	s_cmp_gt_i32 s16, 0
	s_cbranch_scc0 .LBB7_1617
; %bb.1616:
	global_load_ubyte v10, v[12:13], off
	s_mov_b64 s[0:1], 0
	s_branch .LBB7_1618
.LBB7_1617:
	s_mov_b64 s[0:1], -1
                                        ; implicit-def: $vgpr10
.LBB7_1618:
	s_andn2_b64 vcc, exec, s[0:1]
	s_cbranch_vccnz .LBB7_1620
; %bb.1619:
	global_load_ubyte v10, v[12:13], off
.LBB7_1620:
	s_mov_b64 s[6:7], -1
.LBB7_1621:
	s_andn2_b64 vcc, exec, s[6:7]
	s_cbranch_vccnz .LBB7_2055
; %bb.1622:
	s_load_dword s0, s[34:35], 0x158
	s_load_dword s2, s[4:5], 0x160
	s_waitcnt vmcnt(0)
	v_mov_b32_e32 v3, s9
	v_add_co_u32_e32 v5, vcc, s8, v6
	s_waitcnt lgkmcnt(0)
	s_lshr_b32 s1, s0, 16
	s_lshr_b32 s17, s0, 8
	s_and_b32 s0, s0, 0xff
	s_and_b32 s1, s1, 0xff
	s_cmp_gt_u32 s1, s0
	v_mov_b32_e32 v1, s17
	s_cselect_b64 s[0:1], -1, 0
	s_lshr_b32 s16, s2, 24
	v_cndmask_b32_e64 v1, v1, v7, s[0:1]
	s_cmp_lt_i32 s16, 11
	v_addc_co_u32_e32 v6, vcc, 0, v3, vcc
	s_cbranch_scc1 .LBB7_1700
; %bb.1623:
	s_and_b32 s18, 0xffff, s16
	s_mov_b64 s[10:11], -1
	s_mov_b64 s[4:5], 0
	s_cmp_gt_i32 s18, 25
	s_mov_b64 s[6:7], 0
	s_mov_b64 s[2:3], 0
	s_cbranch_scc0 .LBB7_1656
; %bb.1624:
	s_cmp_gt_i32 s18, 28
	s_cbranch_scc0 .LBB7_1639
; %bb.1625:
	s_cmp_gt_i32 s18, 43
	;; [unrolled: 3-line block ×3, first 2 shown]
	s_cbranch_scc0 .LBB7_1629
; %bb.1627:
	s_mov_b64 s[2:3], -1
	s_mov_b64 s[10:11], 0
	s_cmp_eq_u32 s18, 46
	s_cbranch_scc0 .LBB7_1629
; %bb.1628:
	v_cvt_f32_ubyte0_e32 v3, v1
	v_bfe_u32 v7, v3, 16, 1
	s_movk_i32 s2, 0x7fff
	v_add3_u32 v3, v3, v7, s2
	v_lshrrev_b32_e32 v3, 16, v3
	global_store_dword v[5:6], v3, off
	s_mov_b64 s[2:3], 0
	s_mov_b64 s[6:7], -1
.LBB7_1629:
	s_and_b64 vcc, exec, s[10:11]
	s_cbranch_vccz .LBB7_1634
; %bb.1630:
	s_cmp_eq_u32 s18, 44
	s_mov_b64 s[2:3], -1
	s_cbranch_scc0 .LBB7_1634
; %bb.1631:
	v_cvt_f32_ubyte0_e32 v7, v1
	v_lshrrev_b32_e32 v3, 23, v7
	s_movk_i32 s2, 0xff
	v_cmp_ne_u32_e32 vcc, s2, v3
	v_mov_b32_e32 v11, 0xff
	s_and_saveexec_b64 s[6:7], vcc
; %bb.1632:
	s_mov_b32 s2, 0x3fffff
	v_and_b32_e32 v11, 0x400000, v7
	v_and_or_b32 v7, v7, s2, v3
	v_cmp_ne_u32_e32 vcc, 0, v11
	v_cmp_ne_u32_e64 s[2:3], 0, v7
	s_and_b64 s[2:3], vcc, s[2:3]
	v_cndmask_b32_e64 v7, 0, 1, s[2:3]
	v_add_u32_e32 v11, v3, v7
; %bb.1633:
	s_or_b64 exec, exec, s[6:7]
	s_mov_b64 s[2:3], 0
	s_mov_b64 s[6:7], -1
	global_store_byte v[5:6], v11, off
.LBB7_1634:
	s_mov_b64 s[10:11], 0
.LBB7_1635:
	s_and_b64 vcc, exec, s[10:11]
	s_cbranch_vccz .LBB7_1638
; %bb.1636:
	s_cmp_eq_u32 s18, 29
	s_mov_b64 s[2:3], -1
	s_cbranch_scc0 .LBB7_1638
; %bb.1637:
	v_and_b32_e32 v11, 0xff, v1
	v_mov_b32_e32 v12, 0
	global_store_dwordx2 v[5:6], v[11:12], off
	s_mov_b64 s[2:3], 0
	s_mov_b64 s[6:7], -1
.LBB7_1638:
	s_mov_b64 s[10:11], 0
.LBB7_1639:
	s_and_b64 vcc, exec, s[10:11]
	s_cbranch_vccz .LBB7_1655
; %bb.1640:
	s_cmp_lt_i32 s18, 27
	s_mov_b64 s[6:7], -1
	s_cbranch_scc1 .LBB7_1646
; %bb.1641:
	s_cmp_gt_i32 s18, 27
	s_cbranch_scc0 .LBB7_1643
; %bb.1642:
	v_and_b32_e32 v3, 0xff, v1
	s_mov_b64 s[6:7], 0
	global_store_dword v[5:6], v3, off
.LBB7_1643:
	s_andn2_b64 vcc, exec, s[6:7]
	s_cbranch_vccnz .LBB7_1645
; %bb.1644:
	v_and_b32_e32 v3, 0xff, v1
	global_store_short v[5:6], v3, off
.LBB7_1645:
	s_mov_b64 s[6:7], 0
.LBB7_1646:
	s_andn2_b64 vcc, exec, s[6:7]
	s_cbranch_vccnz .LBB7_1654
; %bb.1647:
	v_cvt_f32_ubyte0_e32 v7, v1
	s_mov_b32 s6, 0x43800000
	v_cmp_gt_u32_e32 vcc, s6, v7
	v_mov_b32_e32 v11, 0x80
	s_and_saveexec_b64 s[6:7], vcc
	s_cbranch_execz .LBB7_1653
; %bb.1648:
	s_mov_b32 s10, 0x3bffffff
	v_cmp_lt_u32_e32 vcc, s10, v7
	s_mov_b64 s[10:11], 0
                                        ; implicit-def: $vgpr3
	s_and_saveexec_b64 s[14:15], vcc
	s_xor_b64 s[14:15], exec, s[14:15]
	s_cbranch_execz .LBB7_2102
; %bb.1649:
	v_bfe_u32 v3, v7, 20, 1
	s_mov_b32 s19, 0x487ffff
	v_add3_u32 v3, v7, v3, s19
	s_mov_b64 s[10:11], exec
	v_lshrrev_b32_e32 v3, 20, v3
                                        ; implicit-def: $vgpr7
	s_andn2_saveexec_b64 s[14:15], s[14:15]
	s_cbranch_execnz .LBB7_2103
.LBB7_1650:
	s_or_b64 exec, exec, s[14:15]
	v_mov_b32_e32 v11, 0
	s_and_saveexec_b64 s[14:15], s[10:11]
.LBB7_1651:
	v_mov_b32_e32 v11, v3
.LBB7_1652:
	s_or_b64 exec, exec, s[14:15]
.LBB7_1653:
	s_or_b64 exec, exec, s[6:7]
	global_store_byte v[5:6], v11, off
.LBB7_1654:
	s_mov_b64 s[6:7], -1
.LBB7_1655:
	s_mov_b64 s[10:11], 0
.LBB7_1656:
	s_and_b64 vcc, exec, s[10:11]
	s_cbranch_vccz .LBB7_1696
; %bb.1657:
	s_cmp_gt_i32 s18, 22
	s_mov_b64 s[4:5], -1
	s_cbranch_scc0 .LBB7_1689
; %bb.1658:
	s_cmp_lt_i32 s18, 24
	s_cbranch_scc1 .LBB7_1678
; %bb.1659:
	s_cmp_gt_i32 s18, 24
	s_cbranch_scc0 .LBB7_1667
; %bb.1660:
	v_cvt_f32_ubyte0_e32 v7, v1
	s_mov_b32 s4, 0x47800000
	v_cmp_gt_u32_e32 vcc, s4, v7
	v_mov_b32_e32 v11, 0x80
	s_and_saveexec_b64 s[4:5], vcc
	s_cbranch_execz .LBB7_1666
; %bb.1661:
	s_mov_b32 s6, 0x37ffffff
	v_cmp_lt_u32_e32 vcc, s6, v7
	s_mov_b64 s[6:7], 0
                                        ; implicit-def: $vgpr3
	s_and_saveexec_b64 s[10:11], vcc
	s_xor_b64 s[10:11], exec, s[10:11]
	s_cbranch_execz .LBB7_2105
; %bb.1662:
	v_bfe_u32 v3, v7, 21, 1
	s_mov_b32 s14, 0x88fffff
	v_add3_u32 v3, v7, v3, s14
	s_mov_b64 s[6:7], exec
	v_lshrrev_b32_e32 v3, 21, v3
                                        ; implicit-def: $vgpr7
	s_andn2_saveexec_b64 s[10:11], s[10:11]
	s_cbranch_execnz .LBB7_2106
.LBB7_1663:
	s_or_b64 exec, exec, s[10:11]
	v_mov_b32_e32 v11, 0
	s_and_saveexec_b64 s[10:11], s[6:7]
.LBB7_1664:
	v_mov_b32_e32 v11, v3
.LBB7_1665:
	s_or_b64 exec, exec, s[10:11]
.LBB7_1666:
	s_or_b64 exec, exec, s[4:5]
	s_mov_b64 s[4:5], 0
	global_store_byte v[5:6], v11, off
.LBB7_1667:
	s_and_b64 vcc, exec, s[4:5]
	s_cbranch_vccz .LBB7_1677
; %bb.1668:
	v_cvt_f32_ubyte0_e32 v3, v1
	s_mov_b32 s4, 0x43f00000
	v_cmp_gt_u32_e32 vcc, s4, v3
                                        ; implicit-def: $vgpr7
	s_and_saveexec_b64 s[4:5], vcc
	s_xor_b64 s[4:5], exec, s[4:5]
	s_cbranch_execz .LBB7_1674
; %bb.1669:
	s_mov_b32 s6, 0x3c7fffff
	v_cmp_lt_u32_e32 vcc, s6, v3
                                        ; implicit-def: $vgpr7
	s_and_saveexec_b64 s[6:7], vcc
	s_xor_b64 s[6:7], exec, s[6:7]
; %bb.1670:
	v_bfe_u32 v7, v3, 20, 1
	s_mov_b32 s10, 0x407ffff
	v_add3_u32 v3, v3, v7, s10
	v_lshrrev_b32_e32 v7, 20, v3
	v_and_b32_e32 v3, 0xff00000, v3
	s_mov_b32 s10, 0x7f00000
	v_mov_b32_e32 v11, 0x7e
	v_cmp_ne_u32_e32 vcc, s10, v3
	v_cndmask_b32_e32 v7, v11, v7, vcc
                                        ; implicit-def: $vgpr3
; %bb.1671:
	s_andn2_saveexec_b64 s[6:7], s[6:7]
; %bb.1672:
	v_add_f32_e32 v7, 0x46800000, v3
; %bb.1673:
	s_or_b64 exec, exec, s[6:7]
                                        ; implicit-def: $vgpr3
.LBB7_1674:
	s_andn2_saveexec_b64 s[4:5], s[4:5]
; %bb.1675:
	s_mov_b32 s6, 0x7f800000
	v_mov_b32_e32 v7, 0x7e
	v_mov_b32_e32 v11, 0x7f
	v_cmp_lt_u32_e32 vcc, s6, v3
	v_cndmask_b32_e32 v7, v7, v11, vcc
; %bb.1676:
	s_or_b64 exec, exec, s[4:5]
	global_store_byte v[5:6], v7, off
.LBB7_1677:
	s_mov_b64 s[4:5], 0
.LBB7_1678:
	s_andn2_b64 vcc, exec, s[4:5]
	s_cbranch_vccnz .LBB7_1688
; %bb.1679:
	v_cvt_f32_ubyte0_e32 v3, v1
	s_mov_b32 s4, 0x47800000
	v_cmp_gt_u32_e32 vcc, s4, v3
                                        ; implicit-def: $vgpr7
	s_and_saveexec_b64 s[4:5], vcc
	s_xor_b64 s[4:5], exec, s[4:5]
	s_cbranch_execz .LBB7_1685
; %bb.1680:
	s_mov_b32 s6, 0x387fffff
	v_cmp_lt_u32_e32 vcc, s6, v3
                                        ; implicit-def: $vgpr7
	s_and_saveexec_b64 s[6:7], vcc
	s_xor_b64 s[6:7], exec, s[6:7]
; %bb.1681:
	v_bfe_u32 v7, v3, 21, 1
	s_mov_b32 s10, 0x80fffff
	v_add3_u32 v3, v3, v7, s10
	v_lshrrev_b32_e32 v7, 21, v3
                                        ; implicit-def: $vgpr3
; %bb.1682:
	s_andn2_saveexec_b64 s[6:7], s[6:7]
; %bb.1683:
	v_add_f32_e32 v7, 0x43000000, v3
; %bb.1684:
	s_or_b64 exec, exec, s[6:7]
                                        ; implicit-def: $vgpr3
.LBB7_1685:
	s_andn2_saveexec_b64 s[4:5], s[4:5]
; %bb.1686:
	s_mov_b32 s6, 0x7f800000
	v_mov_b32_e32 v7, 0x7c
	v_mov_b32_e32 v11, 0x7f
	v_cmp_lt_u32_e32 vcc, s6, v3
	v_cndmask_b32_e32 v7, v7, v11, vcc
; %bb.1687:
	s_or_b64 exec, exec, s[4:5]
	global_store_byte v[5:6], v7, off
.LBB7_1688:
	s_mov_b64 s[4:5], 0
	s_mov_b64 s[6:7], -1
.LBB7_1689:
	s_andn2_b64 vcc, exec, s[4:5]
	s_mov_b64 s[4:5], 0
	s_cbranch_vccnz .LBB7_1696
; %bb.1690:
	s_cmp_gt_i32 s18, 14
	s_mov_b64 s[10:11], -1
	s_cbranch_scc0 .LBB7_1694
; %bb.1691:
	s_cmp_eq_u32 s18, 15
	s_mov_b64 s[2:3], -1
	s_cbranch_scc0 .LBB7_1693
; %bb.1692:
	v_cvt_f32_ubyte0_e32 v3, v1
	v_bfe_u32 v7, v3, 16, 1
	s_movk_i32 s2, 0x7fff
	v_add3_u32 v3, v3, v7, s2
	global_store_short_d16_hi v[5:6], v3, off
	s_mov_b64 s[2:3], 0
	s_mov_b64 s[6:7], -1
.LBB7_1693:
	s_mov_b64 s[10:11], 0
.LBB7_1694:
	s_and_b64 vcc, exec, s[10:11]
	s_cbranch_vccz .LBB7_1696
; %bb.1695:
	s_cmp_lg_u32 s18, 11
	s_mov_b64 s[4:5], -1
	s_cselect_b64 s[2:3], -1, 0
.LBB7_1696:
	s_and_b64 vcc, exec, s[2:3]
	s_cbranch_vccnz .LBB7_2104
; %bb.1697:
	s_andn2_b64 vcc, exec, s[4:5]
	s_cbranch_vccnz .LBB7_1699
.LBB7_1698:
	v_mov_b32_e32 v3, 0
	v_cmp_ne_u16_sdwa s[2:3], v1, v3 src0_sel:BYTE_0 src1_sel:DWORD
	v_cndmask_b32_e64 v3, 0, 1, s[2:3]
	s_mov_b64 s[6:7], -1
	global_store_byte v[5:6], v3, off
.LBB7_1699:
	s_mov_b64 s[2:3], 0
	s_branch .LBB7_1701
.LBB7_1700:
	s_mov_b64 s[2:3], -1
	s_mov_b64 s[6:7], 0
.LBB7_1701:
	s_and_b64 vcc, exec, s[2:3]
	s_cbranch_vccz .LBB7_1740
; %bb.1702:
	s_and_b32 s4, 0xffff, s16
	s_cmp_lt_i32 s4, 5
	s_mov_b64 s[2:3], -1
	s_cbranch_scc1 .LBB7_1723
; %bb.1703:
	s_cmp_lt_i32 s4, 8
	s_cbranch_scc1 .LBB7_1713
; %bb.1704:
	s_cmp_lt_i32 s4, 9
	s_cbranch_scc1 .LBB7_1710
; %bb.1705:
	s_cmp_gt_i32 s4, 9
	s_cbranch_scc0 .LBB7_1707
; %bb.1706:
	s_mov_b32 s2, 0xffff
	v_and_b32_sdwa v3, s2, v1 dst_sel:DWORD dst_unused:UNUSED_PAD src0_sel:DWORD src1_sel:BYTE_0
	v_cvt_f64_u32_e32 v[11:12], v3
	v_mov_b32_e32 v13, 0
	v_mov_b32_e32 v14, v13
	s_mov_b64 s[2:3], 0
	global_store_dwordx4 v[5:6], v[11:14], off
.LBB7_1707:
	s_andn2_b64 vcc, exec, s[2:3]
	s_cbranch_vccnz .LBB7_1709
; %bb.1708:
	v_cvt_f32_ubyte0_e32 v11, v1
	v_mov_b32_e32 v12, 0
	global_store_dwordx2 v[5:6], v[11:12], off
.LBB7_1709:
	s_mov_b64 s[2:3], 0
.LBB7_1710:
	s_andn2_b64 vcc, exec, s[2:3]
	s_cbranch_vccnz .LBB7_1712
; %bb.1711:
	v_cvt_f16_u16_sdwa v3, v1 dst_sel:DWORD dst_unused:UNUSED_PAD src0_sel:BYTE_0
	global_store_dword v[5:6], v3, off
.LBB7_1712:
	s_mov_b64 s[2:3], 0
.LBB7_1713:
	s_andn2_b64 vcc, exec, s[2:3]
	s_cbranch_vccnz .LBB7_1722
; %bb.1714:
	s_cmp_lt_i32 s4, 6
	s_mov_b64 s[2:3], -1
	s_cbranch_scc1 .LBB7_1720
; %bb.1715:
	s_cmp_gt_i32 s4, 6
	s_cbranch_scc0 .LBB7_1717
; %bb.1716:
	s_mov_b32 s2, 0xffff
	v_and_b32_sdwa v3, s2, v1 dst_sel:DWORD dst_unused:UNUSED_PAD src0_sel:DWORD src1_sel:BYTE_0
	v_cvt_f64_u32_e32 v[11:12], v3
	s_mov_b64 s[2:3], 0
	global_store_dwordx2 v[5:6], v[11:12], off
.LBB7_1717:
	s_andn2_b64 vcc, exec, s[2:3]
	s_cbranch_vccnz .LBB7_1719
; %bb.1718:
	v_cvt_f32_ubyte0_e32 v3, v1
	global_store_dword v[5:6], v3, off
.LBB7_1719:
	s_mov_b64 s[2:3], 0
.LBB7_1720:
	s_andn2_b64 vcc, exec, s[2:3]
	s_cbranch_vccnz .LBB7_1722
; %bb.1721:
	v_cvt_f16_u16_sdwa v3, v1 dst_sel:DWORD dst_unused:UNUSED_PAD src0_sel:BYTE_0
	global_store_short v[5:6], v3, off
.LBB7_1722:
	s_mov_b64 s[2:3], 0
.LBB7_1723:
	s_andn2_b64 vcc, exec, s[2:3]
	s_cbranch_vccnz .LBB7_1739
; %bb.1724:
	s_cmp_lt_i32 s4, 2
	s_mov_b64 s[2:3], -1
	s_cbranch_scc1 .LBB7_1734
; %bb.1725:
	s_cmp_lt_i32 s4, 3
	s_cbranch_scc1 .LBB7_1731
; %bb.1726:
	s_cmp_gt_i32 s4, 3
	s_cbranch_scc0 .LBB7_1728
; %bb.1727:
	v_and_b32_e32 v11, 0xff, v1
	v_mov_b32_e32 v12, 0
	global_store_dwordx2 v[5:6], v[11:12], off
	s_mov_b64 s[2:3], 0
.LBB7_1728:
	s_andn2_b64 vcc, exec, s[2:3]
	s_cbranch_vccnz .LBB7_1730
; %bb.1729:
	v_and_b32_e32 v3, 0xff, v1
	global_store_dword v[5:6], v3, off
.LBB7_1730:
	s_mov_b64 s[2:3], 0
.LBB7_1731:
	s_andn2_b64 vcc, exec, s[2:3]
	s_cbranch_vccnz .LBB7_1733
; %bb.1732:
	v_and_b32_e32 v3, 0xff, v1
	global_store_short v[5:6], v3, off
.LBB7_1733:
	s_mov_b64 s[2:3], 0
.LBB7_1734:
	s_andn2_b64 vcc, exec, s[2:3]
	s_cbranch_vccnz .LBB7_1739
; %bb.1735:
	s_cmp_gt_i32 s4, 0
	s_mov_b64 s[2:3], -1
	s_cbranch_scc0 .LBB7_1737
; %bb.1736:
	global_store_byte v[5:6], v1, off
	s_mov_b64 s[2:3], 0
.LBB7_1737:
	s_andn2_b64 vcc, exec, s[2:3]
	s_cbranch_vccnz .LBB7_1739
; %bb.1738:
	global_store_byte v[5:6], v1, off
.LBB7_1739:
	s_mov_b64 s[6:7], -1
.LBB7_1740:
	s_andn2_b64 vcc, exec, s[6:7]
	s_cbranch_vccnz .LBB7_2055
; %bb.1741:
	v_mov_b32_e32 v1, s17
	v_mov_b32_e32 v5, s9
	s_and_b32 s18, 0xffff, s16
	v_add_co_u32_e32 v3, vcc, s8, v4
	v_cndmask_b32_e64 v1, v1, v8, s[0:1]
	s_cmp_lt_i32 s18, 11
	v_addc_co_u32_e32 v4, vcc, 0, v5, vcc
	s_cbranch_scc1 .LBB7_1819
; %bb.1742:
	s_mov_b64 s[10:11], -1
	s_mov_b64 s[4:5], 0
	s_cmp_gt_i32 s18, 25
	s_mov_b64 s[6:7], 0
	s_mov_b64 s[2:3], 0
	s_cbranch_scc0 .LBB7_1775
; %bb.1743:
	s_cmp_gt_i32 s18, 28
	s_cbranch_scc0 .LBB7_1758
; %bb.1744:
	s_cmp_gt_i32 s18, 43
	s_cbranch_scc0 .LBB7_1754
; %bb.1745:
	s_cmp_gt_i32 s18, 45
	s_cbranch_scc0 .LBB7_1748
; %bb.1746:
	s_mov_b64 s[2:3], -1
	s_mov_b64 s[10:11], 0
	s_cmp_eq_u32 s18, 46
	s_cbranch_scc0 .LBB7_1748
; %bb.1747:
	v_cvt_f32_ubyte0_e32 v5, v1
	v_bfe_u32 v6, v5, 16, 1
	s_movk_i32 s2, 0x7fff
	v_add3_u32 v5, v5, v6, s2
	v_lshrrev_b32_e32 v5, 16, v5
	global_store_dword v[3:4], v5, off
	s_mov_b64 s[2:3], 0
	s_mov_b64 s[6:7], -1
.LBB7_1748:
	s_and_b64 vcc, exec, s[10:11]
	s_cbranch_vccz .LBB7_1753
; %bb.1749:
	s_cmp_eq_u32 s18, 44
	s_mov_b64 s[2:3], -1
	s_cbranch_scc0 .LBB7_1753
; %bb.1750:
	v_cvt_f32_ubyte0_e32 v6, v1
	v_lshrrev_b32_e32 v5, 23, v6
	s_movk_i32 s2, 0xff
	v_cmp_ne_u32_e32 vcc, s2, v5
	v_mov_b32_e32 v7, 0xff
	s_and_saveexec_b64 s[6:7], vcc
; %bb.1751:
	s_mov_b32 s2, 0x3fffff
	v_and_b32_e32 v7, 0x400000, v6
	v_and_or_b32 v6, v6, s2, v5
	v_cmp_ne_u32_e32 vcc, 0, v7
	v_cmp_ne_u32_e64 s[2:3], 0, v6
	s_and_b64 s[2:3], vcc, s[2:3]
	v_cndmask_b32_e64 v6, 0, 1, s[2:3]
	v_add_u32_e32 v7, v5, v6
; %bb.1752:
	s_or_b64 exec, exec, s[6:7]
	s_mov_b64 s[2:3], 0
	s_mov_b64 s[6:7], -1
	global_store_byte v[3:4], v7, off
.LBB7_1753:
	s_mov_b64 s[10:11], 0
.LBB7_1754:
	s_and_b64 vcc, exec, s[10:11]
	s_cbranch_vccz .LBB7_1757
; %bb.1755:
	s_cmp_eq_u32 s18, 29
	s_mov_b64 s[2:3], -1
	s_cbranch_scc0 .LBB7_1757
; %bb.1756:
	v_and_b32_e32 v5, 0xff, v1
	v_mov_b32_e32 v6, 0
	global_store_dwordx2 v[3:4], v[5:6], off
	s_mov_b64 s[2:3], 0
	s_mov_b64 s[6:7], -1
.LBB7_1757:
	s_mov_b64 s[10:11], 0
.LBB7_1758:
	s_and_b64 vcc, exec, s[10:11]
	s_cbranch_vccz .LBB7_1774
; %bb.1759:
	s_cmp_lt_i32 s18, 27
	s_mov_b64 s[6:7], -1
	s_cbranch_scc1 .LBB7_1765
; %bb.1760:
	s_cmp_gt_i32 s18, 27
	s_cbranch_scc0 .LBB7_1762
; %bb.1761:
	v_and_b32_e32 v5, 0xff, v1
	s_mov_b64 s[6:7], 0
	global_store_dword v[3:4], v5, off
.LBB7_1762:
	s_andn2_b64 vcc, exec, s[6:7]
	s_cbranch_vccnz .LBB7_1764
; %bb.1763:
	v_and_b32_e32 v5, 0xff, v1
	global_store_short v[3:4], v5, off
.LBB7_1764:
	s_mov_b64 s[6:7], 0
.LBB7_1765:
	s_andn2_b64 vcc, exec, s[6:7]
	s_cbranch_vccnz .LBB7_1773
; %bb.1766:
	v_cvt_f32_ubyte0_e32 v6, v1
	s_mov_b32 s6, 0x43800000
	v_cmp_gt_u32_e32 vcc, s6, v6
	v_mov_b32_e32 v7, 0x80
	s_and_saveexec_b64 s[6:7], vcc
	s_cbranch_execz .LBB7_1772
; %bb.1767:
	s_mov_b32 s10, 0x3bffffff
	v_cmp_lt_u32_e32 vcc, s10, v6
	s_mov_b64 s[10:11], 0
                                        ; implicit-def: $vgpr5
	s_and_saveexec_b64 s[14:15], vcc
	s_xor_b64 s[14:15], exec, s[14:15]
	s_cbranch_execz .LBB7_2107
; %bb.1768:
	v_bfe_u32 v5, v6, 20, 1
	s_mov_b32 s19, 0x487ffff
	v_add3_u32 v5, v6, v5, s19
	s_mov_b64 s[10:11], exec
	v_lshrrev_b32_e32 v5, 20, v5
                                        ; implicit-def: $vgpr6
	s_andn2_saveexec_b64 s[14:15], s[14:15]
	s_cbranch_execnz .LBB7_2108
.LBB7_1769:
	s_or_b64 exec, exec, s[14:15]
	v_mov_b32_e32 v7, 0
	s_and_saveexec_b64 s[14:15], s[10:11]
.LBB7_1770:
	v_mov_b32_e32 v7, v5
.LBB7_1771:
	s_or_b64 exec, exec, s[14:15]
.LBB7_1772:
	s_or_b64 exec, exec, s[6:7]
	global_store_byte v[3:4], v7, off
.LBB7_1773:
	s_mov_b64 s[6:7], -1
.LBB7_1774:
	s_mov_b64 s[10:11], 0
.LBB7_1775:
	s_and_b64 vcc, exec, s[10:11]
	s_cbranch_vccz .LBB7_1815
; %bb.1776:
	s_cmp_gt_i32 s18, 22
	s_mov_b64 s[4:5], -1
	s_cbranch_scc0 .LBB7_1808
; %bb.1777:
	s_cmp_lt_i32 s18, 24
	s_cbranch_scc1 .LBB7_1797
; %bb.1778:
	s_cmp_gt_i32 s18, 24
	s_cbranch_scc0 .LBB7_1786
; %bb.1779:
	v_cvt_f32_ubyte0_e32 v6, v1
	s_mov_b32 s4, 0x47800000
	v_cmp_gt_u32_e32 vcc, s4, v6
	v_mov_b32_e32 v7, 0x80
	s_and_saveexec_b64 s[4:5], vcc
	s_cbranch_execz .LBB7_1785
; %bb.1780:
	s_mov_b32 s6, 0x37ffffff
	v_cmp_lt_u32_e32 vcc, s6, v6
	s_mov_b64 s[6:7], 0
                                        ; implicit-def: $vgpr5
	s_and_saveexec_b64 s[10:11], vcc
	s_xor_b64 s[10:11], exec, s[10:11]
	s_cbranch_execz .LBB7_2110
; %bb.1781:
	v_bfe_u32 v5, v6, 21, 1
	s_mov_b32 s14, 0x88fffff
	v_add3_u32 v5, v6, v5, s14
	s_mov_b64 s[6:7], exec
	v_lshrrev_b32_e32 v5, 21, v5
                                        ; implicit-def: $vgpr6
	s_andn2_saveexec_b64 s[10:11], s[10:11]
	s_cbranch_execnz .LBB7_2111
.LBB7_1782:
	s_or_b64 exec, exec, s[10:11]
	v_mov_b32_e32 v7, 0
	s_and_saveexec_b64 s[10:11], s[6:7]
.LBB7_1783:
	v_mov_b32_e32 v7, v5
.LBB7_1784:
	s_or_b64 exec, exec, s[10:11]
.LBB7_1785:
	s_or_b64 exec, exec, s[4:5]
	s_mov_b64 s[4:5], 0
	global_store_byte v[3:4], v7, off
.LBB7_1786:
	s_and_b64 vcc, exec, s[4:5]
	s_cbranch_vccz .LBB7_1796
; %bb.1787:
	v_cvt_f32_ubyte0_e32 v5, v1
	s_mov_b32 s4, 0x43f00000
	v_cmp_gt_u32_e32 vcc, s4, v5
                                        ; implicit-def: $vgpr6
	s_and_saveexec_b64 s[4:5], vcc
	s_xor_b64 s[4:5], exec, s[4:5]
	s_cbranch_execz .LBB7_1793
; %bb.1788:
	s_mov_b32 s6, 0x3c7fffff
	v_cmp_lt_u32_e32 vcc, s6, v5
                                        ; implicit-def: $vgpr6
	s_and_saveexec_b64 s[6:7], vcc
	s_xor_b64 s[6:7], exec, s[6:7]
; %bb.1789:
	v_bfe_u32 v6, v5, 20, 1
	s_mov_b32 s10, 0x407ffff
	v_add3_u32 v5, v5, v6, s10
	v_lshrrev_b32_e32 v6, 20, v5
	v_and_b32_e32 v5, 0xff00000, v5
	s_mov_b32 s10, 0x7f00000
	v_mov_b32_e32 v7, 0x7e
	v_cmp_ne_u32_e32 vcc, s10, v5
	v_cndmask_b32_e32 v6, v7, v6, vcc
                                        ; implicit-def: $vgpr5
; %bb.1790:
	s_andn2_saveexec_b64 s[6:7], s[6:7]
; %bb.1791:
	v_add_f32_e32 v6, 0x46800000, v5
; %bb.1792:
	s_or_b64 exec, exec, s[6:7]
                                        ; implicit-def: $vgpr5
.LBB7_1793:
	s_andn2_saveexec_b64 s[4:5], s[4:5]
; %bb.1794:
	s_mov_b32 s6, 0x7f800000
	v_mov_b32_e32 v6, 0x7e
	v_mov_b32_e32 v7, 0x7f
	v_cmp_lt_u32_e32 vcc, s6, v5
	v_cndmask_b32_e32 v6, v6, v7, vcc
; %bb.1795:
	s_or_b64 exec, exec, s[4:5]
	global_store_byte v[3:4], v6, off
.LBB7_1796:
	s_mov_b64 s[4:5], 0
.LBB7_1797:
	s_andn2_b64 vcc, exec, s[4:5]
	s_cbranch_vccnz .LBB7_1807
; %bb.1798:
	v_cvt_f32_ubyte0_e32 v5, v1
	s_mov_b32 s4, 0x47800000
	v_cmp_gt_u32_e32 vcc, s4, v5
                                        ; implicit-def: $vgpr6
	s_and_saveexec_b64 s[4:5], vcc
	s_xor_b64 s[4:5], exec, s[4:5]
	s_cbranch_execz .LBB7_1804
; %bb.1799:
	s_mov_b32 s6, 0x387fffff
	v_cmp_lt_u32_e32 vcc, s6, v5
                                        ; implicit-def: $vgpr6
	s_and_saveexec_b64 s[6:7], vcc
	s_xor_b64 s[6:7], exec, s[6:7]
; %bb.1800:
	v_bfe_u32 v6, v5, 21, 1
	s_mov_b32 s10, 0x80fffff
	v_add3_u32 v5, v5, v6, s10
	v_lshrrev_b32_e32 v6, 21, v5
                                        ; implicit-def: $vgpr5
; %bb.1801:
	s_andn2_saveexec_b64 s[6:7], s[6:7]
; %bb.1802:
	v_add_f32_e32 v6, 0x43000000, v5
; %bb.1803:
	s_or_b64 exec, exec, s[6:7]
                                        ; implicit-def: $vgpr5
.LBB7_1804:
	s_andn2_saveexec_b64 s[4:5], s[4:5]
; %bb.1805:
	s_mov_b32 s6, 0x7f800000
	v_mov_b32_e32 v6, 0x7c
	v_mov_b32_e32 v7, 0x7f
	v_cmp_lt_u32_e32 vcc, s6, v5
	v_cndmask_b32_e32 v6, v6, v7, vcc
; %bb.1806:
	s_or_b64 exec, exec, s[4:5]
	global_store_byte v[3:4], v6, off
.LBB7_1807:
	s_mov_b64 s[4:5], 0
	s_mov_b64 s[6:7], -1
.LBB7_1808:
	s_andn2_b64 vcc, exec, s[4:5]
	s_mov_b64 s[4:5], 0
	s_cbranch_vccnz .LBB7_1815
; %bb.1809:
	s_cmp_gt_i32 s18, 14
	s_mov_b64 s[10:11], -1
	s_cbranch_scc0 .LBB7_1813
; %bb.1810:
	s_cmp_eq_u32 s18, 15
	s_mov_b64 s[2:3], -1
	s_cbranch_scc0 .LBB7_1812
; %bb.1811:
	v_cvt_f32_ubyte0_e32 v5, v1
	v_bfe_u32 v6, v5, 16, 1
	s_movk_i32 s2, 0x7fff
	v_add3_u32 v5, v5, v6, s2
	global_store_short_d16_hi v[3:4], v5, off
	s_mov_b64 s[2:3], 0
	s_mov_b64 s[6:7], -1
.LBB7_1812:
	s_mov_b64 s[10:11], 0
.LBB7_1813:
	s_and_b64 vcc, exec, s[10:11]
	s_cbranch_vccz .LBB7_1815
; %bb.1814:
	s_cmp_lg_u32 s18, 11
	s_mov_b64 s[4:5], -1
	s_cselect_b64 s[2:3], -1, 0
.LBB7_1815:
	s_and_b64 vcc, exec, s[2:3]
	s_cbranch_vccnz .LBB7_2109
; %bb.1816:
	s_andn2_b64 vcc, exec, s[4:5]
	s_cbranch_vccnz .LBB7_1818
.LBB7_1817:
	v_mov_b32_e32 v5, 0
	v_cmp_ne_u16_sdwa s[2:3], v1, v5 src0_sel:BYTE_0 src1_sel:DWORD
	v_cndmask_b32_e64 v5, 0, 1, s[2:3]
	s_mov_b64 s[6:7], -1
	global_store_byte v[3:4], v5, off
.LBB7_1818:
	s_mov_b64 s[2:3], 0
	s_branch .LBB7_1820
.LBB7_1819:
	s_mov_b64 s[2:3], -1
	s_mov_b64 s[6:7], 0
.LBB7_1820:
	s_and_b64 vcc, exec, s[2:3]
	s_cbranch_vccz .LBB7_1859
; %bb.1821:
	s_cmp_lt_i32 s18, 5
	s_mov_b64 s[2:3], -1
	s_cbranch_scc1 .LBB7_1842
; %bb.1822:
	s_cmp_lt_i32 s18, 8
	s_cbranch_scc1 .LBB7_1832
; %bb.1823:
	s_cmp_lt_i32 s18, 9
	s_cbranch_scc1 .LBB7_1829
; %bb.1824:
	s_cmp_gt_i32 s18, 9
	s_cbranch_scc0 .LBB7_1826
; %bb.1825:
	s_mov_b32 s2, 0xffff
	v_and_b32_sdwa v5, s2, v1 dst_sel:DWORD dst_unused:UNUSED_PAD src0_sel:DWORD src1_sel:BYTE_0
	v_cvt_f64_u32_e32 v[5:6], v5
	v_mov_b32_e32 v7, 0
	v_mov_b32_e32 v8, v7
	s_mov_b64 s[2:3], 0
	global_store_dwordx4 v[3:4], v[5:8], off
.LBB7_1826:
	s_andn2_b64 vcc, exec, s[2:3]
	s_cbranch_vccnz .LBB7_1828
; %bb.1827:
	v_cvt_f32_ubyte0_e32 v5, v1
	v_mov_b32_e32 v6, 0
	global_store_dwordx2 v[3:4], v[5:6], off
.LBB7_1828:
	s_mov_b64 s[2:3], 0
.LBB7_1829:
	s_andn2_b64 vcc, exec, s[2:3]
	s_cbranch_vccnz .LBB7_1831
; %bb.1830:
	v_cvt_f16_u16_sdwa v5, v1 dst_sel:DWORD dst_unused:UNUSED_PAD src0_sel:BYTE_0
	global_store_dword v[3:4], v5, off
.LBB7_1831:
	s_mov_b64 s[2:3], 0
.LBB7_1832:
	s_andn2_b64 vcc, exec, s[2:3]
	s_cbranch_vccnz .LBB7_1841
; %bb.1833:
	s_cmp_lt_i32 s18, 6
	s_mov_b64 s[2:3], -1
	s_cbranch_scc1 .LBB7_1839
; %bb.1834:
	s_cmp_gt_i32 s18, 6
	s_cbranch_scc0 .LBB7_1836
; %bb.1835:
	s_mov_b32 s2, 0xffff
	v_and_b32_sdwa v5, s2, v1 dst_sel:DWORD dst_unused:UNUSED_PAD src0_sel:DWORD src1_sel:BYTE_0
	v_cvt_f64_u32_e32 v[5:6], v5
	s_mov_b64 s[2:3], 0
	global_store_dwordx2 v[3:4], v[5:6], off
.LBB7_1836:
	s_andn2_b64 vcc, exec, s[2:3]
	s_cbranch_vccnz .LBB7_1838
; %bb.1837:
	v_cvt_f32_ubyte0_e32 v5, v1
	global_store_dword v[3:4], v5, off
.LBB7_1838:
	s_mov_b64 s[2:3], 0
.LBB7_1839:
	s_andn2_b64 vcc, exec, s[2:3]
	s_cbranch_vccnz .LBB7_1841
; %bb.1840:
	v_cvt_f16_u16_sdwa v5, v1 dst_sel:DWORD dst_unused:UNUSED_PAD src0_sel:BYTE_0
	global_store_short v[3:4], v5, off
.LBB7_1841:
	s_mov_b64 s[2:3], 0
.LBB7_1842:
	s_andn2_b64 vcc, exec, s[2:3]
	s_cbranch_vccnz .LBB7_1858
; %bb.1843:
	s_cmp_lt_i32 s18, 2
	s_mov_b64 s[2:3], -1
	s_cbranch_scc1 .LBB7_1853
; %bb.1844:
	s_cmp_lt_i32 s18, 3
	s_cbranch_scc1 .LBB7_1850
; %bb.1845:
	s_cmp_gt_i32 s18, 3
	s_cbranch_scc0 .LBB7_1847
; %bb.1846:
	v_and_b32_e32 v5, 0xff, v1
	v_mov_b32_e32 v6, 0
	global_store_dwordx2 v[3:4], v[5:6], off
	s_mov_b64 s[2:3], 0
.LBB7_1847:
	s_andn2_b64 vcc, exec, s[2:3]
	s_cbranch_vccnz .LBB7_1849
; %bb.1848:
	v_and_b32_e32 v5, 0xff, v1
	global_store_dword v[3:4], v5, off
.LBB7_1849:
	s_mov_b64 s[2:3], 0
.LBB7_1850:
	s_andn2_b64 vcc, exec, s[2:3]
	s_cbranch_vccnz .LBB7_1852
; %bb.1851:
	v_and_b32_e32 v5, 0xff, v1
	global_store_short v[3:4], v5, off
.LBB7_1852:
	s_mov_b64 s[2:3], 0
.LBB7_1853:
	s_andn2_b64 vcc, exec, s[2:3]
	s_cbranch_vccnz .LBB7_1858
; %bb.1854:
	s_cmp_gt_i32 s18, 0
	s_mov_b64 s[2:3], -1
	s_cbranch_scc0 .LBB7_1856
; %bb.1855:
	global_store_byte v[3:4], v1, off
	s_mov_b64 s[2:3], 0
.LBB7_1856:
	s_andn2_b64 vcc, exec, s[2:3]
	s_cbranch_vccnz .LBB7_1858
; %bb.1857:
	global_store_byte v[3:4], v1, off
.LBB7_1858:
	s_mov_b64 s[6:7], -1
.LBB7_1859:
	s_andn2_b64 vcc, exec, s[6:7]
	s_cbranch_vccnz .LBB7_2055
; %bb.1860:
	v_mov_b32_e32 v1, s17
	v_cndmask_b32_e64 v3, v1, v9, s[0:1]
	v_mov_b32_e32 v4, s9
	v_add_co_u32_e32 v1, vcc, s8, v2
	s_cmp_lt_i32 s18, 11
	v_addc_co_u32_e32 v2, vcc, 0, v4, vcc
	s_cbranch_scc1 .LBB7_1938
; %bb.1861:
	s_mov_b64 s[10:11], -1
	s_mov_b64 s[4:5], 0
	s_cmp_gt_i32 s18, 25
	s_mov_b64 s[6:7], 0
	s_mov_b64 s[2:3], 0
	s_cbranch_scc0 .LBB7_1894
; %bb.1862:
	s_cmp_gt_i32 s18, 28
	s_cbranch_scc0 .LBB7_1877
; %bb.1863:
	s_cmp_gt_i32 s18, 43
	;; [unrolled: 3-line block ×3, first 2 shown]
	s_cbranch_scc0 .LBB7_1867
; %bb.1865:
	s_mov_b64 s[2:3], -1
	s_mov_b64 s[10:11], 0
	s_cmp_eq_u32 s18, 46
	s_cbranch_scc0 .LBB7_1867
; %bb.1866:
	v_cvt_f32_ubyte0_e32 v4, v3
	v_bfe_u32 v5, v4, 16, 1
	s_movk_i32 s2, 0x7fff
	v_add3_u32 v4, v4, v5, s2
	v_lshrrev_b32_e32 v4, 16, v4
	global_store_dword v[1:2], v4, off
	s_mov_b64 s[2:3], 0
	s_mov_b64 s[6:7], -1
.LBB7_1867:
	s_and_b64 vcc, exec, s[10:11]
	s_cbranch_vccz .LBB7_1872
; %bb.1868:
	s_cmp_eq_u32 s18, 44
	s_mov_b64 s[2:3], -1
	s_cbranch_scc0 .LBB7_1872
; %bb.1869:
	v_cvt_f32_ubyte0_e32 v5, v3
	v_lshrrev_b32_e32 v4, 23, v5
	s_movk_i32 s2, 0xff
	v_cmp_ne_u32_e32 vcc, s2, v4
	v_mov_b32_e32 v6, 0xff
	s_and_saveexec_b64 s[6:7], vcc
; %bb.1870:
	s_mov_b32 s2, 0x3fffff
	v_and_b32_e32 v6, 0x400000, v5
	v_and_or_b32 v5, v5, s2, v4
	v_cmp_ne_u32_e32 vcc, 0, v6
	v_cmp_ne_u32_e64 s[2:3], 0, v5
	s_and_b64 s[2:3], vcc, s[2:3]
	v_cndmask_b32_e64 v5, 0, 1, s[2:3]
	v_add_u32_e32 v6, v4, v5
; %bb.1871:
	s_or_b64 exec, exec, s[6:7]
	s_mov_b64 s[2:3], 0
	s_mov_b64 s[6:7], -1
	global_store_byte v[1:2], v6, off
.LBB7_1872:
	s_mov_b64 s[10:11], 0
.LBB7_1873:
	s_and_b64 vcc, exec, s[10:11]
	s_cbranch_vccz .LBB7_1876
; %bb.1874:
	s_cmp_eq_u32 s18, 29
	s_mov_b64 s[2:3], -1
	s_cbranch_scc0 .LBB7_1876
; %bb.1875:
	v_and_b32_e32 v4, 0xff, v3
	v_mov_b32_e32 v5, 0
	global_store_dwordx2 v[1:2], v[4:5], off
	s_mov_b64 s[2:3], 0
	s_mov_b64 s[6:7], -1
.LBB7_1876:
	s_mov_b64 s[10:11], 0
.LBB7_1877:
	s_and_b64 vcc, exec, s[10:11]
	s_cbranch_vccz .LBB7_1893
; %bb.1878:
	s_cmp_lt_i32 s18, 27
	s_mov_b64 s[6:7], -1
	s_cbranch_scc1 .LBB7_1884
; %bb.1879:
	s_cmp_gt_i32 s18, 27
	s_cbranch_scc0 .LBB7_1881
; %bb.1880:
	v_and_b32_e32 v4, 0xff, v3
	s_mov_b64 s[6:7], 0
	global_store_dword v[1:2], v4, off
.LBB7_1881:
	s_andn2_b64 vcc, exec, s[6:7]
	s_cbranch_vccnz .LBB7_1883
; %bb.1882:
	v_and_b32_e32 v4, 0xff, v3
	global_store_short v[1:2], v4, off
.LBB7_1883:
	s_mov_b64 s[6:7], 0
.LBB7_1884:
	s_andn2_b64 vcc, exec, s[6:7]
	s_cbranch_vccnz .LBB7_1892
; %bb.1885:
	v_cvt_f32_ubyte0_e32 v5, v3
	s_mov_b32 s6, 0x43800000
	v_cmp_gt_u32_e32 vcc, s6, v5
	v_mov_b32_e32 v6, 0x80
	s_and_saveexec_b64 s[6:7], vcc
	s_cbranch_execz .LBB7_1891
; %bb.1886:
	s_mov_b32 s10, 0x3bffffff
	v_cmp_lt_u32_e32 vcc, s10, v5
	s_mov_b64 s[10:11], 0
                                        ; implicit-def: $vgpr4
	s_and_saveexec_b64 s[14:15], vcc
	s_xor_b64 s[14:15], exec, s[14:15]
	s_cbranch_execz .LBB7_2112
; %bb.1887:
	v_bfe_u32 v4, v5, 20, 1
	s_mov_b32 s19, 0x487ffff
	v_add3_u32 v4, v5, v4, s19
	s_mov_b64 s[10:11], exec
	v_lshrrev_b32_e32 v4, 20, v4
                                        ; implicit-def: $vgpr5
	s_andn2_saveexec_b64 s[14:15], s[14:15]
	s_cbranch_execnz .LBB7_2113
.LBB7_1888:
	s_or_b64 exec, exec, s[14:15]
	v_mov_b32_e32 v6, 0
	s_and_saveexec_b64 s[14:15], s[10:11]
.LBB7_1889:
	v_mov_b32_e32 v6, v4
.LBB7_1890:
	s_or_b64 exec, exec, s[14:15]
.LBB7_1891:
	s_or_b64 exec, exec, s[6:7]
	global_store_byte v[1:2], v6, off
.LBB7_1892:
	s_mov_b64 s[6:7], -1
.LBB7_1893:
	s_mov_b64 s[10:11], 0
.LBB7_1894:
	s_and_b64 vcc, exec, s[10:11]
	s_cbranch_vccz .LBB7_1934
; %bb.1895:
	s_cmp_gt_i32 s18, 22
	s_mov_b64 s[4:5], -1
	s_cbranch_scc0 .LBB7_1927
; %bb.1896:
	s_cmp_lt_i32 s18, 24
	s_cbranch_scc1 .LBB7_1916
; %bb.1897:
	s_cmp_gt_i32 s18, 24
	s_cbranch_scc0 .LBB7_1905
; %bb.1898:
	v_cvt_f32_ubyte0_e32 v5, v3
	s_mov_b32 s4, 0x47800000
	v_cmp_gt_u32_e32 vcc, s4, v5
	v_mov_b32_e32 v6, 0x80
	s_and_saveexec_b64 s[4:5], vcc
	s_cbranch_execz .LBB7_1904
; %bb.1899:
	s_mov_b32 s6, 0x37ffffff
	v_cmp_lt_u32_e32 vcc, s6, v5
	s_mov_b64 s[6:7], 0
                                        ; implicit-def: $vgpr4
	s_and_saveexec_b64 s[10:11], vcc
	s_xor_b64 s[10:11], exec, s[10:11]
	s_cbranch_execz .LBB7_2115
; %bb.1900:
	v_bfe_u32 v4, v5, 21, 1
	s_mov_b32 s14, 0x88fffff
	v_add3_u32 v4, v5, v4, s14
	s_mov_b64 s[6:7], exec
	v_lshrrev_b32_e32 v4, 21, v4
                                        ; implicit-def: $vgpr5
	s_andn2_saveexec_b64 s[10:11], s[10:11]
	s_cbranch_execnz .LBB7_2116
.LBB7_1901:
	s_or_b64 exec, exec, s[10:11]
	v_mov_b32_e32 v6, 0
	s_and_saveexec_b64 s[10:11], s[6:7]
.LBB7_1902:
	v_mov_b32_e32 v6, v4
.LBB7_1903:
	s_or_b64 exec, exec, s[10:11]
.LBB7_1904:
	s_or_b64 exec, exec, s[4:5]
	s_mov_b64 s[4:5], 0
	global_store_byte v[1:2], v6, off
.LBB7_1905:
	s_and_b64 vcc, exec, s[4:5]
	s_cbranch_vccz .LBB7_1915
; %bb.1906:
	v_cvt_f32_ubyte0_e32 v4, v3
	s_mov_b32 s4, 0x43f00000
	v_cmp_gt_u32_e32 vcc, s4, v4
                                        ; implicit-def: $vgpr5
	s_and_saveexec_b64 s[4:5], vcc
	s_xor_b64 s[4:5], exec, s[4:5]
	s_cbranch_execz .LBB7_1912
; %bb.1907:
	s_mov_b32 s6, 0x3c7fffff
	v_cmp_lt_u32_e32 vcc, s6, v4
                                        ; implicit-def: $vgpr5
	s_and_saveexec_b64 s[6:7], vcc
	s_xor_b64 s[6:7], exec, s[6:7]
; %bb.1908:
	v_bfe_u32 v5, v4, 20, 1
	s_mov_b32 s10, 0x407ffff
	v_add3_u32 v4, v4, v5, s10
	v_lshrrev_b32_e32 v5, 20, v4
	v_and_b32_e32 v4, 0xff00000, v4
	s_mov_b32 s10, 0x7f00000
	v_mov_b32_e32 v6, 0x7e
	v_cmp_ne_u32_e32 vcc, s10, v4
	v_cndmask_b32_e32 v5, v6, v5, vcc
                                        ; implicit-def: $vgpr4
; %bb.1909:
	s_andn2_saveexec_b64 s[6:7], s[6:7]
; %bb.1910:
	v_add_f32_e32 v5, 0x46800000, v4
; %bb.1911:
	s_or_b64 exec, exec, s[6:7]
                                        ; implicit-def: $vgpr4
.LBB7_1912:
	s_andn2_saveexec_b64 s[4:5], s[4:5]
; %bb.1913:
	s_mov_b32 s6, 0x7f800000
	v_mov_b32_e32 v5, 0x7e
	v_mov_b32_e32 v6, 0x7f
	v_cmp_lt_u32_e32 vcc, s6, v4
	v_cndmask_b32_e32 v5, v5, v6, vcc
; %bb.1914:
	s_or_b64 exec, exec, s[4:5]
	global_store_byte v[1:2], v5, off
.LBB7_1915:
	s_mov_b64 s[4:5], 0
.LBB7_1916:
	s_andn2_b64 vcc, exec, s[4:5]
	s_cbranch_vccnz .LBB7_1926
; %bb.1917:
	v_cvt_f32_ubyte0_e32 v4, v3
	s_mov_b32 s4, 0x47800000
	v_cmp_gt_u32_e32 vcc, s4, v4
                                        ; implicit-def: $vgpr5
	s_and_saveexec_b64 s[4:5], vcc
	s_xor_b64 s[4:5], exec, s[4:5]
	s_cbranch_execz .LBB7_1923
; %bb.1918:
	s_mov_b32 s6, 0x387fffff
	v_cmp_lt_u32_e32 vcc, s6, v4
                                        ; implicit-def: $vgpr5
	s_and_saveexec_b64 s[6:7], vcc
	s_xor_b64 s[6:7], exec, s[6:7]
; %bb.1919:
	v_bfe_u32 v5, v4, 21, 1
	s_mov_b32 s10, 0x80fffff
	v_add3_u32 v4, v4, v5, s10
	v_lshrrev_b32_e32 v5, 21, v4
                                        ; implicit-def: $vgpr4
; %bb.1920:
	s_andn2_saveexec_b64 s[6:7], s[6:7]
; %bb.1921:
	v_add_f32_e32 v5, 0x43000000, v4
; %bb.1922:
	s_or_b64 exec, exec, s[6:7]
                                        ; implicit-def: $vgpr4
.LBB7_1923:
	s_andn2_saveexec_b64 s[4:5], s[4:5]
; %bb.1924:
	s_mov_b32 s6, 0x7f800000
	v_mov_b32_e32 v5, 0x7c
	v_mov_b32_e32 v6, 0x7f
	v_cmp_lt_u32_e32 vcc, s6, v4
	v_cndmask_b32_e32 v5, v5, v6, vcc
; %bb.1925:
	s_or_b64 exec, exec, s[4:5]
	global_store_byte v[1:2], v5, off
.LBB7_1926:
	s_mov_b64 s[4:5], 0
	s_mov_b64 s[6:7], -1
.LBB7_1927:
	s_andn2_b64 vcc, exec, s[4:5]
	s_mov_b64 s[4:5], 0
	s_cbranch_vccnz .LBB7_1934
; %bb.1928:
	s_cmp_gt_i32 s18, 14
	s_mov_b64 s[10:11], -1
	s_cbranch_scc0 .LBB7_1932
; %bb.1929:
	s_cmp_eq_u32 s18, 15
	s_mov_b64 s[2:3], -1
	s_cbranch_scc0 .LBB7_1931
; %bb.1930:
	v_cvt_f32_ubyte0_e32 v4, v3
	v_bfe_u32 v5, v4, 16, 1
	s_movk_i32 s2, 0x7fff
	v_add3_u32 v4, v4, v5, s2
	global_store_short_d16_hi v[1:2], v4, off
	s_mov_b64 s[2:3], 0
	s_mov_b64 s[6:7], -1
.LBB7_1931:
	s_mov_b64 s[10:11], 0
.LBB7_1932:
	s_and_b64 vcc, exec, s[10:11]
	s_cbranch_vccz .LBB7_1934
; %bb.1933:
	s_cmp_lg_u32 s18, 11
	s_mov_b64 s[4:5], -1
	s_cselect_b64 s[2:3], -1, 0
.LBB7_1934:
	s_and_b64 vcc, exec, s[2:3]
	s_cbranch_vccnz .LBB7_2114
; %bb.1935:
	s_andn2_b64 vcc, exec, s[4:5]
	s_cbranch_vccnz .LBB7_1937
.LBB7_1936:
	v_mov_b32_e32 v4, 0
	v_cmp_ne_u16_sdwa s[2:3], v3, v4 src0_sel:BYTE_0 src1_sel:DWORD
	v_cndmask_b32_e64 v4, 0, 1, s[2:3]
	s_mov_b64 s[6:7], -1
	global_store_byte v[1:2], v4, off
.LBB7_1937:
	s_mov_b64 s[2:3], 0
	s_branch .LBB7_1939
.LBB7_1938:
	s_mov_b64 s[2:3], -1
	s_mov_b64 s[6:7], 0
.LBB7_1939:
	s_and_b64 vcc, exec, s[2:3]
	s_cbranch_vccz .LBB7_1978
; %bb.1940:
	s_cmp_lt_i32 s18, 5
	s_mov_b64 s[2:3], -1
	s_cbranch_scc1 .LBB7_1961
; %bb.1941:
	s_cmp_lt_i32 s18, 8
	s_cbranch_scc1 .LBB7_1951
; %bb.1942:
	s_cmp_lt_i32 s18, 9
	s_cbranch_scc1 .LBB7_1948
; %bb.1943:
	s_cmp_gt_i32 s18, 9
	s_cbranch_scc0 .LBB7_1945
; %bb.1944:
	s_mov_b32 s2, 0xffff
	v_and_b32_sdwa v4, s2, v3 dst_sel:DWORD dst_unused:UNUSED_PAD src0_sel:DWORD src1_sel:BYTE_0
	v_cvt_f64_u32_e32 v[4:5], v4
	v_mov_b32_e32 v6, 0
	v_mov_b32_e32 v7, v6
	s_mov_b64 s[2:3], 0
	global_store_dwordx4 v[1:2], v[4:7], off
.LBB7_1945:
	s_andn2_b64 vcc, exec, s[2:3]
	s_cbranch_vccnz .LBB7_1947
; %bb.1946:
	v_cvt_f32_ubyte0_e32 v4, v3
	v_mov_b32_e32 v5, 0
	global_store_dwordx2 v[1:2], v[4:5], off
.LBB7_1947:
	s_mov_b64 s[2:3], 0
.LBB7_1948:
	s_andn2_b64 vcc, exec, s[2:3]
	s_cbranch_vccnz .LBB7_1950
; %bb.1949:
	v_cvt_f16_u16_sdwa v4, v3 dst_sel:DWORD dst_unused:UNUSED_PAD src0_sel:BYTE_0
	global_store_dword v[1:2], v4, off
.LBB7_1950:
	s_mov_b64 s[2:3], 0
.LBB7_1951:
	s_andn2_b64 vcc, exec, s[2:3]
	s_cbranch_vccnz .LBB7_1960
; %bb.1952:
	s_cmp_lt_i32 s18, 6
	s_mov_b64 s[2:3], -1
	s_cbranch_scc1 .LBB7_1958
; %bb.1953:
	s_cmp_gt_i32 s18, 6
	s_cbranch_scc0 .LBB7_1955
; %bb.1954:
	s_mov_b32 s2, 0xffff
	v_and_b32_sdwa v4, s2, v3 dst_sel:DWORD dst_unused:UNUSED_PAD src0_sel:DWORD src1_sel:BYTE_0
	v_cvt_f64_u32_e32 v[4:5], v4
	s_mov_b64 s[2:3], 0
	global_store_dwordx2 v[1:2], v[4:5], off
.LBB7_1955:
	s_andn2_b64 vcc, exec, s[2:3]
	s_cbranch_vccnz .LBB7_1957
; %bb.1956:
	v_cvt_f32_ubyte0_e32 v4, v3
	global_store_dword v[1:2], v4, off
.LBB7_1957:
	s_mov_b64 s[2:3], 0
.LBB7_1958:
	s_andn2_b64 vcc, exec, s[2:3]
	s_cbranch_vccnz .LBB7_1960
; %bb.1959:
	v_cvt_f16_u16_sdwa v4, v3 dst_sel:DWORD dst_unused:UNUSED_PAD src0_sel:BYTE_0
	global_store_short v[1:2], v4, off
.LBB7_1960:
	s_mov_b64 s[2:3], 0
.LBB7_1961:
	s_andn2_b64 vcc, exec, s[2:3]
	s_cbranch_vccnz .LBB7_1977
; %bb.1962:
	s_cmp_lt_i32 s18, 2
	s_mov_b64 s[2:3], -1
	s_cbranch_scc1 .LBB7_1972
; %bb.1963:
	s_cmp_lt_i32 s18, 3
	s_cbranch_scc1 .LBB7_1969
; %bb.1964:
	s_cmp_gt_i32 s18, 3
	s_cbranch_scc0 .LBB7_1966
; %bb.1965:
	v_and_b32_e32 v4, 0xff, v3
	v_mov_b32_e32 v5, 0
	global_store_dwordx2 v[1:2], v[4:5], off
	s_mov_b64 s[2:3], 0
.LBB7_1966:
	s_andn2_b64 vcc, exec, s[2:3]
	s_cbranch_vccnz .LBB7_1968
; %bb.1967:
	v_and_b32_e32 v4, 0xff, v3
	global_store_dword v[1:2], v4, off
.LBB7_1968:
	s_mov_b64 s[2:3], 0
.LBB7_1969:
	s_andn2_b64 vcc, exec, s[2:3]
	s_cbranch_vccnz .LBB7_1971
; %bb.1970:
	v_and_b32_e32 v4, 0xff, v3
	global_store_short v[1:2], v4, off
.LBB7_1971:
	s_mov_b64 s[2:3], 0
.LBB7_1972:
	s_andn2_b64 vcc, exec, s[2:3]
	s_cbranch_vccnz .LBB7_1977
; %bb.1973:
	s_cmp_gt_i32 s18, 0
	s_mov_b64 s[2:3], -1
	s_cbranch_scc0 .LBB7_1975
; %bb.1974:
	global_store_byte v[1:2], v3, off
	s_mov_b64 s[2:3], 0
.LBB7_1975:
	s_andn2_b64 vcc, exec, s[2:3]
	s_cbranch_vccnz .LBB7_1977
; %bb.1976:
	global_store_byte v[1:2], v3, off
.LBB7_1977:
	s_mov_b64 s[6:7], -1
.LBB7_1978:
	s_andn2_b64 vcc, exec, s[6:7]
	s_cbranch_vccnz .LBB7_2055
; %bb.1979:
	v_mov_b32_e32 v1, s17
	v_cndmask_b32_e64 v2, v1, v10, s[0:1]
	v_mov_b32_e32 v1, s9
	v_add_co_u32_e32 v0, vcc, s8, v0
	s_cmp_lt_i32 s18, 11
	v_addc_co_u32_e32 v1, vcc, 0, v1, vcc
	s_cbranch_scc1 .LBB7_2100
; %bb.1980:
	s_mov_b64 s[4:5], -1
	s_mov_b64 s[2:3], 0
	s_cmp_gt_i32 s18, 25
	s_mov_b64 s[0:1], 0
	s_cbranch_scc0 .LBB7_2013
; %bb.1981:
	s_cmp_gt_i32 s18, 28
	s_cbranch_scc0 .LBB7_1997
; %bb.1982:
	s_cmp_gt_i32 s18, 43
	;; [unrolled: 3-line block ×3, first 2 shown]
	s_cbranch_scc0 .LBB7_1987
; %bb.1984:
	s_cmp_eq_u32 s18, 46
	s_mov_b64 s[0:1], -1
	s_cbranch_scc0 .LBB7_1986
; %bb.1985:
	v_cvt_f32_ubyte0_e32 v3, v2
	v_bfe_u32 v4, v3, 16, 1
	s_movk_i32 s0, 0x7fff
	v_add3_u32 v3, v3, v4, s0
	v_lshrrev_b32_e32 v3, 16, v3
	global_store_dword v[0:1], v3, off
	s_mov_b64 s[0:1], 0
.LBB7_1986:
	s_mov_b64 s[4:5], 0
.LBB7_1987:
	s_and_b64 vcc, exec, s[4:5]
	s_cbranch_vccz .LBB7_1992
; %bb.1988:
	s_cmp_eq_u32 s18, 44
	s_mov_b64 s[0:1], -1
	s_cbranch_scc0 .LBB7_1992
; %bb.1989:
	v_cvt_f32_ubyte0_e32 v4, v2
	v_lshrrev_b32_e32 v3, 23, v4
	s_movk_i32 s0, 0xff
	v_cmp_ne_u32_e32 vcc, s0, v3
	v_mov_b32_e32 v5, 0xff
	s_and_saveexec_b64 s[4:5], vcc
; %bb.1990:
	s_mov_b32 s0, 0x3fffff
	v_and_b32_e32 v5, 0x400000, v4
	v_and_or_b32 v4, v4, s0, v3
	v_cmp_ne_u32_e32 vcc, 0, v5
	v_cmp_ne_u32_e64 s[0:1], 0, v4
	s_and_b64 s[0:1], vcc, s[0:1]
	v_cndmask_b32_e64 v4, 0, 1, s[0:1]
	v_add_u32_e32 v5, v3, v4
; %bb.1991:
	s_or_b64 exec, exec, s[4:5]
	s_mov_b64 s[0:1], 0
	global_store_byte v[0:1], v5, off
.LBB7_1992:
	s_mov_b64 s[4:5], 0
.LBB7_1993:
	s_and_b64 vcc, exec, s[4:5]
	s_cbranch_vccz .LBB7_1996
; %bb.1994:
	s_cmp_eq_u32 s18, 29
	s_mov_b64 s[0:1], -1
	s_cbranch_scc0 .LBB7_1996
; %bb.1995:
	v_and_b32_e32 v3, 0xff, v2
	v_mov_b32_e32 v4, 0
	global_store_dwordx2 v[0:1], v[3:4], off
	s_mov_b64 s[0:1], 0
.LBB7_1996:
	s_mov_b64 s[4:5], 0
.LBB7_1997:
	s_and_b64 vcc, exec, s[4:5]
	s_cbranch_vccz .LBB7_2012
; %bb.1998:
	s_cmp_lt_i32 s18, 27
	s_mov_b64 s[4:5], -1
	s_cbranch_scc1 .LBB7_2004
; %bb.1999:
	s_cmp_gt_i32 s18, 27
	s_cbranch_scc0 .LBB7_2001
; %bb.2000:
	v_and_b32_e32 v3, 0xff, v2
	global_store_dword v[0:1], v3, off
	s_mov_b64 s[4:5], 0
.LBB7_2001:
	s_andn2_b64 vcc, exec, s[4:5]
	s_cbranch_vccnz .LBB7_2003
; %bb.2002:
	v_and_b32_e32 v3, 0xff, v2
	global_store_short v[0:1], v3, off
.LBB7_2003:
	s_mov_b64 s[4:5], 0
.LBB7_2004:
	s_andn2_b64 vcc, exec, s[4:5]
	s_cbranch_vccnz .LBB7_2012
; %bb.2005:
	v_cvt_f32_ubyte0_e32 v4, v2
	s_mov_b32 s4, 0x43800000
	v_cmp_gt_u32_e32 vcc, s4, v4
	v_mov_b32_e32 v5, 0x80
	s_and_saveexec_b64 s[4:5], vcc
	s_cbranch_execz .LBB7_2011
; %bb.2006:
	s_mov_b32 s6, 0x3bffffff
	v_cmp_lt_u32_e32 vcc, s6, v4
	s_mov_b64 s[6:7], 0
                                        ; implicit-def: $vgpr3
	s_and_saveexec_b64 s[8:9], vcc
	s_xor_b64 s[8:9], exec, s[8:9]
	s_cbranch_execz .LBB7_2117
; %bb.2007:
	v_bfe_u32 v3, v4, 20, 1
	s_mov_b32 s10, 0x487ffff
	v_add3_u32 v3, v4, v3, s10
	s_mov_b64 s[6:7], exec
	v_lshrrev_b32_e32 v3, 20, v3
                                        ; implicit-def: $vgpr4
	s_andn2_saveexec_b64 s[8:9], s[8:9]
	s_cbranch_execnz .LBB7_2118
.LBB7_2008:
	s_or_b64 exec, exec, s[8:9]
	v_mov_b32_e32 v5, 0
	s_and_saveexec_b64 s[8:9], s[6:7]
.LBB7_2009:
	v_mov_b32_e32 v5, v3
.LBB7_2010:
	s_or_b64 exec, exec, s[8:9]
.LBB7_2011:
	s_or_b64 exec, exec, s[4:5]
	global_store_byte v[0:1], v5, off
.LBB7_2012:
	s_mov_b64 s[4:5], 0
.LBB7_2013:
	s_and_b64 vcc, exec, s[4:5]
	s_cbranch_vccz .LBB7_2053
; %bb.2014:
	s_cmp_gt_i32 s18, 22
	s_mov_b64 s[2:3], -1
	s_cbranch_scc0 .LBB7_2046
; %bb.2015:
	s_cmp_lt_i32 s18, 24
	s_cbranch_scc1 .LBB7_2035
; %bb.2016:
	s_cmp_gt_i32 s18, 24
	s_cbranch_scc0 .LBB7_2024
; %bb.2017:
	v_cvt_f32_ubyte0_e32 v4, v2
	s_mov_b32 s2, 0x47800000
	v_cmp_gt_u32_e32 vcc, s2, v4
	v_mov_b32_e32 v5, 0x80
	s_and_saveexec_b64 s[2:3], vcc
	s_cbranch_execz .LBB7_2023
; %bb.2018:
	s_mov_b32 s4, 0x37ffffff
	v_cmp_lt_u32_e32 vcc, s4, v4
	s_mov_b64 s[4:5], 0
                                        ; implicit-def: $vgpr3
	s_and_saveexec_b64 s[6:7], vcc
	s_xor_b64 s[6:7], exec, s[6:7]
	s_cbranch_execz .LBB7_2120
; %bb.2019:
	v_bfe_u32 v3, v4, 21, 1
	s_mov_b32 s8, 0x88fffff
	v_add3_u32 v3, v4, v3, s8
	s_mov_b64 s[4:5], exec
	v_lshrrev_b32_e32 v3, 21, v3
                                        ; implicit-def: $vgpr4
	s_andn2_saveexec_b64 s[6:7], s[6:7]
	s_cbranch_execnz .LBB7_2121
.LBB7_2020:
	s_or_b64 exec, exec, s[6:7]
	v_mov_b32_e32 v5, 0
	s_and_saveexec_b64 s[6:7], s[4:5]
.LBB7_2021:
	v_mov_b32_e32 v5, v3
.LBB7_2022:
	s_or_b64 exec, exec, s[6:7]
.LBB7_2023:
	s_or_b64 exec, exec, s[2:3]
	s_mov_b64 s[2:3], 0
	global_store_byte v[0:1], v5, off
.LBB7_2024:
	s_and_b64 vcc, exec, s[2:3]
	s_cbranch_vccz .LBB7_2034
; %bb.2025:
	v_cvt_f32_ubyte0_e32 v3, v2
	s_mov_b32 s2, 0x43f00000
	v_cmp_gt_u32_e32 vcc, s2, v3
                                        ; implicit-def: $vgpr4
	s_and_saveexec_b64 s[2:3], vcc
	s_xor_b64 s[2:3], exec, s[2:3]
	s_cbranch_execz .LBB7_2031
; %bb.2026:
	s_mov_b32 s4, 0x3c7fffff
	v_cmp_lt_u32_e32 vcc, s4, v3
                                        ; implicit-def: $vgpr4
	s_and_saveexec_b64 s[4:5], vcc
	s_xor_b64 s[4:5], exec, s[4:5]
; %bb.2027:
	v_bfe_u32 v4, v3, 20, 1
	s_mov_b32 s6, 0x407ffff
	v_add3_u32 v3, v3, v4, s6
	v_lshrrev_b32_e32 v4, 20, v3
	v_and_b32_e32 v3, 0xff00000, v3
	s_mov_b32 s6, 0x7f00000
	v_mov_b32_e32 v5, 0x7e
	v_cmp_ne_u32_e32 vcc, s6, v3
	v_cndmask_b32_e32 v4, v5, v4, vcc
                                        ; implicit-def: $vgpr3
; %bb.2028:
	s_andn2_saveexec_b64 s[4:5], s[4:5]
; %bb.2029:
	v_add_f32_e32 v4, 0x46800000, v3
; %bb.2030:
	s_or_b64 exec, exec, s[4:5]
                                        ; implicit-def: $vgpr3
.LBB7_2031:
	s_andn2_saveexec_b64 s[2:3], s[2:3]
; %bb.2032:
	s_mov_b32 s4, 0x7f800000
	v_mov_b32_e32 v4, 0x7e
	v_mov_b32_e32 v5, 0x7f
	v_cmp_lt_u32_e32 vcc, s4, v3
	v_cndmask_b32_e32 v4, v4, v5, vcc
; %bb.2033:
	s_or_b64 exec, exec, s[2:3]
	global_store_byte v[0:1], v4, off
.LBB7_2034:
	s_mov_b64 s[2:3], 0
.LBB7_2035:
	s_andn2_b64 vcc, exec, s[2:3]
	s_cbranch_vccnz .LBB7_2045
; %bb.2036:
	v_cvt_f32_ubyte0_e32 v3, v2
	s_mov_b32 s2, 0x47800000
	v_cmp_gt_u32_e32 vcc, s2, v3
                                        ; implicit-def: $vgpr4
	s_and_saveexec_b64 s[2:3], vcc
	s_xor_b64 s[2:3], exec, s[2:3]
	s_cbranch_execz .LBB7_2042
; %bb.2037:
	s_mov_b32 s4, 0x387fffff
	v_cmp_lt_u32_e32 vcc, s4, v3
                                        ; implicit-def: $vgpr4
	s_and_saveexec_b64 s[4:5], vcc
	s_xor_b64 s[4:5], exec, s[4:5]
; %bb.2038:
	v_bfe_u32 v4, v3, 21, 1
	s_mov_b32 s6, 0x80fffff
	v_add3_u32 v3, v3, v4, s6
	v_lshrrev_b32_e32 v4, 21, v3
                                        ; implicit-def: $vgpr3
; %bb.2039:
	s_andn2_saveexec_b64 s[4:5], s[4:5]
; %bb.2040:
	v_add_f32_e32 v4, 0x43000000, v3
; %bb.2041:
	s_or_b64 exec, exec, s[4:5]
                                        ; implicit-def: $vgpr3
.LBB7_2042:
	s_andn2_saveexec_b64 s[2:3], s[2:3]
; %bb.2043:
	s_mov_b32 s4, 0x7f800000
	v_mov_b32_e32 v4, 0x7c
	v_mov_b32_e32 v5, 0x7f
	v_cmp_lt_u32_e32 vcc, s4, v3
	v_cndmask_b32_e32 v4, v4, v5, vcc
; %bb.2044:
	s_or_b64 exec, exec, s[2:3]
	global_store_byte v[0:1], v4, off
.LBB7_2045:
	s_mov_b64 s[2:3], 0
.LBB7_2046:
	s_andn2_b64 vcc, exec, s[2:3]
	s_mov_b64 s[2:3], 0
	s_cbranch_vccnz .LBB7_2053
; %bb.2047:
	s_cmp_gt_i32 s18, 14
	s_mov_b64 s[4:5], -1
	s_cbranch_scc0 .LBB7_2051
; %bb.2048:
	s_cmp_eq_u32 s18, 15
	s_mov_b64 s[0:1], -1
	s_cbranch_scc0 .LBB7_2050
; %bb.2049:
	v_cvt_f32_ubyte0_e32 v3, v2
	v_bfe_u32 v4, v3, 16, 1
	s_movk_i32 s0, 0x7fff
	v_add3_u32 v3, v3, v4, s0
	global_store_short_d16_hi v[0:1], v3, off
	s_mov_b64 s[0:1], 0
.LBB7_2050:
	s_mov_b64 s[4:5], 0
.LBB7_2051:
	s_and_b64 vcc, exec, s[4:5]
	s_cbranch_vccz .LBB7_2053
; %bb.2052:
	s_cmp_lg_u32 s18, 11
	s_mov_b64 s[2:3], -1
	s_cselect_b64 s[0:1], -1, 0
.LBB7_2053:
	s_and_b64 vcc, exec, s[0:1]
	s_cbranch_vccnz .LBB7_2119
.LBB7_2054:
	s_mov_b64 s[0:1], 0
	s_branch .LBB7_2056
.LBB7_2055:
	s_mov_b64 s[0:1], 0
	s_mov_b64 s[2:3], 0
                                        ; implicit-def: $vgpr0_vgpr1
                                        ; implicit-def: $sgpr16
                                        ; implicit-def: $vgpr2
.LBB7_2056:
	s_and_b64 s[6:7], s[2:3], exec
	s_andn2_b64 s[2:3], s[28:29], exec
	s_and_b64 s[4:5], s[12:13], exec
	s_and_b64 s[0:1], s[0:1], exec
	s_or_b64 s[28:29], s[2:3], s[4:5]
.LBB7_2057:
	s_or_b64 exec, exec, s[30:31]
	s_and_saveexec_b64 s[2:3], s[28:29]
	s_cbranch_execz .LBB7_2060
; %bb.2058:
	; divergent unreachable
	s_or_b64 exec, exec, s[2:3]
	s_and_saveexec_b64 s[2:3], s[6:7]
	s_xor_b64 s[2:3], exec, s[2:3]
	s_cbranch_execnz .LBB7_2061
.LBB7_2059:
	s_or_b64 exec, exec, s[2:3]
	s_and_saveexec_b64 s[2:3], s[0:1]
	s_cbranch_execnz .LBB7_2062
	s_branch .LBB7_2099
.LBB7_2060:
	s_or_b64 exec, exec, s[2:3]
	s_and_saveexec_b64 s[2:3], s[6:7]
	s_xor_b64 s[2:3], exec, s[2:3]
	s_cbranch_execz .LBB7_2059
.LBB7_2061:
	s_waitcnt vmcnt(0)
	v_mov_b32_e32 v3, 0
	v_cmp_ne_u16_sdwa s[4:5], v2, v3 src0_sel:BYTE_0 src1_sel:DWORD
	v_cndmask_b32_e64 v3, 0, 1, s[4:5]
	global_store_byte v[0:1], v3, off
	s_or_b64 exec, exec, s[2:3]
	s_and_saveexec_b64 s[2:3], s[0:1]
	s_cbranch_execz .LBB7_2099
.LBB7_2062:
	s_sext_i32_i16 s2, s16
	s_cmp_lt_i32 s2, 5
	s_mov_b64 s[0:1], -1
	s_cbranch_scc1 .LBB7_2083
; %bb.2063:
	s_cmp_lt_i32 s2, 8
	s_cbranch_scc1 .LBB7_2073
; %bb.2064:
	s_cmp_lt_i32 s2, 9
	s_cbranch_scc1 .LBB7_2070
; %bb.2065:
	s_cmp_gt_i32 s2, 9
	s_cbranch_scc0 .LBB7_2067
; %bb.2066:
	s_mov_b32 s0, 0xffff
	s_waitcnt vmcnt(0)
	v_and_b32_sdwa v3, s0, v2 dst_sel:DWORD dst_unused:UNUSED_PAD src0_sel:DWORD src1_sel:BYTE_0
	v_cvt_f64_u32_e32 v[3:4], v3
	v_mov_b32_e32 v5, 0
	v_mov_b32_e32 v6, v5
	s_mov_b64 s[0:1], 0
	global_store_dwordx4 v[0:1], v[3:6], off
.LBB7_2067:
	s_andn2_b64 vcc, exec, s[0:1]
	s_cbranch_vccnz .LBB7_2069
; %bb.2068:
	s_waitcnt vmcnt(0)
	v_cvt_f32_ubyte0_e32 v3, v2
	v_mov_b32_e32 v4, 0
	global_store_dwordx2 v[0:1], v[3:4], off
.LBB7_2069:
	s_mov_b64 s[0:1], 0
.LBB7_2070:
	s_andn2_b64 vcc, exec, s[0:1]
	s_cbranch_vccnz .LBB7_2072
; %bb.2071:
	s_waitcnt vmcnt(0)
	v_cvt_f16_u16_sdwa v3, v2 dst_sel:DWORD dst_unused:UNUSED_PAD src0_sel:BYTE_0
	global_store_dword v[0:1], v3, off
.LBB7_2072:
	s_mov_b64 s[0:1], 0
.LBB7_2073:
	s_andn2_b64 vcc, exec, s[0:1]
	s_cbranch_vccnz .LBB7_2082
; %bb.2074:
	s_sext_i32_i16 s2, s16
	s_cmp_lt_i32 s2, 6
	s_mov_b64 s[0:1], -1
	s_cbranch_scc1 .LBB7_2080
; %bb.2075:
	s_cmp_gt_i32 s2, 6
	s_cbranch_scc0 .LBB7_2077
; %bb.2076:
	s_mov_b32 s0, 0xffff
	s_waitcnt vmcnt(0)
	v_and_b32_sdwa v3, s0, v2 dst_sel:DWORD dst_unused:UNUSED_PAD src0_sel:DWORD src1_sel:BYTE_0
	v_cvt_f64_u32_e32 v[3:4], v3
	s_mov_b64 s[0:1], 0
	global_store_dwordx2 v[0:1], v[3:4], off
.LBB7_2077:
	s_andn2_b64 vcc, exec, s[0:1]
	s_cbranch_vccnz .LBB7_2079
; %bb.2078:
	s_waitcnt vmcnt(0)
	v_cvt_f32_ubyte0_e32 v3, v2
	global_store_dword v[0:1], v3, off
.LBB7_2079:
	s_mov_b64 s[0:1], 0
.LBB7_2080:
	s_andn2_b64 vcc, exec, s[0:1]
	s_cbranch_vccnz .LBB7_2082
; %bb.2081:
	s_waitcnt vmcnt(0)
	v_cvt_f16_u16_sdwa v3, v2 dst_sel:DWORD dst_unused:UNUSED_PAD src0_sel:BYTE_0
	global_store_short v[0:1], v3, off
.LBB7_2082:
	s_mov_b64 s[0:1], 0
.LBB7_2083:
	s_andn2_b64 vcc, exec, s[0:1]
	s_cbranch_vccnz .LBB7_2099
; %bb.2084:
	s_sext_i32_i16 s2, s16
	s_cmp_lt_i32 s2, 2
	s_mov_b64 s[0:1], -1
	s_cbranch_scc1 .LBB7_2094
; %bb.2085:
	s_cmp_lt_i32 s2, 3
	s_cbranch_scc1 .LBB7_2091
; %bb.2086:
	s_cmp_gt_i32 s2, 3
	s_cbranch_scc0 .LBB7_2088
; %bb.2087:
	s_waitcnt vmcnt(0)
	v_and_b32_e32 v3, 0xff, v2
	v_mov_b32_e32 v4, 0
	global_store_dwordx2 v[0:1], v[3:4], off
	s_mov_b64 s[0:1], 0
.LBB7_2088:
	s_andn2_b64 vcc, exec, s[0:1]
	s_cbranch_vccnz .LBB7_2090
; %bb.2089:
	s_waitcnt vmcnt(0)
	v_and_b32_e32 v3, 0xff, v2
	global_store_dword v[0:1], v3, off
.LBB7_2090:
	s_mov_b64 s[0:1], 0
.LBB7_2091:
	s_andn2_b64 vcc, exec, s[0:1]
	s_cbranch_vccnz .LBB7_2093
; %bb.2092:
	s_waitcnt vmcnt(0)
	v_and_b32_e32 v3, 0xff, v2
	global_store_short v[0:1], v3, off
.LBB7_2093:
	s_mov_b64 s[0:1], 0
.LBB7_2094:
	s_andn2_b64 vcc, exec, s[0:1]
	s_cbranch_vccnz .LBB7_2099
; %bb.2095:
	s_sext_i32_i16 s0, s16
	s_cmp_gt_i32 s0, 0
	s_mov_b64 s[0:1], -1
	s_cbranch_scc0 .LBB7_2097
; %bb.2096:
	global_store_byte v[0:1], v2, off
	s_mov_b64 s[0:1], 0
.LBB7_2097:
	s_andn2_b64 vcc, exec, s[0:1]
	s_cbranch_vccnz .LBB7_2099
; %bb.2098:
	global_store_byte v[0:1], v2, off
	s_endpgm
.LBB7_2099:
	s_endpgm
.LBB7_2100:
	s_mov_b64 s[2:3], 0
	s_mov_b64 s[0:1], -1
	s_branch .LBB7_2056
.LBB7_2101:
	s_trap 2
	s_or_b64 s[12:13], s[12:13], exec
	s_cbranch_execz .LBB7_1570
	s_branch .LBB7_1571
.LBB7_2102:
	s_andn2_saveexec_b64 s[14:15], s[14:15]
	s_cbranch_execz .LBB7_1650
.LBB7_2103:
	v_add_f32_e32 v3, 0x46000000, v7
	v_and_b32_e32 v3, 0xff, v3
	v_cmp_ne_u32_e32 vcc, 0, v3
	s_andn2_b64 s[10:11], s[10:11], exec
	s_and_b64 s[20:21], vcc, exec
	s_or_b64 s[10:11], s[10:11], s[20:21]
	s_or_b64 exec, exec, s[14:15]
	v_mov_b32_e32 v11, 0
	s_and_saveexec_b64 s[14:15], s[10:11]
	s_cbranch_execnz .LBB7_1651
	s_branch .LBB7_1652
.LBB7_2104:
	s_trap 2
	s_or_b64 s[12:13], s[12:13], exec
	s_cbranch_execz .LBB7_1698
	s_branch .LBB7_1699
.LBB7_2105:
	s_andn2_saveexec_b64 s[10:11], s[10:11]
	s_cbranch_execz .LBB7_1663
.LBB7_2106:
	v_add_f32_e32 v3, 0x42800000, v7
	v_and_b32_e32 v3, 0xff, v3
	v_cmp_ne_u32_e32 vcc, 0, v3
	s_andn2_b64 s[6:7], s[6:7], exec
	s_and_b64 s[14:15], vcc, exec
	s_or_b64 s[6:7], s[6:7], s[14:15]
	s_or_b64 exec, exec, s[10:11]
	v_mov_b32_e32 v11, 0
	s_and_saveexec_b64 s[10:11], s[6:7]
	s_cbranch_execnz .LBB7_1664
	s_branch .LBB7_1665
.LBB7_2107:
	s_andn2_saveexec_b64 s[14:15], s[14:15]
	s_cbranch_execz .LBB7_1769
.LBB7_2108:
	v_add_f32_e32 v5, 0x46000000, v6
	v_and_b32_e32 v5, 0xff, v5
	v_cmp_ne_u32_e32 vcc, 0, v5
	s_andn2_b64 s[10:11], s[10:11], exec
	s_and_b64 s[20:21], vcc, exec
	s_or_b64 s[10:11], s[10:11], s[20:21]
	s_or_b64 exec, exec, s[14:15]
	v_mov_b32_e32 v7, 0
	s_and_saveexec_b64 s[14:15], s[10:11]
	s_cbranch_execnz .LBB7_1770
	s_branch .LBB7_1771
.LBB7_2109:
	s_trap 2
	s_or_b64 s[12:13], s[12:13], exec
	s_cbranch_execz .LBB7_1817
	s_branch .LBB7_1818
.LBB7_2110:
	s_andn2_saveexec_b64 s[10:11], s[10:11]
	s_cbranch_execz .LBB7_1782
.LBB7_2111:
	v_add_f32_e32 v5, 0x42800000, v6
	v_and_b32_e32 v5, 0xff, v5
	v_cmp_ne_u32_e32 vcc, 0, v5
	s_andn2_b64 s[6:7], s[6:7], exec
	s_and_b64 s[14:15], vcc, exec
	s_or_b64 s[6:7], s[6:7], s[14:15]
	s_or_b64 exec, exec, s[10:11]
	v_mov_b32_e32 v7, 0
	s_and_saveexec_b64 s[10:11], s[6:7]
	s_cbranch_execnz .LBB7_1783
	s_branch .LBB7_1784
.LBB7_2112:
	s_andn2_saveexec_b64 s[14:15], s[14:15]
	s_cbranch_execz .LBB7_1888
.LBB7_2113:
	v_add_f32_e32 v4, 0x46000000, v5
	v_and_b32_e32 v4, 0xff, v4
	v_cmp_ne_u32_e32 vcc, 0, v4
	s_andn2_b64 s[10:11], s[10:11], exec
	s_and_b64 s[20:21], vcc, exec
	s_or_b64 s[10:11], s[10:11], s[20:21]
	s_or_b64 exec, exec, s[14:15]
	v_mov_b32_e32 v6, 0
	s_and_saveexec_b64 s[14:15], s[10:11]
	s_cbranch_execnz .LBB7_1889
	s_branch .LBB7_1890
.LBB7_2114:
	s_trap 2
	s_or_b64 s[12:13], s[12:13], exec
	s_cbranch_execz .LBB7_1936
	s_branch .LBB7_1937
.LBB7_2115:
	s_andn2_saveexec_b64 s[10:11], s[10:11]
	s_cbranch_execz .LBB7_1901
.LBB7_2116:
	v_add_f32_e32 v4, 0x42800000, v5
	v_and_b32_e32 v4, 0xff, v4
	v_cmp_ne_u32_e32 vcc, 0, v4
	s_andn2_b64 s[6:7], s[6:7], exec
	s_and_b64 s[14:15], vcc, exec
	s_or_b64 s[6:7], s[6:7], s[14:15]
	s_or_b64 exec, exec, s[10:11]
	v_mov_b32_e32 v6, 0
	s_and_saveexec_b64 s[10:11], s[6:7]
	s_cbranch_execnz .LBB7_1902
	s_branch .LBB7_1903
.LBB7_2117:
	s_andn2_saveexec_b64 s[8:9], s[8:9]
	s_cbranch_execz .LBB7_2008
.LBB7_2118:
	v_add_f32_e32 v3, 0x46000000, v4
	v_and_b32_e32 v3, 0xff, v3
	v_cmp_ne_u32_e32 vcc, 0, v3
	s_andn2_b64 s[6:7], s[6:7], exec
	s_and_b64 s[10:11], vcc, exec
	s_or_b64 s[6:7], s[6:7], s[10:11]
	s_or_b64 exec, exec, s[8:9]
	v_mov_b32_e32 v5, 0
	s_and_saveexec_b64 s[8:9], s[6:7]
	s_cbranch_execnz .LBB7_2009
	s_branch .LBB7_2010
.LBB7_2119:
	s_mov_b64 s[2:3], 0
	s_or_b64 s[12:13], s[12:13], exec
	s_trap 2
	s_branch .LBB7_2054
.LBB7_2120:
	s_andn2_saveexec_b64 s[6:7], s[6:7]
	s_cbranch_execz .LBB7_2020
.LBB7_2121:
	v_add_f32_e32 v3, 0x42800000, v4
	v_and_b32_e32 v3, 0xff, v3
	v_cmp_ne_u32_e32 vcc, 0, v3
	s_andn2_b64 s[4:5], s[4:5], exec
	s_and_b64 s[8:9], vcc, exec
	s_or_b64 s[4:5], s[4:5], s[8:9]
	s_or_b64 exec, exec, s[6:7]
	v_mov_b32_e32 v5, 0
	s_and_saveexec_b64 s[6:7], s[4:5]
	s_cbranch_execnz .LBB7_2021
	s_branch .LBB7_2022
	.section	.rodata,"a",@progbits
	.p2align	6, 0x0
	.amdhsa_kernel _ZN2at6native32elementwise_kernel_manual_unrollILi128ELi4EZNS0_15gpu_kernel_implINS0_13AUnaryFunctorIhhhZNS0_12_GLOBAL__N_121threshold_kernel_implIhEEvRNS_18TensorIteratorBaseET_S8_EUlhhE_EEEEvS7_RKS8_EUlibE0_EEviT1_
		.amdhsa_group_segment_fixed_size 0
		.amdhsa_private_segment_fixed_size 0
		.amdhsa_kernarg_size 360
		.amdhsa_user_sgpr_count 6
		.amdhsa_user_sgpr_private_segment_buffer 1
		.amdhsa_user_sgpr_dispatch_ptr 0
		.amdhsa_user_sgpr_queue_ptr 0
		.amdhsa_user_sgpr_kernarg_segment_ptr 1
		.amdhsa_user_sgpr_dispatch_id 0
		.amdhsa_user_sgpr_flat_scratch_init 0
		.amdhsa_user_sgpr_private_segment_size 0
		.amdhsa_uses_dynamic_stack 0
		.amdhsa_system_sgpr_private_segment_wavefront_offset 0
		.amdhsa_system_sgpr_workgroup_id_x 1
		.amdhsa_system_sgpr_workgroup_id_y 0
		.amdhsa_system_sgpr_workgroup_id_z 0
		.amdhsa_system_sgpr_workgroup_info 0
		.amdhsa_system_vgpr_workitem_id 0
		.amdhsa_next_free_vgpr 18
		.amdhsa_next_free_sgpr 81
		.amdhsa_reserve_vcc 1
		.amdhsa_reserve_flat_scratch 0
		.amdhsa_float_round_mode_32 0
		.amdhsa_float_round_mode_16_64 0
		.amdhsa_float_denorm_mode_32 3
		.amdhsa_float_denorm_mode_16_64 3
		.amdhsa_dx10_clamp 1
		.amdhsa_ieee_mode 1
		.amdhsa_fp16_overflow 0
		.amdhsa_exception_fp_ieee_invalid_op 0
		.amdhsa_exception_fp_denorm_src 0
		.amdhsa_exception_fp_ieee_div_zero 0
		.amdhsa_exception_fp_ieee_overflow 0
		.amdhsa_exception_fp_ieee_underflow 0
		.amdhsa_exception_fp_ieee_inexact 0
		.amdhsa_exception_int_div_zero 0
	.end_amdhsa_kernel
	.section	.text._ZN2at6native32elementwise_kernel_manual_unrollILi128ELi4EZNS0_15gpu_kernel_implINS0_13AUnaryFunctorIhhhZNS0_12_GLOBAL__N_121threshold_kernel_implIhEEvRNS_18TensorIteratorBaseET_S8_EUlhhE_EEEEvS7_RKS8_EUlibE0_EEviT1_,"axG",@progbits,_ZN2at6native32elementwise_kernel_manual_unrollILi128ELi4EZNS0_15gpu_kernel_implINS0_13AUnaryFunctorIhhhZNS0_12_GLOBAL__N_121threshold_kernel_implIhEEvRNS_18TensorIteratorBaseET_S8_EUlhhE_EEEEvS7_RKS8_EUlibE0_EEviT1_,comdat
.Lfunc_end7:
	.size	_ZN2at6native32elementwise_kernel_manual_unrollILi128ELi4EZNS0_15gpu_kernel_implINS0_13AUnaryFunctorIhhhZNS0_12_GLOBAL__N_121threshold_kernel_implIhEEvRNS_18TensorIteratorBaseET_S8_EUlhhE_EEEEvS7_RKS8_EUlibE0_EEviT1_, .Lfunc_end7-_ZN2at6native32elementwise_kernel_manual_unrollILi128ELi4EZNS0_15gpu_kernel_implINS0_13AUnaryFunctorIhhhZNS0_12_GLOBAL__N_121threshold_kernel_implIhEEvRNS_18TensorIteratorBaseET_S8_EUlhhE_EEEEvS7_RKS8_EUlibE0_EEviT1_
                                        ; -- End function
	.set _ZN2at6native32elementwise_kernel_manual_unrollILi128ELi4EZNS0_15gpu_kernel_implINS0_13AUnaryFunctorIhhhZNS0_12_GLOBAL__N_121threshold_kernel_implIhEEvRNS_18TensorIteratorBaseET_S8_EUlhhE_EEEEvS7_RKS8_EUlibE0_EEviT1_.num_vgpr, 18
	.set _ZN2at6native32elementwise_kernel_manual_unrollILi128ELi4EZNS0_15gpu_kernel_implINS0_13AUnaryFunctorIhhhZNS0_12_GLOBAL__N_121threshold_kernel_implIhEEvRNS_18TensorIteratorBaseET_S8_EUlhhE_EEEEvS7_RKS8_EUlibE0_EEviT1_.num_agpr, 0
	.set _ZN2at6native32elementwise_kernel_manual_unrollILi128ELi4EZNS0_15gpu_kernel_implINS0_13AUnaryFunctorIhhhZNS0_12_GLOBAL__N_121threshold_kernel_implIhEEvRNS_18TensorIteratorBaseET_S8_EUlhhE_EEEEvS7_RKS8_EUlibE0_EEviT1_.numbered_sgpr, 81
	.set _ZN2at6native32elementwise_kernel_manual_unrollILi128ELi4EZNS0_15gpu_kernel_implINS0_13AUnaryFunctorIhhhZNS0_12_GLOBAL__N_121threshold_kernel_implIhEEvRNS_18TensorIteratorBaseET_S8_EUlhhE_EEEEvS7_RKS8_EUlibE0_EEviT1_.num_named_barrier, 0
	.set _ZN2at6native32elementwise_kernel_manual_unrollILi128ELi4EZNS0_15gpu_kernel_implINS0_13AUnaryFunctorIhhhZNS0_12_GLOBAL__N_121threshold_kernel_implIhEEvRNS_18TensorIteratorBaseET_S8_EUlhhE_EEEEvS7_RKS8_EUlibE0_EEviT1_.private_seg_size, 0
	.set _ZN2at6native32elementwise_kernel_manual_unrollILi128ELi4EZNS0_15gpu_kernel_implINS0_13AUnaryFunctorIhhhZNS0_12_GLOBAL__N_121threshold_kernel_implIhEEvRNS_18TensorIteratorBaseET_S8_EUlhhE_EEEEvS7_RKS8_EUlibE0_EEviT1_.uses_vcc, 1
	.set _ZN2at6native32elementwise_kernel_manual_unrollILi128ELi4EZNS0_15gpu_kernel_implINS0_13AUnaryFunctorIhhhZNS0_12_GLOBAL__N_121threshold_kernel_implIhEEvRNS_18TensorIteratorBaseET_S8_EUlhhE_EEEEvS7_RKS8_EUlibE0_EEviT1_.uses_flat_scratch, 0
	.set _ZN2at6native32elementwise_kernel_manual_unrollILi128ELi4EZNS0_15gpu_kernel_implINS0_13AUnaryFunctorIhhhZNS0_12_GLOBAL__N_121threshold_kernel_implIhEEvRNS_18TensorIteratorBaseET_S8_EUlhhE_EEEEvS7_RKS8_EUlibE0_EEviT1_.has_dyn_sized_stack, 0
	.set _ZN2at6native32elementwise_kernel_manual_unrollILi128ELi4EZNS0_15gpu_kernel_implINS0_13AUnaryFunctorIhhhZNS0_12_GLOBAL__N_121threshold_kernel_implIhEEvRNS_18TensorIteratorBaseET_S8_EUlhhE_EEEEvS7_RKS8_EUlibE0_EEviT1_.has_recursion, 0
	.set _ZN2at6native32elementwise_kernel_manual_unrollILi128ELi4EZNS0_15gpu_kernel_implINS0_13AUnaryFunctorIhhhZNS0_12_GLOBAL__N_121threshold_kernel_implIhEEvRNS_18TensorIteratorBaseET_S8_EUlhhE_EEEEvS7_RKS8_EUlibE0_EEviT1_.has_indirect_call, 0
	.section	.AMDGPU.csdata,"",@progbits
; Kernel info:
; codeLenInByte = 38760
; TotalNumSgprs: 85
; NumVgprs: 18
; ScratchSize: 0
; MemoryBound: 1
; FloatMode: 240
; IeeeMode: 1
; LDSByteSize: 0 bytes/workgroup (compile time only)
; SGPRBlocks: 10
; VGPRBlocks: 4
; NumSGPRsForWavesPerEU: 85
; NumVGPRsForWavesPerEU: 18
; Occupancy: 9
; WaveLimiterHint : 1
; COMPUTE_PGM_RSRC2:SCRATCH_EN: 0
; COMPUTE_PGM_RSRC2:USER_SGPR: 6
; COMPUTE_PGM_RSRC2:TRAP_HANDLER: 0
; COMPUTE_PGM_RSRC2:TGID_X_EN: 1
; COMPUTE_PGM_RSRC2:TGID_Y_EN: 0
; COMPUTE_PGM_RSRC2:TGID_Z_EN: 0
; COMPUTE_PGM_RSRC2:TIDIG_COMP_CNT: 0
	.section	.text._ZN2at6native29vectorized_elementwise_kernelILi16ENS0_13BUnaryFunctorIhhhZNS0_12_GLOBAL__N_121threshold_kernel_implIhEEvRNS_18TensorIteratorBaseET_S7_EUlhhE_EESt5arrayIPcLm2EEEEviT0_T1_,"axG",@progbits,_ZN2at6native29vectorized_elementwise_kernelILi16ENS0_13BUnaryFunctorIhhhZNS0_12_GLOBAL__N_121threshold_kernel_implIhEEvRNS_18TensorIteratorBaseET_S7_EUlhhE_EESt5arrayIPcLm2EEEEviT0_T1_,comdat
	.globl	_ZN2at6native29vectorized_elementwise_kernelILi16ENS0_13BUnaryFunctorIhhhZNS0_12_GLOBAL__N_121threshold_kernel_implIhEEvRNS_18TensorIteratorBaseET_S7_EUlhhE_EESt5arrayIPcLm2EEEEviT0_T1_ ; -- Begin function _ZN2at6native29vectorized_elementwise_kernelILi16ENS0_13BUnaryFunctorIhhhZNS0_12_GLOBAL__N_121threshold_kernel_implIhEEvRNS_18TensorIteratorBaseET_S7_EUlhhE_EESt5arrayIPcLm2EEEEviT0_T1_
	.p2align	8
	.type	_ZN2at6native29vectorized_elementwise_kernelILi16ENS0_13BUnaryFunctorIhhhZNS0_12_GLOBAL__N_121threshold_kernel_implIhEEvRNS_18TensorIteratorBaseET_S7_EUlhhE_EESt5arrayIPcLm2EEEEviT0_T1_,@function
_ZN2at6native29vectorized_elementwise_kernelILi16ENS0_13BUnaryFunctorIhhhZNS0_12_GLOBAL__N_121threshold_kernel_implIhEEvRNS_18TensorIteratorBaseET_S7_EUlhhE_EESt5arrayIPcLm2EEEEviT0_T1_: ; @_ZN2at6native29vectorized_elementwise_kernelILi16ENS0_13BUnaryFunctorIhhhZNS0_12_GLOBAL__N_121threshold_kernel_implIhEEvRNS_18TensorIteratorBaseET_S7_EUlhhE_EESt5arrayIPcLm2EEEEviT0_T1_
; %bb.0:
	v_mov_b32_e32 v1, 0
	global_load_ubyte v2, v1, s[4:5] offset:6
	global_load_ushort v4, v1, s[4:5] offset:4
	s_load_dword s0, s[4:5], 0x0
	s_load_dwordx4 s[28:31], s[4:5], 0x8
	s_lshl_b32 s54, s6, 12
	s_waitcnt lgkmcnt(0)
	s_sub_i32 s33, s0, s54
	s_cmpk_gt_i32 s33, 0xfff
	s_mov_b64 s[0:1], -1
	s_waitcnt vmcnt(1)
	v_lshlrev_b32_e32 v1, 16, v2
	s_waitcnt vmcnt(0)
	v_or_b32_e32 v3, v4, v1
	s_cbranch_scc0 .LBB8_2
; %bb.1:
	s_ashr_i32 s2, s54, 31
	s_add_u32 s0, s30, s54
	s_addc_u32 s1, s31, s2
	v_lshlrev_b32_e32 v1, 4, v0
	global_load_dwordx4 v[5:8], v1, s[0:1]
	s_movk_i32 s3, 0xff
	s_add_u32 s0, s28, s54
	s_addc_u32 s1, s29, s2
	s_mov_b32 s10, 0xc0c0004
	s_waitcnt vmcnt(0)
	v_and_b32_sdwa v2, v5, s3 dst_sel:DWORD dst_unused:UNUSED_PAD src0_sel:WORD_1 src1_sel:DWORD
	v_and_b32_sdwa v9, v6, s3 dst_sel:DWORD dst_unused:UNUSED_PAD src0_sel:WORD_1 src1_sel:DWORD
	;; [unrolled: 1-line block ×4, first 2 shown]
	v_cmp_le_u16_sdwa s[2:3], v5, v4 src0_sel:BYTE_1 src1_sel:BYTE_0
	v_cndmask_b32_e64 v12, 16, 8, s[2:3]
	v_cmp_le_u16_sdwa s[2:3], v5, v4 src0_sel:BYTE_0 src1_sel:BYTE_0
	v_cndmask_b32_e64 v13, 16, 8, s[2:3]
	v_cmp_le_u16_sdwa s[2:3], v5, v4 src0_sel:BYTE_3 src1_sel:BYTE_0
	v_cndmask_b32_e64 v5, 16, 8, s[2:3]
	v_cmp_le_u16_sdwa s[2:3], v6, v4 src0_sel:BYTE_0 src1_sel:BYTE_0
	v_cndmask_b32_e64 v14, 16, 8, s[2:3]
	v_cmp_le_u16_sdwa s[2:3], v6, v4 src0_sel:BYTE_1 src1_sel:BYTE_0
	v_cndmask_b32_e64 v15, 16, 8, s[2:3]
	v_cmp_le_u16_sdwa s[2:3], v6, v4 src0_sel:BYTE_3 src1_sel:BYTE_0
	v_cndmask_b32_e64 v6, 16, 8, s[2:3]
	v_cmp_le_u16_sdwa s[2:3], v7, v4 src0_sel:BYTE_0 src1_sel:BYTE_0
	v_cndmask_b32_e64 v16, 16, 8, s[2:3]
	v_cmp_le_u16_sdwa s[2:3], v7, v4 src0_sel:BYTE_1 src1_sel:BYTE_0
	v_cndmask_b32_e64 v17, 16, 8, s[2:3]
	v_cmp_le_u16_sdwa s[2:3], v8, v4 src0_sel:BYTE_0 src1_sel:BYTE_0
	v_cmp_le_u16_sdwa s[4:5], v8, v4 src0_sel:BYTE_1 src1_sel:BYTE_0
	v_cmp_le_u16_sdwa s[6:7], v8, v4 src0_sel:BYTE_3 src1_sel:BYTE_0
	v_cndmask_b32_e64 v8, 16, 8, s[2:3]
	v_cmp_le_u16_sdwa s[2:3], v2, v4 src0_sel:DWORD src1_sel:BYTE_0
	v_cndmask_b32_e64 v2, 16, 8, s[2:3]
	v_cmp_le_u16_sdwa s[2:3], v9, v4 src0_sel:DWORD src1_sel:BYTE_0
	;; [unrolled: 2-line block ×3, first 2 shown]
	v_cmp_le_u16_sdwa s[8:9], v7, v4 src0_sel:BYTE_3 src1_sel:BYTE_0
	v_cndmask_b32_e64 v10, 16, 8, s[2:3]
	v_cmp_le_u16_sdwa s[2:3], v11, v4 src0_sel:DWORD src1_sel:BYTE_0
	v_cndmask_b32_e64 v7, 16, 8, s[8:9]
	v_cndmask_b32_e64 v18, 16, 8, s[4:5]
	;; [unrolled: 1-line block ×4, first 2 shown]
	v_lshrrev_b32_sdwa v5, v5, v3 dst_sel:BYTE_1 dst_unused:UNUSED_PAD src0_sel:DWORD src1_sel:DWORD
	v_lshrrev_b32_e32 v13, v13, v3
	v_lshrrev_b32_sdwa v12, v12, v3 dst_sel:BYTE_1 dst_unused:UNUSED_PAD src0_sel:DWORD src1_sel:DWORD
	v_lshrrev_b32_e32 v6, v6, v3
	v_lshrrev_b32_e32 v15, v15, v3
	;; [unrolled: 1-line block ×13, first 2 shown]
	v_or_b32_sdwa v12, v13, v12 dst_sel:DWORD dst_unused:UNUSED_PAD src0_sel:BYTE_0 src1_sel:DWORD
	v_perm_b32 v13, v14, v15, s10
	v_perm_b32 v14, v16, v17, s10
	;; [unrolled: 1-line block ×3, first 2 shown]
	v_or_b32_sdwa v2, v2, v5 dst_sel:WORD_1 dst_unused:UNUSED_PAD src0_sel:BYTE_0 src1_sel:DWORD
	v_perm_b32 v6, v9, v6, s10
	v_perm_b32 v7, v10, v7, s10
	;; [unrolled: 1-line block ×3, first 2 shown]
	v_or_b32_sdwa v5, v12, v2 dst_sel:DWORD dst_unused:UNUSED_PAD src0_sel:WORD_0 src1_sel:DWORD
	v_lshl_or_b32 v6, v6, 16, v13
	v_lshl_or_b32 v7, v7, 16, v14
	;; [unrolled: 1-line block ×3, first 2 shown]
	global_store_dwordx4 v1, v[5:8], s[0:1]
	s_mov_b64 s[0:1], 0
.LBB8_2:
	s_andn2_b64 vcc, exec, s[0:1]
	s_cbranch_vccnz .LBB8_52
; %bb.3:
	v_cmp_gt_i32_e32 vcc, s33, v0
	v_or_b32_e32 v7, 0x100, v0
	v_mov_b32_e32 v22, 0
	v_mov_b32_e32 v6, 8
	v_or_b32_e32 v5, s54, v0
	v_mov_b32_e32 v21, 0
	v_mov_b32_e32 v20, 0
	;; [unrolled: 1-line block ×14, first 2 shown]
	s_and_saveexec_b64 s[2:3], vcc
	s_cbranch_execz .LBB8_35
; %bb.4:
	global_load_ubyte v8, v5, s[30:31]
	v_cmp_gt_u32_e64 s[0:1], s33, v7
	v_mov_b32_e32 v6, 8
	v_mov_b32_e32 v10, 0
	;; [unrolled: 1-line block ×15, first 2 shown]
	s_and_saveexec_b64 s[4:5], s[0:1]
	s_cbranch_execz .LBB8_34
; %bb.5:
	v_add_u32_e32 v1, s54, v0
	global_load_ubyte v10, v1, s[30:31] offset:256
	v_or_b32_e32 v2, 0x200, v0
	v_mov_b32_e32 v11, 0
	v_cmp_gt_u32_e64 s[0:1], s33, v2
	v_mov_b32_e32 v6, 8
	v_mov_b32_e32 v9, 0
	;; [unrolled: 1-line block ×13, first 2 shown]
	s_and_saveexec_b64 s[6:7], s[0:1]
	s_cbranch_execz .LBB8_33
; %bb.6:
	v_mov_b32_e32 v2, s31
	v_add_co_u32_e64 v1, s[0:1], s30, v1
	v_addc_co_u32_e64 v2, s[0:1], 0, v2, s[0:1]
	global_load_ubyte v11, v[1:2], off offset:512
	v_or_b32_e32 v6, 0x300, v0
	v_cmp_gt_u32_e64 s[0:1], s33, v6
	v_mov_b32_e32 v6, 8
	v_mov_b32_e32 v9, 0
	;; [unrolled: 1-line block ×13, first 2 shown]
	s_and_saveexec_b64 s[8:9], s[0:1]
	s_cbranch_execz .LBB8_32
; %bb.7:
	global_load_ubyte v9, v[1:2], off offset:768
	v_or_b32_e32 v6, 0x400, v0
	v_cmp_gt_u32_e64 s[0:1], s33, v6
	v_mov_b32_e32 v6, 8
	v_mov_b32_e32 v12, 0
	v_mov_b32_e32 v13, 0
	v_mov_b32_e32 v14, 0
	v_mov_b32_e32 v15, 0
	v_mov_b32_e32 v16, 0
	v_mov_b32_e32 v17, 0
	v_mov_b32_e32 v18, 0
	v_mov_b32_e32 v19, 0
	v_mov_b32_e32 v20, 0
	v_mov_b32_e32 v21, 0
	v_mov_b32_e32 v22, 0
	s_and_saveexec_b64 s[10:11], s[0:1]
	s_cbranch_execz .LBB8_31
; %bb.8:
	global_load_ubyte v12, v[1:2], off offset:1024
	v_or_b32_e32 v6, 0x500, v0
	v_cmp_gt_u32_e64 s[0:1], s33, v6
	v_mov_b32_e32 v6, 8
	v_mov_b32_e32 v13, 0
	;; [unrolled: 1-line block ×11, first 2 shown]
	s_and_saveexec_b64 s[12:13], s[0:1]
	s_cbranch_execz .LBB8_30
; %bb.9:
	global_load_ubyte v13, v[1:2], off offset:1280
	v_or_b32_e32 v6, 0x600, v0
	v_cmp_gt_u32_e64 s[0:1], s33, v6
	v_mov_b32_e32 v6, 8
	v_mov_b32_e32 v14, 0
	;; [unrolled: 1-line block ×10, first 2 shown]
	s_and_saveexec_b64 s[14:15], s[0:1]
	s_cbranch_execz .LBB8_29
; %bb.10:
	global_load_ubyte v14, v[1:2], off offset:1536
	v_or_b32_e32 v6, 0x700, v0
	v_cmp_gt_u32_e64 s[0:1], s33, v6
	v_mov_b32_e32 v6, 8
	v_mov_b32_e32 v15, 0
	;; [unrolled: 1-line block ×9, first 2 shown]
	s_and_saveexec_b64 s[16:17], s[0:1]
	s_cbranch_execz .LBB8_28
; %bb.11:
	global_load_ubyte v15, v[1:2], off offset:1792
	v_or_b32_e32 v6, 0x800, v0
	v_cmp_gt_u32_e64 s[0:1], s33, v6
	v_mov_b32_e32 v6, 8
	v_mov_b32_e32 v16, 0
	;; [unrolled: 1-line block ×8, first 2 shown]
	s_and_saveexec_b64 s[18:19], s[0:1]
	s_cbranch_execz .LBB8_27
; %bb.12:
	global_load_ubyte v16, v[1:2], off offset:2048
	v_or_b32_e32 v6, 0x900, v0
	v_cmp_gt_u32_e64 s[0:1], s33, v6
	v_mov_b32_e32 v6, 8
	v_mov_b32_e32 v17, 0
	;; [unrolled: 1-line block ×7, first 2 shown]
	s_and_saveexec_b64 s[20:21], s[0:1]
	s_cbranch_execz .LBB8_26
; %bb.13:
	global_load_ubyte v17, v[1:2], off offset:2304
	v_or_b32_e32 v6, 0xa00, v0
	v_cmp_gt_u32_e64 s[0:1], s33, v6
	v_mov_b32_e32 v6, 8
	v_mov_b32_e32 v18, 0
	;; [unrolled: 1-line block ×6, first 2 shown]
	s_and_saveexec_b64 s[22:23], s[0:1]
	s_cbranch_execz .LBB8_25
; %bb.14:
	global_load_ubyte v18, v[1:2], off offset:2560
	v_or_b32_e32 v6, 0xb00, v0
	v_cmp_gt_u32_e64 s[0:1], s33, v6
	v_mov_b32_e32 v6, 8
	v_mov_b32_e32 v19, 0
	;; [unrolled: 1-line block ×5, first 2 shown]
	s_and_saveexec_b64 s[24:25], s[0:1]
	s_cbranch_execz .LBB8_24
; %bb.15:
	global_load_ubyte v19, v[1:2], off offset:2816
	v_or_b32_e32 v6, 0xc00, v0
	v_cmp_gt_u32_e64 s[0:1], s33, v6
	v_mov_b32_e32 v6, 8
	v_mov_b32_e32 v20, 0
	;; [unrolled: 1-line block ×4, first 2 shown]
	s_and_saveexec_b64 s[26:27], s[0:1]
	s_cbranch_execz .LBB8_23
; %bb.16:
	global_load_ubyte v20, v[1:2], off offset:3072
	v_or_b32_e32 v6, 0xd00, v0
	v_cmp_gt_u32_e64 s[0:1], s33, v6
	v_mov_b32_e32 v6, 8
	v_mov_b32_e32 v21, 0
	;; [unrolled: 1-line block ×3, first 2 shown]
	s_and_saveexec_b64 s[30:31], s[0:1]
	s_cbranch_execz .LBB8_22
; %bb.17:
	global_load_ubyte v21, v[1:2], off offset:3328
	v_or_b32_e32 v6, 0xe00, v0
	v_cmp_gt_u32_e64 s[0:1], s33, v6
	v_mov_b32_e32 v6, 8
	v_mov_b32_e32 v22, 0
	s_and_saveexec_b64 s[34:35], s[0:1]
	s_cbranch_execz .LBB8_21
; %bb.18:
	global_load_ubyte v22, v[1:2], off offset:3584
	v_or_b32_e32 v6, 0xf00, v0
	v_cmp_gt_u32_e64 s[0:1], s33, v6
	v_mov_b32_e32 v6, 8
	s_and_saveexec_b64 s[36:37], s[0:1]
	s_cbranch_execz .LBB8_20
; %bb.19:
	global_load_ubyte v1, v[1:2], off offset:3840
	s_waitcnt vmcnt(0)
	v_cmp_gt_u16_sdwa s[0:1], v1, v4 src0_sel:DWORD src1_sel:BYTE_0
	v_cndmask_b32_e64 v6, 8, 16, s[0:1]
.LBB8_20:
	s_or_b64 exec, exec, s[36:37]
.LBB8_21:
	s_or_b64 exec, exec, s[34:35]
.LBB8_22:
	s_or_b64 exec, exec, s[30:31]
.LBB8_23:
	s_or_b64 exec, exec, s[26:27]
.LBB8_24:
	s_or_b64 exec, exec, s[24:25]
.LBB8_25:
	s_or_b64 exec, exec, s[22:23]
.LBB8_26:
	s_or_b64 exec, exec, s[20:21]
.LBB8_27:
	s_or_b64 exec, exec, s[18:19]
.LBB8_28:
	s_or_b64 exec, exec, s[16:17]
.LBB8_29:
	s_or_b64 exec, exec, s[14:15]
.LBB8_30:
	s_or_b64 exec, exec, s[12:13]
.LBB8_31:
	s_or_b64 exec, exec, s[10:11]
.LBB8_32:
	s_or_b64 exec, exec, s[8:9]
.LBB8_33:
	s_or_b64 exec, exec, s[6:7]
.LBB8_34:
	s_or_b64 exec, exec, s[4:5]
.LBB8_35:
	s_or_b64 exec, exec, s[2:3]
	s_and_saveexec_b64 s[0:1], vcc
	s_cbranch_execz .LBB8_52
; %bb.36:
	s_waitcnt vmcnt(0)
	v_cmp_gt_u16_sdwa s[0:1], v8, v4 src0_sel:BYTE_0 src1_sel:BYTE_0
	v_cndmask_b32_e64 v1, 8, 16, s[0:1]
	v_cmp_gt_u16_sdwa s[0:1], v10, v4 src0_sel:BYTE_0 src1_sel:BYTE_0
	v_bfe_u32 v1, v3, v1, 8
	v_cndmask_b32_e64 v2, 8, 16, s[0:1]
	v_cndmask_b32_e32 v1, 0, v1, vcc
	v_lshrrev_b32_sdwa v2, v2, v3 dst_sel:BYTE_1 dst_unused:UNUSED_PAD src0_sel:DWORD src1_sel:DWORD
	v_or_b32_e32 v2, v1, v2
	v_and_b32_e32 v2, 0xffff, v2
	v_cmp_gt_i32_e64 s[26:27], s33, v7
	v_cmp_gt_u16_sdwa s[0:1], v11, v4 src0_sel:BYTE_0 src1_sel:BYTE_0
	v_cndmask_b32_e64 v1, v1, v2, s[26:27]
	s_movk_i32 s57, 0xff00
	v_cndmask_b32_e64 v7, 8, 16, s[0:1]
	v_and_b32_sdwa v2, v1, s57 dst_sel:DWORD dst_unused:UNUSED_PAD src0_sel:WORD_1 src1_sel:DWORD
	v_lshrrev_b32_e32 v7, v7, v3
	v_or_b32_sdwa v2, v7, v2 dst_sel:WORD_1 dst_unused:UNUSED_PAD src0_sel:BYTE_0 src1_sel:DWORD
	v_or_b32_e32 v7, 0x200, v0
	v_or_b32_e32 v2, v1, v2
	v_cmp_gt_i32_e64 s[20:21], s33, v7
	v_cmp_gt_u16_sdwa s[0:1], v9, v4 src0_sel:BYTE_0 src1_sel:BYTE_0
	s_movk_i32 s55, 0xff
	v_cndmask_b32_e64 v1, v1, v2, s[20:21]
	v_cndmask_b32_e64 v8, 8, 16, s[0:1]
	v_and_b32_sdwa v2, v1, s55 dst_sel:DWORD dst_unused:UNUSED_PAD src0_sel:WORD_1 src1_sel:DWORD
	v_lshrrev_b32_sdwa v8, v8, v3 dst_sel:BYTE_1 dst_unused:UNUSED_PAD src0_sel:DWORD src1_sel:DWORD
	s_mov_b32 s56, 0xffff
	v_or_b32_e32 v7, 0x300, v0
	v_or_b32_sdwa v2, v2, v8 dst_sel:WORD_1 dst_unused:UNUSED_PAD src0_sel:DWORD src1_sel:DWORD
	v_and_or_b32 v2, v1, s56, v2
	v_cmp_gt_i32_e64 s[18:19], s33, v7
	v_cndmask_b32_e64 v9, v1, v2, s[18:19]
	v_or_b32_e32 v1, 0x500, v0
	v_cmp_gt_i32_e64 s[16:17], s33, v1
	v_or_b32_e32 v1, 0x600, v0
	v_cmp_gt_i32_e64 s[14:15], s33, v1
	;; [unrolled: 2-line block ×7, first 2 shown]
	v_or_b32_e32 v1, 0xe00, v0
	v_or_b32_e32 v8, 0x400, v0
	;; [unrolled: 1-line block ×4, first 2 shown]
	v_cmp_gt_i32_e64 s[2:3], s33, v1
	v_or_b32_e32 v1, 0xf00, v0
	v_cmp_gt_u16_sdwa s[50:51], v12, v4 src0_sel:BYTE_0 src1_sel:BYTE_0
	v_cmp_gt_i32_e32 vcc, s33, v8
	v_cmp_gt_u16_sdwa s[52:53], v13, v4 src0_sel:BYTE_0 src1_sel:BYTE_0
	v_cmp_gt_u16_sdwa s[48:49], v14, v4 src0_sel:BYTE_0 src1_sel:BYTE_0
	;; [unrolled: 1-line block ×3, first 2 shown]
	v_cmp_gt_i32_e64 s[24:25], s33, v7
	v_cmp_gt_u16_sdwa s[42:43], v16, v4 src0_sel:BYTE_0 src1_sel:BYTE_0
	v_cmp_gt_u16_sdwa s[44:45], v17, v4 src0_sel:BYTE_0 src1_sel:BYTE_0
	;; [unrolled: 1-line block ×4, first 2 shown]
	v_cmp_gt_i32_e64 s[22:23], s33, v2
	v_cmp_gt_u16_sdwa s[36:37], v20, v4 src0_sel:BYTE_0 src1_sel:BYTE_0
	v_cmp_gt_u16_sdwa s[34:35], v21, v4 src0_sel:BYTE_0 src1_sel:BYTE_0
	;; [unrolled: 1-line block ×3, first 2 shown]
	v_cmp_gt_i32_e64 s[0:1], s33, v1
	global_store_byte v5, v9, s[28:29]
	s_and_b64 exec, exec, s[26:27]
	s_cbranch_execz .LBB8_52
; %bb.37:
	v_cndmask_b32_e64 v1, 8, 16, s[50:51]
	v_lshrrev_b32_e32 v1, v1, v3
	v_and_b32_sdwa v1, s56, v1 dst_sel:DWORD dst_unused:UNUSED_PAD src0_sel:DWORD src1_sel:BYTE_0
	v_cndmask_b32_e64 v4, 8, 16, s[52:53]
	v_cndmask_b32_e32 v1, 0, v1, vcc
	v_lshrrev_b32_sdwa v4, v4, v3 dst_sel:BYTE_1 dst_unused:UNUSED_PAD src0_sel:DWORD src1_sel:DWORD
	v_or_b32_sdwa v4, v1, v4 dst_sel:DWORD dst_unused:UNUSED_PAD src0_sel:BYTE_0 src1_sel:DWORD
	v_and_b32_e32 v4, 0xffff, v4
	v_cndmask_b32_e64 v1, v1, v4, s[16:17]
	v_cndmask_b32_e64 v5, 8, 16, s[48:49]
	v_and_b32_sdwa v4, v1, s57 dst_sel:DWORD dst_unused:UNUSED_PAD src0_sel:WORD_1 src1_sel:DWORD
	v_lshrrev_b32_e32 v5, v5, v3
	v_or_b32_sdwa v4, v5, v4 dst_sel:WORD_1 dst_unused:UNUSED_PAD src0_sel:BYTE_0 src1_sel:DWORD
	v_and_or_b32 v4, v1, s56, v4
	v_cndmask_b32_e64 v1, v1, v4, s[14:15]
	v_cndmask_b32_e64 v5, 8, 16, s[46:47]
	v_and_b32_sdwa v4, v1, s55 dst_sel:DWORD dst_unused:UNUSED_PAD src0_sel:WORD_1 src1_sel:DWORD
	v_lshrrev_b32_sdwa v5, v5, v3 dst_sel:BYTE_1 dst_unused:UNUSED_PAD src0_sel:DWORD src1_sel:DWORD
	v_or_b32_sdwa v4, v4, v5 dst_sel:WORD_1 dst_unused:UNUSED_PAD src0_sel:DWORD src1_sel:DWORD
	v_and_or_b32 v4, v1, s56, v4
	v_cndmask_b32_e64 v5, v1, v4, s[12:13]
	v_cndmask_b32_e64 v1, 8, 16, s[42:43]
	v_bfe_u32 v1, v3, v1, 8
	v_cndmask_b32_e64 v4, 8, 16, s[44:45]
	v_cndmask_b32_e64 v1, 0, v1, s[24:25]
	v_lshrrev_b32_sdwa v4, v4, v3 dst_sel:BYTE_1 dst_unused:UNUSED_PAD src0_sel:DWORD src1_sel:DWORD
	v_or_b32_e32 v4, v1, v4
	v_and_b32_e32 v4, 0xffff, v4
	v_cndmask_b32_e64 v1, v1, v4, s[10:11]
	v_cndmask_b32_e64 v10, 8, 16, s[40:41]
	v_and_b32_sdwa v4, v1, s57 dst_sel:DWORD dst_unused:UNUSED_PAD src0_sel:WORD_1 src1_sel:DWORD
	v_lshrrev_b32_e32 v10, v10, v3
	v_or_b32_sdwa v4, v10, v4 dst_sel:WORD_1 dst_unused:UNUSED_PAD src0_sel:BYTE_0 src1_sel:DWORD
	v_or_b32_e32 v4, v1, v4
	v_cndmask_b32_e64 v1, v1, v4, s[8:9]
	v_cndmask_b32_e64 v10, 8, 16, s[38:39]
	v_and_b32_sdwa v4, v1, s55 dst_sel:DWORD dst_unused:UNUSED_PAD src0_sel:WORD_1 src1_sel:DWORD
	v_lshrrev_b32_sdwa v10, v10, v3 dst_sel:BYTE_1 dst_unused:UNUSED_PAD src0_sel:DWORD src1_sel:DWORD
	v_or_b32_sdwa v4, v4, v10 dst_sel:WORD_1 dst_unused:UNUSED_PAD src0_sel:DWORD src1_sel:DWORD
	v_and_or_b32 v4, v1, s56, v4
	v_cndmask_b32_e64 v4, v1, v4, s[6:7]
	v_cndmask_b32_e64 v1, 8, 16, s[36:37]
	v_bfe_u32 v1, v3, v1, 8
	v_cndmask_b32_e64 v10, 8, 16, s[34:35]
	v_cndmask_b32_e64 v1, 0, v1, s[22:23]
	v_lshrrev_b32_sdwa v10, v10, v3 dst_sel:BYTE_1 dst_unused:UNUSED_PAD src0_sel:DWORD src1_sel:DWORD
	v_or_b32_sdwa v10, v1, v10 dst_sel:DWORD dst_unused:UNUSED_PAD src0_sel:BYTE_0 src1_sel:DWORD
	v_and_b32_e32 v10, 0xffff, v10
	s_mov_b32 s22, 0xffff0000
	v_and_or_b32 v10, v1, s22, v10
	v_cndmask_b32_e64 v1, v1, v10, s[4:5]
	v_cndmask_b32_e64 v11, 8, 16, s[30:31]
	v_and_b32_sdwa v10, v1, s57 dst_sel:DWORD dst_unused:UNUSED_PAD src0_sel:WORD_1 src1_sel:DWORD
	v_lshrrev_b32_e32 v11, v11, v3
	v_or_b32_sdwa v10, v11, v10 dst_sel:WORD_1 dst_unused:UNUSED_PAD src0_sel:BYTE_0 src1_sel:DWORD
	v_and_or_b32 v10, v1, s56, v10
	v_cndmask_b32_e64 v1, v1, v10, s[2:3]
	v_and_b32_sdwa v10, v1, s55 dst_sel:DWORD dst_unused:UNUSED_PAD src0_sel:WORD_1 src1_sel:DWORD
	v_lshrrev_b32_sdwa v3, v6, v3 dst_sel:BYTE_1 dst_unused:UNUSED_PAD src0_sel:DWORD src1_sel:DWORD
	v_or_b32_sdwa v3, v10, v3 dst_sel:WORD_1 dst_unused:UNUSED_PAD src0_sel:DWORD src1_sel:DWORD
	v_and_or_b32 v3, v1, s56, v3
	v_cndmask_b32_e64 v3, v1, v3, s[0:1]
	v_lshrrev_b32_e32 v1, 8, v9
	v_add_u32_e32 v0, s54, v0
	global_store_byte v0, v1, s[28:29] offset:256
	s_and_b64 exec, exec, s[20:21]
	s_cbranch_execz .LBB8_52
; %bb.38:
	v_mov_b32_e32 v1, s29
	v_add_co_u32_e32 v0, vcc, s28, v0
	v_addc_co_u32_e32 v1, vcc, 0, v1, vcc
	global_store_byte_d16_hi v[0:1], v9, off offset:512
	s_and_b64 exec, exec, s[18:19]
	s_cbranch_execz .LBB8_52
; %bb.39:
	v_lshrrev_b32_e32 v6, 24, v9
	v_cmp_gt_u32_e32 vcc, s33, v8
	global_store_byte v[0:1], v6, off offset:768
	s_and_b64 exec, exec, vcc
	s_cbranch_execz .LBB8_52
; %bb.40:
	global_store_byte v[0:1], v5, off offset:1024
	s_and_b64 exec, exec, s[16:17]
	s_cbranch_execz .LBB8_52
; %bb.41:
	v_lshrrev_b32_e32 v6, 8, v5
	global_store_byte v[0:1], v6, off offset:1280
	s_and_b64 exec, exec, s[14:15]
	s_cbranch_execz .LBB8_52
; %bb.42:
	global_store_byte_d16_hi v[0:1], v5, off offset:1536
	s_and_b64 exec, exec, s[12:13]
	s_cbranch_execz .LBB8_52
; %bb.43:
	v_lshrrev_b32_e32 v5, 24, v5
	v_cmp_gt_u32_e32 vcc, s33, v7
	global_store_byte v[0:1], v5, off offset:1792
	s_and_b64 exec, exec, vcc
	s_cbranch_execz .LBB8_52
; %bb.44:
	global_store_byte v[0:1], v4, off offset:2048
	s_and_b64 exec, exec, s[10:11]
	s_cbranch_execz .LBB8_52
; %bb.45:
	v_lshrrev_b32_e32 v5, 8, v4
	global_store_byte v[0:1], v5, off offset:2304
	s_and_b64 exec, exec, s[8:9]
	s_cbranch_execz .LBB8_52
; %bb.46:
	global_store_byte_d16_hi v[0:1], v4, off offset:2560
	s_and_b64 exec, exec, s[6:7]
	s_cbranch_execz .LBB8_52
; %bb.47:
	v_lshrrev_b32_e32 v4, 24, v4
	v_cmp_gt_u32_e32 vcc, s33, v2
	global_store_byte v[0:1], v4, off offset:2816
	s_and_b64 exec, exec, vcc
	s_cbranch_execz .LBB8_52
; %bb.48:
	global_store_byte v[0:1], v3, off offset:3072
	s_and_b64 exec, exec, s[4:5]
	s_cbranch_execz .LBB8_52
; %bb.49:
	v_lshrrev_b32_e32 v2, 8, v3
	global_store_byte v[0:1], v2, off offset:3328
	s_and_b64 exec, exec, s[2:3]
	s_cbranch_execz .LBB8_52
; %bb.50:
	global_store_byte_d16_hi v[0:1], v3, off offset:3584
	s_and_b64 exec, exec, s[0:1]
	s_cbranch_execz .LBB8_52
; %bb.51:
	v_lshrrev_b32_e32 v2, 24, v3
	global_store_byte v[0:1], v2, off offset:3840
.LBB8_52:
	s_endpgm
	.section	.rodata,"a",@progbits
	.p2align	6, 0x0
	.amdhsa_kernel _ZN2at6native29vectorized_elementwise_kernelILi16ENS0_13BUnaryFunctorIhhhZNS0_12_GLOBAL__N_121threshold_kernel_implIhEEvRNS_18TensorIteratorBaseET_S7_EUlhhE_EESt5arrayIPcLm2EEEEviT0_T1_
		.amdhsa_group_segment_fixed_size 0
		.amdhsa_private_segment_fixed_size 0
		.amdhsa_kernarg_size 24
		.amdhsa_user_sgpr_count 6
		.amdhsa_user_sgpr_private_segment_buffer 1
		.amdhsa_user_sgpr_dispatch_ptr 0
		.amdhsa_user_sgpr_queue_ptr 0
		.amdhsa_user_sgpr_kernarg_segment_ptr 1
		.amdhsa_user_sgpr_dispatch_id 0
		.amdhsa_user_sgpr_flat_scratch_init 0
		.amdhsa_user_sgpr_private_segment_size 0
		.amdhsa_uses_dynamic_stack 0
		.amdhsa_system_sgpr_private_segment_wavefront_offset 0
		.amdhsa_system_sgpr_workgroup_id_x 1
		.amdhsa_system_sgpr_workgroup_id_y 0
		.amdhsa_system_sgpr_workgroup_id_z 0
		.amdhsa_system_sgpr_workgroup_info 0
		.amdhsa_system_vgpr_workitem_id 0
		.amdhsa_next_free_vgpr 23
		.amdhsa_next_free_sgpr 58
		.amdhsa_reserve_vcc 1
		.amdhsa_reserve_flat_scratch 0
		.amdhsa_float_round_mode_32 0
		.amdhsa_float_round_mode_16_64 0
		.amdhsa_float_denorm_mode_32 3
		.amdhsa_float_denorm_mode_16_64 3
		.amdhsa_dx10_clamp 1
		.amdhsa_ieee_mode 1
		.amdhsa_fp16_overflow 0
		.amdhsa_exception_fp_ieee_invalid_op 0
		.amdhsa_exception_fp_denorm_src 0
		.amdhsa_exception_fp_ieee_div_zero 0
		.amdhsa_exception_fp_ieee_overflow 0
		.amdhsa_exception_fp_ieee_underflow 0
		.amdhsa_exception_fp_ieee_inexact 0
		.amdhsa_exception_int_div_zero 0
	.end_amdhsa_kernel
	.section	.text._ZN2at6native29vectorized_elementwise_kernelILi16ENS0_13BUnaryFunctorIhhhZNS0_12_GLOBAL__N_121threshold_kernel_implIhEEvRNS_18TensorIteratorBaseET_S7_EUlhhE_EESt5arrayIPcLm2EEEEviT0_T1_,"axG",@progbits,_ZN2at6native29vectorized_elementwise_kernelILi16ENS0_13BUnaryFunctorIhhhZNS0_12_GLOBAL__N_121threshold_kernel_implIhEEvRNS_18TensorIteratorBaseET_S7_EUlhhE_EESt5arrayIPcLm2EEEEviT0_T1_,comdat
.Lfunc_end8:
	.size	_ZN2at6native29vectorized_elementwise_kernelILi16ENS0_13BUnaryFunctorIhhhZNS0_12_GLOBAL__N_121threshold_kernel_implIhEEvRNS_18TensorIteratorBaseET_S7_EUlhhE_EESt5arrayIPcLm2EEEEviT0_T1_, .Lfunc_end8-_ZN2at6native29vectorized_elementwise_kernelILi16ENS0_13BUnaryFunctorIhhhZNS0_12_GLOBAL__N_121threshold_kernel_implIhEEvRNS_18TensorIteratorBaseET_S7_EUlhhE_EESt5arrayIPcLm2EEEEviT0_T1_
                                        ; -- End function
	.set _ZN2at6native29vectorized_elementwise_kernelILi16ENS0_13BUnaryFunctorIhhhZNS0_12_GLOBAL__N_121threshold_kernel_implIhEEvRNS_18TensorIteratorBaseET_S7_EUlhhE_EESt5arrayIPcLm2EEEEviT0_T1_.num_vgpr, 23
	.set _ZN2at6native29vectorized_elementwise_kernelILi16ENS0_13BUnaryFunctorIhhhZNS0_12_GLOBAL__N_121threshold_kernel_implIhEEvRNS_18TensorIteratorBaseET_S7_EUlhhE_EESt5arrayIPcLm2EEEEviT0_T1_.num_agpr, 0
	.set _ZN2at6native29vectorized_elementwise_kernelILi16ENS0_13BUnaryFunctorIhhhZNS0_12_GLOBAL__N_121threshold_kernel_implIhEEvRNS_18TensorIteratorBaseET_S7_EUlhhE_EESt5arrayIPcLm2EEEEviT0_T1_.numbered_sgpr, 58
	.set _ZN2at6native29vectorized_elementwise_kernelILi16ENS0_13BUnaryFunctorIhhhZNS0_12_GLOBAL__N_121threshold_kernel_implIhEEvRNS_18TensorIteratorBaseET_S7_EUlhhE_EESt5arrayIPcLm2EEEEviT0_T1_.num_named_barrier, 0
	.set _ZN2at6native29vectorized_elementwise_kernelILi16ENS0_13BUnaryFunctorIhhhZNS0_12_GLOBAL__N_121threshold_kernel_implIhEEvRNS_18TensorIteratorBaseET_S7_EUlhhE_EESt5arrayIPcLm2EEEEviT0_T1_.private_seg_size, 0
	.set _ZN2at6native29vectorized_elementwise_kernelILi16ENS0_13BUnaryFunctorIhhhZNS0_12_GLOBAL__N_121threshold_kernel_implIhEEvRNS_18TensorIteratorBaseET_S7_EUlhhE_EESt5arrayIPcLm2EEEEviT0_T1_.uses_vcc, 1
	.set _ZN2at6native29vectorized_elementwise_kernelILi16ENS0_13BUnaryFunctorIhhhZNS0_12_GLOBAL__N_121threshold_kernel_implIhEEvRNS_18TensorIteratorBaseET_S7_EUlhhE_EESt5arrayIPcLm2EEEEviT0_T1_.uses_flat_scratch, 0
	.set _ZN2at6native29vectorized_elementwise_kernelILi16ENS0_13BUnaryFunctorIhhhZNS0_12_GLOBAL__N_121threshold_kernel_implIhEEvRNS_18TensorIteratorBaseET_S7_EUlhhE_EESt5arrayIPcLm2EEEEviT0_T1_.has_dyn_sized_stack, 0
	.set _ZN2at6native29vectorized_elementwise_kernelILi16ENS0_13BUnaryFunctorIhhhZNS0_12_GLOBAL__N_121threshold_kernel_implIhEEvRNS_18TensorIteratorBaseET_S7_EUlhhE_EESt5arrayIPcLm2EEEEviT0_T1_.has_recursion, 0
	.set _ZN2at6native29vectorized_elementwise_kernelILi16ENS0_13BUnaryFunctorIhhhZNS0_12_GLOBAL__N_121threshold_kernel_implIhEEvRNS_18TensorIteratorBaseET_S7_EUlhhE_EESt5arrayIPcLm2EEEEviT0_T1_.has_indirect_call, 0
	.section	.AMDGPU.csdata,"",@progbits
; Kernel info:
; codeLenInByte = 3056
; TotalNumSgprs: 62
; NumVgprs: 23
; ScratchSize: 0
; MemoryBound: 0
; FloatMode: 240
; IeeeMode: 1
; LDSByteSize: 0 bytes/workgroup (compile time only)
; SGPRBlocks: 7
; VGPRBlocks: 5
; NumSGPRsForWavesPerEU: 62
; NumVGPRsForWavesPerEU: 23
; Occupancy: 10
; WaveLimiterHint : 0
; COMPUTE_PGM_RSRC2:SCRATCH_EN: 0
; COMPUTE_PGM_RSRC2:USER_SGPR: 6
; COMPUTE_PGM_RSRC2:TRAP_HANDLER: 0
; COMPUTE_PGM_RSRC2:TGID_X_EN: 1
; COMPUTE_PGM_RSRC2:TGID_Y_EN: 0
; COMPUTE_PGM_RSRC2:TGID_Z_EN: 0
; COMPUTE_PGM_RSRC2:TIDIG_COMP_CNT: 0
	.section	.text._ZN2at6native29vectorized_elementwise_kernelILi8ENS0_13BUnaryFunctorIhhhZNS0_12_GLOBAL__N_121threshold_kernel_implIhEEvRNS_18TensorIteratorBaseET_S7_EUlhhE_EESt5arrayIPcLm2EEEEviT0_T1_,"axG",@progbits,_ZN2at6native29vectorized_elementwise_kernelILi8ENS0_13BUnaryFunctorIhhhZNS0_12_GLOBAL__N_121threshold_kernel_implIhEEvRNS_18TensorIteratorBaseET_S7_EUlhhE_EESt5arrayIPcLm2EEEEviT0_T1_,comdat
	.globl	_ZN2at6native29vectorized_elementwise_kernelILi8ENS0_13BUnaryFunctorIhhhZNS0_12_GLOBAL__N_121threshold_kernel_implIhEEvRNS_18TensorIteratorBaseET_S7_EUlhhE_EESt5arrayIPcLm2EEEEviT0_T1_ ; -- Begin function _ZN2at6native29vectorized_elementwise_kernelILi8ENS0_13BUnaryFunctorIhhhZNS0_12_GLOBAL__N_121threshold_kernel_implIhEEvRNS_18TensorIteratorBaseET_S7_EUlhhE_EESt5arrayIPcLm2EEEEviT0_T1_
	.p2align	8
	.type	_ZN2at6native29vectorized_elementwise_kernelILi8ENS0_13BUnaryFunctorIhhhZNS0_12_GLOBAL__N_121threshold_kernel_implIhEEvRNS_18TensorIteratorBaseET_S7_EUlhhE_EESt5arrayIPcLm2EEEEviT0_T1_,@function
_ZN2at6native29vectorized_elementwise_kernelILi8ENS0_13BUnaryFunctorIhhhZNS0_12_GLOBAL__N_121threshold_kernel_implIhEEvRNS_18TensorIteratorBaseET_S7_EUlhhE_EESt5arrayIPcLm2EEEEviT0_T1_: ; @_ZN2at6native29vectorized_elementwise_kernelILi8ENS0_13BUnaryFunctorIhhhZNS0_12_GLOBAL__N_121threshold_kernel_implIhEEvRNS_18TensorIteratorBaseET_S7_EUlhhE_EESt5arrayIPcLm2EEEEviT0_T1_
; %bb.0:
	v_mov_b32_e32 v1, 0
	global_load_ubyte v2, v1, s[4:5] offset:6
	global_load_ushort v4, v1, s[4:5] offset:4
	s_load_dword s0, s[4:5], 0x0
	s_load_dwordx4 s[28:31], s[4:5], 0x8
	s_lshl_b32 s54, s6, 12
	s_waitcnt lgkmcnt(0)
	s_sub_i32 s33, s0, s54
	s_cmpk_gt_i32 s33, 0xfff
	s_mov_b64 s[0:1], -1
	s_waitcnt vmcnt(1)
	v_lshlrev_b32_e32 v1, 16, v2
	s_waitcnt vmcnt(0)
	v_or_b32_e32 v3, v4, v1
	s_cbranch_scc0 .LBB9_2
; %bb.1:
	s_ashr_i32 s2, s54, 31
	s_add_u32 s0, s30, s54
	s_addc_u32 s1, s31, s2
	v_lshlrev_b32_e32 v7, 3, v0
	global_load_dwordx2 v[1:2], v7, s[0:1]
	global_load_dwordx2 v[5:6], v7, s[0:1] offset:2048
	s_add_u32 s0, s28, s54
	s_addc_u32 s1, s29, s2
	s_movk_i32 s4, 0xff
	s_waitcnt vmcnt(1)
	v_cmp_gt_u16_sdwa s[2:3], v1, v4 src0_sel:BYTE_0 src1_sel:BYTE_0
	v_cndmask_b32_e64 v8, 8, 16, s[2:3]
	v_cmp_gt_u16_sdwa s[2:3], v1, v4 src0_sel:BYTE_3 src1_sel:BYTE_0
	v_lshrrev_b32_e32 v9, 8, v1
	v_and_b32_sdwa v10, v1, s4 dst_sel:DWORD dst_unused:UNUSED_PAD src0_sel:WORD_1 src1_sel:DWORD
	v_cndmask_b32_e64 v1, 8, 16, s[2:3]
	v_cmp_gt_u16_sdwa s[2:3], v2, v4 src0_sel:BYTE_0 src1_sel:BYTE_0
	v_cndmask_b32_e64 v11, 8, 16, s[2:3]
	v_cmp_gt_u16_sdwa s[2:3], v2, v4 src0_sel:BYTE_3 src1_sel:BYTE_0
	v_lshrrev_b32_e32 v12, 8, v2
	v_and_b32_sdwa v13, v2, s4 dst_sel:DWORD dst_unused:UNUSED_PAD src0_sel:WORD_1 src1_sel:DWORD
	v_cndmask_b32_e64 v2, 8, 16, s[2:3]
	s_waitcnt vmcnt(0)
	v_cmp_gt_u16_sdwa s[2:3], v5, v4 src0_sel:BYTE_0 src1_sel:BYTE_0
	v_cndmask_b32_e64 v14, 8, 16, s[2:3]
	v_cmp_gt_u16_sdwa s[2:3], v5, v4 src0_sel:BYTE_3 src1_sel:BYTE_0
	v_lshrrev_b32_e32 v15, 8, v5
	v_and_b32_sdwa v16, v5, s4 dst_sel:DWORD dst_unused:UNUSED_PAD src0_sel:WORD_1 src1_sel:DWORD
	v_cndmask_b32_e64 v5, 8, 16, s[2:3]
	v_cmp_gt_u16_sdwa s[2:3], v6, v4 src0_sel:BYTE_0 src1_sel:BYTE_0
	v_cndmask_b32_e64 v17, 8, 16, s[2:3]
	v_cmp_gt_u16_sdwa s[2:3], v6, v4 src0_sel:BYTE_3 src1_sel:BYTE_0
	v_cndmask_b32_e64 v19, 8, 16, s[2:3]
	v_cmp_gt_u16_sdwa s[2:3], v9, v4 src0_sel:BYTE_0 src1_sel:BYTE_0
	v_cndmask_b32_e64 v9, 8, 16, s[2:3]
	v_cmp_gt_u16_sdwa s[2:3], v10, v4 src0_sel:DWORD src1_sel:BYTE_0
	v_cndmask_b32_e64 v10, 8, 16, s[2:3]
	v_cmp_gt_u16_sdwa s[2:3], v12, v4 src0_sel:BYTE_0 src1_sel:BYTE_0
	v_cndmask_b32_e64 v12, 8, 16, s[2:3]
	v_cmp_gt_u16_sdwa s[2:3], v13, v4 src0_sel:DWORD src1_sel:BYTE_0
	v_cndmask_b32_e64 v13, 8, 16, s[2:3]
	v_cmp_gt_u16_sdwa s[2:3], v15, v4 src0_sel:BYTE_0 src1_sel:BYTE_0
	v_lshrrev_b32_e32 v18, 8, v6
	v_cndmask_b32_e64 v15, 8, 16, s[2:3]
	v_cmp_gt_u16_sdwa s[2:3], v16, v4 src0_sel:DWORD src1_sel:BYTE_0
	v_and_b32_sdwa v6, v6, s4 dst_sel:DWORD dst_unused:UNUSED_PAD src0_sel:WORD_1 src1_sel:DWORD
	v_cndmask_b32_e64 v16, 8, 16, s[2:3]
	v_cmp_gt_u16_sdwa s[2:3], v18, v4 src0_sel:BYTE_0 src1_sel:BYTE_0
	v_cndmask_b32_e64 v18, 8, 16, s[2:3]
	v_cmp_gt_u16_sdwa s[2:3], v6, v4 src0_sel:DWORD src1_sel:BYTE_0
	v_cndmask_b32_e64 v6, 8, 16, s[2:3]
	v_lshrrev_b32_e32 v8, v8, v3
	v_lshrrev_b32_sdwa v1, v1, v3 dst_sel:BYTE_1 dst_unused:UNUSED_PAD src0_sel:DWORD src1_sel:DWORD
	v_lshrrev_b32_e32 v11, v11, v3
	v_lshrrev_b32_sdwa v2, v2, v3 dst_sel:BYTE_1 dst_unused:UNUSED_PAD src0_sel:DWORD src1_sel:DWORD
	;; [unrolled: 2-line block ×4, first 2 shown]
	v_lshrrev_b32_sdwa v9, v9, v3 dst_sel:BYTE_1 dst_unused:UNUSED_PAD src0_sel:DWORD src1_sel:DWORD
	v_lshrrev_b32_e32 v10, v10, v3
	v_lshrrev_b32_sdwa v12, v12, v3 dst_sel:BYTE_1 dst_unused:UNUSED_PAD src0_sel:DWORD src1_sel:DWORD
	v_lshrrev_b32_e32 v13, v13, v3
	;; [unrolled: 2-line block ×4, first 2 shown]
	v_or_b32_sdwa v17, v17, v18 dst_sel:DWORD dst_unused:UNUSED_PAD src0_sel:BYTE_0 src1_sel:DWORD
	v_or_b32_sdwa v6, v6, v19 dst_sel:WORD_1 dst_unused:UNUSED_PAD src0_sel:BYTE_0 src1_sel:DWORD
	v_or_b32_sdwa v14, v14, v15 dst_sel:DWORD dst_unused:UNUSED_PAD src0_sel:BYTE_0 src1_sel:DWORD
	v_or_b32_sdwa v5, v16, v5 dst_sel:WORD_1 dst_unused:UNUSED_PAD src0_sel:BYTE_0 src1_sel:DWORD
	;; [unrolled: 2-line block ×4, first 2 shown]
	v_or_b32_sdwa v2, v17, v6 dst_sel:DWORD dst_unused:UNUSED_PAD src0_sel:WORD_0 src1_sel:DWORD
	v_or_b32_sdwa v1, v14, v5 dst_sel:DWORD dst_unused:UNUSED_PAD src0_sel:WORD_0 src1_sel:DWORD
	;; [unrolled: 1-line block ×4, first 2 shown]
	global_store_dwordx2 v7, v[5:6], s[0:1]
	global_store_dwordx2 v7, v[1:2], s[0:1] offset:2048
	s_mov_b64 s[0:1], 0
.LBB9_2:
	s_andn2_b64 vcc, exec, s[0:1]
	s_cbranch_vccnz .LBB9_52
; %bb.3:
	v_cmp_gt_i32_e32 vcc, s33, v0
	v_or_b32_e32 v7, 0x100, v0
	v_mov_b32_e32 v22, 0
	v_mov_b32_e32 v6, 8
	v_or_b32_e32 v5, s54, v0
	v_mov_b32_e32 v21, 0
	v_mov_b32_e32 v20, 0
	v_mov_b32_e32 v19, 0
	v_mov_b32_e32 v18, 0
	v_mov_b32_e32 v17, 0
	v_mov_b32_e32 v16, 0
	v_mov_b32_e32 v15, 0
	v_mov_b32_e32 v14, 0
	v_mov_b32_e32 v13, 0
	v_mov_b32_e32 v12, 0
	v_mov_b32_e32 v9, 0
	v_mov_b32_e32 v11, 0
	v_mov_b32_e32 v10, 0
	v_mov_b32_e32 v8, 0
	s_and_saveexec_b64 s[2:3], vcc
	s_cbranch_execz .LBB9_35
; %bb.4:
	global_load_ubyte v8, v5, s[30:31]
	v_cmp_gt_u32_e64 s[0:1], s33, v7
	v_mov_b32_e32 v6, 8
	v_mov_b32_e32 v10, 0
	;; [unrolled: 1-line block ×15, first 2 shown]
	s_and_saveexec_b64 s[4:5], s[0:1]
	s_cbranch_execz .LBB9_34
; %bb.5:
	v_add_u32_e32 v1, s54, v0
	global_load_ubyte v10, v1, s[30:31] offset:256
	v_or_b32_e32 v2, 0x200, v0
	v_mov_b32_e32 v11, 0
	v_cmp_gt_u32_e64 s[0:1], s33, v2
	v_mov_b32_e32 v6, 8
	v_mov_b32_e32 v9, 0
	;; [unrolled: 1-line block ×13, first 2 shown]
	s_and_saveexec_b64 s[6:7], s[0:1]
	s_cbranch_execz .LBB9_33
; %bb.6:
	v_mov_b32_e32 v2, s31
	v_add_co_u32_e64 v1, s[0:1], s30, v1
	v_addc_co_u32_e64 v2, s[0:1], 0, v2, s[0:1]
	global_load_ubyte v11, v[1:2], off offset:512
	v_or_b32_e32 v6, 0x300, v0
	v_cmp_gt_u32_e64 s[0:1], s33, v6
	v_mov_b32_e32 v6, 8
	v_mov_b32_e32 v9, 0
	;; [unrolled: 1-line block ×13, first 2 shown]
	s_and_saveexec_b64 s[8:9], s[0:1]
	s_cbranch_execz .LBB9_32
; %bb.7:
	global_load_ubyte v9, v[1:2], off offset:768
	v_or_b32_e32 v6, 0x400, v0
	v_cmp_gt_u32_e64 s[0:1], s33, v6
	v_mov_b32_e32 v6, 8
	v_mov_b32_e32 v12, 0
	;; [unrolled: 1-line block ×12, first 2 shown]
	s_and_saveexec_b64 s[10:11], s[0:1]
	s_cbranch_execz .LBB9_31
; %bb.8:
	global_load_ubyte v12, v[1:2], off offset:1024
	v_or_b32_e32 v6, 0x500, v0
	v_cmp_gt_u32_e64 s[0:1], s33, v6
	v_mov_b32_e32 v6, 8
	v_mov_b32_e32 v13, 0
	;; [unrolled: 1-line block ×11, first 2 shown]
	s_and_saveexec_b64 s[12:13], s[0:1]
	s_cbranch_execz .LBB9_30
; %bb.9:
	global_load_ubyte v13, v[1:2], off offset:1280
	v_or_b32_e32 v6, 0x600, v0
	v_cmp_gt_u32_e64 s[0:1], s33, v6
	v_mov_b32_e32 v6, 8
	v_mov_b32_e32 v14, 0
	;; [unrolled: 1-line block ×10, first 2 shown]
	s_and_saveexec_b64 s[14:15], s[0:1]
	s_cbranch_execz .LBB9_29
; %bb.10:
	global_load_ubyte v14, v[1:2], off offset:1536
	v_or_b32_e32 v6, 0x700, v0
	v_cmp_gt_u32_e64 s[0:1], s33, v6
	v_mov_b32_e32 v6, 8
	v_mov_b32_e32 v15, 0
	;; [unrolled: 1-line block ×9, first 2 shown]
	s_and_saveexec_b64 s[16:17], s[0:1]
	s_cbranch_execz .LBB9_28
; %bb.11:
	global_load_ubyte v15, v[1:2], off offset:1792
	v_or_b32_e32 v6, 0x800, v0
	v_cmp_gt_u32_e64 s[0:1], s33, v6
	v_mov_b32_e32 v6, 8
	v_mov_b32_e32 v16, 0
	;; [unrolled: 1-line block ×8, first 2 shown]
	s_and_saveexec_b64 s[18:19], s[0:1]
	s_cbranch_execz .LBB9_27
; %bb.12:
	global_load_ubyte v16, v[1:2], off offset:2048
	v_or_b32_e32 v6, 0x900, v0
	v_cmp_gt_u32_e64 s[0:1], s33, v6
	v_mov_b32_e32 v6, 8
	v_mov_b32_e32 v17, 0
	;; [unrolled: 1-line block ×7, first 2 shown]
	s_and_saveexec_b64 s[20:21], s[0:1]
	s_cbranch_execz .LBB9_26
; %bb.13:
	global_load_ubyte v17, v[1:2], off offset:2304
	v_or_b32_e32 v6, 0xa00, v0
	v_cmp_gt_u32_e64 s[0:1], s33, v6
	v_mov_b32_e32 v6, 8
	v_mov_b32_e32 v18, 0
	;; [unrolled: 1-line block ×6, first 2 shown]
	s_and_saveexec_b64 s[22:23], s[0:1]
	s_cbranch_execz .LBB9_25
; %bb.14:
	global_load_ubyte v18, v[1:2], off offset:2560
	v_or_b32_e32 v6, 0xb00, v0
	v_cmp_gt_u32_e64 s[0:1], s33, v6
	v_mov_b32_e32 v6, 8
	v_mov_b32_e32 v19, 0
	;; [unrolled: 1-line block ×5, first 2 shown]
	s_and_saveexec_b64 s[24:25], s[0:1]
	s_cbranch_execz .LBB9_24
; %bb.15:
	global_load_ubyte v19, v[1:2], off offset:2816
	v_or_b32_e32 v6, 0xc00, v0
	v_cmp_gt_u32_e64 s[0:1], s33, v6
	v_mov_b32_e32 v6, 8
	v_mov_b32_e32 v20, 0
	;; [unrolled: 1-line block ×4, first 2 shown]
	s_and_saveexec_b64 s[26:27], s[0:1]
	s_cbranch_execz .LBB9_23
; %bb.16:
	global_load_ubyte v20, v[1:2], off offset:3072
	v_or_b32_e32 v6, 0xd00, v0
	v_cmp_gt_u32_e64 s[0:1], s33, v6
	v_mov_b32_e32 v6, 8
	v_mov_b32_e32 v21, 0
	;; [unrolled: 1-line block ×3, first 2 shown]
	s_and_saveexec_b64 s[30:31], s[0:1]
	s_cbranch_execz .LBB9_22
; %bb.17:
	global_load_ubyte v21, v[1:2], off offset:3328
	v_or_b32_e32 v6, 0xe00, v0
	v_cmp_gt_u32_e64 s[0:1], s33, v6
	v_mov_b32_e32 v6, 8
	v_mov_b32_e32 v22, 0
	s_and_saveexec_b64 s[34:35], s[0:1]
	s_cbranch_execz .LBB9_21
; %bb.18:
	global_load_ubyte v22, v[1:2], off offset:3584
	v_or_b32_e32 v6, 0xf00, v0
	v_cmp_gt_u32_e64 s[0:1], s33, v6
	v_mov_b32_e32 v6, 8
	s_and_saveexec_b64 s[36:37], s[0:1]
	s_cbranch_execz .LBB9_20
; %bb.19:
	global_load_ubyte v1, v[1:2], off offset:3840
	s_waitcnt vmcnt(0)
	v_cmp_gt_u16_sdwa s[0:1], v1, v4 src0_sel:DWORD src1_sel:BYTE_0
	v_cndmask_b32_e64 v6, 8, 16, s[0:1]
.LBB9_20:
	s_or_b64 exec, exec, s[36:37]
.LBB9_21:
	s_or_b64 exec, exec, s[34:35]
.LBB9_22:
	s_or_b64 exec, exec, s[30:31]
.LBB9_23:
	s_or_b64 exec, exec, s[26:27]
.LBB9_24:
	s_or_b64 exec, exec, s[24:25]
.LBB9_25:
	s_or_b64 exec, exec, s[22:23]
.LBB9_26:
	s_or_b64 exec, exec, s[20:21]
.LBB9_27:
	s_or_b64 exec, exec, s[18:19]
.LBB9_28:
	s_or_b64 exec, exec, s[16:17]
.LBB9_29:
	s_or_b64 exec, exec, s[14:15]
.LBB9_30:
	s_or_b64 exec, exec, s[12:13]
.LBB9_31:
	s_or_b64 exec, exec, s[10:11]
.LBB9_32:
	s_or_b64 exec, exec, s[8:9]
.LBB9_33:
	s_or_b64 exec, exec, s[6:7]
.LBB9_34:
	s_or_b64 exec, exec, s[4:5]
.LBB9_35:
	s_or_b64 exec, exec, s[2:3]
	s_and_saveexec_b64 s[0:1], vcc
	s_cbranch_execz .LBB9_52
; %bb.36:
	s_waitcnt vmcnt(0)
	v_cmp_gt_u16_sdwa s[0:1], v8, v4 src0_sel:BYTE_0 src1_sel:BYTE_0
	v_cndmask_b32_e64 v1, 8, 16, s[0:1]
	v_cmp_gt_u16_sdwa s[0:1], v10, v4 src0_sel:BYTE_0 src1_sel:BYTE_0
	v_bfe_u32 v1, v3, v1, 8
	v_cndmask_b32_e64 v2, 8, 16, s[0:1]
	v_cndmask_b32_e32 v1, 0, v1, vcc
	v_lshrrev_b32_sdwa v2, v2, v3 dst_sel:BYTE_1 dst_unused:UNUSED_PAD src0_sel:DWORD src1_sel:DWORD
	v_or_b32_e32 v2, v1, v2
	v_and_b32_e32 v2, 0xffff, v2
	v_cmp_gt_i32_e64 s[26:27], s33, v7
	v_cmp_gt_u16_sdwa s[0:1], v11, v4 src0_sel:BYTE_0 src1_sel:BYTE_0
	v_cndmask_b32_e64 v1, v1, v2, s[26:27]
	s_movk_i32 s57, 0xff00
	v_cndmask_b32_e64 v7, 8, 16, s[0:1]
	v_and_b32_sdwa v2, v1, s57 dst_sel:DWORD dst_unused:UNUSED_PAD src0_sel:WORD_1 src1_sel:DWORD
	v_lshrrev_b32_e32 v7, v7, v3
	v_or_b32_sdwa v2, v7, v2 dst_sel:WORD_1 dst_unused:UNUSED_PAD src0_sel:BYTE_0 src1_sel:DWORD
	v_or_b32_e32 v7, 0x200, v0
	v_or_b32_e32 v2, v1, v2
	v_cmp_gt_i32_e64 s[20:21], s33, v7
	v_cmp_gt_u16_sdwa s[0:1], v9, v4 src0_sel:BYTE_0 src1_sel:BYTE_0
	s_movk_i32 s55, 0xff
	v_cndmask_b32_e64 v1, v1, v2, s[20:21]
	v_cndmask_b32_e64 v8, 8, 16, s[0:1]
	v_and_b32_sdwa v2, v1, s55 dst_sel:DWORD dst_unused:UNUSED_PAD src0_sel:WORD_1 src1_sel:DWORD
	v_lshrrev_b32_sdwa v8, v8, v3 dst_sel:BYTE_1 dst_unused:UNUSED_PAD src0_sel:DWORD src1_sel:DWORD
	s_mov_b32 s56, 0xffff
	v_or_b32_e32 v7, 0x300, v0
	v_or_b32_sdwa v2, v2, v8 dst_sel:WORD_1 dst_unused:UNUSED_PAD src0_sel:DWORD src1_sel:DWORD
	v_and_or_b32 v2, v1, s56, v2
	v_cmp_gt_i32_e64 s[18:19], s33, v7
	v_cndmask_b32_e64 v9, v1, v2, s[18:19]
	v_or_b32_e32 v1, 0x500, v0
	v_cmp_gt_i32_e64 s[16:17], s33, v1
	v_or_b32_e32 v1, 0x600, v0
	v_cmp_gt_i32_e64 s[14:15], s33, v1
	;; [unrolled: 2-line block ×7, first 2 shown]
	v_or_b32_e32 v1, 0xe00, v0
	v_or_b32_e32 v8, 0x400, v0
	;; [unrolled: 1-line block ×4, first 2 shown]
	v_cmp_gt_i32_e64 s[2:3], s33, v1
	v_or_b32_e32 v1, 0xf00, v0
	v_cmp_gt_u16_sdwa s[50:51], v12, v4 src0_sel:BYTE_0 src1_sel:BYTE_0
	v_cmp_gt_i32_e32 vcc, s33, v8
	v_cmp_gt_u16_sdwa s[52:53], v13, v4 src0_sel:BYTE_0 src1_sel:BYTE_0
	v_cmp_gt_u16_sdwa s[48:49], v14, v4 src0_sel:BYTE_0 src1_sel:BYTE_0
	;; [unrolled: 1-line block ×3, first 2 shown]
	v_cmp_gt_i32_e64 s[24:25], s33, v7
	v_cmp_gt_u16_sdwa s[42:43], v16, v4 src0_sel:BYTE_0 src1_sel:BYTE_0
	v_cmp_gt_u16_sdwa s[44:45], v17, v4 src0_sel:BYTE_0 src1_sel:BYTE_0
	;; [unrolled: 1-line block ×4, first 2 shown]
	v_cmp_gt_i32_e64 s[22:23], s33, v2
	v_cmp_gt_u16_sdwa s[36:37], v20, v4 src0_sel:BYTE_0 src1_sel:BYTE_0
	v_cmp_gt_u16_sdwa s[34:35], v21, v4 src0_sel:BYTE_0 src1_sel:BYTE_0
	;; [unrolled: 1-line block ×3, first 2 shown]
	v_cmp_gt_i32_e64 s[0:1], s33, v1
	global_store_byte v5, v9, s[28:29]
	s_and_b64 exec, exec, s[26:27]
	s_cbranch_execz .LBB9_52
; %bb.37:
	v_cndmask_b32_e64 v1, 8, 16, s[50:51]
	v_lshrrev_b32_e32 v1, v1, v3
	v_and_b32_sdwa v1, s56, v1 dst_sel:DWORD dst_unused:UNUSED_PAD src0_sel:DWORD src1_sel:BYTE_0
	v_cndmask_b32_e64 v4, 8, 16, s[52:53]
	v_cndmask_b32_e32 v1, 0, v1, vcc
	v_lshrrev_b32_sdwa v4, v4, v3 dst_sel:BYTE_1 dst_unused:UNUSED_PAD src0_sel:DWORD src1_sel:DWORD
	v_or_b32_sdwa v4, v1, v4 dst_sel:DWORD dst_unused:UNUSED_PAD src0_sel:BYTE_0 src1_sel:DWORD
	v_and_b32_e32 v4, 0xffff, v4
	v_cndmask_b32_e64 v1, v1, v4, s[16:17]
	v_cndmask_b32_e64 v5, 8, 16, s[48:49]
	v_and_b32_sdwa v4, v1, s57 dst_sel:DWORD dst_unused:UNUSED_PAD src0_sel:WORD_1 src1_sel:DWORD
	v_lshrrev_b32_e32 v5, v5, v3
	v_or_b32_sdwa v4, v5, v4 dst_sel:WORD_1 dst_unused:UNUSED_PAD src0_sel:BYTE_0 src1_sel:DWORD
	v_and_or_b32 v4, v1, s56, v4
	v_cndmask_b32_e64 v1, v1, v4, s[14:15]
	v_cndmask_b32_e64 v5, 8, 16, s[46:47]
	v_and_b32_sdwa v4, v1, s55 dst_sel:DWORD dst_unused:UNUSED_PAD src0_sel:WORD_1 src1_sel:DWORD
	v_lshrrev_b32_sdwa v5, v5, v3 dst_sel:BYTE_1 dst_unused:UNUSED_PAD src0_sel:DWORD src1_sel:DWORD
	v_or_b32_sdwa v4, v4, v5 dst_sel:WORD_1 dst_unused:UNUSED_PAD src0_sel:DWORD src1_sel:DWORD
	v_and_or_b32 v4, v1, s56, v4
	v_cndmask_b32_e64 v5, v1, v4, s[12:13]
	v_cndmask_b32_e64 v1, 8, 16, s[42:43]
	v_bfe_u32 v1, v3, v1, 8
	v_cndmask_b32_e64 v4, 8, 16, s[44:45]
	v_cndmask_b32_e64 v1, 0, v1, s[24:25]
	v_lshrrev_b32_sdwa v4, v4, v3 dst_sel:BYTE_1 dst_unused:UNUSED_PAD src0_sel:DWORD src1_sel:DWORD
	v_or_b32_e32 v4, v1, v4
	v_and_b32_e32 v4, 0xffff, v4
	v_cndmask_b32_e64 v1, v1, v4, s[10:11]
	v_cndmask_b32_e64 v10, 8, 16, s[40:41]
	v_and_b32_sdwa v4, v1, s57 dst_sel:DWORD dst_unused:UNUSED_PAD src0_sel:WORD_1 src1_sel:DWORD
	v_lshrrev_b32_e32 v10, v10, v3
	v_or_b32_sdwa v4, v10, v4 dst_sel:WORD_1 dst_unused:UNUSED_PAD src0_sel:BYTE_0 src1_sel:DWORD
	v_or_b32_e32 v4, v1, v4
	v_cndmask_b32_e64 v1, v1, v4, s[8:9]
	v_cndmask_b32_e64 v10, 8, 16, s[38:39]
	v_and_b32_sdwa v4, v1, s55 dst_sel:DWORD dst_unused:UNUSED_PAD src0_sel:WORD_1 src1_sel:DWORD
	v_lshrrev_b32_sdwa v10, v10, v3 dst_sel:BYTE_1 dst_unused:UNUSED_PAD src0_sel:DWORD src1_sel:DWORD
	v_or_b32_sdwa v4, v4, v10 dst_sel:WORD_1 dst_unused:UNUSED_PAD src0_sel:DWORD src1_sel:DWORD
	v_and_or_b32 v4, v1, s56, v4
	v_cndmask_b32_e64 v4, v1, v4, s[6:7]
	v_cndmask_b32_e64 v1, 8, 16, s[36:37]
	v_bfe_u32 v1, v3, v1, 8
	v_cndmask_b32_e64 v10, 8, 16, s[34:35]
	v_cndmask_b32_e64 v1, 0, v1, s[22:23]
	v_lshrrev_b32_sdwa v10, v10, v3 dst_sel:BYTE_1 dst_unused:UNUSED_PAD src0_sel:DWORD src1_sel:DWORD
	v_or_b32_sdwa v10, v1, v10 dst_sel:DWORD dst_unused:UNUSED_PAD src0_sel:BYTE_0 src1_sel:DWORD
	v_and_b32_e32 v10, 0xffff, v10
	s_mov_b32 s22, 0xffff0000
	v_and_or_b32 v10, v1, s22, v10
	v_cndmask_b32_e64 v1, v1, v10, s[4:5]
	v_cndmask_b32_e64 v11, 8, 16, s[30:31]
	v_and_b32_sdwa v10, v1, s57 dst_sel:DWORD dst_unused:UNUSED_PAD src0_sel:WORD_1 src1_sel:DWORD
	v_lshrrev_b32_e32 v11, v11, v3
	v_or_b32_sdwa v10, v11, v10 dst_sel:WORD_1 dst_unused:UNUSED_PAD src0_sel:BYTE_0 src1_sel:DWORD
	v_and_or_b32 v10, v1, s56, v10
	v_cndmask_b32_e64 v1, v1, v10, s[2:3]
	v_and_b32_sdwa v10, v1, s55 dst_sel:DWORD dst_unused:UNUSED_PAD src0_sel:WORD_1 src1_sel:DWORD
	v_lshrrev_b32_sdwa v3, v6, v3 dst_sel:BYTE_1 dst_unused:UNUSED_PAD src0_sel:DWORD src1_sel:DWORD
	v_or_b32_sdwa v3, v10, v3 dst_sel:WORD_1 dst_unused:UNUSED_PAD src0_sel:DWORD src1_sel:DWORD
	v_and_or_b32 v3, v1, s56, v3
	v_cndmask_b32_e64 v3, v1, v3, s[0:1]
	v_lshrrev_b32_e32 v1, 8, v9
	v_add_u32_e32 v0, s54, v0
	global_store_byte v0, v1, s[28:29] offset:256
	s_and_b64 exec, exec, s[20:21]
	s_cbranch_execz .LBB9_52
; %bb.38:
	v_mov_b32_e32 v1, s29
	v_add_co_u32_e32 v0, vcc, s28, v0
	v_addc_co_u32_e32 v1, vcc, 0, v1, vcc
	global_store_byte_d16_hi v[0:1], v9, off offset:512
	s_and_b64 exec, exec, s[18:19]
	s_cbranch_execz .LBB9_52
; %bb.39:
	v_lshrrev_b32_e32 v6, 24, v9
	v_cmp_gt_u32_e32 vcc, s33, v8
	global_store_byte v[0:1], v6, off offset:768
	s_and_b64 exec, exec, vcc
	s_cbranch_execz .LBB9_52
; %bb.40:
	global_store_byte v[0:1], v5, off offset:1024
	s_and_b64 exec, exec, s[16:17]
	s_cbranch_execz .LBB9_52
; %bb.41:
	v_lshrrev_b32_e32 v6, 8, v5
	global_store_byte v[0:1], v6, off offset:1280
	s_and_b64 exec, exec, s[14:15]
	s_cbranch_execz .LBB9_52
; %bb.42:
	global_store_byte_d16_hi v[0:1], v5, off offset:1536
	s_and_b64 exec, exec, s[12:13]
	s_cbranch_execz .LBB9_52
; %bb.43:
	v_lshrrev_b32_e32 v5, 24, v5
	v_cmp_gt_u32_e32 vcc, s33, v7
	global_store_byte v[0:1], v5, off offset:1792
	s_and_b64 exec, exec, vcc
	s_cbranch_execz .LBB9_52
; %bb.44:
	global_store_byte v[0:1], v4, off offset:2048
	s_and_b64 exec, exec, s[10:11]
	s_cbranch_execz .LBB9_52
; %bb.45:
	v_lshrrev_b32_e32 v5, 8, v4
	global_store_byte v[0:1], v5, off offset:2304
	s_and_b64 exec, exec, s[8:9]
	s_cbranch_execz .LBB9_52
; %bb.46:
	global_store_byte_d16_hi v[0:1], v4, off offset:2560
	s_and_b64 exec, exec, s[6:7]
	s_cbranch_execz .LBB9_52
; %bb.47:
	v_lshrrev_b32_e32 v4, 24, v4
	v_cmp_gt_u32_e32 vcc, s33, v2
	global_store_byte v[0:1], v4, off offset:2816
	s_and_b64 exec, exec, vcc
	s_cbranch_execz .LBB9_52
; %bb.48:
	global_store_byte v[0:1], v3, off offset:3072
	s_and_b64 exec, exec, s[4:5]
	s_cbranch_execz .LBB9_52
; %bb.49:
	v_lshrrev_b32_e32 v2, 8, v3
	global_store_byte v[0:1], v2, off offset:3328
	s_and_b64 exec, exec, s[2:3]
	s_cbranch_execz .LBB9_52
; %bb.50:
	global_store_byte_d16_hi v[0:1], v3, off offset:3584
	s_and_b64 exec, exec, s[0:1]
	s_cbranch_execz .LBB9_52
; %bb.51:
	v_lshrrev_b32_e32 v2, 24, v3
	global_store_byte v[0:1], v2, off offset:3840
.LBB9_52:
	s_endpgm
	.section	.rodata,"a",@progbits
	.p2align	6, 0x0
	.amdhsa_kernel _ZN2at6native29vectorized_elementwise_kernelILi8ENS0_13BUnaryFunctorIhhhZNS0_12_GLOBAL__N_121threshold_kernel_implIhEEvRNS_18TensorIteratorBaseET_S7_EUlhhE_EESt5arrayIPcLm2EEEEviT0_T1_
		.amdhsa_group_segment_fixed_size 0
		.amdhsa_private_segment_fixed_size 0
		.amdhsa_kernarg_size 24
		.amdhsa_user_sgpr_count 6
		.amdhsa_user_sgpr_private_segment_buffer 1
		.amdhsa_user_sgpr_dispatch_ptr 0
		.amdhsa_user_sgpr_queue_ptr 0
		.amdhsa_user_sgpr_kernarg_segment_ptr 1
		.amdhsa_user_sgpr_dispatch_id 0
		.amdhsa_user_sgpr_flat_scratch_init 0
		.amdhsa_user_sgpr_private_segment_size 0
		.amdhsa_uses_dynamic_stack 0
		.amdhsa_system_sgpr_private_segment_wavefront_offset 0
		.amdhsa_system_sgpr_workgroup_id_x 1
		.amdhsa_system_sgpr_workgroup_id_y 0
		.amdhsa_system_sgpr_workgroup_id_z 0
		.amdhsa_system_sgpr_workgroup_info 0
		.amdhsa_system_vgpr_workitem_id 0
		.amdhsa_next_free_vgpr 23
		.amdhsa_next_free_sgpr 58
		.amdhsa_reserve_vcc 1
		.amdhsa_reserve_flat_scratch 0
		.amdhsa_float_round_mode_32 0
		.amdhsa_float_round_mode_16_64 0
		.amdhsa_float_denorm_mode_32 3
		.amdhsa_float_denorm_mode_16_64 3
		.amdhsa_dx10_clamp 1
		.amdhsa_ieee_mode 1
		.amdhsa_fp16_overflow 0
		.amdhsa_exception_fp_ieee_invalid_op 0
		.amdhsa_exception_fp_denorm_src 0
		.amdhsa_exception_fp_ieee_div_zero 0
		.amdhsa_exception_fp_ieee_overflow 0
		.amdhsa_exception_fp_ieee_underflow 0
		.amdhsa_exception_fp_ieee_inexact 0
		.amdhsa_exception_int_div_zero 0
	.end_amdhsa_kernel
	.section	.text._ZN2at6native29vectorized_elementwise_kernelILi8ENS0_13BUnaryFunctorIhhhZNS0_12_GLOBAL__N_121threshold_kernel_implIhEEvRNS_18TensorIteratorBaseET_S7_EUlhhE_EESt5arrayIPcLm2EEEEviT0_T1_,"axG",@progbits,_ZN2at6native29vectorized_elementwise_kernelILi8ENS0_13BUnaryFunctorIhhhZNS0_12_GLOBAL__N_121threshold_kernel_implIhEEvRNS_18TensorIteratorBaseET_S7_EUlhhE_EESt5arrayIPcLm2EEEEviT0_T1_,comdat
.Lfunc_end9:
	.size	_ZN2at6native29vectorized_elementwise_kernelILi8ENS0_13BUnaryFunctorIhhhZNS0_12_GLOBAL__N_121threshold_kernel_implIhEEvRNS_18TensorIteratorBaseET_S7_EUlhhE_EESt5arrayIPcLm2EEEEviT0_T1_, .Lfunc_end9-_ZN2at6native29vectorized_elementwise_kernelILi8ENS0_13BUnaryFunctorIhhhZNS0_12_GLOBAL__N_121threshold_kernel_implIhEEvRNS_18TensorIteratorBaseET_S7_EUlhhE_EESt5arrayIPcLm2EEEEviT0_T1_
                                        ; -- End function
	.set _ZN2at6native29vectorized_elementwise_kernelILi8ENS0_13BUnaryFunctorIhhhZNS0_12_GLOBAL__N_121threshold_kernel_implIhEEvRNS_18TensorIteratorBaseET_S7_EUlhhE_EESt5arrayIPcLm2EEEEviT0_T1_.num_vgpr, 23
	.set _ZN2at6native29vectorized_elementwise_kernelILi8ENS0_13BUnaryFunctorIhhhZNS0_12_GLOBAL__N_121threshold_kernel_implIhEEvRNS_18TensorIteratorBaseET_S7_EUlhhE_EESt5arrayIPcLm2EEEEviT0_T1_.num_agpr, 0
	.set _ZN2at6native29vectorized_elementwise_kernelILi8ENS0_13BUnaryFunctorIhhhZNS0_12_GLOBAL__N_121threshold_kernel_implIhEEvRNS_18TensorIteratorBaseET_S7_EUlhhE_EESt5arrayIPcLm2EEEEviT0_T1_.numbered_sgpr, 58
	.set _ZN2at6native29vectorized_elementwise_kernelILi8ENS0_13BUnaryFunctorIhhhZNS0_12_GLOBAL__N_121threshold_kernel_implIhEEvRNS_18TensorIteratorBaseET_S7_EUlhhE_EESt5arrayIPcLm2EEEEviT0_T1_.num_named_barrier, 0
	.set _ZN2at6native29vectorized_elementwise_kernelILi8ENS0_13BUnaryFunctorIhhhZNS0_12_GLOBAL__N_121threshold_kernel_implIhEEvRNS_18TensorIteratorBaseET_S7_EUlhhE_EESt5arrayIPcLm2EEEEviT0_T1_.private_seg_size, 0
	.set _ZN2at6native29vectorized_elementwise_kernelILi8ENS0_13BUnaryFunctorIhhhZNS0_12_GLOBAL__N_121threshold_kernel_implIhEEvRNS_18TensorIteratorBaseET_S7_EUlhhE_EESt5arrayIPcLm2EEEEviT0_T1_.uses_vcc, 1
	.set _ZN2at6native29vectorized_elementwise_kernelILi8ENS0_13BUnaryFunctorIhhhZNS0_12_GLOBAL__N_121threshold_kernel_implIhEEvRNS_18TensorIteratorBaseET_S7_EUlhhE_EESt5arrayIPcLm2EEEEviT0_T1_.uses_flat_scratch, 0
	.set _ZN2at6native29vectorized_elementwise_kernelILi8ENS0_13BUnaryFunctorIhhhZNS0_12_GLOBAL__N_121threshold_kernel_implIhEEvRNS_18TensorIteratorBaseET_S7_EUlhhE_EESt5arrayIPcLm2EEEEviT0_T1_.has_dyn_sized_stack, 0
	.set _ZN2at6native29vectorized_elementwise_kernelILi8ENS0_13BUnaryFunctorIhhhZNS0_12_GLOBAL__N_121threshold_kernel_implIhEEvRNS_18TensorIteratorBaseET_S7_EUlhhE_EESt5arrayIPcLm2EEEEviT0_T1_.has_recursion, 0
	.set _ZN2at6native29vectorized_elementwise_kernelILi8ENS0_13BUnaryFunctorIhhhZNS0_12_GLOBAL__N_121threshold_kernel_implIhEEvRNS_18TensorIteratorBaseET_S7_EUlhhE_EESt5arrayIPcLm2EEEEviT0_T1_.has_indirect_call, 0
	.section	.AMDGPU.csdata,"",@progbits
; Kernel info:
; codeLenInByte = 3108
; TotalNumSgprs: 62
; NumVgprs: 23
; ScratchSize: 0
; MemoryBound: 0
; FloatMode: 240
; IeeeMode: 1
; LDSByteSize: 0 bytes/workgroup (compile time only)
; SGPRBlocks: 7
; VGPRBlocks: 5
; NumSGPRsForWavesPerEU: 62
; NumVGPRsForWavesPerEU: 23
; Occupancy: 10
; WaveLimiterHint : 1
; COMPUTE_PGM_RSRC2:SCRATCH_EN: 0
; COMPUTE_PGM_RSRC2:USER_SGPR: 6
; COMPUTE_PGM_RSRC2:TRAP_HANDLER: 0
; COMPUTE_PGM_RSRC2:TGID_X_EN: 1
; COMPUTE_PGM_RSRC2:TGID_Y_EN: 0
; COMPUTE_PGM_RSRC2:TGID_Z_EN: 0
; COMPUTE_PGM_RSRC2:TIDIG_COMP_CNT: 0
	.section	.text._ZN2at6native29vectorized_elementwise_kernelILi4ENS0_13BUnaryFunctorIhhhZNS0_12_GLOBAL__N_121threshold_kernel_implIhEEvRNS_18TensorIteratorBaseET_S7_EUlhhE_EESt5arrayIPcLm2EEEEviT0_T1_,"axG",@progbits,_ZN2at6native29vectorized_elementwise_kernelILi4ENS0_13BUnaryFunctorIhhhZNS0_12_GLOBAL__N_121threshold_kernel_implIhEEvRNS_18TensorIteratorBaseET_S7_EUlhhE_EESt5arrayIPcLm2EEEEviT0_T1_,comdat
	.globl	_ZN2at6native29vectorized_elementwise_kernelILi4ENS0_13BUnaryFunctorIhhhZNS0_12_GLOBAL__N_121threshold_kernel_implIhEEvRNS_18TensorIteratorBaseET_S7_EUlhhE_EESt5arrayIPcLm2EEEEviT0_T1_ ; -- Begin function _ZN2at6native29vectorized_elementwise_kernelILi4ENS0_13BUnaryFunctorIhhhZNS0_12_GLOBAL__N_121threshold_kernel_implIhEEvRNS_18TensorIteratorBaseET_S7_EUlhhE_EESt5arrayIPcLm2EEEEviT0_T1_
	.p2align	8
	.type	_ZN2at6native29vectorized_elementwise_kernelILi4ENS0_13BUnaryFunctorIhhhZNS0_12_GLOBAL__N_121threshold_kernel_implIhEEvRNS_18TensorIteratorBaseET_S7_EUlhhE_EESt5arrayIPcLm2EEEEviT0_T1_,@function
_ZN2at6native29vectorized_elementwise_kernelILi4ENS0_13BUnaryFunctorIhhhZNS0_12_GLOBAL__N_121threshold_kernel_implIhEEvRNS_18TensorIteratorBaseET_S7_EUlhhE_EESt5arrayIPcLm2EEEEviT0_T1_: ; @_ZN2at6native29vectorized_elementwise_kernelILi4ENS0_13BUnaryFunctorIhhhZNS0_12_GLOBAL__N_121threshold_kernel_implIhEEvRNS_18TensorIteratorBaseET_S7_EUlhhE_EESt5arrayIPcLm2EEEEviT0_T1_
; %bb.0:
	v_mov_b32_e32 v1, 0
	global_load_ubyte v2, v1, s[4:5] offset:6
	global_load_ushort v4, v1, s[4:5] offset:4
	s_load_dword s0, s[4:5], 0x0
	s_load_dwordx4 s[28:31], s[4:5], 0x8
	s_lshl_b32 s54, s6, 12
	s_waitcnt lgkmcnt(0)
	s_sub_i32 s33, s0, s54
	s_cmpk_gt_i32 s33, 0xfff
	s_mov_b64 s[0:1], -1
	s_waitcnt vmcnt(1)
	v_lshlrev_b32_e32 v1, 16, v2
	s_waitcnt vmcnt(0)
	v_or_b32_e32 v3, v4, v1
	s_cbranch_scc0 .LBB10_2
; %bb.1:
	s_ashr_i32 s2, s54, 31
	s_add_u32 s0, s30, s54
	s_addc_u32 s1, s31, s2
	v_lshlrev_b32_e32 v1, 2, v0
	global_load_dword v2, v1, s[0:1]
	global_load_dword v5, v1, s[0:1] offset:1024
	global_load_dword v6, v1, s[0:1] offset:2048
	;; [unrolled: 1-line block ×3, first 2 shown]
	s_add_u32 s0, s28, s54
	s_addc_u32 s1, s29, s2
	s_movk_i32 s4, 0xff
	s_waitcnt vmcnt(3)
	v_cmp_gt_u16_sdwa s[2:3], v2, v4 src0_sel:BYTE_0 src1_sel:BYTE_0
	v_cndmask_b32_e64 v8, 8, 16, s[2:3]
	v_cmp_gt_u16_sdwa s[2:3], v2, v4 src0_sel:BYTE_3 src1_sel:BYTE_0
	v_lshrrev_b32_e32 v9, 8, v2
	v_and_b32_sdwa v10, v2, s4 dst_sel:DWORD dst_unused:UNUSED_PAD src0_sel:WORD_1 src1_sel:DWORD
	v_cndmask_b32_e64 v2, 8, 16, s[2:3]
	s_waitcnt vmcnt(2)
	v_cmp_gt_u16_sdwa s[2:3], v5, v4 src0_sel:BYTE_0 src1_sel:BYTE_0
	v_cndmask_b32_e64 v11, 8, 16, s[2:3]
	v_cmp_gt_u16_sdwa s[2:3], v5, v4 src0_sel:BYTE_3 src1_sel:BYTE_0
	v_lshrrev_b32_e32 v12, 8, v5
	v_and_b32_sdwa v13, v5, s4 dst_sel:DWORD dst_unused:UNUSED_PAD src0_sel:WORD_1 src1_sel:DWORD
	v_cndmask_b32_e64 v5, 8, 16, s[2:3]
	;; [unrolled: 7-line block ×4, first 2 shown]
	v_cmp_gt_u16_sdwa s[2:3], v9, v4 src0_sel:BYTE_0 src1_sel:BYTE_0
	v_cndmask_b32_e64 v9, 8, 16, s[2:3]
	v_cmp_gt_u16_sdwa s[2:3], v10, v4 src0_sel:DWORD src1_sel:BYTE_0
	v_cndmask_b32_e64 v10, 8, 16, s[2:3]
	v_cmp_gt_u16_sdwa s[2:3], v12, v4 src0_sel:BYTE_0 src1_sel:BYTE_0
	v_cndmask_b32_e64 v12, 8, 16, s[2:3]
	v_cmp_gt_u16_sdwa s[2:3], v13, v4 src0_sel:DWORD src1_sel:BYTE_0
	v_cndmask_b32_e64 v13, 8, 16, s[2:3]
	;; [unrolled: 4-line block ×3, first 2 shown]
	v_cmp_gt_u16_sdwa s[2:3], v18, v4 src0_sel:BYTE_0 src1_sel:BYTE_0
	v_cndmask_b32_e64 v18, 8, 16, s[2:3]
	v_cmp_gt_u16_sdwa s[2:3], v19, v4 src0_sel:DWORD src1_sel:BYTE_0
	v_lshrrev_b32_e32 v8, v8, v3
	v_lshrrev_b32_sdwa v2, v2, v3 dst_sel:BYTE_1 dst_unused:UNUSED_PAD src0_sel:DWORD src1_sel:DWORD
	v_cndmask_b32_e64 v19, 8, 16, s[2:3]
	v_lshrrev_b32_sdwa v9, v9, v3 dst_sel:BYTE_1 dst_unused:UNUSED_PAD src0_sel:DWORD src1_sel:DWORD
	v_lshrrev_b32_e32 v10, v10, v3
	v_lshrrev_b32_e32 v11, v11, v3
	v_lshrrev_b32_sdwa v5, v5, v3 dst_sel:BYTE_1 dst_unused:UNUSED_PAD src0_sel:DWORD src1_sel:DWORD
	v_lshrrev_b32_e32 v14, v14, v3
	v_lshrrev_b32_sdwa v6, v6, v3 dst_sel:BYTE_1 dst_unused:UNUSED_PAD src0_sel:DWORD src1_sel:DWORD
	;; [unrolled: 2-line block ×3, first 2 shown]
	v_lshrrev_b32_sdwa v12, v12, v3 dst_sel:BYTE_1 dst_unused:UNUSED_PAD src0_sel:DWORD src1_sel:DWORD
	v_lshrrev_b32_e32 v13, v13, v3
	v_lshrrev_b32_sdwa v15, v15, v3 dst_sel:BYTE_1 dst_unused:UNUSED_PAD src0_sel:DWORD src1_sel:DWORD
	v_lshrrev_b32_e32 v16, v16, v3
	;; [unrolled: 2-line block ×3, first 2 shown]
	v_or_b32_sdwa v8, v8, v9 dst_sel:DWORD dst_unused:UNUSED_PAD src0_sel:BYTE_0 src1_sel:DWORD
	v_or_b32_sdwa v2, v10, v2 dst_sel:WORD_1 dst_unused:UNUSED_PAD src0_sel:BYTE_0 src1_sel:DWORD
	v_or_b32_sdwa v17, v17, v18 dst_sel:DWORD dst_unused:UNUSED_PAD src0_sel:BYTE_0 src1_sel:DWORD
	v_or_b32_sdwa v7, v19, v7 dst_sel:WORD_1 dst_unused:UNUSED_PAD src0_sel:BYTE_0 src1_sel:DWORD
	;; [unrolled: 2-line block ×4, first 2 shown]
	v_or_b32_sdwa v2, v8, v2 dst_sel:DWORD dst_unused:UNUSED_PAD src0_sel:WORD_0 src1_sel:DWORD
	v_or_b32_sdwa v7, v17, v7 dst_sel:DWORD dst_unused:UNUSED_PAD src0_sel:WORD_0 src1_sel:DWORD
	;; [unrolled: 1-line block ×4, first 2 shown]
	global_store_dword v1, v2, s[0:1]
	global_store_dword v1, v5, s[0:1] offset:1024
	global_store_dword v1, v6, s[0:1] offset:2048
	;; [unrolled: 1-line block ×3, first 2 shown]
	s_mov_b64 s[0:1], 0
.LBB10_2:
	s_andn2_b64 vcc, exec, s[0:1]
	s_cbranch_vccnz .LBB10_52
; %bb.3:
	v_cmp_gt_i32_e32 vcc, s33, v0
	v_or_b32_e32 v7, 0x100, v0
	v_mov_b32_e32 v22, 0
	v_mov_b32_e32 v6, 8
	v_or_b32_e32 v5, s54, v0
	v_mov_b32_e32 v21, 0
	v_mov_b32_e32 v20, 0
	;; [unrolled: 1-line block ×14, first 2 shown]
	s_and_saveexec_b64 s[2:3], vcc
	s_cbranch_execz .LBB10_35
; %bb.4:
	global_load_ubyte v8, v5, s[30:31]
	v_cmp_gt_u32_e64 s[0:1], s33, v7
	v_mov_b32_e32 v6, 8
	v_mov_b32_e32 v10, 0
	;; [unrolled: 1-line block ×15, first 2 shown]
	s_and_saveexec_b64 s[4:5], s[0:1]
	s_cbranch_execz .LBB10_34
; %bb.5:
	v_add_u32_e32 v1, s54, v0
	global_load_ubyte v10, v1, s[30:31] offset:256
	v_or_b32_e32 v2, 0x200, v0
	v_mov_b32_e32 v11, 0
	v_cmp_gt_u32_e64 s[0:1], s33, v2
	v_mov_b32_e32 v6, 8
	v_mov_b32_e32 v9, 0
	;; [unrolled: 1-line block ×13, first 2 shown]
	s_and_saveexec_b64 s[6:7], s[0:1]
	s_cbranch_execz .LBB10_33
; %bb.6:
	v_mov_b32_e32 v2, s31
	v_add_co_u32_e64 v1, s[0:1], s30, v1
	v_addc_co_u32_e64 v2, s[0:1], 0, v2, s[0:1]
	global_load_ubyte v11, v[1:2], off offset:512
	v_or_b32_e32 v6, 0x300, v0
	v_cmp_gt_u32_e64 s[0:1], s33, v6
	v_mov_b32_e32 v6, 8
	v_mov_b32_e32 v9, 0
	;; [unrolled: 1-line block ×13, first 2 shown]
	s_and_saveexec_b64 s[8:9], s[0:1]
	s_cbranch_execz .LBB10_32
; %bb.7:
	global_load_ubyte v9, v[1:2], off offset:768
	v_or_b32_e32 v6, 0x400, v0
	v_cmp_gt_u32_e64 s[0:1], s33, v6
	v_mov_b32_e32 v6, 8
	v_mov_b32_e32 v12, 0
	;; [unrolled: 1-line block ×12, first 2 shown]
	s_and_saveexec_b64 s[10:11], s[0:1]
	s_cbranch_execz .LBB10_31
; %bb.8:
	global_load_ubyte v12, v[1:2], off offset:1024
	v_or_b32_e32 v6, 0x500, v0
	v_cmp_gt_u32_e64 s[0:1], s33, v6
	v_mov_b32_e32 v6, 8
	v_mov_b32_e32 v13, 0
	;; [unrolled: 1-line block ×11, first 2 shown]
	s_and_saveexec_b64 s[12:13], s[0:1]
	s_cbranch_execz .LBB10_30
; %bb.9:
	global_load_ubyte v13, v[1:2], off offset:1280
	v_or_b32_e32 v6, 0x600, v0
	v_cmp_gt_u32_e64 s[0:1], s33, v6
	v_mov_b32_e32 v6, 8
	v_mov_b32_e32 v14, 0
	;; [unrolled: 1-line block ×10, first 2 shown]
	s_and_saveexec_b64 s[14:15], s[0:1]
	s_cbranch_execz .LBB10_29
; %bb.10:
	global_load_ubyte v14, v[1:2], off offset:1536
	v_or_b32_e32 v6, 0x700, v0
	v_cmp_gt_u32_e64 s[0:1], s33, v6
	v_mov_b32_e32 v6, 8
	v_mov_b32_e32 v15, 0
	;; [unrolled: 1-line block ×9, first 2 shown]
	s_and_saveexec_b64 s[16:17], s[0:1]
	s_cbranch_execz .LBB10_28
; %bb.11:
	global_load_ubyte v15, v[1:2], off offset:1792
	v_or_b32_e32 v6, 0x800, v0
	v_cmp_gt_u32_e64 s[0:1], s33, v6
	v_mov_b32_e32 v6, 8
	v_mov_b32_e32 v16, 0
	;; [unrolled: 1-line block ×8, first 2 shown]
	s_and_saveexec_b64 s[18:19], s[0:1]
	s_cbranch_execz .LBB10_27
; %bb.12:
	global_load_ubyte v16, v[1:2], off offset:2048
	v_or_b32_e32 v6, 0x900, v0
	v_cmp_gt_u32_e64 s[0:1], s33, v6
	v_mov_b32_e32 v6, 8
	v_mov_b32_e32 v17, 0
	;; [unrolled: 1-line block ×7, first 2 shown]
	s_and_saveexec_b64 s[20:21], s[0:1]
	s_cbranch_execz .LBB10_26
; %bb.13:
	global_load_ubyte v17, v[1:2], off offset:2304
	v_or_b32_e32 v6, 0xa00, v0
	v_cmp_gt_u32_e64 s[0:1], s33, v6
	v_mov_b32_e32 v6, 8
	v_mov_b32_e32 v18, 0
	;; [unrolled: 1-line block ×6, first 2 shown]
	s_and_saveexec_b64 s[22:23], s[0:1]
	s_cbranch_execz .LBB10_25
; %bb.14:
	global_load_ubyte v18, v[1:2], off offset:2560
	v_or_b32_e32 v6, 0xb00, v0
	v_cmp_gt_u32_e64 s[0:1], s33, v6
	v_mov_b32_e32 v6, 8
	v_mov_b32_e32 v19, 0
	v_mov_b32_e32 v20, 0
	v_mov_b32_e32 v21, 0
	v_mov_b32_e32 v22, 0
	s_and_saveexec_b64 s[24:25], s[0:1]
	s_cbranch_execz .LBB10_24
; %bb.15:
	global_load_ubyte v19, v[1:2], off offset:2816
	v_or_b32_e32 v6, 0xc00, v0
	v_cmp_gt_u32_e64 s[0:1], s33, v6
	v_mov_b32_e32 v6, 8
	v_mov_b32_e32 v20, 0
	;; [unrolled: 1-line block ×4, first 2 shown]
	s_and_saveexec_b64 s[26:27], s[0:1]
	s_cbranch_execz .LBB10_23
; %bb.16:
	global_load_ubyte v20, v[1:2], off offset:3072
	v_or_b32_e32 v6, 0xd00, v0
	v_cmp_gt_u32_e64 s[0:1], s33, v6
	v_mov_b32_e32 v6, 8
	v_mov_b32_e32 v21, 0
	v_mov_b32_e32 v22, 0
	s_and_saveexec_b64 s[30:31], s[0:1]
	s_cbranch_execz .LBB10_22
; %bb.17:
	global_load_ubyte v21, v[1:2], off offset:3328
	v_or_b32_e32 v6, 0xe00, v0
	v_cmp_gt_u32_e64 s[0:1], s33, v6
	v_mov_b32_e32 v6, 8
	v_mov_b32_e32 v22, 0
	s_and_saveexec_b64 s[34:35], s[0:1]
	s_cbranch_execz .LBB10_21
; %bb.18:
	global_load_ubyte v22, v[1:2], off offset:3584
	v_or_b32_e32 v6, 0xf00, v0
	v_cmp_gt_u32_e64 s[0:1], s33, v6
	v_mov_b32_e32 v6, 8
	s_and_saveexec_b64 s[36:37], s[0:1]
	s_cbranch_execz .LBB10_20
; %bb.19:
	global_load_ubyte v1, v[1:2], off offset:3840
	s_waitcnt vmcnt(0)
	v_cmp_gt_u16_sdwa s[0:1], v1, v4 src0_sel:DWORD src1_sel:BYTE_0
	v_cndmask_b32_e64 v6, 8, 16, s[0:1]
.LBB10_20:
	s_or_b64 exec, exec, s[36:37]
.LBB10_21:
	s_or_b64 exec, exec, s[34:35]
.LBB10_22:
	s_or_b64 exec, exec, s[30:31]
.LBB10_23:
	s_or_b64 exec, exec, s[26:27]
.LBB10_24:
	s_or_b64 exec, exec, s[24:25]
.LBB10_25:
	s_or_b64 exec, exec, s[22:23]
.LBB10_26:
	s_or_b64 exec, exec, s[20:21]
.LBB10_27:
	s_or_b64 exec, exec, s[18:19]
.LBB10_28:
	s_or_b64 exec, exec, s[16:17]
.LBB10_29:
	s_or_b64 exec, exec, s[14:15]
.LBB10_30:
	s_or_b64 exec, exec, s[12:13]
.LBB10_31:
	s_or_b64 exec, exec, s[10:11]
.LBB10_32:
	s_or_b64 exec, exec, s[8:9]
.LBB10_33:
	s_or_b64 exec, exec, s[6:7]
.LBB10_34:
	s_or_b64 exec, exec, s[4:5]
.LBB10_35:
	s_or_b64 exec, exec, s[2:3]
	s_and_saveexec_b64 s[0:1], vcc
	s_cbranch_execz .LBB10_52
; %bb.36:
	s_waitcnt vmcnt(0)
	v_cmp_gt_u16_sdwa s[0:1], v8, v4 src0_sel:BYTE_0 src1_sel:BYTE_0
	v_cndmask_b32_e64 v1, 8, 16, s[0:1]
	v_cmp_gt_u16_sdwa s[0:1], v10, v4 src0_sel:BYTE_0 src1_sel:BYTE_0
	v_bfe_u32 v1, v3, v1, 8
	v_cndmask_b32_e64 v2, 8, 16, s[0:1]
	v_cndmask_b32_e32 v1, 0, v1, vcc
	v_lshrrev_b32_sdwa v2, v2, v3 dst_sel:BYTE_1 dst_unused:UNUSED_PAD src0_sel:DWORD src1_sel:DWORD
	v_or_b32_e32 v2, v1, v2
	v_and_b32_e32 v2, 0xffff, v2
	v_cmp_gt_i32_e64 s[26:27], s33, v7
	v_cmp_gt_u16_sdwa s[0:1], v11, v4 src0_sel:BYTE_0 src1_sel:BYTE_0
	v_cndmask_b32_e64 v1, v1, v2, s[26:27]
	s_movk_i32 s57, 0xff00
	v_cndmask_b32_e64 v7, 8, 16, s[0:1]
	v_and_b32_sdwa v2, v1, s57 dst_sel:DWORD dst_unused:UNUSED_PAD src0_sel:WORD_1 src1_sel:DWORD
	v_lshrrev_b32_e32 v7, v7, v3
	v_or_b32_sdwa v2, v7, v2 dst_sel:WORD_1 dst_unused:UNUSED_PAD src0_sel:BYTE_0 src1_sel:DWORD
	v_or_b32_e32 v7, 0x200, v0
	v_or_b32_e32 v2, v1, v2
	v_cmp_gt_i32_e64 s[20:21], s33, v7
	v_cmp_gt_u16_sdwa s[0:1], v9, v4 src0_sel:BYTE_0 src1_sel:BYTE_0
	s_movk_i32 s55, 0xff
	v_cndmask_b32_e64 v1, v1, v2, s[20:21]
	v_cndmask_b32_e64 v8, 8, 16, s[0:1]
	v_and_b32_sdwa v2, v1, s55 dst_sel:DWORD dst_unused:UNUSED_PAD src0_sel:WORD_1 src1_sel:DWORD
	v_lshrrev_b32_sdwa v8, v8, v3 dst_sel:BYTE_1 dst_unused:UNUSED_PAD src0_sel:DWORD src1_sel:DWORD
	s_mov_b32 s56, 0xffff
	v_or_b32_e32 v7, 0x300, v0
	v_or_b32_sdwa v2, v2, v8 dst_sel:WORD_1 dst_unused:UNUSED_PAD src0_sel:DWORD src1_sel:DWORD
	v_and_or_b32 v2, v1, s56, v2
	v_cmp_gt_i32_e64 s[18:19], s33, v7
	v_cndmask_b32_e64 v9, v1, v2, s[18:19]
	v_or_b32_e32 v1, 0x500, v0
	v_cmp_gt_i32_e64 s[16:17], s33, v1
	v_or_b32_e32 v1, 0x600, v0
	v_cmp_gt_i32_e64 s[14:15], s33, v1
	;; [unrolled: 2-line block ×7, first 2 shown]
	v_or_b32_e32 v1, 0xe00, v0
	v_or_b32_e32 v8, 0x400, v0
	;; [unrolled: 1-line block ×4, first 2 shown]
	v_cmp_gt_i32_e64 s[2:3], s33, v1
	v_or_b32_e32 v1, 0xf00, v0
	v_cmp_gt_u16_sdwa s[50:51], v12, v4 src0_sel:BYTE_0 src1_sel:BYTE_0
	v_cmp_gt_i32_e32 vcc, s33, v8
	v_cmp_gt_u16_sdwa s[52:53], v13, v4 src0_sel:BYTE_0 src1_sel:BYTE_0
	v_cmp_gt_u16_sdwa s[48:49], v14, v4 src0_sel:BYTE_0 src1_sel:BYTE_0
	;; [unrolled: 1-line block ×3, first 2 shown]
	v_cmp_gt_i32_e64 s[24:25], s33, v7
	v_cmp_gt_u16_sdwa s[42:43], v16, v4 src0_sel:BYTE_0 src1_sel:BYTE_0
	v_cmp_gt_u16_sdwa s[44:45], v17, v4 src0_sel:BYTE_0 src1_sel:BYTE_0
	;; [unrolled: 1-line block ×4, first 2 shown]
	v_cmp_gt_i32_e64 s[22:23], s33, v2
	v_cmp_gt_u16_sdwa s[36:37], v20, v4 src0_sel:BYTE_0 src1_sel:BYTE_0
	v_cmp_gt_u16_sdwa s[34:35], v21, v4 src0_sel:BYTE_0 src1_sel:BYTE_0
	;; [unrolled: 1-line block ×3, first 2 shown]
	v_cmp_gt_i32_e64 s[0:1], s33, v1
	global_store_byte v5, v9, s[28:29]
	s_and_b64 exec, exec, s[26:27]
	s_cbranch_execz .LBB10_52
; %bb.37:
	v_cndmask_b32_e64 v1, 8, 16, s[50:51]
	v_lshrrev_b32_e32 v1, v1, v3
	v_and_b32_sdwa v1, s56, v1 dst_sel:DWORD dst_unused:UNUSED_PAD src0_sel:DWORD src1_sel:BYTE_0
	v_cndmask_b32_e64 v4, 8, 16, s[52:53]
	v_cndmask_b32_e32 v1, 0, v1, vcc
	v_lshrrev_b32_sdwa v4, v4, v3 dst_sel:BYTE_1 dst_unused:UNUSED_PAD src0_sel:DWORD src1_sel:DWORD
	v_or_b32_sdwa v4, v1, v4 dst_sel:DWORD dst_unused:UNUSED_PAD src0_sel:BYTE_0 src1_sel:DWORD
	v_and_b32_e32 v4, 0xffff, v4
	v_cndmask_b32_e64 v1, v1, v4, s[16:17]
	v_cndmask_b32_e64 v5, 8, 16, s[48:49]
	v_and_b32_sdwa v4, v1, s57 dst_sel:DWORD dst_unused:UNUSED_PAD src0_sel:WORD_1 src1_sel:DWORD
	v_lshrrev_b32_e32 v5, v5, v3
	v_or_b32_sdwa v4, v5, v4 dst_sel:WORD_1 dst_unused:UNUSED_PAD src0_sel:BYTE_0 src1_sel:DWORD
	v_and_or_b32 v4, v1, s56, v4
	v_cndmask_b32_e64 v1, v1, v4, s[14:15]
	v_cndmask_b32_e64 v5, 8, 16, s[46:47]
	v_and_b32_sdwa v4, v1, s55 dst_sel:DWORD dst_unused:UNUSED_PAD src0_sel:WORD_1 src1_sel:DWORD
	v_lshrrev_b32_sdwa v5, v5, v3 dst_sel:BYTE_1 dst_unused:UNUSED_PAD src0_sel:DWORD src1_sel:DWORD
	v_or_b32_sdwa v4, v4, v5 dst_sel:WORD_1 dst_unused:UNUSED_PAD src0_sel:DWORD src1_sel:DWORD
	v_and_or_b32 v4, v1, s56, v4
	v_cndmask_b32_e64 v5, v1, v4, s[12:13]
	v_cndmask_b32_e64 v1, 8, 16, s[42:43]
	v_bfe_u32 v1, v3, v1, 8
	v_cndmask_b32_e64 v4, 8, 16, s[44:45]
	v_cndmask_b32_e64 v1, 0, v1, s[24:25]
	v_lshrrev_b32_sdwa v4, v4, v3 dst_sel:BYTE_1 dst_unused:UNUSED_PAD src0_sel:DWORD src1_sel:DWORD
	v_or_b32_e32 v4, v1, v4
	v_and_b32_e32 v4, 0xffff, v4
	v_cndmask_b32_e64 v1, v1, v4, s[10:11]
	v_cndmask_b32_e64 v10, 8, 16, s[40:41]
	v_and_b32_sdwa v4, v1, s57 dst_sel:DWORD dst_unused:UNUSED_PAD src0_sel:WORD_1 src1_sel:DWORD
	v_lshrrev_b32_e32 v10, v10, v3
	v_or_b32_sdwa v4, v10, v4 dst_sel:WORD_1 dst_unused:UNUSED_PAD src0_sel:BYTE_0 src1_sel:DWORD
	v_or_b32_e32 v4, v1, v4
	v_cndmask_b32_e64 v1, v1, v4, s[8:9]
	v_cndmask_b32_e64 v10, 8, 16, s[38:39]
	v_and_b32_sdwa v4, v1, s55 dst_sel:DWORD dst_unused:UNUSED_PAD src0_sel:WORD_1 src1_sel:DWORD
	v_lshrrev_b32_sdwa v10, v10, v3 dst_sel:BYTE_1 dst_unused:UNUSED_PAD src0_sel:DWORD src1_sel:DWORD
	v_or_b32_sdwa v4, v4, v10 dst_sel:WORD_1 dst_unused:UNUSED_PAD src0_sel:DWORD src1_sel:DWORD
	v_and_or_b32 v4, v1, s56, v4
	v_cndmask_b32_e64 v4, v1, v4, s[6:7]
	v_cndmask_b32_e64 v1, 8, 16, s[36:37]
	v_bfe_u32 v1, v3, v1, 8
	v_cndmask_b32_e64 v10, 8, 16, s[34:35]
	v_cndmask_b32_e64 v1, 0, v1, s[22:23]
	v_lshrrev_b32_sdwa v10, v10, v3 dst_sel:BYTE_1 dst_unused:UNUSED_PAD src0_sel:DWORD src1_sel:DWORD
	v_or_b32_sdwa v10, v1, v10 dst_sel:DWORD dst_unused:UNUSED_PAD src0_sel:BYTE_0 src1_sel:DWORD
	v_and_b32_e32 v10, 0xffff, v10
	s_mov_b32 s22, 0xffff0000
	v_and_or_b32 v10, v1, s22, v10
	v_cndmask_b32_e64 v1, v1, v10, s[4:5]
	v_cndmask_b32_e64 v11, 8, 16, s[30:31]
	v_and_b32_sdwa v10, v1, s57 dst_sel:DWORD dst_unused:UNUSED_PAD src0_sel:WORD_1 src1_sel:DWORD
	v_lshrrev_b32_e32 v11, v11, v3
	v_or_b32_sdwa v10, v11, v10 dst_sel:WORD_1 dst_unused:UNUSED_PAD src0_sel:BYTE_0 src1_sel:DWORD
	v_and_or_b32 v10, v1, s56, v10
	v_cndmask_b32_e64 v1, v1, v10, s[2:3]
	v_and_b32_sdwa v10, v1, s55 dst_sel:DWORD dst_unused:UNUSED_PAD src0_sel:WORD_1 src1_sel:DWORD
	v_lshrrev_b32_sdwa v3, v6, v3 dst_sel:BYTE_1 dst_unused:UNUSED_PAD src0_sel:DWORD src1_sel:DWORD
	v_or_b32_sdwa v3, v10, v3 dst_sel:WORD_1 dst_unused:UNUSED_PAD src0_sel:DWORD src1_sel:DWORD
	v_and_or_b32 v3, v1, s56, v3
	v_cndmask_b32_e64 v3, v1, v3, s[0:1]
	v_lshrrev_b32_e32 v1, 8, v9
	v_add_u32_e32 v0, s54, v0
	global_store_byte v0, v1, s[28:29] offset:256
	s_and_b64 exec, exec, s[20:21]
	s_cbranch_execz .LBB10_52
; %bb.38:
	v_mov_b32_e32 v1, s29
	v_add_co_u32_e32 v0, vcc, s28, v0
	v_addc_co_u32_e32 v1, vcc, 0, v1, vcc
	global_store_byte_d16_hi v[0:1], v9, off offset:512
	s_and_b64 exec, exec, s[18:19]
	s_cbranch_execz .LBB10_52
; %bb.39:
	v_lshrrev_b32_e32 v6, 24, v9
	v_cmp_gt_u32_e32 vcc, s33, v8
	global_store_byte v[0:1], v6, off offset:768
	s_and_b64 exec, exec, vcc
	s_cbranch_execz .LBB10_52
; %bb.40:
	global_store_byte v[0:1], v5, off offset:1024
	s_and_b64 exec, exec, s[16:17]
	s_cbranch_execz .LBB10_52
; %bb.41:
	v_lshrrev_b32_e32 v6, 8, v5
	global_store_byte v[0:1], v6, off offset:1280
	s_and_b64 exec, exec, s[14:15]
	s_cbranch_execz .LBB10_52
; %bb.42:
	global_store_byte_d16_hi v[0:1], v5, off offset:1536
	s_and_b64 exec, exec, s[12:13]
	s_cbranch_execz .LBB10_52
; %bb.43:
	v_lshrrev_b32_e32 v5, 24, v5
	v_cmp_gt_u32_e32 vcc, s33, v7
	global_store_byte v[0:1], v5, off offset:1792
	s_and_b64 exec, exec, vcc
	s_cbranch_execz .LBB10_52
; %bb.44:
	global_store_byte v[0:1], v4, off offset:2048
	s_and_b64 exec, exec, s[10:11]
	s_cbranch_execz .LBB10_52
; %bb.45:
	v_lshrrev_b32_e32 v5, 8, v4
	global_store_byte v[0:1], v5, off offset:2304
	s_and_b64 exec, exec, s[8:9]
	s_cbranch_execz .LBB10_52
; %bb.46:
	;; [unrolled: 19-line block ×3, first 2 shown]
	global_store_byte_d16_hi v[0:1], v3, off offset:3584
	s_and_b64 exec, exec, s[0:1]
	s_cbranch_execz .LBB10_52
; %bb.51:
	v_lshrrev_b32_e32 v2, 24, v3
	global_store_byte v[0:1], v2, off offset:3840
.LBB10_52:
	s_endpgm
	.section	.rodata,"a",@progbits
	.p2align	6, 0x0
	.amdhsa_kernel _ZN2at6native29vectorized_elementwise_kernelILi4ENS0_13BUnaryFunctorIhhhZNS0_12_GLOBAL__N_121threshold_kernel_implIhEEvRNS_18TensorIteratorBaseET_S7_EUlhhE_EESt5arrayIPcLm2EEEEviT0_T1_
		.amdhsa_group_segment_fixed_size 0
		.amdhsa_private_segment_fixed_size 0
		.amdhsa_kernarg_size 24
		.amdhsa_user_sgpr_count 6
		.amdhsa_user_sgpr_private_segment_buffer 1
		.amdhsa_user_sgpr_dispatch_ptr 0
		.amdhsa_user_sgpr_queue_ptr 0
		.amdhsa_user_sgpr_kernarg_segment_ptr 1
		.amdhsa_user_sgpr_dispatch_id 0
		.amdhsa_user_sgpr_flat_scratch_init 0
		.amdhsa_user_sgpr_private_segment_size 0
		.amdhsa_uses_dynamic_stack 0
		.amdhsa_system_sgpr_private_segment_wavefront_offset 0
		.amdhsa_system_sgpr_workgroup_id_x 1
		.amdhsa_system_sgpr_workgroup_id_y 0
		.amdhsa_system_sgpr_workgroup_id_z 0
		.amdhsa_system_sgpr_workgroup_info 0
		.amdhsa_system_vgpr_workitem_id 0
		.amdhsa_next_free_vgpr 23
		.amdhsa_next_free_sgpr 58
		.amdhsa_reserve_vcc 1
		.amdhsa_reserve_flat_scratch 0
		.amdhsa_float_round_mode_32 0
		.amdhsa_float_round_mode_16_64 0
		.amdhsa_float_denorm_mode_32 3
		.amdhsa_float_denorm_mode_16_64 3
		.amdhsa_dx10_clamp 1
		.amdhsa_ieee_mode 1
		.amdhsa_fp16_overflow 0
		.amdhsa_exception_fp_ieee_invalid_op 0
		.amdhsa_exception_fp_denorm_src 0
		.amdhsa_exception_fp_ieee_div_zero 0
		.amdhsa_exception_fp_ieee_overflow 0
		.amdhsa_exception_fp_ieee_underflow 0
		.amdhsa_exception_fp_ieee_inexact 0
		.amdhsa_exception_int_div_zero 0
	.end_amdhsa_kernel
	.section	.text._ZN2at6native29vectorized_elementwise_kernelILi4ENS0_13BUnaryFunctorIhhhZNS0_12_GLOBAL__N_121threshold_kernel_implIhEEvRNS_18TensorIteratorBaseET_S7_EUlhhE_EESt5arrayIPcLm2EEEEviT0_T1_,"axG",@progbits,_ZN2at6native29vectorized_elementwise_kernelILi4ENS0_13BUnaryFunctorIhhhZNS0_12_GLOBAL__N_121threshold_kernel_implIhEEvRNS_18TensorIteratorBaseET_S7_EUlhhE_EESt5arrayIPcLm2EEEEviT0_T1_,comdat
.Lfunc_end10:
	.size	_ZN2at6native29vectorized_elementwise_kernelILi4ENS0_13BUnaryFunctorIhhhZNS0_12_GLOBAL__N_121threshold_kernel_implIhEEvRNS_18TensorIteratorBaseET_S7_EUlhhE_EESt5arrayIPcLm2EEEEviT0_T1_, .Lfunc_end10-_ZN2at6native29vectorized_elementwise_kernelILi4ENS0_13BUnaryFunctorIhhhZNS0_12_GLOBAL__N_121threshold_kernel_implIhEEvRNS_18TensorIteratorBaseET_S7_EUlhhE_EESt5arrayIPcLm2EEEEviT0_T1_
                                        ; -- End function
	.set _ZN2at6native29vectorized_elementwise_kernelILi4ENS0_13BUnaryFunctorIhhhZNS0_12_GLOBAL__N_121threshold_kernel_implIhEEvRNS_18TensorIteratorBaseET_S7_EUlhhE_EESt5arrayIPcLm2EEEEviT0_T1_.num_vgpr, 23
	.set _ZN2at6native29vectorized_elementwise_kernelILi4ENS0_13BUnaryFunctorIhhhZNS0_12_GLOBAL__N_121threshold_kernel_implIhEEvRNS_18TensorIteratorBaseET_S7_EUlhhE_EESt5arrayIPcLm2EEEEviT0_T1_.num_agpr, 0
	.set _ZN2at6native29vectorized_elementwise_kernelILi4ENS0_13BUnaryFunctorIhhhZNS0_12_GLOBAL__N_121threshold_kernel_implIhEEvRNS_18TensorIteratorBaseET_S7_EUlhhE_EESt5arrayIPcLm2EEEEviT0_T1_.numbered_sgpr, 58
	.set _ZN2at6native29vectorized_elementwise_kernelILi4ENS0_13BUnaryFunctorIhhhZNS0_12_GLOBAL__N_121threshold_kernel_implIhEEvRNS_18TensorIteratorBaseET_S7_EUlhhE_EESt5arrayIPcLm2EEEEviT0_T1_.num_named_barrier, 0
	.set _ZN2at6native29vectorized_elementwise_kernelILi4ENS0_13BUnaryFunctorIhhhZNS0_12_GLOBAL__N_121threshold_kernel_implIhEEvRNS_18TensorIteratorBaseET_S7_EUlhhE_EESt5arrayIPcLm2EEEEviT0_T1_.private_seg_size, 0
	.set _ZN2at6native29vectorized_elementwise_kernelILi4ENS0_13BUnaryFunctorIhhhZNS0_12_GLOBAL__N_121threshold_kernel_implIhEEvRNS_18TensorIteratorBaseET_S7_EUlhhE_EESt5arrayIPcLm2EEEEviT0_T1_.uses_vcc, 1
	.set _ZN2at6native29vectorized_elementwise_kernelILi4ENS0_13BUnaryFunctorIhhhZNS0_12_GLOBAL__N_121threshold_kernel_implIhEEvRNS_18TensorIteratorBaseET_S7_EUlhhE_EESt5arrayIPcLm2EEEEviT0_T1_.uses_flat_scratch, 0
	.set _ZN2at6native29vectorized_elementwise_kernelILi4ENS0_13BUnaryFunctorIhhhZNS0_12_GLOBAL__N_121threshold_kernel_implIhEEvRNS_18TensorIteratorBaseET_S7_EUlhhE_EESt5arrayIPcLm2EEEEviT0_T1_.has_dyn_sized_stack, 0
	.set _ZN2at6native29vectorized_elementwise_kernelILi4ENS0_13BUnaryFunctorIhhhZNS0_12_GLOBAL__N_121threshold_kernel_implIhEEvRNS_18TensorIteratorBaseET_S7_EUlhhE_EESt5arrayIPcLm2EEEEviT0_T1_.has_recursion, 0
	.set _ZN2at6native29vectorized_elementwise_kernelILi4ENS0_13BUnaryFunctorIhhhZNS0_12_GLOBAL__N_121threshold_kernel_implIhEEvRNS_18TensorIteratorBaseET_S7_EUlhhE_EESt5arrayIPcLm2EEEEviT0_T1_.has_indirect_call, 0
	.section	.AMDGPU.csdata,"",@progbits
; Kernel info:
; codeLenInByte = 3148
; TotalNumSgprs: 62
; NumVgprs: 23
; ScratchSize: 0
; MemoryBound: 0
; FloatMode: 240
; IeeeMode: 1
; LDSByteSize: 0 bytes/workgroup (compile time only)
; SGPRBlocks: 7
; VGPRBlocks: 5
; NumSGPRsForWavesPerEU: 62
; NumVGPRsForWavesPerEU: 23
; Occupancy: 10
; WaveLimiterHint : 1
; COMPUTE_PGM_RSRC2:SCRATCH_EN: 0
; COMPUTE_PGM_RSRC2:USER_SGPR: 6
; COMPUTE_PGM_RSRC2:TRAP_HANDLER: 0
; COMPUTE_PGM_RSRC2:TGID_X_EN: 1
; COMPUTE_PGM_RSRC2:TGID_Y_EN: 0
; COMPUTE_PGM_RSRC2:TGID_Z_EN: 0
; COMPUTE_PGM_RSRC2:TIDIG_COMP_CNT: 0
	.section	.text._ZN2at6native29vectorized_elementwise_kernelILi2ENS0_13BUnaryFunctorIhhhZNS0_12_GLOBAL__N_121threshold_kernel_implIhEEvRNS_18TensorIteratorBaseET_S7_EUlhhE_EESt5arrayIPcLm2EEEEviT0_T1_,"axG",@progbits,_ZN2at6native29vectorized_elementwise_kernelILi2ENS0_13BUnaryFunctorIhhhZNS0_12_GLOBAL__N_121threshold_kernel_implIhEEvRNS_18TensorIteratorBaseET_S7_EUlhhE_EESt5arrayIPcLm2EEEEviT0_T1_,comdat
	.globl	_ZN2at6native29vectorized_elementwise_kernelILi2ENS0_13BUnaryFunctorIhhhZNS0_12_GLOBAL__N_121threshold_kernel_implIhEEvRNS_18TensorIteratorBaseET_S7_EUlhhE_EESt5arrayIPcLm2EEEEviT0_T1_ ; -- Begin function _ZN2at6native29vectorized_elementwise_kernelILi2ENS0_13BUnaryFunctorIhhhZNS0_12_GLOBAL__N_121threshold_kernel_implIhEEvRNS_18TensorIteratorBaseET_S7_EUlhhE_EESt5arrayIPcLm2EEEEviT0_T1_
	.p2align	8
	.type	_ZN2at6native29vectorized_elementwise_kernelILi2ENS0_13BUnaryFunctorIhhhZNS0_12_GLOBAL__N_121threshold_kernel_implIhEEvRNS_18TensorIteratorBaseET_S7_EUlhhE_EESt5arrayIPcLm2EEEEviT0_T1_,@function
_ZN2at6native29vectorized_elementwise_kernelILi2ENS0_13BUnaryFunctorIhhhZNS0_12_GLOBAL__N_121threshold_kernel_implIhEEvRNS_18TensorIteratorBaseET_S7_EUlhhE_EESt5arrayIPcLm2EEEEviT0_T1_: ; @_ZN2at6native29vectorized_elementwise_kernelILi2ENS0_13BUnaryFunctorIhhhZNS0_12_GLOBAL__N_121threshold_kernel_implIhEEvRNS_18TensorIteratorBaseET_S7_EUlhhE_EESt5arrayIPcLm2EEEEviT0_T1_
; %bb.0:
	v_mov_b32_e32 v1, 0
	global_load_ubyte v2, v1, s[4:5] offset:6
	global_load_ushort v4, v1, s[4:5] offset:4
	s_load_dword s0, s[4:5], 0x0
	s_load_dwordx4 s[28:31], s[4:5], 0x8
	s_lshl_b32 s54, s6, 12
	s_waitcnt lgkmcnt(0)
	s_sub_i32 s33, s0, s54
	s_cmpk_gt_i32 s33, 0xfff
	s_mov_b64 s[0:1], -1
	s_waitcnt vmcnt(1)
	v_lshlrev_b32_e32 v1, 16, v2
	s_waitcnt vmcnt(0)
	v_or_b32_e32 v3, v4, v1
	s_cbranch_scc0 .LBB11_2
; %bb.1:
	s_ashr_i32 s2, s54, 31
	s_add_u32 s0, s30, s54
	s_addc_u32 s1, s31, s2
	v_lshlrev_b32_e32 v1, 1, v0
	global_load_ushort v2, v1, s[0:1]
	global_load_ushort v5, v1, s[0:1] offset:512
	global_load_ushort v6, v1, s[0:1] offset:1024
	;; [unrolled: 1-line block ×7, first 2 shown]
	s_add_u32 s0, s28, s54
	s_addc_u32 s1, s29, s2
	s_waitcnt vmcnt(7)
	v_cmp_gt_u16_sdwa s[2:3], v2, v4 src0_sel:BYTE_0 src1_sel:BYTE_0
	v_cndmask_b32_e64 v12, 8, 16, s[2:3]
	v_cmp_gt_u16_sdwa s[2:3], v2, v4 src0_sel:BYTE_1 src1_sel:BYTE_0
	v_cndmask_b32_e64 v2, 8, 16, s[2:3]
	s_waitcnt vmcnt(6)
	v_cmp_gt_u16_sdwa s[2:3], v5, v4 src0_sel:BYTE_0 src1_sel:BYTE_0
	v_cndmask_b32_e64 v13, 8, 16, s[2:3]
	v_cmp_gt_u16_sdwa s[2:3], v5, v4 src0_sel:BYTE_1 src1_sel:BYTE_0
	v_cndmask_b32_e64 v5, 8, 16, s[2:3]
	;; [unrolled: 5-line block ×8, first 2 shown]
	v_lshrrev_b32_e32 v12, v12, v3
	v_lshrrev_b32_sdwa v2, v2, v3 dst_sel:BYTE_1 dst_unused:UNUSED_PAD src0_sel:DWORD src1_sel:DWORD
	v_lshrrev_b32_e32 v13, v13, v3
	v_lshrrev_b32_sdwa v5, v5, v3 dst_sel:BYTE_1 dst_unused:UNUSED_PAD src0_sel:DWORD src1_sel:DWORD
	v_lshrrev_b32_e32 v14, v14, v3
	v_lshrrev_b32_sdwa v6, v6, v3 dst_sel:BYTE_1 dst_unused:UNUSED_PAD src0_sel:DWORD src1_sel:DWORD
	v_lshrrev_b32_e32 v15, v15, v3
	v_lshrrev_b32_sdwa v7, v7, v3 dst_sel:BYTE_1 dst_unused:UNUSED_PAD src0_sel:DWORD src1_sel:DWORD
	v_lshrrev_b32_e32 v16, v16, v3
	v_lshrrev_b32_sdwa v8, v8, v3 dst_sel:BYTE_1 dst_unused:UNUSED_PAD src0_sel:DWORD src1_sel:DWORD
	v_lshrrev_b32_e32 v17, v17, v3
	v_lshrrev_b32_sdwa v9, v9, v3 dst_sel:BYTE_1 dst_unused:UNUSED_PAD src0_sel:DWORD src1_sel:DWORD
	v_lshrrev_b32_e32 v18, v18, v3
	v_lshrrev_b32_sdwa v10, v10, v3 dst_sel:BYTE_1 dst_unused:UNUSED_PAD src0_sel:DWORD src1_sel:DWORD
	v_lshrrev_b32_e32 v19, v19, v3
	v_lshrrev_b32_sdwa v11, v11, v3 dst_sel:BYTE_1 dst_unused:UNUSED_PAD src0_sel:DWORD src1_sel:DWORD
	v_or_b32_sdwa v2, v12, v2 dst_sel:DWORD dst_unused:UNUSED_PAD src0_sel:BYTE_0 src1_sel:DWORD
	v_or_b32_sdwa v11, v19, v11 dst_sel:DWORD dst_unused:UNUSED_PAD src0_sel:BYTE_0 src1_sel:DWORD
	;; [unrolled: 1-line block ×8, first 2 shown]
	global_store_short v1, v2, s[0:1]
	global_store_short v1, v5, s[0:1] offset:512
	global_store_short v1, v6, s[0:1] offset:1024
	global_store_short v1, v7, s[0:1] offset:1536
	global_store_short v1, v8, s[0:1] offset:2048
	global_store_short v1, v9, s[0:1] offset:2560
	global_store_short v1, v10, s[0:1] offset:3072
	global_store_short v1, v11, s[0:1] offset:3584
	s_mov_b64 s[0:1], 0
.LBB11_2:
	s_andn2_b64 vcc, exec, s[0:1]
	s_cbranch_vccnz .LBB11_52
; %bb.3:
	v_cmp_gt_i32_e32 vcc, s33, v0
	v_or_b32_e32 v7, 0x100, v0
	v_mov_b32_e32 v22, 0
	v_mov_b32_e32 v6, 8
	v_or_b32_e32 v5, s54, v0
	v_mov_b32_e32 v21, 0
	v_mov_b32_e32 v20, 0
	v_mov_b32_e32 v19, 0
	v_mov_b32_e32 v18, 0
	v_mov_b32_e32 v17, 0
	v_mov_b32_e32 v16, 0
	v_mov_b32_e32 v15, 0
	v_mov_b32_e32 v14, 0
	v_mov_b32_e32 v13, 0
	v_mov_b32_e32 v12, 0
	v_mov_b32_e32 v9, 0
	v_mov_b32_e32 v11, 0
	v_mov_b32_e32 v10, 0
	v_mov_b32_e32 v8, 0
	s_and_saveexec_b64 s[2:3], vcc
	s_cbranch_execz .LBB11_35
; %bb.4:
	global_load_ubyte v8, v5, s[30:31]
	v_cmp_gt_u32_e64 s[0:1], s33, v7
	v_mov_b32_e32 v6, 8
	v_mov_b32_e32 v10, 0
	;; [unrolled: 1-line block ×15, first 2 shown]
	s_and_saveexec_b64 s[4:5], s[0:1]
	s_cbranch_execz .LBB11_34
; %bb.5:
	v_add_u32_e32 v1, s54, v0
	global_load_ubyte v10, v1, s[30:31] offset:256
	v_or_b32_e32 v2, 0x200, v0
	v_mov_b32_e32 v11, 0
	v_cmp_gt_u32_e64 s[0:1], s33, v2
	v_mov_b32_e32 v6, 8
	v_mov_b32_e32 v9, 0
	;; [unrolled: 1-line block ×13, first 2 shown]
	s_and_saveexec_b64 s[6:7], s[0:1]
	s_cbranch_execz .LBB11_33
; %bb.6:
	v_mov_b32_e32 v2, s31
	v_add_co_u32_e64 v1, s[0:1], s30, v1
	v_addc_co_u32_e64 v2, s[0:1], 0, v2, s[0:1]
	global_load_ubyte v11, v[1:2], off offset:512
	v_or_b32_e32 v6, 0x300, v0
	v_cmp_gt_u32_e64 s[0:1], s33, v6
	v_mov_b32_e32 v6, 8
	v_mov_b32_e32 v9, 0
	;; [unrolled: 1-line block ×13, first 2 shown]
	s_and_saveexec_b64 s[8:9], s[0:1]
	s_cbranch_execz .LBB11_32
; %bb.7:
	global_load_ubyte v9, v[1:2], off offset:768
	v_or_b32_e32 v6, 0x400, v0
	v_cmp_gt_u32_e64 s[0:1], s33, v6
	v_mov_b32_e32 v6, 8
	v_mov_b32_e32 v12, 0
	;; [unrolled: 1-line block ×12, first 2 shown]
	s_and_saveexec_b64 s[10:11], s[0:1]
	s_cbranch_execz .LBB11_31
; %bb.8:
	global_load_ubyte v12, v[1:2], off offset:1024
	v_or_b32_e32 v6, 0x500, v0
	v_cmp_gt_u32_e64 s[0:1], s33, v6
	v_mov_b32_e32 v6, 8
	v_mov_b32_e32 v13, 0
	;; [unrolled: 1-line block ×11, first 2 shown]
	s_and_saveexec_b64 s[12:13], s[0:1]
	s_cbranch_execz .LBB11_30
; %bb.9:
	global_load_ubyte v13, v[1:2], off offset:1280
	v_or_b32_e32 v6, 0x600, v0
	v_cmp_gt_u32_e64 s[0:1], s33, v6
	v_mov_b32_e32 v6, 8
	v_mov_b32_e32 v14, 0
	;; [unrolled: 1-line block ×10, first 2 shown]
	s_and_saveexec_b64 s[14:15], s[0:1]
	s_cbranch_execz .LBB11_29
; %bb.10:
	global_load_ubyte v14, v[1:2], off offset:1536
	v_or_b32_e32 v6, 0x700, v0
	v_cmp_gt_u32_e64 s[0:1], s33, v6
	v_mov_b32_e32 v6, 8
	v_mov_b32_e32 v15, 0
	;; [unrolled: 1-line block ×9, first 2 shown]
	s_and_saveexec_b64 s[16:17], s[0:1]
	s_cbranch_execz .LBB11_28
; %bb.11:
	global_load_ubyte v15, v[1:2], off offset:1792
	v_or_b32_e32 v6, 0x800, v0
	v_cmp_gt_u32_e64 s[0:1], s33, v6
	v_mov_b32_e32 v6, 8
	v_mov_b32_e32 v16, 0
	;; [unrolled: 1-line block ×8, first 2 shown]
	s_and_saveexec_b64 s[18:19], s[0:1]
	s_cbranch_execz .LBB11_27
; %bb.12:
	global_load_ubyte v16, v[1:2], off offset:2048
	v_or_b32_e32 v6, 0x900, v0
	v_cmp_gt_u32_e64 s[0:1], s33, v6
	v_mov_b32_e32 v6, 8
	v_mov_b32_e32 v17, 0
	;; [unrolled: 1-line block ×7, first 2 shown]
	s_and_saveexec_b64 s[20:21], s[0:1]
	s_cbranch_execz .LBB11_26
; %bb.13:
	global_load_ubyte v17, v[1:2], off offset:2304
	v_or_b32_e32 v6, 0xa00, v0
	v_cmp_gt_u32_e64 s[0:1], s33, v6
	v_mov_b32_e32 v6, 8
	v_mov_b32_e32 v18, 0
	;; [unrolled: 1-line block ×6, first 2 shown]
	s_and_saveexec_b64 s[22:23], s[0:1]
	s_cbranch_execz .LBB11_25
; %bb.14:
	global_load_ubyte v18, v[1:2], off offset:2560
	v_or_b32_e32 v6, 0xb00, v0
	v_cmp_gt_u32_e64 s[0:1], s33, v6
	v_mov_b32_e32 v6, 8
	v_mov_b32_e32 v19, 0
	v_mov_b32_e32 v20, 0
	v_mov_b32_e32 v21, 0
	v_mov_b32_e32 v22, 0
	s_and_saveexec_b64 s[24:25], s[0:1]
	s_cbranch_execz .LBB11_24
; %bb.15:
	global_load_ubyte v19, v[1:2], off offset:2816
	v_or_b32_e32 v6, 0xc00, v0
	v_cmp_gt_u32_e64 s[0:1], s33, v6
	v_mov_b32_e32 v6, 8
	v_mov_b32_e32 v20, 0
	;; [unrolled: 1-line block ×4, first 2 shown]
	s_and_saveexec_b64 s[26:27], s[0:1]
	s_cbranch_execz .LBB11_23
; %bb.16:
	global_load_ubyte v20, v[1:2], off offset:3072
	v_or_b32_e32 v6, 0xd00, v0
	v_cmp_gt_u32_e64 s[0:1], s33, v6
	v_mov_b32_e32 v6, 8
	v_mov_b32_e32 v21, 0
	;; [unrolled: 1-line block ×3, first 2 shown]
	s_and_saveexec_b64 s[30:31], s[0:1]
	s_cbranch_execz .LBB11_22
; %bb.17:
	global_load_ubyte v21, v[1:2], off offset:3328
	v_or_b32_e32 v6, 0xe00, v0
	v_cmp_gt_u32_e64 s[0:1], s33, v6
	v_mov_b32_e32 v6, 8
	v_mov_b32_e32 v22, 0
	s_and_saveexec_b64 s[34:35], s[0:1]
	s_cbranch_execz .LBB11_21
; %bb.18:
	global_load_ubyte v22, v[1:2], off offset:3584
	v_or_b32_e32 v6, 0xf00, v0
	v_cmp_gt_u32_e64 s[0:1], s33, v6
	v_mov_b32_e32 v6, 8
	s_and_saveexec_b64 s[36:37], s[0:1]
	s_cbranch_execz .LBB11_20
; %bb.19:
	global_load_ubyte v1, v[1:2], off offset:3840
	s_waitcnt vmcnt(0)
	v_cmp_gt_u16_sdwa s[0:1], v1, v4 src0_sel:DWORD src1_sel:BYTE_0
	v_cndmask_b32_e64 v6, 8, 16, s[0:1]
.LBB11_20:
	s_or_b64 exec, exec, s[36:37]
.LBB11_21:
	s_or_b64 exec, exec, s[34:35]
.LBB11_22:
	s_or_b64 exec, exec, s[30:31]
.LBB11_23:
	s_or_b64 exec, exec, s[26:27]
.LBB11_24:
	s_or_b64 exec, exec, s[24:25]
.LBB11_25:
	s_or_b64 exec, exec, s[22:23]
.LBB11_26:
	s_or_b64 exec, exec, s[20:21]
.LBB11_27:
	s_or_b64 exec, exec, s[18:19]
.LBB11_28:
	s_or_b64 exec, exec, s[16:17]
.LBB11_29:
	s_or_b64 exec, exec, s[14:15]
.LBB11_30:
	s_or_b64 exec, exec, s[12:13]
.LBB11_31:
	s_or_b64 exec, exec, s[10:11]
.LBB11_32:
	s_or_b64 exec, exec, s[8:9]
.LBB11_33:
	s_or_b64 exec, exec, s[6:7]
.LBB11_34:
	s_or_b64 exec, exec, s[4:5]
.LBB11_35:
	s_or_b64 exec, exec, s[2:3]
	s_and_saveexec_b64 s[0:1], vcc
	s_cbranch_execz .LBB11_52
; %bb.36:
	s_waitcnt vmcnt(0)
	v_cmp_gt_u16_sdwa s[0:1], v8, v4 src0_sel:BYTE_0 src1_sel:BYTE_0
	v_cndmask_b32_e64 v1, 8, 16, s[0:1]
	v_cmp_gt_u16_sdwa s[0:1], v10, v4 src0_sel:BYTE_0 src1_sel:BYTE_0
	v_bfe_u32 v1, v3, v1, 8
	v_cndmask_b32_e64 v2, 8, 16, s[0:1]
	v_cndmask_b32_e32 v1, 0, v1, vcc
	v_lshrrev_b32_sdwa v2, v2, v3 dst_sel:BYTE_1 dst_unused:UNUSED_PAD src0_sel:DWORD src1_sel:DWORD
	v_or_b32_e32 v2, v1, v2
	v_and_b32_e32 v2, 0xffff, v2
	v_cmp_gt_i32_e64 s[26:27], s33, v7
	v_cmp_gt_u16_sdwa s[0:1], v11, v4 src0_sel:BYTE_0 src1_sel:BYTE_0
	v_cndmask_b32_e64 v1, v1, v2, s[26:27]
	s_movk_i32 s57, 0xff00
	v_cndmask_b32_e64 v7, 8, 16, s[0:1]
	v_and_b32_sdwa v2, v1, s57 dst_sel:DWORD dst_unused:UNUSED_PAD src0_sel:WORD_1 src1_sel:DWORD
	v_lshrrev_b32_e32 v7, v7, v3
	v_or_b32_sdwa v2, v7, v2 dst_sel:WORD_1 dst_unused:UNUSED_PAD src0_sel:BYTE_0 src1_sel:DWORD
	v_or_b32_e32 v7, 0x200, v0
	v_or_b32_e32 v2, v1, v2
	v_cmp_gt_i32_e64 s[20:21], s33, v7
	v_cmp_gt_u16_sdwa s[0:1], v9, v4 src0_sel:BYTE_0 src1_sel:BYTE_0
	s_movk_i32 s55, 0xff
	v_cndmask_b32_e64 v1, v1, v2, s[20:21]
	v_cndmask_b32_e64 v8, 8, 16, s[0:1]
	v_and_b32_sdwa v2, v1, s55 dst_sel:DWORD dst_unused:UNUSED_PAD src0_sel:WORD_1 src1_sel:DWORD
	v_lshrrev_b32_sdwa v8, v8, v3 dst_sel:BYTE_1 dst_unused:UNUSED_PAD src0_sel:DWORD src1_sel:DWORD
	s_mov_b32 s56, 0xffff
	v_or_b32_e32 v7, 0x300, v0
	v_or_b32_sdwa v2, v2, v8 dst_sel:WORD_1 dst_unused:UNUSED_PAD src0_sel:DWORD src1_sel:DWORD
	v_and_or_b32 v2, v1, s56, v2
	v_cmp_gt_i32_e64 s[18:19], s33, v7
	v_cndmask_b32_e64 v9, v1, v2, s[18:19]
	v_or_b32_e32 v1, 0x500, v0
	v_cmp_gt_i32_e64 s[16:17], s33, v1
	v_or_b32_e32 v1, 0x600, v0
	v_cmp_gt_i32_e64 s[14:15], s33, v1
	;; [unrolled: 2-line block ×7, first 2 shown]
	v_or_b32_e32 v1, 0xe00, v0
	v_or_b32_e32 v8, 0x400, v0
	;; [unrolled: 1-line block ×4, first 2 shown]
	v_cmp_gt_i32_e64 s[2:3], s33, v1
	v_or_b32_e32 v1, 0xf00, v0
	v_cmp_gt_u16_sdwa s[50:51], v12, v4 src0_sel:BYTE_0 src1_sel:BYTE_0
	v_cmp_gt_i32_e32 vcc, s33, v8
	v_cmp_gt_u16_sdwa s[52:53], v13, v4 src0_sel:BYTE_0 src1_sel:BYTE_0
	v_cmp_gt_u16_sdwa s[48:49], v14, v4 src0_sel:BYTE_0 src1_sel:BYTE_0
	;; [unrolled: 1-line block ×3, first 2 shown]
	v_cmp_gt_i32_e64 s[24:25], s33, v7
	v_cmp_gt_u16_sdwa s[42:43], v16, v4 src0_sel:BYTE_0 src1_sel:BYTE_0
	v_cmp_gt_u16_sdwa s[44:45], v17, v4 src0_sel:BYTE_0 src1_sel:BYTE_0
	;; [unrolled: 1-line block ×4, first 2 shown]
	v_cmp_gt_i32_e64 s[22:23], s33, v2
	v_cmp_gt_u16_sdwa s[36:37], v20, v4 src0_sel:BYTE_0 src1_sel:BYTE_0
	v_cmp_gt_u16_sdwa s[34:35], v21, v4 src0_sel:BYTE_0 src1_sel:BYTE_0
	;; [unrolled: 1-line block ×3, first 2 shown]
	v_cmp_gt_i32_e64 s[0:1], s33, v1
	global_store_byte v5, v9, s[28:29]
	s_and_b64 exec, exec, s[26:27]
	s_cbranch_execz .LBB11_52
; %bb.37:
	v_cndmask_b32_e64 v1, 8, 16, s[50:51]
	v_lshrrev_b32_e32 v1, v1, v3
	v_and_b32_sdwa v1, s56, v1 dst_sel:DWORD dst_unused:UNUSED_PAD src0_sel:DWORD src1_sel:BYTE_0
	v_cndmask_b32_e64 v4, 8, 16, s[52:53]
	v_cndmask_b32_e32 v1, 0, v1, vcc
	v_lshrrev_b32_sdwa v4, v4, v3 dst_sel:BYTE_1 dst_unused:UNUSED_PAD src0_sel:DWORD src1_sel:DWORD
	v_or_b32_sdwa v4, v1, v4 dst_sel:DWORD dst_unused:UNUSED_PAD src0_sel:BYTE_0 src1_sel:DWORD
	v_and_b32_e32 v4, 0xffff, v4
	v_cndmask_b32_e64 v1, v1, v4, s[16:17]
	v_cndmask_b32_e64 v5, 8, 16, s[48:49]
	v_and_b32_sdwa v4, v1, s57 dst_sel:DWORD dst_unused:UNUSED_PAD src0_sel:WORD_1 src1_sel:DWORD
	v_lshrrev_b32_e32 v5, v5, v3
	v_or_b32_sdwa v4, v5, v4 dst_sel:WORD_1 dst_unused:UNUSED_PAD src0_sel:BYTE_0 src1_sel:DWORD
	v_and_or_b32 v4, v1, s56, v4
	v_cndmask_b32_e64 v1, v1, v4, s[14:15]
	v_cndmask_b32_e64 v5, 8, 16, s[46:47]
	v_and_b32_sdwa v4, v1, s55 dst_sel:DWORD dst_unused:UNUSED_PAD src0_sel:WORD_1 src1_sel:DWORD
	v_lshrrev_b32_sdwa v5, v5, v3 dst_sel:BYTE_1 dst_unused:UNUSED_PAD src0_sel:DWORD src1_sel:DWORD
	v_or_b32_sdwa v4, v4, v5 dst_sel:WORD_1 dst_unused:UNUSED_PAD src0_sel:DWORD src1_sel:DWORD
	v_and_or_b32 v4, v1, s56, v4
	v_cndmask_b32_e64 v5, v1, v4, s[12:13]
	v_cndmask_b32_e64 v1, 8, 16, s[42:43]
	v_bfe_u32 v1, v3, v1, 8
	v_cndmask_b32_e64 v4, 8, 16, s[44:45]
	v_cndmask_b32_e64 v1, 0, v1, s[24:25]
	v_lshrrev_b32_sdwa v4, v4, v3 dst_sel:BYTE_1 dst_unused:UNUSED_PAD src0_sel:DWORD src1_sel:DWORD
	v_or_b32_e32 v4, v1, v4
	v_and_b32_e32 v4, 0xffff, v4
	v_cndmask_b32_e64 v1, v1, v4, s[10:11]
	v_cndmask_b32_e64 v10, 8, 16, s[40:41]
	v_and_b32_sdwa v4, v1, s57 dst_sel:DWORD dst_unused:UNUSED_PAD src0_sel:WORD_1 src1_sel:DWORD
	v_lshrrev_b32_e32 v10, v10, v3
	v_or_b32_sdwa v4, v10, v4 dst_sel:WORD_1 dst_unused:UNUSED_PAD src0_sel:BYTE_0 src1_sel:DWORD
	v_or_b32_e32 v4, v1, v4
	v_cndmask_b32_e64 v1, v1, v4, s[8:9]
	v_cndmask_b32_e64 v10, 8, 16, s[38:39]
	v_and_b32_sdwa v4, v1, s55 dst_sel:DWORD dst_unused:UNUSED_PAD src0_sel:WORD_1 src1_sel:DWORD
	v_lshrrev_b32_sdwa v10, v10, v3 dst_sel:BYTE_1 dst_unused:UNUSED_PAD src0_sel:DWORD src1_sel:DWORD
	v_or_b32_sdwa v4, v4, v10 dst_sel:WORD_1 dst_unused:UNUSED_PAD src0_sel:DWORD src1_sel:DWORD
	v_and_or_b32 v4, v1, s56, v4
	v_cndmask_b32_e64 v4, v1, v4, s[6:7]
	v_cndmask_b32_e64 v1, 8, 16, s[36:37]
	v_bfe_u32 v1, v3, v1, 8
	v_cndmask_b32_e64 v10, 8, 16, s[34:35]
	v_cndmask_b32_e64 v1, 0, v1, s[22:23]
	v_lshrrev_b32_sdwa v10, v10, v3 dst_sel:BYTE_1 dst_unused:UNUSED_PAD src0_sel:DWORD src1_sel:DWORD
	v_or_b32_sdwa v10, v1, v10 dst_sel:DWORD dst_unused:UNUSED_PAD src0_sel:BYTE_0 src1_sel:DWORD
	v_and_b32_e32 v10, 0xffff, v10
	s_mov_b32 s22, 0xffff0000
	v_and_or_b32 v10, v1, s22, v10
	v_cndmask_b32_e64 v1, v1, v10, s[4:5]
	v_cndmask_b32_e64 v11, 8, 16, s[30:31]
	v_and_b32_sdwa v10, v1, s57 dst_sel:DWORD dst_unused:UNUSED_PAD src0_sel:WORD_1 src1_sel:DWORD
	v_lshrrev_b32_e32 v11, v11, v3
	v_or_b32_sdwa v10, v11, v10 dst_sel:WORD_1 dst_unused:UNUSED_PAD src0_sel:BYTE_0 src1_sel:DWORD
	v_and_or_b32 v10, v1, s56, v10
	v_cndmask_b32_e64 v1, v1, v10, s[2:3]
	v_and_b32_sdwa v10, v1, s55 dst_sel:DWORD dst_unused:UNUSED_PAD src0_sel:WORD_1 src1_sel:DWORD
	v_lshrrev_b32_sdwa v3, v6, v3 dst_sel:BYTE_1 dst_unused:UNUSED_PAD src0_sel:DWORD src1_sel:DWORD
	v_or_b32_sdwa v3, v10, v3 dst_sel:WORD_1 dst_unused:UNUSED_PAD src0_sel:DWORD src1_sel:DWORD
	v_and_or_b32 v3, v1, s56, v3
	v_cndmask_b32_e64 v3, v1, v3, s[0:1]
	v_lshrrev_b32_e32 v1, 8, v9
	v_add_u32_e32 v0, s54, v0
	global_store_byte v0, v1, s[28:29] offset:256
	s_and_b64 exec, exec, s[20:21]
	s_cbranch_execz .LBB11_52
; %bb.38:
	v_mov_b32_e32 v1, s29
	v_add_co_u32_e32 v0, vcc, s28, v0
	v_addc_co_u32_e32 v1, vcc, 0, v1, vcc
	global_store_byte_d16_hi v[0:1], v9, off offset:512
	s_and_b64 exec, exec, s[18:19]
	s_cbranch_execz .LBB11_52
; %bb.39:
	v_lshrrev_b32_e32 v6, 24, v9
	v_cmp_gt_u32_e32 vcc, s33, v8
	global_store_byte v[0:1], v6, off offset:768
	s_and_b64 exec, exec, vcc
	s_cbranch_execz .LBB11_52
; %bb.40:
	global_store_byte v[0:1], v5, off offset:1024
	s_and_b64 exec, exec, s[16:17]
	s_cbranch_execz .LBB11_52
; %bb.41:
	v_lshrrev_b32_e32 v6, 8, v5
	global_store_byte v[0:1], v6, off offset:1280
	s_and_b64 exec, exec, s[14:15]
	s_cbranch_execz .LBB11_52
; %bb.42:
	global_store_byte_d16_hi v[0:1], v5, off offset:1536
	s_and_b64 exec, exec, s[12:13]
	s_cbranch_execz .LBB11_52
; %bb.43:
	v_lshrrev_b32_e32 v5, 24, v5
	v_cmp_gt_u32_e32 vcc, s33, v7
	global_store_byte v[0:1], v5, off offset:1792
	s_and_b64 exec, exec, vcc
	s_cbranch_execz .LBB11_52
; %bb.44:
	global_store_byte v[0:1], v4, off offset:2048
	s_and_b64 exec, exec, s[10:11]
	s_cbranch_execz .LBB11_52
; %bb.45:
	v_lshrrev_b32_e32 v5, 8, v4
	global_store_byte v[0:1], v5, off offset:2304
	s_and_b64 exec, exec, s[8:9]
	s_cbranch_execz .LBB11_52
; %bb.46:
	;; [unrolled: 19-line block ×3, first 2 shown]
	global_store_byte_d16_hi v[0:1], v3, off offset:3584
	s_and_b64 exec, exec, s[0:1]
	s_cbranch_execz .LBB11_52
; %bb.51:
	v_lshrrev_b32_e32 v2, 24, v3
	global_store_byte v[0:1], v2, off offset:3840
.LBB11_52:
	s_endpgm
	.section	.rodata,"a",@progbits
	.p2align	6, 0x0
	.amdhsa_kernel _ZN2at6native29vectorized_elementwise_kernelILi2ENS0_13BUnaryFunctorIhhhZNS0_12_GLOBAL__N_121threshold_kernel_implIhEEvRNS_18TensorIteratorBaseET_S7_EUlhhE_EESt5arrayIPcLm2EEEEviT0_T1_
		.amdhsa_group_segment_fixed_size 0
		.amdhsa_private_segment_fixed_size 0
		.amdhsa_kernarg_size 24
		.amdhsa_user_sgpr_count 6
		.amdhsa_user_sgpr_private_segment_buffer 1
		.amdhsa_user_sgpr_dispatch_ptr 0
		.amdhsa_user_sgpr_queue_ptr 0
		.amdhsa_user_sgpr_kernarg_segment_ptr 1
		.amdhsa_user_sgpr_dispatch_id 0
		.amdhsa_user_sgpr_flat_scratch_init 0
		.amdhsa_user_sgpr_private_segment_size 0
		.amdhsa_uses_dynamic_stack 0
		.amdhsa_system_sgpr_private_segment_wavefront_offset 0
		.amdhsa_system_sgpr_workgroup_id_x 1
		.amdhsa_system_sgpr_workgroup_id_y 0
		.amdhsa_system_sgpr_workgroup_id_z 0
		.amdhsa_system_sgpr_workgroup_info 0
		.amdhsa_system_vgpr_workitem_id 0
		.amdhsa_next_free_vgpr 23
		.amdhsa_next_free_sgpr 58
		.amdhsa_reserve_vcc 1
		.amdhsa_reserve_flat_scratch 0
		.amdhsa_float_round_mode_32 0
		.amdhsa_float_round_mode_16_64 0
		.amdhsa_float_denorm_mode_32 3
		.amdhsa_float_denorm_mode_16_64 3
		.amdhsa_dx10_clamp 1
		.amdhsa_ieee_mode 1
		.amdhsa_fp16_overflow 0
		.amdhsa_exception_fp_ieee_invalid_op 0
		.amdhsa_exception_fp_denorm_src 0
		.amdhsa_exception_fp_ieee_div_zero 0
		.amdhsa_exception_fp_ieee_overflow 0
		.amdhsa_exception_fp_ieee_underflow 0
		.amdhsa_exception_fp_ieee_inexact 0
		.amdhsa_exception_int_div_zero 0
	.end_amdhsa_kernel
	.section	.text._ZN2at6native29vectorized_elementwise_kernelILi2ENS0_13BUnaryFunctorIhhhZNS0_12_GLOBAL__N_121threshold_kernel_implIhEEvRNS_18TensorIteratorBaseET_S7_EUlhhE_EESt5arrayIPcLm2EEEEviT0_T1_,"axG",@progbits,_ZN2at6native29vectorized_elementwise_kernelILi2ENS0_13BUnaryFunctorIhhhZNS0_12_GLOBAL__N_121threshold_kernel_implIhEEvRNS_18TensorIteratorBaseET_S7_EUlhhE_EESt5arrayIPcLm2EEEEviT0_T1_,comdat
.Lfunc_end11:
	.size	_ZN2at6native29vectorized_elementwise_kernelILi2ENS0_13BUnaryFunctorIhhhZNS0_12_GLOBAL__N_121threshold_kernel_implIhEEvRNS_18TensorIteratorBaseET_S7_EUlhhE_EESt5arrayIPcLm2EEEEviT0_T1_, .Lfunc_end11-_ZN2at6native29vectorized_elementwise_kernelILi2ENS0_13BUnaryFunctorIhhhZNS0_12_GLOBAL__N_121threshold_kernel_implIhEEvRNS_18TensorIteratorBaseET_S7_EUlhhE_EESt5arrayIPcLm2EEEEviT0_T1_
                                        ; -- End function
	.set _ZN2at6native29vectorized_elementwise_kernelILi2ENS0_13BUnaryFunctorIhhhZNS0_12_GLOBAL__N_121threshold_kernel_implIhEEvRNS_18TensorIteratorBaseET_S7_EUlhhE_EESt5arrayIPcLm2EEEEviT0_T1_.num_vgpr, 23
	.set _ZN2at6native29vectorized_elementwise_kernelILi2ENS0_13BUnaryFunctorIhhhZNS0_12_GLOBAL__N_121threshold_kernel_implIhEEvRNS_18TensorIteratorBaseET_S7_EUlhhE_EESt5arrayIPcLm2EEEEviT0_T1_.num_agpr, 0
	.set _ZN2at6native29vectorized_elementwise_kernelILi2ENS0_13BUnaryFunctorIhhhZNS0_12_GLOBAL__N_121threshold_kernel_implIhEEvRNS_18TensorIteratorBaseET_S7_EUlhhE_EESt5arrayIPcLm2EEEEviT0_T1_.numbered_sgpr, 58
	.set _ZN2at6native29vectorized_elementwise_kernelILi2ENS0_13BUnaryFunctorIhhhZNS0_12_GLOBAL__N_121threshold_kernel_implIhEEvRNS_18TensorIteratorBaseET_S7_EUlhhE_EESt5arrayIPcLm2EEEEviT0_T1_.num_named_barrier, 0
	.set _ZN2at6native29vectorized_elementwise_kernelILi2ENS0_13BUnaryFunctorIhhhZNS0_12_GLOBAL__N_121threshold_kernel_implIhEEvRNS_18TensorIteratorBaseET_S7_EUlhhE_EESt5arrayIPcLm2EEEEviT0_T1_.private_seg_size, 0
	.set _ZN2at6native29vectorized_elementwise_kernelILi2ENS0_13BUnaryFunctorIhhhZNS0_12_GLOBAL__N_121threshold_kernel_implIhEEvRNS_18TensorIteratorBaseET_S7_EUlhhE_EESt5arrayIPcLm2EEEEviT0_T1_.uses_vcc, 1
	.set _ZN2at6native29vectorized_elementwise_kernelILi2ENS0_13BUnaryFunctorIhhhZNS0_12_GLOBAL__N_121threshold_kernel_implIhEEvRNS_18TensorIteratorBaseET_S7_EUlhhE_EESt5arrayIPcLm2EEEEviT0_T1_.uses_flat_scratch, 0
	.set _ZN2at6native29vectorized_elementwise_kernelILi2ENS0_13BUnaryFunctorIhhhZNS0_12_GLOBAL__N_121threshold_kernel_implIhEEvRNS_18TensorIteratorBaseET_S7_EUlhhE_EESt5arrayIPcLm2EEEEviT0_T1_.has_dyn_sized_stack, 0
	.set _ZN2at6native29vectorized_elementwise_kernelILi2ENS0_13BUnaryFunctorIhhhZNS0_12_GLOBAL__N_121threshold_kernel_implIhEEvRNS_18TensorIteratorBaseET_S7_EUlhhE_EESt5arrayIPcLm2EEEEviT0_T1_.has_recursion, 0
	.set _ZN2at6native29vectorized_elementwise_kernelILi2ENS0_13BUnaryFunctorIhhhZNS0_12_GLOBAL__N_121threshold_kernel_implIhEEvRNS_18TensorIteratorBaseET_S7_EUlhhE_EESt5arrayIPcLm2EEEEviT0_T1_.has_indirect_call, 0
	.section	.AMDGPU.csdata,"",@progbits
; Kernel info:
; codeLenInByte = 3144
; TotalNumSgprs: 62
; NumVgprs: 23
; ScratchSize: 0
; MemoryBound: 0
; FloatMode: 240
; IeeeMode: 1
; LDSByteSize: 0 bytes/workgroup (compile time only)
; SGPRBlocks: 7
; VGPRBlocks: 5
; NumSGPRsForWavesPerEU: 62
; NumVGPRsForWavesPerEU: 23
; Occupancy: 10
; WaveLimiterHint : 1
; COMPUTE_PGM_RSRC2:SCRATCH_EN: 0
; COMPUTE_PGM_RSRC2:USER_SGPR: 6
; COMPUTE_PGM_RSRC2:TRAP_HANDLER: 0
; COMPUTE_PGM_RSRC2:TGID_X_EN: 1
; COMPUTE_PGM_RSRC2:TGID_Y_EN: 0
; COMPUTE_PGM_RSRC2:TGID_Z_EN: 0
; COMPUTE_PGM_RSRC2:TIDIG_COMP_CNT: 0
	.section	.text._ZN2at6native27unrolled_elementwise_kernelINS0_13BUnaryFunctorIhhhZNS0_12_GLOBAL__N_121threshold_kernel_implIhEEvRNS_18TensorIteratorBaseET_S7_EUlhhE_EESt5arrayIPcLm2EELi4E23TrivialOffsetCalculatorILi1EjESE_NS0_6memory15LoadWithoutCastENSF_16StoreWithoutCastEEEviS7_T0_T2_T3_T4_T5_,"axG",@progbits,_ZN2at6native27unrolled_elementwise_kernelINS0_13BUnaryFunctorIhhhZNS0_12_GLOBAL__N_121threshold_kernel_implIhEEvRNS_18TensorIteratorBaseET_S7_EUlhhE_EESt5arrayIPcLm2EELi4E23TrivialOffsetCalculatorILi1EjESE_NS0_6memory15LoadWithoutCastENSF_16StoreWithoutCastEEEviS7_T0_T2_T3_T4_T5_,comdat
	.globl	_ZN2at6native27unrolled_elementwise_kernelINS0_13BUnaryFunctorIhhhZNS0_12_GLOBAL__N_121threshold_kernel_implIhEEvRNS_18TensorIteratorBaseET_S7_EUlhhE_EESt5arrayIPcLm2EELi4E23TrivialOffsetCalculatorILi1EjESE_NS0_6memory15LoadWithoutCastENSF_16StoreWithoutCastEEEviS7_T0_T2_T3_T4_T5_ ; -- Begin function _ZN2at6native27unrolled_elementwise_kernelINS0_13BUnaryFunctorIhhhZNS0_12_GLOBAL__N_121threshold_kernel_implIhEEvRNS_18TensorIteratorBaseET_S7_EUlhhE_EESt5arrayIPcLm2EELi4E23TrivialOffsetCalculatorILi1EjESE_NS0_6memory15LoadWithoutCastENSF_16StoreWithoutCastEEEviS7_T0_T2_T3_T4_T5_
	.p2align	8
	.type	_ZN2at6native27unrolled_elementwise_kernelINS0_13BUnaryFunctorIhhhZNS0_12_GLOBAL__N_121threshold_kernel_implIhEEvRNS_18TensorIteratorBaseET_S7_EUlhhE_EESt5arrayIPcLm2EELi4E23TrivialOffsetCalculatorILi1EjESE_NS0_6memory15LoadWithoutCastENSF_16StoreWithoutCastEEEviS7_T0_T2_T3_T4_T5_,@function
_ZN2at6native27unrolled_elementwise_kernelINS0_13BUnaryFunctorIhhhZNS0_12_GLOBAL__N_121threshold_kernel_implIhEEvRNS_18TensorIteratorBaseET_S7_EUlhhE_EESt5arrayIPcLm2EELi4E23TrivialOffsetCalculatorILi1EjESE_NS0_6memory15LoadWithoutCastENSF_16StoreWithoutCastEEEviS7_T0_T2_T3_T4_T5_: ; @_ZN2at6native27unrolled_elementwise_kernelINS0_13BUnaryFunctorIhhhZNS0_12_GLOBAL__N_121threshold_kernel_implIhEEvRNS_18TensorIteratorBaseET_S7_EUlhhE_EESt5arrayIPcLm2EELi4E23TrivialOffsetCalculatorILi1EjESE_NS0_6memory15LoadWithoutCastENSF_16StoreWithoutCastEEEviS7_T0_T2_T3_T4_T5_
; %bb.0:
	v_mov_b32_e32 v4, 0
	global_load_ushort v3, v4, s[4:5] offset:4
	global_load_ubyte v6, v4, s[4:5] offset:6
	s_load_dword s0, s[4:5], 0x0
	s_load_dwordx4 s[8:11], s[4:5], 0x8
	s_lshl_b32 s14, s6, 10
	v_or_b32_e32 v1, 0x100, v0
	v_mov_b32_e32 v5, 8
	s_waitcnt lgkmcnt(0)
	s_sub_i32 s15, s0, s14
	v_cmp_gt_i32_e32 vcc, s15, v0
	v_or_b32_e32 v2, s14, v0
	v_mov_b32_e32 v8, 0
	v_mov_b32_e32 v7, 0
	s_and_saveexec_b64 s[2:3], vcc
	s_cbranch_execz .LBB12_8
; %bb.1:
	global_load_ubyte v7, v2, s[10:11]
	v_cmp_gt_u32_e64 s[0:1], s15, v1
	v_mov_b32_e32 v5, 8
	v_mov_b32_e32 v8, 0
	;; [unrolled: 1-line block ×3, first 2 shown]
	s_and_saveexec_b64 s[4:5], s[0:1]
	s_cbranch_execz .LBB12_7
; %bb.2:
	v_add_u32_e32 v4, s14, v1
	global_load_ubyte v8, v4, s[10:11]
	v_or_b32_e32 v9, 0x200, v0
	v_cmp_gt_u32_e64 s[0:1], s15, v9
	v_mov_b32_e32 v5, 8
	v_mov_b32_e32 v4, 0
	s_and_saveexec_b64 s[6:7], s[0:1]
	s_cbranch_execz .LBB12_6
; %bb.3:
	v_add_u32_e32 v4, s14, v9
	global_load_ubyte v4, v4, s[10:11]
	v_or_b32_e32 v9, 0x300, v0
	v_cmp_gt_u32_e64 s[0:1], s15, v9
	v_mov_b32_e32 v5, 8
	s_and_saveexec_b64 s[12:13], s[0:1]
	s_cbranch_execz .LBB12_5
; %bb.4:
	v_add_u32_e32 v5, s14, v9
	global_load_ubyte v5, v5, s[10:11]
	s_waitcnt vmcnt(0)
	v_cmp_gt_u16_sdwa s[0:1], v5, v3 src0_sel:DWORD src1_sel:BYTE_0
	v_cndmask_b32_e64 v5, 8, 16, s[0:1]
.LBB12_5:
	s_or_b64 exec, exec, s[12:13]
.LBB12_6:
	s_or_b64 exec, exec, s[6:7]
.LBB12_7:
	s_or_b64 exec, exec, s[4:5]
.LBB12_8:
	s_or_b64 exec, exec, s[2:3]
	s_and_saveexec_b64 s[0:1], vcc
	s_cbranch_execz .LBB12_13
; %bb.9:
	s_waitcnt vmcnt(0)
	v_lshlrev_b32_e32 v6, 16, v6
	v_or_b32_e32 v6, v3, v6
	v_cmp_gt_u16_sdwa s[0:1], v7, v3 src0_sel:BYTE_0 src1_sel:BYTE_0
	v_and_b32_e32 v9, 0xffffff, v6
	v_cndmask_b32_e64 v6, 8, 16, s[0:1]
	v_cmp_gt_u16_sdwa s[0:1], v8, v3 src0_sel:BYTE_0 src1_sel:BYTE_0
	v_bfe_u32 v6, v9, v6, 8
	v_cndmask_b32_e64 v7, 8, 16, s[0:1]
	v_cmp_gt_u16_sdwa s[0:1], v4, v3 src0_sel:BYTE_0 src1_sel:BYTE_0
	v_cndmask_b32_e32 v6, 0, v6, vcc
	v_lshrrev_b32_sdwa v7, v7, v9 dst_sel:BYTE_1 dst_unused:UNUSED_PAD src0_sel:DWORD src1_sel:DWORD
	v_cndmask_b32_e64 v3, 8, 16, s[0:1]
	v_or_b32_e32 v7, v6, v7
	v_lshrrev_b32_e32 v3, v3, v9
	v_and_b32_e32 v7, 0xffff, v7
	v_cmp_gt_i32_e64 s[2:3], s15, v1
	v_and_b32_e32 v3, 0xff, v3
	v_cndmask_b32_e64 v7, v6, v7, s[2:3]
	v_or_b32_e32 v6, 0x200, v0
	v_lshlrev_b32_e32 v3, 16, v3
	v_or_b32_e32 v3, v7, v3
	v_cmp_gt_i32_e32 vcc, s15, v6
	s_movk_i32 s4, 0xff
	v_cndmask_b32_e32 v3, v7, v3, vcc
	v_and_b32_sdwa v4, v3, s4 dst_sel:DWORD dst_unused:UNUSED_PAD src0_sel:WORD_1 src1_sel:DWORD
	v_lshrrev_b32_sdwa v5, v5, v9 dst_sel:BYTE_1 dst_unused:UNUSED_PAD src0_sel:DWORD src1_sel:DWORD
	s_mov_b32 s5, 0xffff
	v_or_b32_e32 v0, 0x300, v0
	v_or_b32_sdwa v4, v4, v5 dst_sel:WORD_1 dst_unused:UNUSED_PAD src0_sel:DWORD src1_sel:DWORD
	v_and_or_b32 v4, v3, s5, v4
	v_cmp_gt_i32_e64 s[0:1], s15, v0
	v_cndmask_b32_e64 v3, v3, v4, s[0:1]
	global_store_byte v2, v3, s[8:9]
	s_and_b64 exec, exec, s[2:3]
	s_cbranch_execz .LBB12_13
; %bb.10:
	v_add_u32_e32 v1, s14, v1
	v_lshrrev_b32_e32 v2, 8, v3
	global_store_byte v1, v2, s[8:9]
	s_and_b64 exec, exec, vcc
	s_cbranch_execz .LBB12_13
; %bb.11:
	v_add_u32_e32 v1, s14, v6
	global_store_byte_d16_hi v1, v3, s[8:9]
	s_and_b64 exec, exec, s[0:1]
	s_cbranch_execz .LBB12_13
; %bb.12:
	v_lshrrev_b32_e32 v1, 24, v3
	v_add_u32_e32 v0, s14, v0
	global_store_byte v0, v1, s[8:9]
.LBB12_13:
	s_endpgm
	.section	.rodata,"a",@progbits
	.p2align	6, 0x0
	.amdhsa_kernel _ZN2at6native27unrolled_elementwise_kernelINS0_13BUnaryFunctorIhhhZNS0_12_GLOBAL__N_121threshold_kernel_implIhEEvRNS_18TensorIteratorBaseET_S7_EUlhhE_EESt5arrayIPcLm2EELi4E23TrivialOffsetCalculatorILi1EjESE_NS0_6memory15LoadWithoutCastENSF_16StoreWithoutCastEEEviS7_T0_T2_T3_T4_T5_
		.amdhsa_group_segment_fixed_size 0
		.amdhsa_private_segment_fixed_size 0
		.amdhsa_kernarg_size 28
		.amdhsa_user_sgpr_count 6
		.amdhsa_user_sgpr_private_segment_buffer 1
		.amdhsa_user_sgpr_dispatch_ptr 0
		.amdhsa_user_sgpr_queue_ptr 0
		.amdhsa_user_sgpr_kernarg_segment_ptr 1
		.amdhsa_user_sgpr_dispatch_id 0
		.amdhsa_user_sgpr_flat_scratch_init 0
		.amdhsa_user_sgpr_private_segment_size 0
		.amdhsa_uses_dynamic_stack 0
		.amdhsa_system_sgpr_private_segment_wavefront_offset 0
		.amdhsa_system_sgpr_workgroup_id_x 1
		.amdhsa_system_sgpr_workgroup_id_y 0
		.amdhsa_system_sgpr_workgroup_id_z 0
		.amdhsa_system_sgpr_workgroup_info 0
		.amdhsa_system_vgpr_workitem_id 0
		.amdhsa_next_free_vgpr 10
		.amdhsa_next_free_sgpr 16
		.amdhsa_reserve_vcc 1
		.amdhsa_reserve_flat_scratch 0
		.amdhsa_float_round_mode_32 0
		.amdhsa_float_round_mode_16_64 0
		.amdhsa_float_denorm_mode_32 3
		.amdhsa_float_denorm_mode_16_64 3
		.amdhsa_dx10_clamp 1
		.amdhsa_ieee_mode 1
		.amdhsa_fp16_overflow 0
		.amdhsa_exception_fp_ieee_invalid_op 0
		.amdhsa_exception_fp_denorm_src 0
		.amdhsa_exception_fp_ieee_div_zero 0
		.amdhsa_exception_fp_ieee_overflow 0
		.amdhsa_exception_fp_ieee_underflow 0
		.amdhsa_exception_fp_ieee_inexact 0
		.amdhsa_exception_int_div_zero 0
	.end_amdhsa_kernel
	.section	.text._ZN2at6native27unrolled_elementwise_kernelINS0_13BUnaryFunctorIhhhZNS0_12_GLOBAL__N_121threshold_kernel_implIhEEvRNS_18TensorIteratorBaseET_S7_EUlhhE_EESt5arrayIPcLm2EELi4E23TrivialOffsetCalculatorILi1EjESE_NS0_6memory15LoadWithoutCastENSF_16StoreWithoutCastEEEviS7_T0_T2_T3_T4_T5_,"axG",@progbits,_ZN2at6native27unrolled_elementwise_kernelINS0_13BUnaryFunctorIhhhZNS0_12_GLOBAL__N_121threshold_kernel_implIhEEvRNS_18TensorIteratorBaseET_S7_EUlhhE_EESt5arrayIPcLm2EELi4E23TrivialOffsetCalculatorILi1EjESE_NS0_6memory15LoadWithoutCastENSF_16StoreWithoutCastEEEviS7_T0_T2_T3_T4_T5_,comdat
.Lfunc_end12:
	.size	_ZN2at6native27unrolled_elementwise_kernelINS0_13BUnaryFunctorIhhhZNS0_12_GLOBAL__N_121threshold_kernel_implIhEEvRNS_18TensorIteratorBaseET_S7_EUlhhE_EESt5arrayIPcLm2EELi4E23TrivialOffsetCalculatorILi1EjESE_NS0_6memory15LoadWithoutCastENSF_16StoreWithoutCastEEEviS7_T0_T2_T3_T4_T5_, .Lfunc_end12-_ZN2at6native27unrolled_elementwise_kernelINS0_13BUnaryFunctorIhhhZNS0_12_GLOBAL__N_121threshold_kernel_implIhEEvRNS_18TensorIteratorBaseET_S7_EUlhhE_EESt5arrayIPcLm2EELi4E23TrivialOffsetCalculatorILi1EjESE_NS0_6memory15LoadWithoutCastENSF_16StoreWithoutCastEEEviS7_T0_T2_T3_T4_T5_
                                        ; -- End function
	.set _ZN2at6native27unrolled_elementwise_kernelINS0_13BUnaryFunctorIhhhZNS0_12_GLOBAL__N_121threshold_kernel_implIhEEvRNS_18TensorIteratorBaseET_S7_EUlhhE_EESt5arrayIPcLm2EELi4E23TrivialOffsetCalculatorILi1EjESE_NS0_6memory15LoadWithoutCastENSF_16StoreWithoutCastEEEviS7_T0_T2_T3_T4_T5_.num_vgpr, 10
	.set _ZN2at6native27unrolled_elementwise_kernelINS0_13BUnaryFunctorIhhhZNS0_12_GLOBAL__N_121threshold_kernel_implIhEEvRNS_18TensorIteratorBaseET_S7_EUlhhE_EESt5arrayIPcLm2EELi4E23TrivialOffsetCalculatorILi1EjESE_NS0_6memory15LoadWithoutCastENSF_16StoreWithoutCastEEEviS7_T0_T2_T3_T4_T5_.num_agpr, 0
	.set _ZN2at6native27unrolled_elementwise_kernelINS0_13BUnaryFunctorIhhhZNS0_12_GLOBAL__N_121threshold_kernel_implIhEEvRNS_18TensorIteratorBaseET_S7_EUlhhE_EESt5arrayIPcLm2EELi4E23TrivialOffsetCalculatorILi1EjESE_NS0_6memory15LoadWithoutCastENSF_16StoreWithoutCastEEEviS7_T0_T2_T3_T4_T5_.numbered_sgpr, 16
	.set _ZN2at6native27unrolled_elementwise_kernelINS0_13BUnaryFunctorIhhhZNS0_12_GLOBAL__N_121threshold_kernel_implIhEEvRNS_18TensorIteratorBaseET_S7_EUlhhE_EESt5arrayIPcLm2EELi4E23TrivialOffsetCalculatorILi1EjESE_NS0_6memory15LoadWithoutCastENSF_16StoreWithoutCastEEEviS7_T0_T2_T3_T4_T5_.num_named_barrier, 0
	.set _ZN2at6native27unrolled_elementwise_kernelINS0_13BUnaryFunctorIhhhZNS0_12_GLOBAL__N_121threshold_kernel_implIhEEvRNS_18TensorIteratorBaseET_S7_EUlhhE_EESt5arrayIPcLm2EELi4E23TrivialOffsetCalculatorILi1EjESE_NS0_6memory15LoadWithoutCastENSF_16StoreWithoutCastEEEviS7_T0_T2_T3_T4_T5_.private_seg_size, 0
	.set _ZN2at6native27unrolled_elementwise_kernelINS0_13BUnaryFunctorIhhhZNS0_12_GLOBAL__N_121threshold_kernel_implIhEEvRNS_18TensorIteratorBaseET_S7_EUlhhE_EESt5arrayIPcLm2EELi4E23TrivialOffsetCalculatorILi1EjESE_NS0_6memory15LoadWithoutCastENSF_16StoreWithoutCastEEEviS7_T0_T2_T3_T4_T5_.uses_vcc, 1
	.set _ZN2at6native27unrolled_elementwise_kernelINS0_13BUnaryFunctorIhhhZNS0_12_GLOBAL__N_121threshold_kernel_implIhEEvRNS_18TensorIteratorBaseET_S7_EUlhhE_EESt5arrayIPcLm2EELi4E23TrivialOffsetCalculatorILi1EjESE_NS0_6memory15LoadWithoutCastENSF_16StoreWithoutCastEEEviS7_T0_T2_T3_T4_T5_.uses_flat_scratch, 0
	.set _ZN2at6native27unrolled_elementwise_kernelINS0_13BUnaryFunctorIhhhZNS0_12_GLOBAL__N_121threshold_kernel_implIhEEvRNS_18TensorIteratorBaseET_S7_EUlhhE_EESt5arrayIPcLm2EELi4E23TrivialOffsetCalculatorILi1EjESE_NS0_6memory15LoadWithoutCastENSF_16StoreWithoutCastEEEviS7_T0_T2_T3_T4_T5_.has_dyn_sized_stack, 0
	.set _ZN2at6native27unrolled_elementwise_kernelINS0_13BUnaryFunctorIhhhZNS0_12_GLOBAL__N_121threshold_kernel_implIhEEvRNS_18TensorIteratorBaseET_S7_EUlhhE_EESt5arrayIPcLm2EELi4E23TrivialOffsetCalculatorILi1EjESE_NS0_6memory15LoadWithoutCastENSF_16StoreWithoutCastEEEviS7_T0_T2_T3_T4_T5_.has_recursion, 0
	.set _ZN2at6native27unrolled_elementwise_kernelINS0_13BUnaryFunctorIhhhZNS0_12_GLOBAL__N_121threshold_kernel_implIhEEvRNS_18TensorIteratorBaseET_S7_EUlhhE_EESt5arrayIPcLm2EELi4E23TrivialOffsetCalculatorILi1EjESE_NS0_6memory15LoadWithoutCastENSF_16StoreWithoutCastEEEviS7_T0_T2_T3_T4_T5_.has_indirect_call, 0
	.section	.AMDGPU.csdata,"",@progbits
; Kernel info:
; codeLenInByte = 560
; TotalNumSgprs: 20
; NumVgprs: 10
; ScratchSize: 0
; MemoryBound: 0
; FloatMode: 240
; IeeeMode: 1
; LDSByteSize: 0 bytes/workgroup (compile time only)
; SGPRBlocks: 2
; VGPRBlocks: 2
; NumSGPRsForWavesPerEU: 20
; NumVGPRsForWavesPerEU: 10
; Occupancy: 10
; WaveLimiterHint : 0
; COMPUTE_PGM_RSRC2:SCRATCH_EN: 0
; COMPUTE_PGM_RSRC2:USER_SGPR: 6
; COMPUTE_PGM_RSRC2:TRAP_HANDLER: 0
; COMPUTE_PGM_RSRC2:TGID_X_EN: 1
; COMPUTE_PGM_RSRC2:TGID_Y_EN: 0
; COMPUTE_PGM_RSRC2:TGID_Z_EN: 0
; COMPUTE_PGM_RSRC2:TIDIG_COMP_CNT: 0
	.section	.text._ZN2at6native32elementwise_kernel_manual_unrollILi128ELi8EZNS0_22gpu_kernel_impl_nocastINS0_13BUnaryFunctorIhhhZNS0_12_GLOBAL__N_121threshold_kernel_implIhEEvRNS_18TensorIteratorBaseET_S8_EUlhhE_EEEEvS7_RKS8_EUlibE_EEviT1_,"axG",@progbits,_ZN2at6native32elementwise_kernel_manual_unrollILi128ELi8EZNS0_22gpu_kernel_impl_nocastINS0_13BUnaryFunctorIhhhZNS0_12_GLOBAL__N_121threshold_kernel_implIhEEvRNS_18TensorIteratorBaseET_S8_EUlhhE_EEEEvS7_RKS8_EUlibE_EEviT1_,comdat
	.globl	_ZN2at6native32elementwise_kernel_manual_unrollILi128ELi8EZNS0_22gpu_kernel_impl_nocastINS0_13BUnaryFunctorIhhhZNS0_12_GLOBAL__N_121threshold_kernel_implIhEEvRNS_18TensorIteratorBaseET_S8_EUlhhE_EEEEvS7_RKS8_EUlibE_EEviT1_ ; -- Begin function _ZN2at6native32elementwise_kernel_manual_unrollILi128ELi8EZNS0_22gpu_kernel_impl_nocastINS0_13BUnaryFunctorIhhhZNS0_12_GLOBAL__N_121threshold_kernel_implIhEEvRNS_18TensorIteratorBaseET_S8_EUlhhE_EEEEvS7_RKS8_EUlibE_EEviT1_
	.p2align	8
	.type	_ZN2at6native32elementwise_kernel_manual_unrollILi128ELi8EZNS0_22gpu_kernel_impl_nocastINS0_13BUnaryFunctorIhhhZNS0_12_GLOBAL__N_121threshold_kernel_implIhEEvRNS_18TensorIteratorBaseET_S8_EUlhhE_EEEEvS7_RKS8_EUlibE_EEviT1_,@function
_ZN2at6native32elementwise_kernel_manual_unrollILi128ELi8EZNS0_22gpu_kernel_impl_nocastINS0_13BUnaryFunctorIhhhZNS0_12_GLOBAL__N_121threshold_kernel_implIhEEvRNS_18TensorIteratorBaseET_S8_EUlhhE_EEEEvS7_RKS8_EUlibE_EEviT1_: ; @_ZN2at6native32elementwise_kernel_manual_unrollILi128ELi8EZNS0_22gpu_kernel_impl_nocastINS0_13BUnaryFunctorIhhhZNS0_12_GLOBAL__N_121threshold_kernel_implIhEEvRNS_18TensorIteratorBaseET_S8_EUlhhE_EEEEvS7_RKS8_EUlibE_EEviT1_
; %bb.0:
	s_load_dword s58, s[4:5], 0x0
	s_load_dword s33, s[4:5], 0x8
	s_add_u32 s34, s4, 8
	s_addc_u32 s35, s5, 0
	v_lshl_or_b32 v19, s6, 10, v0
	v_or_b32_e32 v25, 0x380, v19
	s_waitcnt lgkmcnt(0)
	s_add_i32 s54, s33, -1
	s_cmp_gt_u32 s54, 1
	v_cmp_le_i32_e32 vcc, s58, v25
	s_cselect_b64 s[36:37], -1, 0
	s_and_saveexec_b64 s[0:1], vcc
	s_xor_b64 s[38:39], exec, s[0:1]
	s_cbranch_execz .LBB13_7
; %bb.1:
	s_load_dwordx4 s[20:23], s[34:35], 0x4
	s_load_dwordx2 s[40:41], s[34:35], 0x14
	s_load_dword s55, s[34:35], 0x158
	s_cmp_lg_u32 s33, 0
	s_load_dwordx4 s[24:27], s[34:35], 0xc4
	s_load_dwordx4 s[16:19], s[34:35], 0x148
	s_cselect_b64 s[46:47], -1, 0
	s_add_u32 s44, s34, 0xc4
	s_addc_u32 s45, s35, 0
	s_min_u32 s59, s54, 15
	s_cmp_gt_u32 s33, 1
	s_cselect_b64 s[42:43], -1, 0
	s_waitcnt lgkmcnt(0)
	s_lshr_b32 s56, s55, 8
	s_lshr_b32 s57, s55, 16
	v_cmp_gt_i32_e32 vcc, s58, v19
	s_and_saveexec_b64 s[48:49], vcc
	s_cbranch_execz .LBB13_14
; %bb.2:
	s_andn2_b64 vcc, exec, s[36:37]
	s_cbranch_vccnz .LBB13_21
; %bb.3:
	s_andn2_b64 vcc, exec, s[46:47]
	s_cbranch_vccnz .LBB13_129
; %bb.4:
	s_add_i32 s61, s59, 1
	s_cmp_eq_u32 s54, 2
	s_cbranch_scc1 .LBB13_131
; %bb.5:
	s_and_b32 s60, s61, 28
	v_mov_b32_e32 v2, 0
	s_mov_b32 s62, 0
	s_mov_b64 s[50:51], s[34:35]
	s_mov_b64 s[52:53], s[44:45]
	v_mov_b32_e32 v0, 0
	v_mov_b32_e32 v1, v19
.LBB13_6:                               ; =>This Inner Loop Header: Depth=1
	s_load_dwordx8 s[8:15], s[50:51], 0x4
	s_load_dwordx4 s[28:31], s[50:51], 0x24
	s_load_dwordx8 s[0:7], s[52:53], 0x0
	s_add_u32 s50, s50, 48
	s_addc_u32 s51, s51, 0
	s_waitcnt lgkmcnt(0)
	v_mul_hi_u32 v3, s9, v1
	s_add_i32 s62, s62, 4
	s_add_u32 s52, s52, 32
	s_addc_u32 s53, s53, 0
	v_add_u32_e32 v3, v1, v3
	v_lshrrev_b32_e32 v3, s10, v3
	v_mul_lo_u32 v4, v3, s8
	v_mul_hi_u32 v5, s12, v3
	s_cmp_lg_u32 s60, s62
	v_sub_u32_e32 v1, v1, v4
	v_add_u32_e32 v4, v3, v5
	v_mul_lo_u32 v5, v1, s0
	v_mul_lo_u32 v6, v1, s1
	v_lshrrev_b32_e32 v1, s13, v4
	v_mul_lo_u32 v4, v1, s11
	v_mul_hi_u32 v7, s15, v1
	v_sub_u32_e32 v3, v3, v4
	v_add_u32_e32 v4, v1, v7
	v_lshrrev_b32_e32 v4, s28, v4
	v_mul_hi_u32 v8, s30, v4
	v_mul_lo_u32 v9, v4, s14
	v_mul_lo_u32 v7, v3, s2
	;; [unrolled: 1-line block ×3, first 2 shown]
	v_sub_u32_e32 v9, v1, v9
	v_add_u32_e32 v1, v4, v8
	v_lshrrev_b32_e32 v1, s31, v1
	v_mul_lo_u32 v8, v1, s29
	v_mul_lo_u32 v10, v9, s4
	;; [unrolled: 1-line block ×3, first 2 shown]
	v_add3_u32 v0, v5, v0, v7
	v_sub_u32_e32 v4, v4, v8
	v_mul_lo_u32 v8, v4, s6
	v_mul_lo_u32 v4, v4, s7
	v_add3_u32 v2, v6, v2, v3
	v_add3_u32 v0, v10, v0, v8
	;; [unrolled: 1-line block ×3, first 2 shown]
	s_cbranch_scc1 .LBB13_6
	s_branch .LBB13_132
.LBB13_7:
	s_andn2_saveexec_b64 s[0:1], s[38:39]
	s_cbranch_execz .LBB13_221
.LBB13_8:
	v_cndmask_b32_e64 v0, 0, 1, s[36:37]
	v_cmp_ne_u32_e64 s[0:1], 1, v0
	s_andn2_b64 vcc, exec, s[36:37]
	s_cbranch_vccnz .LBB13_20
; %bb.9:
	s_cmp_lg_u32 s33, 0
	s_mov_b32 s26, 0
	s_cbranch_scc0 .LBB13_23
; %bb.10:
	s_min_u32 s27, s54, 15
	s_add_i32 s27, s27, 1
	s_cmp_eq_u32 s54, 2
	s_cbranch_scc1 .LBB13_24
; %bb.11:
	s_and_b32 s26, s27, 28
	s_add_u32 s2, s34, 0xc4
	s_addc_u32 s3, s35, 0
	v_mov_b32_e32 v2, 0
	s_mov_b32 s28, 0
	s_mov_b64 s[24:25], s[34:35]
	v_mov_b32_e32 v0, 0
	v_mov_b32_e32 v1, v19
.LBB13_12:                              ; =>This Inner Loop Header: Depth=1
	s_load_dwordx8 s[12:19], s[24:25], 0x4
	s_load_dwordx4 s[20:23], s[24:25], 0x24
	s_load_dwordx8 s[4:11], s[2:3], 0x0
	s_add_u32 s24, s24, 48
	s_addc_u32 s25, s25, 0
	s_waitcnt lgkmcnt(0)
	v_mul_hi_u32 v3, s13, v1
	s_add_i32 s28, s28, 4
	s_add_u32 s2, s2, 32
	s_addc_u32 s3, s3, 0
	v_add_u32_e32 v3, v1, v3
	v_lshrrev_b32_e32 v3, s14, v3
	v_mul_lo_u32 v4, v3, s12
	v_mul_hi_u32 v5, s16, v3
	s_cmp_lg_u32 s26, s28
	v_sub_u32_e32 v1, v1, v4
	v_add_u32_e32 v4, v3, v5
	v_mul_lo_u32 v5, v1, s4
	v_mul_lo_u32 v6, v1, s5
	v_lshrrev_b32_e32 v1, s17, v4
	v_mul_lo_u32 v4, v1, s15
	v_mul_hi_u32 v7, s19, v1
	v_sub_u32_e32 v3, v3, v4
	v_add_u32_e32 v4, v1, v7
	v_lshrrev_b32_e32 v4, s20, v4
	v_mul_hi_u32 v8, s22, v4
	v_mul_lo_u32 v9, v4, s18
	v_mul_lo_u32 v7, v3, s6
	;; [unrolled: 1-line block ×3, first 2 shown]
	v_sub_u32_e32 v9, v1, v9
	v_add_u32_e32 v1, v4, v8
	v_lshrrev_b32_e32 v1, s23, v1
	v_mul_lo_u32 v8, v1, s21
	v_mul_lo_u32 v10, v9, s8
	;; [unrolled: 1-line block ×3, first 2 shown]
	v_add3_u32 v0, v5, v0, v7
	v_sub_u32_e32 v4, v4, v8
	v_mul_lo_u32 v8, v4, s10
	v_mul_lo_u32 v4, v4, s11
	v_add3_u32 v2, v6, v2, v3
	v_add3_u32 v0, v10, v0, v8
	;; [unrolled: 1-line block ×3, first 2 shown]
	s_cbranch_scc1 .LBB13_12
; %bb.13:
	s_and_b32 s6, s27, 3
	s_cmp_eq_u32 s6, 0
	s_cbranch_scc0 .LBB13_25
	s_branch .LBB13_27
.LBB13_14:
	s_or_b64 exec, exec, s[48:49]
	v_cmp_gt_i32_e32 vcc, s58, v19
	s_and_saveexec_b64 s[48:49], vcc
	s_cbranch_execz .LBB13_139
.LBB13_15:
	s_andn2_b64 vcc, exec, s[36:37]
	s_cbranch_vccnz .LBB13_22
; %bb.16:
	s_andn2_b64 vcc, exec, s[46:47]
	s_cbranch_vccnz .LBB13_130
; %bb.17:
	s_add_i32 s61, s59, 1
	s_cmp_eq_u32 s54, 2
	s_cbranch_scc1 .LBB13_147
; %bb.18:
	s_and_b32 s60, s61, 28
	v_mov_b32_e32 v2, 0
	s_mov_b32 s62, 0
	s_mov_b64 s[50:51], s[34:35]
	s_mov_b64 s[52:53], s[44:45]
	v_mov_b32_e32 v0, 0
	v_mov_b32_e32 v1, v19
.LBB13_19:                              ; =>This Inner Loop Header: Depth=1
	s_load_dwordx8 s[8:15], s[50:51], 0x4
	s_load_dwordx4 s[28:31], s[50:51], 0x24
	s_load_dwordx8 s[0:7], s[52:53], 0x0
	s_add_u32 s50, s50, 48
	s_addc_u32 s51, s51, 0
	s_waitcnt lgkmcnt(0)
	v_mul_hi_u32 v3, s9, v1
	s_add_i32 s62, s62, 4
	s_add_u32 s52, s52, 32
	s_addc_u32 s53, s53, 0
	v_add_u32_e32 v3, v1, v3
	v_lshrrev_b32_e32 v3, s10, v3
	v_mul_lo_u32 v4, v3, s8
	v_mul_hi_u32 v5, s12, v3
	s_cmp_eq_u32 s60, s62
	v_sub_u32_e32 v1, v1, v4
	v_add_u32_e32 v4, v3, v5
	v_mul_lo_u32 v5, v1, s0
	v_mul_lo_u32 v6, v1, s1
	v_lshrrev_b32_e32 v1, s13, v4
	v_mul_lo_u32 v4, v1, s11
	v_mul_hi_u32 v7, s15, v1
	v_sub_u32_e32 v3, v3, v4
	v_add_u32_e32 v4, v1, v7
	v_lshrrev_b32_e32 v4, s28, v4
	v_mul_hi_u32 v8, s30, v4
	v_mul_lo_u32 v9, v4, s14
	v_mul_lo_u32 v7, v3, s2
	;; [unrolled: 1-line block ×3, first 2 shown]
	v_sub_u32_e32 v9, v1, v9
	v_add_u32_e32 v1, v4, v8
	v_lshrrev_b32_e32 v1, s31, v1
	v_mul_lo_u32 v8, v1, s29
	v_mul_lo_u32 v10, v9, s4
	;; [unrolled: 1-line block ×3, first 2 shown]
	v_add3_u32 v0, v5, v0, v7
	v_sub_u32_e32 v4, v4, v8
	v_mul_lo_u32 v8, v4, s6
	v_mul_lo_u32 v4, v4, s7
	v_add3_u32 v2, v6, v2, v3
	v_add3_u32 v0, v10, v0, v8
	v_add3_u32 v2, v9, v2, v4
	s_cbranch_scc0 .LBB13_19
	s_branch .LBB13_148
.LBB13_20:
                                        ; implicit-def: $vgpr0
                                        ; implicit-def: $vgpr2
	s_branch .LBB13_28
.LBB13_21:
                                        ; implicit-def: $vgpr0
                                        ; implicit-def: $vgpr2
	s_branch .LBB13_136
.LBB13_22:
                                        ; implicit-def: $vgpr0
                                        ; implicit-def: $vgpr2
	s_branch .LBB13_152
.LBB13_23:
	v_mov_b32_e32 v0, 0
	v_mov_b32_e32 v2, 0
	s_branch .LBB13_27
.LBB13_24:
	v_mov_b32_e32 v0, 0
	v_mov_b32_e32 v2, 0
	;; [unrolled: 1-line block ×3, first 2 shown]
	s_and_b32 s6, s27, 3
	s_cmp_eq_u32 s6, 0
	s_cbranch_scc1 .LBB13_27
.LBB13_25:
	s_lshl_b32 s2, s26, 3
	s_add_u32 s2, s34, s2
	s_addc_u32 s3, s35, 0
	s_add_u32 s2, s2, 0xc4
	s_addc_u32 s3, s3, 0
	s_mul_i32 s4, s26, 12
	s_add_u32 s4, s34, s4
	s_addc_u32 s5, s35, 0
.LBB13_26:                              ; =>This Inner Loop Header: Depth=1
	s_load_dwordx2 s[8:9], s[4:5], 0x4
	s_load_dword s7, s[4:5], 0xc
	s_load_dwordx2 s[10:11], s[2:3], 0x0
	s_add_u32 s4, s4, 12
	s_addc_u32 s5, s5, 0
	s_waitcnt lgkmcnt(0)
	v_mul_hi_u32 v4, s9, v1
	s_add_u32 s2, s2, 8
	s_addc_u32 s3, s3, 0
	s_add_i32 s6, s6, -1
	v_add_u32_e32 v4, v1, v4
	v_lshrrev_b32_e32 v4, s7, v4
	v_mul_lo_u32 v5, v4, s8
	s_cmp_lg_u32 s6, 0
	v_sub_u32_e32 v5, v1, v5
	v_mad_u64_u32 v[0:1], s[8:9], v5, s10, v[0:1]
	v_mad_u64_u32 v[2:3], s[8:9], v5, s11, v[2:3]
	v_mov_b32_e32 v1, v4
	s_cbranch_scc1 .LBB13_26
.LBB13_27:
	s_cbranch_execnz .LBB13_30
.LBB13_28:
	s_load_dwordx4 s[4:7], s[34:35], 0x4
	s_load_dwordx2 s[2:3], s[34:35], 0xc4
	s_cmp_lt_u32 s33, 2
	s_waitcnt lgkmcnt(0)
	v_mul_hi_u32 v0, s5, v19
	v_add_u32_e32 v0, v19, v0
	v_lshrrev_b32_e32 v1, s6, v0
	v_mul_lo_u32 v0, v1, s4
	v_sub_u32_e32 v2, v19, v0
	v_mul_lo_u32 v0, v2, s2
	v_mul_lo_u32 v2, v2, s3
	s_cbranch_scc1 .LBB13_30
; %bb.29:
	s_load_dwordx4 s[4:7], s[34:35], 0x10
	s_load_dwordx2 s[2:3], s[34:35], 0xcc
	s_waitcnt lgkmcnt(0)
	v_mul_hi_u32 v3, s5, v1
	v_add_u32_e32 v3, v1, v3
	v_lshrrev_b32_e32 v3, s6, v3
	v_mul_lo_u32 v3, v3, s4
	v_sub_u32_e32 v3, v1, v3
	v_mad_u64_u32 v[0:1], s[4:5], v3, s2, v[0:1]
	v_mad_u64_u32 v[2:3], s[2:3], v3, s3, v[2:3]
.LBB13_30:
	s_and_b64 vcc, exec, s[0:1]
	v_add_u32_e32 v1, 0x80, v19
	s_cbranch_vccnz .LBB13_36
; %bb.31:
	s_cmp_lg_u32 s33, 0
	s_mov_b32 s26, 0
	s_cbranch_scc0 .LBB13_37
; %bb.32:
	s_min_u32 s27, s54, 15
	s_add_i32 s27, s27, 1
	s_cmp_eq_u32 s54, 2
	s_cbranch_scc1 .LBB13_38
; %bb.33:
	s_and_b32 s26, s27, 28
	s_add_u32 s2, s34, 0xc4
	s_addc_u32 s3, s35, 0
	v_mov_b32_e32 v5, 0
	s_mov_b32 s28, 0
	s_mov_b64 s[24:25], s[34:35]
	v_mov_b32_e32 v3, 0
	v_mov_b32_e32 v4, v1
.LBB13_34:                              ; =>This Inner Loop Header: Depth=1
	s_load_dwordx8 s[12:19], s[24:25], 0x4
	s_load_dwordx4 s[20:23], s[24:25], 0x24
	s_load_dwordx8 s[4:11], s[2:3], 0x0
	s_add_u32 s24, s24, 48
	s_addc_u32 s25, s25, 0
	s_waitcnt lgkmcnt(0)
	v_mul_hi_u32 v6, s13, v4
	s_add_i32 s28, s28, 4
	s_add_u32 s2, s2, 32
	s_addc_u32 s3, s3, 0
	v_add_u32_e32 v6, v4, v6
	v_lshrrev_b32_e32 v6, s14, v6
	v_mul_lo_u32 v7, v6, s12
	v_mul_hi_u32 v8, s16, v6
	s_cmp_lg_u32 s26, s28
	v_sub_u32_e32 v4, v4, v7
	v_add_u32_e32 v7, v6, v8
	v_mul_lo_u32 v8, v4, s4
	v_mul_lo_u32 v9, v4, s5
	v_lshrrev_b32_e32 v4, s17, v7
	v_mul_lo_u32 v7, v4, s15
	v_mul_hi_u32 v10, s19, v4
	v_sub_u32_e32 v6, v6, v7
	v_add_u32_e32 v7, v4, v10
	v_lshrrev_b32_e32 v7, s20, v7
	v_mul_hi_u32 v11, s22, v7
	v_mul_lo_u32 v12, v7, s18
	v_mul_lo_u32 v10, v6, s6
	;; [unrolled: 1-line block ×3, first 2 shown]
	v_sub_u32_e32 v12, v4, v12
	v_add_u32_e32 v4, v7, v11
	v_lshrrev_b32_e32 v4, s23, v4
	v_mul_lo_u32 v11, v4, s21
	v_mul_lo_u32 v13, v12, s8
	;; [unrolled: 1-line block ×3, first 2 shown]
	v_add3_u32 v3, v8, v3, v10
	v_sub_u32_e32 v7, v7, v11
	v_mul_lo_u32 v11, v7, s10
	v_mul_lo_u32 v7, v7, s11
	v_add3_u32 v5, v9, v5, v6
	v_add3_u32 v3, v13, v3, v11
	v_add3_u32 v5, v12, v5, v7
	s_cbranch_scc1 .LBB13_34
; %bb.35:
	s_and_b32 s6, s27, 3
	s_cmp_eq_u32 s6, 0
	s_cbranch_scc0 .LBB13_39
	s_branch .LBB13_41
.LBB13_36:
                                        ; implicit-def: $vgpr3
                                        ; implicit-def: $vgpr5
	s_branch .LBB13_42
.LBB13_37:
	v_mov_b32_e32 v3, 0
	v_mov_b32_e32 v5, 0
	s_branch .LBB13_41
.LBB13_38:
	v_mov_b32_e32 v3, 0
	v_mov_b32_e32 v5, 0
	;; [unrolled: 1-line block ×3, first 2 shown]
	s_and_b32 s6, s27, 3
	s_cmp_eq_u32 s6, 0
	s_cbranch_scc1 .LBB13_41
.LBB13_39:
	s_lshl_b32 s2, s26, 3
	s_add_u32 s2, s34, s2
	s_addc_u32 s3, s35, 0
	s_add_u32 s2, s2, 0xc4
	s_addc_u32 s3, s3, 0
	s_mul_i32 s4, s26, 12
	s_add_u32 s4, s34, s4
	s_addc_u32 s5, s35, 0
.LBB13_40:                              ; =>This Inner Loop Header: Depth=1
	s_load_dwordx2 s[8:9], s[4:5], 0x4
	s_load_dword s7, s[4:5], 0xc
	s_load_dwordx2 s[10:11], s[2:3], 0x0
	s_add_u32 s4, s4, 12
	s_addc_u32 s5, s5, 0
	s_waitcnt lgkmcnt(0)
	v_mul_hi_u32 v7, s9, v4
	s_add_u32 s2, s2, 8
	s_addc_u32 s3, s3, 0
	s_add_i32 s6, s6, -1
	v_add_u32_e32 v7, v4, v7
	v_lshrrev_b32_e32 v7, s7, v7
	v_mul_lo_u32 v8, v7, s8
	s_cmp_lg_u32 s6, 0
	v_sub_u32_e32 v8, v4, v8
	v_mad_u64_u32 v[3:4], s[8:9], v8, s10, v[3:4]
	v_mad_u64_u32 v[5:6], s[8:9], v8, s11, v[5:6]
	v_mov_b32_e32 v4, v7
	s_cbranch_scc1 .LBB13_40
.LBB13_41:
	s_cbranch_execnz .LBB13_44
.LBB13_42:
	s_load_dwordx4 s[4:7], s[34:35], 0x4
	s_load_dwordx2 s[2:3], s[34:35], 0xc4
	s_cmp_lt_u32 s33, 2
	s_waitcnt lgkmcnt(0)
	v_mul_hi_u32 v3, s5, v1
	v_add_u32_e32 v3, v1, v3
	v_lshrrev_b32_e32 v4, s6, v3
	v_mul_lo_u32 v3, v4, s4
	v_sub_u32_e32 v1, v1, v3
	v_mul_lo_u32 v3, v1, s2
	v_mul_lo_u32 v5, v1, s3
	s_cbranch_scc1 .LBB13_44
; %bb.43:
	s_load_dwordx4 s[4:7], s[34:35], 0x10
	s_load_dwordx2 s[2:3], s[34:35], 0xcc
	s_waitcnt lgkmcnt(0)
	v_mul_hi_u32 v1, s5, v4
	v_add_u32_e32 v1, v4, v1
	v_lshrrev_b32_e32 v1, s6, v1
	v_mul_lo_u32 v1, v1, s4
	v_sub_u32_e32 v1, v4, v1
	v_mad_u64_u32 v[3:4], s[4:5], v1, s2, v[3:4]
	v_mad_u64_u32 v[5:6], s[2:3], v1, s3, v[5:6]
.LBB13_44:
	s_and_b64 vcc, exec, s[0:1]
	v_add_u32_e32 v1, 0x100, v19
	s_cbranch_vccnz .LBB13_50
; %bb.45:
	s_cmp_lg_u32 s33, 0
	s_mov_b32 s26, 0
	s_cbranch_scc0 .LBB13_51
; %bb.46:
	s_min_u32 s27, s54, 15
	s_add_i32 s27, s27, 1
	s_cmp_eq_u32 s54, 2
	s_cbranch_scc1 .LBB13_52
; %bb.47:
	s_and_b32 s26, s27, 28
	s_add_u32 s2, s34, 0xc4
	s_addc_u32 s3, s35, 0
	v_mov_b32_e32 v8, 0
	s_mov_b32 s28, 0
	s_mov_b64 s[24:25], s[34:35]
	v_mov_b32_e32 v6, 0
	v_mov_b32_e32 v4, v1
.LBB13_48:                              ; =>This Inner Loop Header: Depth=1
	s_load_dwordx8 s[12:19], s[24:25], 0x4
	s_load_dwordx4 s[20:23], s[24:25], 0x24
	s_load_dwordx8 s[4:11], s[2:3], 0x0
	s_add_u32 s24, s24, 48
	s_addc_u32 s25, s25, 0
	s_waitcnt lgkmcnt(0)
	v_mul_hi_u32 v7, s13, v4
	s_add_i32 s28, s28, 4
	s_add_u32 s2, s2, 32
	s_addc_u32 s3, s3, 0
	v_add_u32_e32 v7, v4, v7
	v_lshrrev_b32_e32 v7, s14, v7
	v_mul_lo_u32 v9, v7, s12
	v_mul_hi_u32 v10, s16, v7
	s_cmp_lg_u32 s26, s28
	v_sub_u32_e32 v4, v4, v9
	v_add_u32_e32 v9, v7, v10
	v_mul_lo_u32 v10, v4, s4
	v_mul_lo_u32 v11, v4, s5
	v_lshrrev_b32_e32 v4, s17, v9
	v_mul_lo_u32 v9, v4, s15
	v_mul_hi_u32 v12, s19, v4
	v_sub_u32_e32 v7, v7, v9
	v_add_u32_e32 v9, v4, v12
	v_lshrrev_b32_e32 v9, s20, v9
	v_mul_hi_u32 v13, s22, v9
	v_mul_lo_u32 v14, v9, s18
	v_mul_lo_u32 v12, v7, s6
	;; [unrolled: 1-line block ×3, first 2 shown]
	v_sub_u32_e32 v14, v4, v14
	v_add_u32_e32 v4, v9, v13
	v_lshrrev_b32_e32 v4, s23, v4
	v_mul_lo_u32 v13, v4, s21
	v_mul_lo_u32 v15, v14, s8
	v_mul_lo_u32 v14, v14, s9
	v_add3_u32 v6, v10, v6, v12
	v_sub_u32_e32 v9, v9, v13
	v_mul_lo_u32 v13, v9, s10
	v_mul_lo_u32 v9, v9, s11
	v_add3_u32 v7, v11, v8, v7
	v_add3_u32 v6, v15, v6, v13
	;; [unrolled: 1-line block ×3, first 2 shown]
	s_cbranch_scc1 .LBB13_48
; %bb.49:
	s_and_b32 s6, s27, 3
	s_cmp_eq_u32 s6, 0
	s_cbranch_scc0 .LBB13_53
	s_branch .LBB13_55
.LBB13_50:
                                        ; implicit-def: $vgpr6
                                        ; implicit-def: $vgpr8
	s_branch .LBB13_56
.LBB13_51:
	v_mov_b32_e32 v6, 0
	v_mov_b32_e32 v8, 0
	s_branch .LBB13_55
.LBB13_52:
	v_mov_b32_e32 v6, 0
	v_mov_b32_e32 v8, 0
	;; [unrolled: 1-line block ×3, first 2 shown]
	s_and_b32 s6, s27, 3
	s_cmp_eq_u32 s6, 0
	s_cbranch_scc1 .LBB13_55
.LBB13_53:
	s_lshl_b32 s2, s26, 3
	s_add_u32 s2, s34, s2
	s_addc_u32 s3, s35, 0
	s_add_u32 s2, s2, 0xc4
	s_addc_u32 s3, s3, 0
	s_mul_i32 s4, s26, 12
	s_add_u32 s4, s34, s4
	s_addc_u32 s5, s35, 0
.LBB13_54:                              ; =>This Inner Loop Header: Depth=1
	s_load_dwordx2 s[8:9], s[4:5], 0x4
	s_load_dword s7, s[4:5], 0xc
	s_load_dwordx2 s[10:11], s[2:3], 0x0
	s_add_u32 s4, s4, 12
	s_addc_u32 s5, s5, 0
	s_waitcnt lgkmcnt(0)
	v_mul_hi_u32 v7, s9, v4
	s_add_u32 s2, s2, 8
	s_addc_u32 s3, s3, 0
	s_add_i32 s6, s6, -1
	v_add_u32_e32 v7, v4, v7
	v_lshrrev_b32_e32 v10, s7, v7
	v_mul_lo_u32 v7, v10, s8
	s_cmp_lg_u32 s6, 0
	v_sub_u32_e32 v4, v4, v7
	v_mad_u64_u32 v[6:7], s[8:9], v4, s10, v[6:7]
	v_mad_u64_u32 v[8:9], s[8:9], v4, s11, v[8:9]
	v_mov_b32_e32 v4, v10
	s_cbranch_scc1 .LBB13_54
.LBB13_55:
	s_cbranch_execnz .LBB13_58
.LBB13_56:
	s_load_dwordx4 s[4:7], s[34:35], 0x4
	s_load_dwordx2 s[2:3], s[34:35], 0xc4
	s_cmp_lt_u32 s33, 2
	s_waitcnt lgkmcnt(0)
	v_mul_hi_u32 v4, s5, v1
	v_add_u32_e32 v4, v1, v4
	v_lshrrev_b32_e32 v4, s6, v4
	v_mul_lo_u32 v6, v4, s4
	v_sub_u32_e32 v1, v1, v6
	v_mul_lo_u32 v6, v1, s2
	v_mul_lo_u32 v8, v1, s3
	s_cbranch_scc1 .LBB13_58
; %bb.57:
	s_load_dwordx4 s[4:7], s[34:35], 0x10
	s_load_dwordx2 s[2:3], s[34:35], 0xcc
	s_waitcnt lgkmcnt(0)
	v_mul_hi_u32 v1, s5, v4
	v_add_u32_e32 v1, v4, v1
	v_lshrrev_b32_e32 v1, s6, v1
	v_mul_lo_u32 v1, v1, s4
	v_sub_u32_e32 v1, v4, v1
	v_mad_u64_u32 v[6:7], s[4:5], v1, s2, v[6:7]
	v_mad_u64_u32 v[8:9], s[2:3], v1, s3, v[8:9]
.LBB13_58:
	s_and_b64 vcc, exec, s[0:1]
	v_add_u32_e32 v1, 0x180, v19
	s_cbranch_vccnz .LBB13_64
; %bb.59:
	s_cmp_lg_u32 s33, 0
	s_mov_b32 s26, 0
	s_cbranch_scc0 .LBB13_65
; %bb.60:
	s_min_u32 s27, s54, 15
	s_add_i32 s27, s27, 1
	s_cmp_eq_u32 s54, 2
	s_cbranch_scc1 .LBB13_66
; %bb.61:
	s_and_b32 s26, s27, 28
	s_add_u32 s2, s34, 0xc4
	s_addc_u32 s3, s35, 0
	v_mov_b32_e32 v11, 0
	s_mov_b32 s28, 0
	s_mov_b64 s[24:25], s[34:35]
	v_mov_b32_e32 v9, 0
	v_mov_b32_e32 v4, v1
.LBB13_62:                              ; =>This Inner Loop Header: Depth=1
	s_load_dwordx8 s[12:19], s[24:25], 0x4
	s_load_dwordx4 s[20:23], s[24:25], 0x24
	s_load_dwordx8 s[4:11], s[2:3], 0x0
	s_add_u32 s24, s24, 48
	s_addc_u32 s25, s25, 0
	s_waitcnt lgkmcnt(0)
	v_mul_hi_u32 v7, s13, v4
	s_add_i32 s28, s28, 4
	s_add_u32 s2, s2, 32
	s_addc_u32 s3, s3, 0
	v_add_u32_e32 v7, v4, v7
	v_lshrrev_b32_e32 v7, s14, v7
	v_mul_lo_u32 v10, v7, s12
	v_mul_hi_u32 v12, s16, v7
	s_cmp_lg_u32 s26, s28
	v_sub_u32_e32 v4, v4, v10
	v_add_u32_e32 v10, v7, v12
	v_mul_lo_u32 v12, v4, s4
	v_mul_lo_u32 v13, v4, s5
	v_lshrrev_b32_e32 v4, s17, v10
	v_mul_lo_u32 v10, v4, s15
	v_mul_hi_u32 v14, s19, v4
	v_sub_u32_e32 v7, v7, v10
	v_add_u32_e32 v10, v4, v14
	v_lshrrev_b32_e32 v10, s20, v10
	v_mul_hi_u32 v15, s22, v10
	v_mul_lo_u32 v16, v10, s18
	v_mul_lo_u32 v14, v7, s6
	;; [unrolled: 1-line block ×3, first 2 shown]
	v_sub_u32_e32 v16, v4, v16
	v_add_u32_e32 v4, v10, v15
	v_lshrrev_b32_e32 v4, s23, v4
	v_mul_lo_u32 v15, v4, s21
	v_mul_lo_u32 v17, v16, s8
	;; [unrolled: 1-line block ×3, first 2 shown]
	v_add3_u32 v9, v12, v9, v14
	v_sub_u32_e32 v10, v10, v15
	v_mul_lo_u32 v15, v10, s10
	v_mul_lo_u32 v10, v10, s11
	v_add3_u32 v7, v13, v11, v7
	v_add3_u32 v9, v17, v9, v15
	;; [unrolled: 1-line block ×3, first 2 shown]
	s_cbranch_scc1 .LBB13_62
; %bb.63:
	s_and_b32 s6, s27, 3
	s_cmp_eq_u32 s6, 0
	s_cbranch_scc0 .LBB13_67
	s_branch .LBB13_69
.LBB13_64:
                                        ; implicit-def: $vgpr9
                                        ; implicit-def: $vgpr11
	s_branch .LBB13_70
.LBB13_65:
	v_mov_b32_e32 v9, 0
	v_mov_b32_e32 v11, 0
	s_branch .LBB13_69
.LBB13_66:
	v_mov_b32_e32 v9, 0
	v_mov_b32_e32 v11, 0
	;; [unrolled: 1-line block ×3, first 2 shown]
	s_and_b32 s6, s27, 3
	s_cmp_eq_u32 s6, 0
	s_cbranch_scc1 .LBB13_69
.LBB13_67:
	s_lshl_b32 s2, s26, 3
	s_add_u32 s2, s34, s2
	s_addc_u32 s3, s35, 0
	s_add_u32 s2, s2, 0xc4
	s_addc_u32 s3, s3, 0
	s_mul_i32 s4, s26, 12
	s_add_u32 s4, s34, s4
	s_addc_u32 s5, s35, 0
.LBB13_68:                              ; =>This Inner Loop Header: Depth=1
	s_load_dwordx2 s[8:9], s[4:5], 0x4
	s_load_dword s7, s[4:5], 0xc
	s_load_dwordx2 s[10:11], s[2:3], 0x0
	s_add_u32 s4, s4, 12
	s_addc_u32 s5, s5, 0
	s_waitcnt lgkmcnt(0)
	v_mul_hi_u32 v7, s9, v4
	s_add_u32 s2, s2, 8
	s_addc_u32 s3, s3, 0
	s_add_i32 s6, s6, -1
	v_add_u32_e32 v7, v4, v7
	v_lshrrev_b32_e32 v7, s7, v7
	v_mul_lo_u32 v10, v7, s8
	s_cmp_lg_u32 s6, 0
	v_sub_u32_e32 v4, v4, v10
	v_mad_u64_u32 v[9:10], s[8:9], v4, s10, v[9:10]
	v_mad_u64_u32 v[11:12], s[8:9], v4, s11, v[11:12]
	v_mov_b32_e32 v4, v7
	s_cbranch_scc1 .LBB13_68
.LBB13_69:
	s_cbranch_execnz .LBB13_72
.LBB13_70:
	s_load_dwordx4 s[4:7], s[34:35], 0x4
	s_load_dwordx2 s[2:3], s[34:35], 0xc4
	s_cmp_lt_u32 s33, 2
	s_waitcnt lgkmcnt(0)
	v_mul_hi_u32 v4, s5, v1
	v_add_u32_e32 v4, v1, v4
	v_lshrrev_b32_e32 v4, s6, v4
	v_mul_lo_u32 v7, v4, s4
	v_sub_u32_e32 v1, v1, v7
	v_mul_lo_u32 v9, v1, s2
	v_mul_lo_u32 v11, v1, s3
	s_cbranch_scc1 .LBB13_72
; %bb.71:
	s_load_dwordx4 s[4:7], s[34:35], 0x10
	s_load_dwordx2 s[2:3], s[34:35], 0xcc
	s_waitcnt lgkmcnt(0)
	v_mul_hi_u32 v1, s5, v4
	v_add_u32_e32 v1, v4, v1
	v_lshrrev_b32_e32 v1, s6, v1
	v_mul_lo_u32 v1, v1, s4
	v_sub_u32_e32 v1, v4, v1
	v_mad_u64_u32 v[9:10], s[4:5], v1, s2, v[9:10]
	v_mad_u64_u32 v[11:12], s[2:3], v1, s3, v[11:12]
.LBB13_72:
	s_and_b64 vcc, exec, s[0:1]
	v_add_u32_e32 v1, 0x200, v19
	s_cbranch_vccnz .LBB13_78
; %bb.73:
	s_cmp_lg_u32 s33, 0
	s_mov_b32 s26, 0
	s_cbranch_scc0 .LBB13_79
; %bb.74:
	s_min_u32 s27, s54, 15
	s_add_i32 s27, s27, 1
	s_cmp_eq_u32 s54, 2
	s_cbranch_scc1 .LBB13_80
; %bb.75:
	s_and_b32 s26, s27, 28
	s_add_u32 s2, s34, 0xc4
	s_addc_u32 s3, s35, 0
	v_mov_b32_e32 v14, 0
	s_mov_b32 s28, 0
	s_mov_b64 s[24:25], s[34:35]
	v_mov_b32_e32 v12, 0
	v_mov_b32_e32 v4, v1
.LBB13_76:                              ; =>This Inner Loop Header: Depth=1
	s_load_dwordx8 s[12:19], s[24:25], 0x4
	s_load_dwordx4 s[20:23], s[24:25], 0x24
	s_load_dwordx8 s[4:11], s[2:3], 0x0
	s_add_u32 s24, s24, 48
	s_addc_u32 s25, s25, 0
	s_waitcnt lgkmcnt(0)
	v_mul_hi_u32 v7, s13, v4
	s_add_i32 s28, s28, 4
	s_add_u32 s2, s2, 32
	s_addc_u32 s3, s3, 0
	v_add_u32_e32 v7, v4, v7
	v_lshrrev_b32_e32 v7, s14, v7
	v_mul_lo_u32 v10, v7, s12
	v_mul_hi_u32 v13, s16, v7
	s_cmp_lg_u32 s26, s28
	v_sub_u32_e32 v4, v4, v10
	v_add_u32_e32 v10, v7, v13
	v_mul_lo_u32 v13, v4, s4
	v_mul_lo_u32 v15, v4, s5
	v_lshrrev_b32_e32 v4, s17, v10
	v_mul_lo_u32 v10, v4, s15
	v_mul_hi_u32 v16, s19, v4
	v_sub_u32_e32 v7, v7, v10
	v_add_u32_e32 v10, v4, v16
	v_lshrrev_b32_e32 v10, s20, v10
	v_mul_hi_u32 v17, s22, v10
	v_mul_lo_u32 v18, v10, s18
	v_mul_lo_u32 v16, v7, s6
	;; [unrolled: 1-line block ×3, first 2 shown]
	v_sub_u32_e32 v18, v4, v18
	v_add_u32_e32 v4, v10, v17
	v_lshrrev_b32_e32 v4, s23, v4
	v_mul_lo_u32 v17, v4, s21
	v_mul_lo_u32 v20, v18, s8
	;; [unrolled: 1-line block ×3, first 2 shown]
	v_add3_u32 v12, v13, v12, v16
	v_sub_u32_e32 v10, v10, v17
	v_mul_lo_u32 v17, v10, s10
	v_mul_lo_u32 v10, v10, s11
	v_add3_u32 v7, v15, v14, v7
	v_add3_u32 v12, v20, v12, v17
	;; [unrolled: 1-line block ×3, first 2 shown]
	s_cbranch_scc1 .LBB13_76
; %bb.77:
	s_and_b32 s6, s27, 3
	s_cmp_eq_u32 s6, 0
	s_cbranch_scc0 .LBB13_81
	s_branch .LBB13_83
.LBB13_78:
                                        ; implicit-def: $vgpr12
                                        ; implicit-def: $vgpr14
	s_branch .LBB13_84
.LBB13_79:
	v_mov_b32_e32 v12, 0
	v_mov_b32_e32 v14, 0
	s_branch .LBB13_83
.LBB13_80:
	v_mov_b32_e32 v12, 0
	v_mov_b32_e32 v14, 0
	;; [unrolled: 1-line block ×3, first 2 shown]
	s_and_b32 s6, s27, 3
	s_cmp_eq_u32 s6, 0
	s_cbranch_scc1 .LBB13_83
.LBB13_81:
	s_lshl_b32 s2, s26, 3
	s_add_u32 s2, s34, s2
	s_addc_u32 s3, s35, 0
	s_add_u32 s2, s2, 0xc4
	s_addc_u32 s3, s3, 0
	s_mul_i32 s4, s26, 12
	s_add_u32 s4, s34, s4
	s_addc_u32 s5, s35, 0
.LBB13_82:                              ; =>This Inner Loop Header: Depth=1
	s_load_dwordx2 s[8:9], s[4:5], 0x4
	s_load_dword s7, s[4:5], 0xc
	s_load_dwordx2 s[10:11], s[2:3], 0x0
	s_add_u32 s4, s4, 12
	s_addc_u32 s5, s5, 0
	s_waitcnt lgkmcnt(0)
	v_mul_hi_u32 v7, s9, v4
	s_add_u32 s2, s2, 8
	s_addc_u32 s3, s3, 0
	s_add_i32 s6, s6, -1
	v_add_u32_e32 v7, v4, v7
	v_lshrrev_b32_e32 v7, s7, v7
	v_mul_lo_u32 v10, v7, s8
	s_cmp_lg_u32 s6, 0
	v_sub_u32_e32 v4, v4, v10
	v_mad_u64_u32 v[12:13], s[8:9], v4, s10, v[12:13]
	v_mad_u64_u32 v[14:15], s[8:9], v4, s11, v[14:15]
	v_mov_b32_e32 v4, v7
	s_cbranch_scc1 .LBB13_82
.LBB13_83:
	s_cbranch_execnz .LBB13_86
.LBB13_84:
	s_load_dwordx4 s[4:7], s[34:35], 0x4
	s_load_dwordx2 s[2:3], s[34:35], 0xc4
	s_cmp_lt_u32 s33, 2
	s_waitcnt lgkmcnt(0)
	v_mul_hi_u32 v4, s5, v1
	v_add_u32_e32 v4, v1, v4
	v_lshrrev_b32_e32 v4, s6, v4
	v_mul_lo_u32 v7, v4, s4
	v_sub_u32_e32 v1, v1, v7
	v_mul_lo_u32 v12, v1, s2
	v_mul_lo_u32 v14, v1, s3
	s_cbranch_scc1 .LBB13_86
; %bb.85:
	s_load_dwordx4 s[4:7], s[34:35], 0x10
	s_load_dwordx2 s[2:3], s[34:35], 0xcc
	s_waitcnt lgkmcnt(0)
	v_mul_hi_u32 v1, s5, v4
	v_add_u32_e32 v1, v4, v1
	v_lshrrev_b32_e32 v1, s6, v1
	v_mul_lo_u32 v1, v1, s4
	v_sub_u32_e32 v1, v4, v1
	v_mad_u64_u32 v[12:13], s[4:5], v1, s2, v[12:13]
	v_mad_u64_u32 v[14:15], s[2:3], v1, s3, v[14:15]
.LBB13_86:
	s_and_b64 vcc, exec, s[0:1]
	v_add_u32_e32 v1, 0x280, v19
	s_cbranch_vccnz .LBB13_92
; %bb.87:
	s_cmp_lg_u32 s33, 0
	s_mov_b32 s26, 0
	s_cbranch_scc0 .LBB13_93
; %bb.88:
	s_min_u32 s27, s54, 15
	s_add_i32 s27, s27, 1
	s_cmp_eq_u32 s54, 2
	s_cbranch_scc1 .LBB13_94
; %bb.89:
	s_and_b32 s26, s27, 28
	s_add_u32 s2, s34, 0xc4
	s_addc_u32 s3, s35, 0
	v_mov_b32_e32 v17, 0
	s_mov_b32 s28, 0
	s_mov_b64 s[24:25], s[34:35]
	v_mov_b32_e32 v15, 0
	v_mov_b32_e32 v4, v1
.LBB13_90:                              ; =>This Inner Loop Header: Depth=1
	s_load_dwordx8 s[12:19], s[24:25], 0x4
	s_load_dwordx4 s[20:23], s[24:25], 0x24
	s_load_dwordx8 s[4:11], s[2:3], 0x0
	s_add_u32 s24, s24, 48
	s_addc_u32 s25, s25, 0
	s_waitcnt lgkmcnt(0)
	v_mul_hi_u32 v7, s13, v4
	s_add_i32 s28, s28, 4
	s_add_u32 s2, s2, 32
	s_addc_u32 s3, s3, 0
	v_add_u32_e32 v7, v4, v7
	v_lshrrev_b32_e32 v7, s14, v7
	v_mul_lo_u32 v10, v7, s12
	v_mul_hi_u32 v13, s16, v7
	s_cmp_lg_u32 s26, s28
	v_sub_u32_e32 v4, v4, v10
	v_add_u32_e32 v10, v7, v13
	v_mul_lo_u32 v13, v4, s4
	v_mul_lo_u32 v16, v4, s5
	v_lshrrev_b32_e32 v4, s17, v10
	v_mul_lo_u32 v10, v4, s15
	v_mul_hi_u32 v18, s19, v4
	v_sub_u32_e32 v7, v7, v10
	v_add_u32_e32 v10, v4, v18
	v_lshrrev_b32_e32 v10, s20, v10
	v_mul_hi_u32 v20, s22, v10
	v_mul_lo_u32 v21, v10, s18
	v_mul_lo_u32 v18, v7, s6
	;; [unrolled: 1-line block ×3, first 2 shown]
	v_sub_u32_e32 v21, v4, v21
	v_add_u32_e32 v4, v10, v20
	v_lshrrev_b32_e32 v4, s23, v4
	v_mul_lo_u32 v20, v4, s21
	v_mul_lo_u32 v22, v21, s8
	;; [unrolled: 1-line block ×3, first 2 shown]
	v_add3_u32 v13, v13, v15, v18
	v_sub_u32_e32 v10, v10, v20
	v_mul_lo_u32 v20, v10, s10
	v_mul_lo_u32 v10, v10, s11
	v_add3_u32 v7, v16, v17, v7
	v_add3_u32 v15, v22, v13, v20
	;; [unrolled: 1-line block ×3, first 2 shown]
	s_cbranch_scc1 .LBB13_90
; %bb.91:
	s_and_b32 s6, s27, 3
	s_cmp_eq_u32 s6, 0
	s_cbranch_scc0 .LBB13_95
	s_branch .LBB13_97
.LBB13_92:
                                        ; implicit-def: $vgpr15
                                        ; implicit-def: $vgpr17
	s_branch .LBB13_98
.LBB13_93:
	v_mov_b32_e32 v15, 0
	v_mov_b32_e32 v17, 0
	s_branch .LBB13_97
.LBB13_94:
	v_mov_b32_e32 v15, 0
	v_mov_b32_e32 v17, 0
	;; [unrolled: 1-line block ×3, first 2 shown]
	s_and_b32 s6, s27, 3
	s_cmp_eq_u32 s6, 0
	s_cbranch_scc1 .LBB13_97
.LBB13_95:
	s_lshl_b32 s2, s26, 3
	s_add_u32 s2, s34, s2
	s_addc_u32 s3, s35, 0
	s_add_u32 s2, s2, 0xc4
	s_addc_u32 s3, s3, 0
	s_mul_i32 s4, s26, 12
	s_add_u32 s4, s34, s4
	s_addc_u32 s5, s35, 0
.LBB13_96:                              ; =>This Inner Loop Header: Depth=1
	s_load_dwordx2 s[8:9], s[4:5], 0x4
	s_load_dword s7, s[4:5], 0xc
	s_load_dwordx2 s[10:11], s[2:3], 0x0
	s_add_u32 s4, s4, 12
	s_addc_u32 s5, s5, 0
	s_waitcnt lgkmcnt(0)
	v_mul_hi_u32 v7, s9, v4
	s_add_u32 s2, s2, 8
	s_addc_u32 s3, s3, 0
	s_add_i32 s6, s6, -1
	v_add_u32_e32 v7, v4, v7
	v_lshrrev_b32_e32 v7, s7, v7
	v_mul_lo_u32 v10, v7, s8
	s_cmp_lg_u32 s6, 0
	v_sub_u32_e32 v4, v4, v10
	v_mad_u64_u32 v[15:16], s[8:9], v4, s10, v[15:16]
	v_mad_u64_u32 v[17:18], s[8:9], v4, s11, v[17:18]
	v_mov_b32_e32 v4, v7
	s_cbranch_scc1 .LBB13_96
.LBB13_97:
	s_cbranch_execnz .LBB13_100
.LBB13_98:
	s_load_dwordx4 s[4:7], s[34:35], 0x4
	s_load_dwordx2 s[2:3], s[34:35], 0xc4
	s_cmp_lt_u32 s33, 2
	s_waitcnt lgkmcnt(0)
	v_mul_hi_u32 v4, s5, v1
	v_add_u32_e32 v4, v1, v4
	v_lshrrev_b32_e32 v4, s6, v4
	v_mul_lo_u32 v7, v4, s4
	v_sub_u32_e32 v1, v1, v7
	v_mul_lo_u32 v15, v1, s2
	v_mul_lo_u32 v17, v1, s3
	s_cbranch_scc1 .LBB13_100
; %bb.99:
	s_load_dwordx4 s[4:7], s[34:35], 0x10
	s_load_dwordx2 s[2:3], s[34:35], 0xcc
	s_waitcnt lgkmcnt(0)
	v_mul_hi_u32 v1, s5, v4
	v_add_u32_e32 v1, v4, v1
	v_lshrrev_b32_e32 v1, s6, v1
	v_mul_lo_u32 v1, v1, s4
	v_sub_u32_e32 v1, v4, v1
	v_mad_u64_u32 v[15:16], s[4:5], v1, s2, v[15:16]
	v_mad_u64_u32 v[17:18], s[2:3], v1, s3, v[17:18]
.LBB13_100:
	s_and_b64 vcc, exec, s[0:1]
	v_add_u32_e32 v1, 0x300, v19
	s_cbranch_vccnz .LBB13_106
; %bb.101:
	s_cmp_lg_u32 s33, 0
	s_mov_b32 s26, 0
	s_cbranch_scc0 .LBB13_107
; %bb.102:
	s_min_u32 s27, s54, 15
	s_add_i32 s27, s27, 1
	s_cmp_eq_u32 s54, 2
	s_cbranch_scc1 .LBB13_108
; %bb.103:
	s_and_b32 s26, s27, 28
	s_add_u32 s2, s34, 0xc4
	s_addc_u32 s3, s35, 0
	v_mov_b32_e32 v20, 0
	s_mov_b32 s28, 0
	s_mov_b64 s[24:25], s[34:35]
	v_mov_b32_e32 v18, 0
	v_mov_b32_e32 v4, v1
.LBB13_104:                             ; =>This Inner Loop Header: Depth=1
	s_load_dwordx8 s[12:19], s[24:25], 0x4
	s_load_dwordx4 s[20:23], s[24:25], 0x24
	s_load_dwordx8 s[4:11], s[2:3], 0x0
	s_add_u32 s24, s24, 48
	s_addc_u32 s25, s25, 0
	s_waitcnt lgkmcnt(0)
	v_mul_hi_u32 v7, s13, v4
	s_add_i32 s28, s28, 4
	s_add_u32 s2, s2, 32
	s_addc_u32 s3, s3, 0
	v_add_u32_e32 v7, v4, v7
	v_lshrrev_b32_e32 v7, s14, v7
	v_mul_lo_u32 v10, v7, s12
	v_mul_hi_u32 v13, s16, v7
	s_cmp_lg_u32 s26, s28
	v_sub_u32_e32 v4, v4, v10
	v_add_u32_e32 v10, v7, v13
	v_mul_lo_u32 v13, v4, s4
	v_mul_lo_u32 v16, v4, s5
	v_lshrrev_b32_e32 v4, s17, v10
	v_mul_lo_u32 v10, v4, s15
	v_mul_hi_u32 v19, s19, v4
	v_sub_u32_e32 v7, v7, v10
	v_add_u32_e32 v10, v4, v19
	v_lshrrev_b32_e32 v10, s20, v10
	v_mul_hi_u32 v21, s22, v10
	v_mul_lo_u32 v22, v10, s18
	v_mul_lo_u32 v19, v7, s6
	;; [unrolled: 1-line block ×3, first 2 shown]
	v_sub_u32_e32 v22, v4, v22
	v_add_u32_e32 v4, v10, v21
	v_lshrrev_b32_e32 v4, s23, v4
	v_mul_lo_u32 v21, v4, s21
	v_mul_lo_u32 v23, v22, s8
	;; [unrolled: 1-line block ×3, first 2 shown]
	v_add3_u32 v13, v13, v18, v19
	v_sub_u32_e32 v10, v10, v21
	v_mul_lo_u32 v21, v10, s10
	v_mul_lo_u32 v10, v10, s11
	v_add3_u32 v7, v16, v20, v7
	v_add3_u32 v18, v23, v13, v21
	;; [unrolled: 1-line block ×3, first 2 shown]
	s_cbranch_scc1 .LBB13_104
; %bb.105:
	s_and_b32 s6, s27, 3
	s_cmp_eq_u32 s6, 0
	s_cbranch_scc0 .LBB13_109
	s_branch .LBB13_111
.LBB13_106:
                                        ; implicit-def: $vgpr18
                                        ; implicit-def: $vgpr20
	s_branch .LBB13_112
.LBB13_107:
	v_mov_b32_e32 v18, 0
	v_mov_b32_e32 v20, 0
	s_branch .LBB13_111
.LBB13_108:
	v_mov_b32_e32 v18, 0
	v_mov_b32_e32 v20, 0
	;; [unrolled: 1-line block ×3, first 2 shown]
	s_and_b32 s6, s27, 3
	s_cmp_eq_u32 s6, 0
	s_cbranch_scc1 .LBB13_111
.LBB13_109:
	s_lshl_b32 s2, s26, 3
	s_add_u32 s2, s34, s2
	s_addc_u32 s3, s35, 0
	s_add_u32 s2, s2, 0xc4
	s_addc_u32 s3, s3, 0
	s_mul_i32 s4, s26, 12
	s_add_u32 s4, s34, s4
	s_addc_u32 s5, s35, 0
.LBB13_110:                             ; =>This Inner Loop Header: Depth=1
	s_load_dwordx2 s[8:9], s[4:5], 0x4
	s_load_dword s7, s[4:5], 0xc
	s_load_dwordx2 s[10:11], s[2:3], 0x0
	s_add_u32 s4, s4, 12
	s_addc_u32 s5, s5, 0
	s_waitcnt lgkmcnt(0)
	v_mul_hi_u32 v7, s9, v4
	s_add_u32 s2, s2, 8
	s_addc_u32 s3, s3, 0
	s_add_i32 s6, s6, -1
	v_add_u32_e32 v7, v4, v7
	v_lshrrev_b32_e32 v7, s7, v7
	v_mul_lo_u32 v10, v7, s8
	s_cmp_lg_u32 s6, 0
	v_sub_u32_e32 v4, v4, v10
	v_mad_u64_u32 v[18:19], s[8:9], v4, s10, v[18:19]
	v_mad_u64_u32 v[20:21], s[8:9], v4, s11, v[20:21]
	v_mov_b32_e32 v4, v7
	s_cbranch_scc1 .LBB13_110
.LBB13_111:
	s_cbranch_execnz .LBB13_114
.LBB13_112:
	s_load_dwordx4 s[4:7], s[34:35], 0x4
	s_load_dwordx2 s[2:3], s[34:35], 0xc4
	s_cmp_lt_u32 s33, 2
	s_waitcnt lgkmcnt(0)
	v_mul_hi_u32 v4, s5, v1
	v_add_u32_e32 v4, v1, v4
	v_lshrrev_b32_e32 v4, s6, v4
	v_mul_lo_u32 v7, v4, s4
	v_sub_u32_e32 v1, v1, v7
	v_mul_lo_u32 v18, v1, s2
	v_mul_lo_u32 v20, v1, s3
	s_cbranch_scc1 .LBB13_114
; %bb.113:
	s_load_dwordx4 s[4:7], s[34:35], 0x10
	s_load_dwordx2 s[2:3], s[34:35], 0xcc
	s_waitcnt lgkmcnt(0)
	v_mul_hi_u32 v1, s5, v4
	v_add_u32_e32 v1, v4, v1
	v_lshrrev_b32_e32 v1, s6, v1
	v_mul_lo_u32 v1, v1, s4
	v_sub_u32_e32 v1, v4, v1
	v_mad_u64_u32 v[18:19], s[4:5], v1, s2, v[18:19]
	v_mad_u64_u32 v[20:21], s[2:3], v1, s3, v[20:21]
.LBB13_114:
	s_and_b64 vcc, exec, s[0:1]
	s_cbranch_vccnz .LBB13_120
; %bb.115:
	s_cmp_lg_u32 s33, 0
	s_mov_b32 s24, 0
	s_cbranch_scc0 .LBB13_121
; %bb.116:
	s_min_u32 s25, s54, 15
	s_add_i32 s25, s25, 1
	s_cmp_eq_u32 s54, 2
	s_cbranch_scc1 .LBB13_122
; %bb.117:
	s_and_b32 s24, s25, 28
	s_add_u32 s20, s34, 0xc4
	s_addc_u32 s21, s35, 0
	v_mov_b32_e32 v23, 0
	s_mov_b32 s26, 0
	s_mov_b64 s[22:23], s[34:35]
	v_mov_b32_e32 v21, 0
	v_mov_b32_e32 v1, v25
.LBB13_118:                             ; =>This Inner Loop Header: Depth=1
	s_load_dwordx8 s[8:15], s[22:23], 0x4
	s_load_dwordx4 s[16:19], s[22:23], 0x24
	s_load_dwordx8 s[0:7], s[20:21], 0x0
	s_add_u32 s22, s22, 48
	s_addc_u32 s23, s23, 0
	s_waitcnt lgkmcnt(0)
	v_mul_hi_u32 v4, s9, v1
	s_add_i32 s26, s26, 4
	s_add_u32 s20, s20, 32
	s_addc_u32 s21, s21, 0
	v_add_u32_e32 v4, v1, v4
	v_lshrrev_b32_e32 v4, s10, v4
	v_mul_lo_u32 v7, v4, s8
	v_mul_hi_u32 v10, s12, v4
	s_cmp_lg_u32 s24, s26
	v_sub_u32_e32 v1, v1, v7
	v_add_u32_e32 v7, v4, v10
	v_mul_lo_u32 v10, v1, s0
	v_mul_lo_u32 v13, v1, s1
	v_lshrrev_b32_e32 v1, s13, v7
	v_mul_lo_u32 v7, v1, s11
	v_mul_hi_u32 v16, s15, v1
	v_sub_u32_e32 v4, v4, v7
	v_add_u32_e32 v7, v1, v16
	v_lshrrev_b32_e32 v7, s16, v7
	v_mul_hi_u32 v19, s18, v7
	v_mul_lo_u32 v22, v7, s14
	v_mul_lo_u32 v16, v4, s2
	;; [unrolled: 1-line block ×3, first 2 shown]
	v_sub_u32_e32 v22, v1, v22
	v_add_u32_e32 v1, v7, v19
	v_lshrrev_b32_e32 v1, s19, v1
	v_mul_lo_u32 v19, v1, s17
	v_mul_lo_u32 v24, v22, s4
	v_mul_lo_u32 v22, v22, s5
	v_add3_u32 v10, v10, v21, v16
	v_sub_u32_e32 v7, v7, v19
	v_mul_lo_u32 v19, v7, s6
	v_mul_lo_u32 v7, v7, s7
	v_add3_u32 v4, v13, v23, v4
	v_add3_u32 v21, v24, v10, v19
	;; [unrolled: 1-line block ×3, first 2 shown]
	s_cbranch_scc1 .LBB13_118
; %bb.119:
	s_and_b32 s4, s25, 3
	s_cmp_eq_u32 s4, 0
	s_cbranch_scc0 .LBB13_123
	s_branch .LBB13_125
.LBB13_120:
                                        ; implicit-def: $vgpr21
                                        ; implicit-def: $vgpr23
	s_branch .LBB13_126
.LBB13_121:
	v_mov_b32_e32 v21, 0
	v_mov_b32_e32 v23, 0
	s_branch .LBB13_125
.LBB13_122:
	v_mov_b32_e32 v21, 0
	v_mov_b32_e32 v23, 0
	;; [unrolled: 1-line block ×3, first 2 shown]
	s_and_b32 s4, s25, 3
	s_cmp_eq_u32 s4, 0
	s_cbranch_scc1 .LBB13_125
.LBB13_123:
	s_lshl_b32 s0, s24, 3
	s_add_u32 s0, s34, s0
	s_addc_u32 s1, s35, 0
	s_add_u32 s0, s0, 0xc4
	s_addc_u32 s1, s1, 0
	s_mul_i32 s2, s24, 12
	s_add_u32 s2, s34, s2
	s_addc_u32 s3, s35, 0
.LBB13_124:                             ; =>This Inner Loop Header: Depth=1
	s_load_dwordx2 s[6:7], s[2:3], 0x4
	s_load_dword s5, s[2:3], 0xc
	s_load_dwordx2 s[8:9], s[0:1], 0x0
	s_add_u32 s2, s2, 12
	s_addc_u32 s3, s3, 0
	s_waitcnt lgkmcnt(0)
	v_mul_hi_u32 v4, s7, v1
	s_add_u32 s0, s0, 8
	s_addc_u32 s1, s1, 0
	s_add_i32 s4, s4, -1
	v_add_u32_e32 v4, v1, v4
	v_lshrrev_b32_e32 v4, s5, v4
	v_mul_lo_u32 v7, v4, s6
	s_cmp_lg_u32 s4, 0
	v_sub_u32_e32 v1, v1, v7
	v_mad_u64_u32 v[21:22], s[6:7], v1, s8, v[21:22]
	v_mad_u64_u32 v[23:24], s[6:7], v1, s9, v[23:24]
	v_mov_b32_e32 v1, v4
	s_cbranch_scc1 .LBB13_124
.LBB13_125:
	s_cbranch_execnz .LBB13_128
.LBB13_126:
	s_load_dwordx4 s[0:3], s[34:35], 0x4
	s_load_dwordx2 s[4:5], s[34:35], 0xc4
	s_cmp_lt_u32 s33, 2
	s_waitcnt lgkmcnt(0)
	v_mul_hi_u32 v1, s1, v25
	v_add_u32_e32 v1, v25, v1
	v_lshrrev_b32_e32 v1, s2, v1
	v_mul_lo_u32 v4, v1, s0
	v_sub_u32_e32 v4, v25, v4
	v_mul_lo_u32 v21, v4, s4
	v_mul_lo_u32 v23, v4, s5
	s_cbranch_scc1 .LBB13_128
; %bb.127:
	s_load_dwordx4 s[0:3], s[34:35], 0x10
	s_load_dwordx2 s[4:5], s[34:35], 0xcc
	s_waitcnt lgkmcnt(0)
	v_mul_hi_u32 v4, s1, v1
	v_add_u32_e32 v4, v1, v4
	v_lshrrev_b32_e32 v4, s2, v4
	v_mul_lo_u32 v4, v4, s0
	v_sub_u32_e32 v1, v1, v4
	v_mad_u64_u32 v[21:22], s[0:1], v1, s4, v[21:22]
	v_mad_u64_u32 v[23:24], s[0:1], v1, s5, v[23:24]
.LBB13_128:
	s_load_dwordx4 s[4:7], s[34:35], 0x148
	s_load_dword s0, s[34:35], 0x158
	s_waitcnt lgkmcnt(0)
	global_load_ubyte v1, v20, s[6:7]
	global_load_ubyte v4, v17, s[6:7]
	;; [unrolled: 1-line block ×8, first 2 shown]
	s_and_b32 s6, s0, 0xff
	s_lshr_b32 s1, s0, 8
	s_lshr_b32 s0, s0, 16
	v_mov_b32_e32 v2, s1
	v_mov_b32_e32 v5, s0
	s_waitcnt vmcnt(7)
	v_cmp_lt_u16_e32 vcc, s6, v1
	s_waitcnt vmcnt(5)
	v_cmp_lt_u16_e64 s[0:1], s6, v7
	s_waitcnt vmcnt(4)
	v_cmp_lt_u16_e64 s[2:3], s6, v10
	v_cndmask_b32_e64 v1, v2, v5, s[2:3]
	s_waitcnt vmcnt(3)
	v_cmp_lt_u16_e64 s[2:3], s6, v13
	v_cndmask_b32_e64 v7, v2, v5, s[2:3]
	;; [unrolled: 3-line block ×5, first 2 shown]
	v_cmp_lt_u16_e64 s[2:3], s6, v4
	v_cndmask_b32_e64 v4, v2, v5, s[2:3]
	v_cndmask_b32_e32 v13, v2, v5, vcc
	v_cndmask_b32_e64 v2, v2, v5, s[0:1]
	global_store_byte v0, v1, s[4:5]
	global_store_byte v3, v7, s[4:5]
	;; [unrolled: 1-line block ×8, first 2 shown]
	s_endpgm
.LBB13_129:
	v_mov_b32_e32 v0, 0
	v_mov_b32_e32 v2, 0
	s_branch .LBB13_135
.LBB13_130:
	v_mov_b32_e32 v0, 0
	v_mov_b32_e32 v2, 0
	s_branch .LBB13_151
.LBB13_131:
	s_mov_b32 s60, 0
	v_mov_b32_e32 v0, 0
	v_mov_b32_e32 v2, 0
	;; [unrolled: 1-line block ×3, first 2 shown]
.LBB13_132:
	s_and_b32 s4, s61, 3
	s_cmp_eq_u32 s4, 0
	s_cbranch_scc1 .LBB13_135
; %bb.133:
	s_lshl_b32 s0, s60, 3
	s_add_u32 s0, s34, s0
	s_addc_u32 s1, s35, 0
	s_add_u32 s0, s0, 0xc4
	s_addc_u32 s1, s1, 0
	s_mul_i32 s2, s60, 12
	s_add_u32 s2, s34, s2
	s_addc_u32 s3, s35, 0
.LBB13_134:                             ; =>This Inner Loop Header: Depth=1
	s_load_dwordx2 s[6:7], s[2:3], 0x4
	s_load_dword s5, s[2:3], 0xc
	s_load_dwordx2 s[8:9], s[0:1], 0x0
	s_add_u32 s2, s2, 12
	s_addc_u32 s3, s3, 0
	s_waitcnt lgkmcnt(0)
	v_mul_hi_u32 v3, s7, v1
	s_add_u32 s0, s0, 8
	s_addc_u32 s1, s1, 0
	s_add_i32 s4, s4, -1
	v_add_u32_e32 v3, v1, v3
	v_lshrrev_b32_e32 v4, s5, v3
	v_mul_lo_u32 v3, v4, s6
	s_cmp_lg_u32 s4, 0
	v_sub_u32_e32 v3, v1, v3
	v_mad_u64_u32 v[0:1], s[6:7], v3, s8, v[0:1]
	v_mad_u64_u32 v[2:3], s[6:7], v3, s9, v[2:3]
	v_mov_b32_e32 v1, v4
	s_cbranch_scc1 .LBB13_134
.LBB13_135:
	s_cbranch_execnz .LBB13_138
.LBB13_136:
	v_mul_hi_u32 v0, s21, v19
	s_andn2_b64 vcc, exec, s[42:43]
	v_add_u32_e32 v0, v19, v0
	v_lshrrev_b32_e32 v1, s22, v0
	v_mul_lo_u32 v0, v1, s20
	v_sub_u32_e32 v2, v19, v0
	v_mul_lo_u32 v0, v2, s24
	v_mul_lo_u32 v2, v2, s25
	s_cbranch_vccnz .LBB13_138
; %bb.137:
	v_mul_hi_u32 v3, s40, v1
	v_add_u32_e32 v3, v1, v3
	v_lshrrev_b32_e32 v3, s41, v3
	v_mul_lo_u32 v3, v3, s23
	v_sub_u32_e32 v3, v1, v3
	v_mad_u64_u32 v[0:1], s[0:1], v3, s26, v[0:1]
	v_mad_u64_u32 v[2:3], s[0:1], v3, s27, v[2:3]
.LBB13_138:
	global_load_ubyte v1, v2, s[18:19]
	s_and_b32 s0, s55, 0xff
	v_mov_b32_e32 v2, s56
	v_mov_b32_e32 v3, s57
	v_add_u32_e32 v19, 0x80, v19
	s_waitcnt vmcnt(0)
	v_cmp_lt_u16_e32 vcc, s0, v1
	v_cndmask_b32_e32 v1, v2, v3, vcc
	global_store_byte v0, v1, s[16:17]
	s_or_b64 exec, exec, s[48:49]
	v_cmp_gt_i32_e32 vcc, s58, v19
	s_and_saveexec_b64 s[48:49], vcc
	s_cbranch_execnz .LBB13_15
.LBB13_139:
	s_or_b64 exec, exec, s[48:49]
	v_cmp_gt_i32_e32 vcc, s58, v19
	s_and_saveexec_b64 s[48:49], vcc
	s_cbranch_execz .LBB13_155
.LBB13_140:
	s_andn2_b64 vcc, exec, s[36:37]
	s_cbranch_vccnz .LBB13_145
; %bb.141:
	s_andn2_b64 vcc, exec, s[46:47]
	s_cbranch_vccnz .LBB13_146
; %bb.142:
	s_add_i32 s61, s59, 1
	s_cmp_eq_u32 s54, 2
	s_cbranch_scc1 .LBB13_163
; %bb.143:
	s_and_b32 s60, s61, 28
	v_mov_b32_e32 v2, 0
	s_mov_b32 s62, 0
	s_mov_b64 s[50:51], s[34:35]
	s_mov_b64 s[52:53], s[44:45]
	v_mov_b32_e32 v0, 0
	v_mov_b32_e32 v1, v19
.LBB13_144:                             ; =>This Inner Loop Header: Depth=1
	s_load_dwordx8 s[8:15], s[50:51], 0x4
	s_load_dwordx4 s[28:31], s[50:51], 0x24
	s_load_dwordx8 s[0:7], s[52:53], 0x0
	s_add_u32 s50, s50, 48
	s_addc_u32 s51, s51, 0
	s_waitcnt lgkmcnt(0)
	v_mul_hi_u32 v3, s9, v1
	s_add_i32 s62, s62, 4
	s_add_u32 s52, s52, 32
	s_addc_u32 s53, s53, 0
	v_add_u32_e32 v3, v1, v3
	v_lshrrev_b32_e32 v3, s10, v3
	v_mul_lo_u32 v4, v3, s8
	v_mul_hi_u32 v5, s12, v3
	s_cmp_eq_u32 s60, s62
	v_sub_u32_e32 v1, v1, v4
	v_add_u32_e32 v4, v3, v5
	v_mul_lo_u32 v5, v1, s0
	v_mul_lo_u32 v6, v1, s1
	v_lshrrev_b32_e32 v1, s13, v4
	v_mul_lo_u32 v4, v1, s11
	v_mul_hi_u32 v7, s15, v1
	v_sub_u32_e32 v3, v3, v4
	v_add_u32_e32 v4, v1, v7
	v_lshrrev_b32_e32 v4, s28, v4
	v_mul_hi_u32 v8, s30, v4
	v_mul_lo_u32 v9, v4, s14
	v_mul_lo_u32 v7, v3, s2
	;; [unrolled: 1-line block ×3, first 2 shown]
	v_sub_u32_e32 v9, v1, v9
	v_add_u32_e32 v1, v4, v8
	v_lshrrev_b32_e32 v1, s31, v1
	v_mul_lo_u32 v8, v1, s29
	v_mul_lo_u32 v10, v9, s4
	;; [unrolled: 1-line block ×3, first 2 shown]
	v_add3_u32 v0, v5, v0, v7
	v_sub_u32_e32 v4, v4, v8
	v_mul_lo_u32 v8, v4, s6
	v_mul_lo_u32 v4, v4, s7
	v_add3_u32 v2, v6, v2, v3
	v_add3_u32 v0, v10, v0, v8
	;; [unrolled: 1-line block ×3, first 2 shown]
	s_cbranch_scc0 .LBB13_144
	s_branch .LBB13_164
.LBB13_145:
                                        ; implicit-def: $vgpr0
                                        ; implicit-def: $vgpr2
	s_branch .LBB13_168
.LBB13_146:
	v_mov_b32_e32 v0, 0
	v_mov_b32_e32 v2, 0
	s_branch .LBB13_167
.LBB13_147:
	s_mov_b32 s60, 0
	v_mov_b32_e32 v0, 0
	v_mov_b32_e32 v2, 0
	;; [unrolled: 1-line block ×3, first 2 shown]
.LBB13_148:
	s_and_b32 s4, s61, 3
	s_cmp_eq_u32 s4, 0
	s_cbranch_scc1 .LBB13_151
; %bb.149:
	s_lshl_b32 s0, s60, 3
	s_add_u32 s0, s34, s0
	s_addc_u32 s1, s35, 0
	s_add_u32 s0, s0, 0xc4
	s_addc_u32 s1, s1, 0
	s_mul_i32 s2, s60, 12
	s_add_u32 s2, s34, s2
	s_addc_u32 s3, s35, 0
.LBB13_150:                             ; =>This Inner Loop Header: Depth=1
	s_load_dwordx2 s[6:7], s[2:3], 0x4
	s_load_dword s5, s[2:3], 0xc
	s_load_dwordx2 s[8:9], s[0:1], 0x0
	s_add_u32 s2, s2, 12
	s_addc_u32 s3, s3, 0
	s_waitcnt lgkmcnt(0)
	v_mul_hi_u32 v3, s7, v1
	s_add_u32 s0, s0, 8
	s_addc_u32 s1, s1, 0
	s_add_i32 s4, s4, -1
	v_add_u32_e32 v3, v1, v3
	v_lshrrev_b32_e32 v4, s5, v3
	v_mul_lo_u32 v3, v4, s6
	s_cmp_lg_u32 s4, 0
	v_sub_u32_e32 v3, v1, v3
	v_mad_u64_u32 v[0:1], s[6:7], v3, s8, v[0:1]
	v_mad_u64_u32 v[2:3], s[6:7], v3, s9, v[2:3]
	v_mov_b32_e32 v1, v4
	s_cbranch_scc1 .LBB13_150
.LBB13_151:
	s_cbranch_execnz .LBB13_154
.LBB13_152:
	v_mul_hi_u32 v0, s21, v19
	s_andn2_b64 vcc, exec, s[42:43]
	v_add_u32_e32 v0, v19, v0
	v_lshrrev_b32_e32 v1, s22, v0
	v_mul_lo_u32 v0, v1, s20
	v_sub_u32_e32 v2, v19, v0
	v_mul_lo_u32 v0, v2, s24
	v_mul_lo_u32 v2, v2, s25
	s_cbranch_vccnz .LBB13_154
; %bb.153:
	v_mul_hi_u32 v3, s40, v1
	v_add_u32_e32 v3, v1, v3
	v_lshrrev_b32_e32 v3, s41, v3
	v_mul_lo_u32 v3, v3, s23
	v_sub_u32_e32 v3, v1, v3
	v_mad_u64_u32 v[0:1], s[0:1], v3, s26, v[0:1]
	v_mad_u64_u32 v[2:3], s[0:1], v3, s27, v[2:3]
.LBB13_154:
	global_load_ubyte v1, v2, s[18:19]
	s_and_b32 s0, s55, 0xff
	v_mov_b32_e32 v2, s56
	v_mov_b32_e32 v3, s57
	v_add_u32_e32 v19, 0x80, v19
	s_waitcnt vmcnt(0)
	v_cmp_lt_u16_e32 vcc, s0, v1
	v_cndmask_b32_e32 v1, v2, v3, vcc
	global_store_byte v0, v1, s[16:17]
	s_or_b64 exec, exec, s[48:49]
	v_cmp_gt_i32_e32 vcc, s58, v19
	s_and_saveexec_b64 s[48:49], vcc
	s_cbranch_execnz .LBB13_140
.LBB13_155:
	s_or_b64 exec, exec, s[48:49]
	v_cmp_gt_i32_e32 vcc, s58, v19
	s_and_saveexec_b64 s[48:49], vcc
	s_cbranch_execz .LBB13_171
.LBB13_156:
	s_andn2_b64 vcc, exec, s[36:37]
	s_cbranch_vccnz .LBB13_161
; %bb.157:
	s_andn2_b64 vcc, exec, s[46:47]
	s_cbranch_vccnz .LBB13_162
; %bb.158:
	s_add_i32 s61, s59, 1
	s_cmp_eq_u32 s54, 2
	s_cbranch_scc1 .LBB13_179
; %bb.159:
	s_and_b32 s60, s61, 28
	v_mov_b32_e32 v2, 0
	s_mov_b32 s62, 0
	s_mov_b64 s[50:51], s[34:35]
	s_mov_b64 s[52:53], s[44:45]
	v_mov_b32_e32 v0, 0
	v_mov_b32_e32 v1, v19
.LBB13_160:                             ; =>This Inner Loop Header: Depth=1
	s_load_dwordx8 s[8:15], s[50:51], 0x4
	s_load_dwordx4 s[28:31], s[50:51], 0x24
	s_load_dwordx8 s[0:7], s[52:53], 0x0
	s_add_u32 s50, s50, 48
	s_addc_u32 s51, s51, 0
	s_waitcnt lgkmcnt(0)
	v_mul_hi_u32 v3, s9, v1
	s_add_i32 s62, s62, 4
	s_add_u32 s52, s52, 32
	s_addc_u32 s53, s53, 0
	v_add_u32_e32 v3, v1, v3
	v_lshrrev_b32_e32 v3, s10, v3
	v_mul_lo_u32 v4, v3, s8
	v_mul_hi_u32 v5, s12, v3
	s_cmp_eq_u32 s60, s62
	v_sub_u32_e32 v1, v1, v4
	v_add_u32_e32 v4, v3, v5
	v_mul_lo_u32 v5, v1, s0
	v_mul_lo_u32 v6, v1, s1
	v_lshrrev_b32_e32 v1, s13, v4
	v_mul_lo_u32 v4, v1, s11
	v_mul_hi_u32 v7, s15, v1
	v_sub_u32_e32 v3, v3, v4
	v_add_u32_e32 v4, v1, v7
	v_lshrrev_b32_e32 v4, s28, v4
	v_mul_hi_u32 v8, s30, v4
	v_mul_lo_u32 v9, v4, s14
	v_mul_lo_u32 v7, v3, s2
	;; [unrolled: 1-line block ×3, first 2 shown]
	v_sub_u32_e32 v9, v1, v9
	v_add_u32_e32 v1, v4, v8
	v_lshrrev_b32_e32 v1, s31, v1
	v_mul_lo_u32 v8, v1, s29
	v_mul_lo_u32 v10, v9, s4
	;; [unrolled: 1-line block ×3, first 2 shown]
	v_add3_u32 v0, v5, v0, v7
	v_sub_u32_e32 v4, v4, v8
	v_mul_lo_u32 v8, v4, s6
	v_mul_lo_u32 v4, v4, s7
	v_add3_u32 v2, v6, v2, v3
	v_add3_u32 v0, v10, v0, v8
	;; [unrolled: 1-line block ×3, first 2 shown]
	s_cbranch_scc0 .LBB13_160
	s_branch .LBB13_180
.LBB13_161:
                                        ; implicit-def: $vgpr0
                                        ; implicit-def: $vgpr2
	s_branch .LBB13_184
.LBB13_162:
	v_mov_b32_e32 v0, 0
	v_mov_b32_e32 v2, 0
	s_branch .LBB13_183
.LBB13_163:
	s_mov_b32 s60, 0
	v_mov_b32_e32 v0, 0
	v_mov_b32_e32 v2, 0
	;; [unrolled: 1-line block ×3, first 2 shown]
.LBB13_164:
	s_and_b32 s4, s61, 3
	s_cmp_eq_u32 s4, 0
	s_cbranch_scc1 .LBB13_167
; %bb.165:
	s_lshl_b32 s0, s60, 3
	s_add_u32 s0, s34, s0
	s_addc_u32 s1, s35, 0
	s_add_u32 s0, s0, 0xc4
	s_addc_u32 s1, s1, 0
	s_mul_i32 s2, s60, 12
	s_add_u32 s2, s34, s2
	s_addc_u32 s3, s35, 0
.LBB13_166:                             ; =>This Inner Loop Header: Depth=1
	s_load_dwordx2 s[6:7], s[2:3], 0x4
	s_load_dword s5, s[2:3], 0xc
	s_load_dwordx2 s[8:9], s[0:1], 0x0
	s_add_u32 s2, s2, 12
	s_addc_u32 s3, s3, 0
	s_waitcnt lgkmcnt(0)
	v_mul_hi_u32 v3, s7, v1
	s_add_u32 s0, s0, 8
	s_addc_u32 s1, s1, 0
	s_add_i32 s4, s4, -1
	v_add_u32_e32 v3, v1, v3
	v_lshrrev_b32_e32 v4, s5, v3
	v_mul_lo_u32 v3, v4, s6
	s_cmp_lg_u32 s4, 0
	v_sub_u32_e32 v3, v1, v3
	v_mad_u64_u32 v[0:1], s[6:7], v3, s8, v[0:1]
	v_mad_u64_u32 v[2:3], s[6:7], v3, s9, v[2:3]
	v_mov_b32_e32 v1, v4
	s_cbranch_scc1 .LBB13_166
.LBB13_167:
	s_cbranch_execnz .LBB13_170
.LBB13_168:
	v_mul_hi_u32 v0, s21, v19
	s_andn2_b64 vcc, exec, s[42:43]
	v_add_u32_e32 v0, v19, v0
	v_lshrrev_b32_e32 v1, s22, v0
	v_mul_lo_u32 v0, v1, s20
	v_sub_u32_e32 v2, v19, v0
	v_mul_lo_u32 v0, v2, s24
	v_mul_lo_u32 v2, v2, s25
	s_cbranch_vccnz .LBB13_170
; %bb.169:
	v_mul_hi_u32 v3, s40, v1
	v_add_u32_e32 v3, v1, v3
	v_lshrrev_b32_e32 v3, s41, v3
	v_mul_lo_u32 v3, v3, s23
	v_sub_u32_e32 v3, v1, v3
	v_mad_u64_u32 v[0:1], s[0:1], v3, s26, v[0:1]
	v_mad_u64_u32 v[2:3], s[0:1], v3, s27, v[2:3]
.LBB13_170:
	global_load_ubyte v1, v2, s[18:19]
	s_and_b32 s0, s55, 0xff
	v_mov_b32_e32 v2, s56
	v_mov_b32_e32 v3, s57
	v_add_u32_e32 v19, 0x80, v19
	s_waitcnt vmcnt(0)
	v_cmp_lt_u16_e32 vcc, s0, v1
	v_cndmask_b32_e32 v1, v2, v3, vcc
	global_store_byte v0, v1, s[16:17]
	s_or_b64 exec, exec, s[48:49]
	v_cmp_gt_i32_e32 vcc, s58, v19
	s_and_saveexec_b64 s[48:49], vcc
	s_cbranch_execnz .LBB13_156
.LBB13_171:
	s_or_b64 exec, exec, s[48:49]
	v_cmp_gt_i32_e32 vcc, s58, v19
	s_and_saveexec_b64 s[48:49], vcc
	s_cbranch_execz .LBB13_187
.LBB13_172:
	s_andn2_b64 vcc, exec, s[36:37]
	s_cbranch_vccnz .LBB13_177
; %bb.173:
	s_andn2_b64 vcc, exec, s[46:47]
	s_cbranch_vccnz .LBB13_178
; %bb.174:
	s_add_i32 s61, s59, 1
	s_cmp_eq_u32 s54, 2
	s_cbranch_scc1 .LBB13_195
; %bb.175:
	s_and_b32 s60, s61, 28
	v_mov_b32_e32 v2, 0
	s_mov_b32 s62, 0
	s_mov_b64 s[50:51], s[34:35]
	s_mov_b64 s[52:53], s[44:45]
	v_mov_b32_e32 v0, 0
	v_mov_b32_e32 v1, v19
.LBB13_176:                             ; =>This Inner Loop Header: Depth=1
	s_load_dwordx8 s[8:15], s[50:51], 0x4
	s_load_dwordx4 s[28:31], s[50:51], 0x24
	s_load_dwordx8 s[0:7], s[52:53], 0x0
	s_add_u32 s50, s50, 48
	s_addc_u32 s51, s51, 0
	s_waitcnt lgkmcnt(0)
	v_mul_hi_u32 v3, s9, v1
	s_add_i32 s62, s62, 4
	s_add_u32 s52, s52, 32
	s_addc_u32 s53, s53, 0
	v_add_u32_e32 v3, v1, v3
	v_lshrrev_b32_e32 v3, s10, v3
	v_mul_lo_u32 v4, v3, s8
	v_mul_hi_u32 v5, s12, v3
	s_cmp_eq_u32 s60, s62
	v_sub_u32_e32 v1, v1, v4
	v_add_u32_e32 v4, v3, v5
	v_mul_lo_u32 v5, v1, s0
	v_mul_lo_u32 v6, v1, s1
	v_lshrrev_b32_e32 v1, s13, v4
	v_mul_lo_u32 v4, v1, s11
	v_mul_hi_u32 v7, s15, v1
	v_sub_u32_e32 v3, v3, v4
	v_add_u32_e32 v4, v1, v7
	v_lshrrev_b32_e32 v4, s28, v4
	v_mul_hi_u32 v8, s30, v4
	v_mul_lo_u32 v9, v4, s14
	v_mul_lo_u32 v7, v3, s2
	;; [unrolled: 1-line block ×3, first 2 shown]
	v_sub_u32_e32 v9, v1, v9
	v_add_u32_e32 v1, v4, v8
	v_lshrrev_b32_e32 v1, s31, v1
	v_mul_lo_u32 v8, v1, s29
	v_mul_lo_u32 v10, v9, s4
	;; [unrolled: 1-line block ×3, first 2 shown]
	v_add3_u32 v0, v5, v0, v7
	v_sub_u32_e32 v4, v4, v8
	v_mul_lo_u32 v8, v4, s6
	v_mul_lo_u32 v4, v4, s7
	v_add3_u32 v2, v6, v2, v3
	v_add3_u32 v0, v10, v0, v8
	;; [unrolled: 1-line block ×3, first 2 shown]
	s_cbranch_scc0 .LBB13_176
	s_branch .LBB13_196
.LBB13_177:
                                        ; implicit-def: $vgpr0
                                        ; implicit-def: $vgpr2
	s_branch .LBB13_200
.LBB13_178:
	v_mov_b32_e32 v0, 0
	v_mov_b32_e32 v2, 0
	s_branch .LBB13_199
.LBB13_179:
	s_mov_b32 s60, 0
	v_mov_b32_e32 v0, 0
	v_mov_b32_e32 v2, 0
	;; [unrolled: 1-line block ×3, first 2 shown]
.LBB13_180:
	s_and_b32 s4, s61, 3
	s_cmp_eq_u32 s4, 0
	s_cbranch_scc1 .LBB13_183
; %bb.181:
	s_lshl_b32 s0, s60, 3
	s_add_u32 s0, s34, s0
	s_addc_u32 s1, s35, 0
	s_add_u32 s0, s0, 0xc4
	s_addc_u32 s1, s1, 0
	s_mul_i32 s2, s60, 12
	s_add_u32 s2, s34, s2
	s_addc_u32 s3, s35, 0
.LBB13_182:                             ; =>This Inner Loop Header: Depth=1
	s_load_dwordx2 s[6:7], s[2:3], 0x4
	s_load_dword s5, s[2:3], 0xc
	s_load_dwordx2 s[8:9], s[0:1], 0x0
	s_add_u32 s2, s2, 12
	s_addc_u32 s3, s3, 0
	s_waitcnt lgkmcnt(0)
	v_mul_hi_u32 v3, s7, v1
	s_add_u32 s0, s0, 8
	s_addc_u32 s1, s1, 0
	s_add_i32 s4, s4, -1
	v_add_u32_e32 v3, v1, v3
	v_lshrrev_b32_e32 v4, s5, v3
	v_mul_lo_u32 v3, v4, s6
	s_cmp_lg_u32 s4, 0
	v_sub_u32_e32 v3, v1, v3
	v_mad_u64_u32 v[0:1], s[6:7], v3, s8, v[0:1]
	v_mad_u64_u32 v[2:3], s[6:7], v3, s9, v[2:3]
	v_mov_b32_e32 v1, v4
	s_cbranch_scc1 .LBB13_182
.LBB13_183:
	s_cbranch_execnz .LBB13_186
.LBB13_184:
	v_mul_hi_u32 v0, s21, v19
	s_andn2_b64 vcc, exec, s[42:43]
	v_add_u32_e32 v0, v19, v0
	v_lshrrev_b32_e32 v1, s22, v0
	v_mul_lo_u32 v0, v1, s20
	v_sub_u32_e32 v2, v19, v0
	v_mul_lo_u32 v0, v2, s24
	v_mul_lo_u32 v2, v2, s25
	s_cbranch_vccnz .LBB13_186
; %bb.185:
	v_mul_hi_u32 v3, s40, v1
	v_add_u32_e32 v3, v1, v3
	v_lshrrev_b32_e32 v3, s41, v3
	v_mul_lo_u32 v3, v3, s23
	v_sub_u32_e32 v3, v1, v3
	v_mad_u64_u32 v[0:1], s[0:1], v3, s26, v[0:1]
	v_mad_u64_u32 v[2:3], s[0:1], v3, s27, v[2:3]
.LBB13_186:
	global_load_ubyte v1, v2, s[18:19]
	s_and_b32 s0, s55, 0xff
	v_mov_b32_e32 v2, s56
	v_mov_b32_e32 v3, s57
	v_add_u32_e32 v19, 0x80, v19
	s_waitcnt vmcnt(0)
	v_cmp_lt_u16_e32 vcc, s0, v1
	v_cndmask_b32_e32 v1, v2, v3, vcc
	global_store_byte v0, v1, s[16:17]
	s_or_b64 exec, exec, s[48:49]
	v_cmp_gt_i32_e32 vcc, s58, v19
	s_and_saveexec_b64 s[48:49], vcc
	s_cbranch_execnz .LBB13_172
.LBB13_187:
	s_or_b64 exec, exec, s[48:49]
	v_cmp_gt_i32_e32 vcc, s58, v19
	s_and_saveexec_b64 s[48:49], vcc
	s_cbranch_execz .LBB13_203
.LBB13_188:
	s_andn2_b64 vcc, exec, s[36:37]
	s_cbranch_vccnz .LBB13_193
; %bb.189:
	s_andn2_b64 vcc, exec, s[46:47]
	s_cbranch_vccnz .LBB13_194
; %bb.190:
	s_add_i32 s61, s59, 1
	s_cmp_eq_u32 s54, 2
	s_cbranch_scc1 .LBB13_211
; %bb.191:
	s_and_b32 s60, s61, 28
	v_mov_b32_e32 v2, 0
	s_mov_b32 s62, 0
	s_mov_b64 s[50:51], s[34:35]
	s_mov_b64 s[52:53], s[44:45]
	v_mov_b32_e32 v0, 0
	v_mov_b32_e32 v1, v19
.LBB13_192:                             ; =>This Inner Loop Header: Depth=1
	s_load_dwordx8 s[8:15], s[50:51], 0x4
	s_load_dwordx4 s[28:31], s[50:51], 0x24
	s_load_dwordx8 s[0:7], s[52:53], 0x0
	s_add_u32 s50, s50, 48
	s_addc_u32 s51, s51, 0
	s_waitcnt lgkmcnt(0)
	v_mul_hi_u32 v3, s9, v1
	s_add_i32 s62, s62, 4
	s_add_u32 s52, s52, 32
	s_addc_u32 s53, s53, 0
	v_add_u32_e32 v3, v1, v3
	v_lshrrev_b32_e32 v3, s10, v3
	v_mul_lo_u32 v4, v3, s8
	v_mul_hi_u32 v5, s12, v3
	s_cmp_eq_u32 s60, s62
	v_sub_u32_e32 v1, v1, v4
	v_add_u32_e32 v4, v3, v5
	v_mul_lo_u32 v5, v1, s0
	v_mul_lo_u32 v6, v1, s1
	v_lshrrev_b32_e32 v1, s13, v4
	v_mul_lo_u32 v4, v1, s11
	v_mul_hi_u32 v7, s15, v1
	v_sub_u32_e32 v3, v3, v4
	v_add_u32_e32 v4, v1, v7
	v_lshrrev_b32_e32 v4, s28, v4
	v_mul_hi_u32 v8, s30, v4
	v_mul_lo_u32 v9, v4, s14
	v_mul_lo_u32 v7, v3, s2
	;; [unrolled: 1-line block ×3, first 2 shown]
	v_sub_u32_e32 v9, v1, v9
	v_add_u32_e32 v1, v4, v8
	v_lshrrev_b32_e32 v1, s31, v1
	v_mul_lo_u32 v8, v1, s29
	v_mul_lo_u32 v10, v9, s4
	;; [unrolled: 1-line block ×3, first 2 shown]
	v_add3_u32 v0, v5, v0, v7
	v_sub_u32_e32 v4, v4, v8
	v_mul_lo_u32 v8, v4, s6
	v_mul_lo_u32 v4, v4, s7
	v_add3_u32 v2, v6, v2, v3
	v_add3_u32 v0, v10, v0, v8
	v_add3_u32 v2, v9, v2, v4
	s_cbranch_scc0 .LBB13_192
	s_branch .LBB13_212
.LBB13_193:
                                        ; implicit-def: $vgpr0
                                        ; implicit-def: $vgpr2
	s_branch .LBB13_216
.LBB13_194:
	v_mov_b32_e32 v0, 0
	v_mov_b32_e32 v2, 0
	s_branch .LBB13_215
.LBB13_195:
	s_mov_b32 s60, 0
	v_mov_b32_e32 v0, 0
	v_mov_b32_e32 v2, 0
	;; [unrolled: 1-line block ×3, first 2 shown]
.LBB13_196:
	s_and_b32 s4, s61, 3
	s_cmp_eq_u32 s4, 0
	s_cbranch_scc1 .LBB13_199
; %bb.197:
	s_lshl_b32 s0, s60, 3
	s_add_u32 s0, s34, s0
	s_addc_u32 s1, s35, 0
	s_add_u32 s0, s0, 0xc4
	s_addc_u32 s1, s1, 0
	s_mul_i32 s2, s60, 12
	s_add_u32 s2, s34, s2
	s_addc_u32 s3, s35, 0
.LBB13_198:                             ; =>This Inner Loop Header: Depth=1
	s_load_dwordx2 s[6:7], s[2:3], 0x4
	s_load_dword s5, s[2:3], 0xc
	s_load_dwordx2 s[8:9], s[0:1], 0x0
	s_add_u32 s2, s2, 12
	s_addc_u32 s3, s3, 0
	s_waitcnt lgkmcnt(0)
	v_mul_hi_u32 v3, s7, v1
	s_add_u32 s0, s0, 8
	s_addc_u32 s1, s1, 0
	s_add_i32 s4, s4, -1
	v_add_u32_e32 v3, v1, v3
	v_lshrrev_b32_e32 v4, s5, v3
	v_mul_lo_u32 v3, v4, s6
	s_cmp_lg_u32 s4, 0
	v_sub_u32_e32 v3, v1, v3
	v_mad_u64_u32 v[0:1], s[6:7], v3, s8, v[0:1]
	v_mad_u64_u32 v[2:3], s[6:7], v3, s9, v[2:3]
	v_mov_b32_e32 v1, v4
	s_cbranch_scc1 .LBB13_198
.LBB13_199:
	s_cbranch_execnz .LBB13_202
.LBB13_200:
	v_mul_hi_u32 v0, s21, v19
	s_andn2_b64 vcc, exec, s[42:43]
	v_add_u32_e32 v0, v19, v0
	v_lshrrev_b32_e32 v1, s22, v0
	v_mul_lo_u32 v0, v1, s20
	v_sub_u32_e32 v2, v19, v0
	v_mul_lo_u32 v0, v2, s24
	v_mul_lo_u32 v2, v2, s25
	s_cbranch_vccnz .LBB13_202
; %bb.201:
	v_mul_hi_u32 v3, s40, v1
	v_add_u32_e32 v3, v1, v3
	v_lshrrev_b32_e32 v3, s41, v3
	v_mul_lo_u32 v3, v3, s23
	v_sub_u32_e32 v3, v1, v3
	v_mad_u64_u32 v[0:1], s[0:1], v3, s26, v[0:1]
	v_mad_u64_u32 v[2:3], s[0:1], v3, s27, v[2:3]
.LBB13_202:
	global_load_ubyte v1, v2, s[18:19]
	s_and_b32 s0, s55, 0xff
	v_mov_b32_e32 v2, s56
	v_mov_b32_e32 v3, s57
	v_add_u32_e32 v19, 0x80, v19
	s_waitcnt vmcnt(0)
	v_cmp_lt_u16_e32 vcc, s0, v1
	v_cndmask_b32_e32 v1, v2, v3, vcc
	global_store_byte v0, v1, s[16:17]
	s_or_b64 exec, exec, s[48:49]
	v_cmp_gt_i32_e32 vcc, s58, v19
	s_and_saveexec_b64 s[48:49], vcc
	s_cbranch_execnz .LBB13_188
.LBB13_203:
	s_or_b64 exec, exec, s[48:49]
	v_cmp_gt_i32_e32 vcc, s58, v19
	s_and_saveexec_b64 s[48:49], vcc
	s_cbranch_execz .LBB13_219
.LBB13_204:
	s_andn2_b64 vcc, exec, s[36:37]
	s_cbranch_vccnz .LBB13_209
; %bb.205:
	s_andn2_b64 vcc, exec, s[46:47]
	s_cbranch_vccnz .LBB13_210
; %bb.206:
	s_add_i32 s61, s59, 1
	s_cmp_eq_u32 s54, 2
	s_cbranch_scc1 .LBB13_222
; %bb.207:
	s_and_b32 s60, s61, 28
	v_mov_b32_e32 v2, 0
	s_mov_b32 s62, 0
	s_mov_b64 s[50:51], s[34:35]
	s_mov_b64 s[52:53], s[44:45]
	v_mov_b32_e32 v0, 0
	v_mov_b32_e32 v1, v19
.LBB13_208:                             ; =>This Inner Loop Header: Depth=1
	s_load_dwordx8 s[8:15], s[50:51], 0x4
	s_load_dwordx4 s[28:31], s[50:51], 0x24
	s_load_dwordx8 s[0:7], s[52:53], 0x0
	s_add_u32 s50, s50, 48
	s_addc_u32 s51, s51, 0
	s_waitcnt lgkmcnt(0)
	v_mul_hi_u32 v3, s9, v1
	s_add_i32 s62, s62, 4
	s_add_u32 s52, s52, 32
	s_addc_u32 s53, s53, 0
	v_add_u32_e32 v3, v1, v3
	v_lshrrev_b32_e32 v3, s10, v3
	v_mul_lo_u32 v4, v3, s8
	v_mul_hi_u32 v5, s12, v3
	s_cmp_eq_u32 s60, s62
	v_sub_u32_e32 v1, v1, v4
	v_add_u32_e32 v4, v3, v5
	v_mul_lo_u32 v5, v1, s0
	v_mul_lo_u32 v6, v1, s1
	v_lshrrev_b32_e32 v1, s13, v4
	v_mul_lo_u32 v4, v1, s11
	v_mul_hi_u32 v7, s15, v1
	v_sub_u32_e32 v3, v3, v4
	v_add_u32_e32 v4, v1, v7
	v_lshrrev_b32_e32 v4, s28, v4
	v_mul_hi_u32 v8, s30, v4
	v_mul_lo_u32 v9, v4, s14
	v_mul_lo_u32 v7, v3, s2
	;; [unrolled: 1-line block ×3, first 2 shown]
	v_sub_u32_e32 v9, v1, v9
	v_add_u32_e32 v1, v4, v8
	v_lshrrev_b32_e32 v1, s31, v1
	v_mul_lo_u32 v8, v1, s29
	v_mul_lo_u32 v10, v9, s4
	;; [unrolled: 1-line block ×3, first 2 shown]
	v_add3_u32 v0, v5, v0, v7
	v_sub_u32_e32 v4, v4, v8
	v_mul_lo_u32 v8, v4, s6
	v_mul_lo_u32 v4, v4, s7
	v_add3_u32 v2, v6, v2, v3
	v_add3_u32 v0, v10, v0, v8
	;; [unrolled: 1-line block ×3, first 2 shown]
	s_cbranch_scc0 .LBB13_208
	s_branch .LBB13_223
.LBB13_209:
                                        ; implicit-def: $vgpr0
                                        ; implicit-def: $vgpr2
	s_branch .LBB13_227
.LBB13_210:
	v_mov_b32_e32 v0, 0
	v_mov_b32_e32 v2, 0
	s_branch .LBB13_226
.LBB13_211:
	s_mov_b32 s60, 0
	v_mov_b32_e32 v0, 0
	v_mov_b32_e32 v2, 0
	;; [unrolled: 1-line block ×3, first 2 shown]
.LBB13_212:
	s_and_b32 s4, s61, 3
	s_cmp_eq_u32 s4, 0
	s_cbranch_scc1 .LBB13_215
; %bb.213:
	s_lshl_b32 s0, s60, 3
	s_add_u32 s0, s34, s0
	s_addc_u32 s1, s35, 0
	s_add_u32 s0, s0, 0xc4
	s_addc_u32 s1, s1, 0
	s_mul_i32 s2, s60, 12
	s_add_u32 s2, s34, s2
	s_addc_u32 s3, s35, 0
.LBB13_214:                             ; =>This Inner Loop Header: Depth=1
	s_load_dwordx2 s[6:7], s[2:3], 0x4
	s_load_dword s5, s[2:3], 0xc
	s_load_dwordx2 s[8:9], s[0:1], 0x0
	s_add_u32 s2, s2, 12
	s_addc_u32 s3, s3, 0
	s_waitcnt lgkmcnt(0)
	v_mul_hi_u32 v3, s7, v1
	s_add_u32 s0, s0, 8
	s_addc_u32 s1, s1, 0
	s_add_i32 s4, s4, -1
	v_add_u32_e32 v3, v1, v3
	v_lshrrev_b32_e32 v4, s5, v3
	v_mul_lo_u32 v3, v4, s6
	s_cmp_lg_u32 s4, 0
	v_sub_u32_e32 v3, v1, v3
	v_mad_u64_u32 v[0:1], s[6:7], v3, s8, v[0:1]
	v_mad_u64_u32 v[2:3], s[6:7], v3, s9, v[2:3]
	v_mov_b32_e32 v1, v4
	s_cbranch_scc1 .LBB13_214
.LBB13_215:
	s_cbranch_execnz .LBB13_218
.LBB13_216:
	v_mul_hi_u32 v0, s21, v19
	s_andn2_b64 vcc, exec, s[42:43]
	v_add_u32_e32 v0, v19, v0
	v_lshrrev_b32_e32 v1, s22, v0
	v_mul_lo_u32 v0, v1, s20
	v_sub_u32_e32 v2, v19, v0
	v_mul_lo_u32 v0, v2, s24
	v_mul_lo_u32 v2, v2, s25
	s_cbranch_vccnz .LBB13_218
; %bb.217:
	v_mul_hi_u32 v3, s40, v1
	v_add_u32_e32 v3, v1, v3
	v_lshrrev_b32_e32 v3, s41, v3
	v_mul_lo_u32 v3, v3, s23
	v_sub_u32_e32 v3, v1, v3
	v_mad_u64_u32 v[0:1], s[0:1], v3, s26, v[0:1]
	v_mad_u64_u32 v[2:3], s[0:1], v3, s27, v[2:3]
.LBB13_218:
	global_load_ubyte v1, v2, s[18:19]
	s_and_b32 s0, s55, 0xff
	v_mov_b32_e32 v2, s56
	v_mov_b32_e32 v3, s57
	v_add_u32_e32 v19, 0x80, v19
	s_waitcnt vmcnt(0)
	v_cmp_lt_u16_e32 vcc, s0, v1
	v_cndmask_b32_e32 v1, v2, v3, vcc
	global_store_byte v0, v1, s[16:17]
	s_or_b64 exec, exec, s[48:49]
	v_cmp_gt_i32_e32 vcc, s58, v19
	s_and_saveexec_b64 s[48:49], vcc
	s_cbranch_execnz .LBB13_204
.LBB13_219:
	s_or_b64 exec, exec, s[48:49]
	v_cmp_gt_i32_e32 vcc, s58, v19
	s_and_saveexec_b64 s[48:49], vcc
	s_cbranch_execnz .LBB13_230
.LBB13_220:
	s_or_b64 exec, exec, s[48:49]
                                        ; implicit-def: $vgpr25
                                        ; implicit-def: $vgpr19
	s_andn2_saveexec_b64 s[0:1], s[38:39]
	s_cbranch_execnz .LBB13_8
.LBB13_221:
	s_endpgm
.LBB13_222:
	s_mov_b32 s60, 0
	v_mov_b32_e32 v0, 0
	v_mov_b32_e32 v2, 0
	;; [unrolled: 1-line block ×3, first 2 shown]
.LBB13_223:
	s_and_b32 s4, s61, 3
	s_cmp_eq_u32 s4, 0
	s_cbranch_scc1 .LBB13_226
; %bb.224:
	s_lshl_b32 s0, s60, 3
	s_add_u32 s0, s34, s0
	s_addc_u32 s1, s35, 0
	s_add_u32 s0, s0, 0xc4
	s_addc_u32 s1, s1, 0
	s_mul_i32 s2, s60, 12
	s_add_u32 s2, s34, s2
	s_addc_u32 s3, s35, 0
.LBB13_225:                             ; =>This Inner Loop Header: Depth=1
	s_load_dwordx2 s[6:7], s[2:3], 0x4
	s_load_dword s5, s[2:3], 0xc
	s_load_dwordx2 s[8:9], s[0:1], 0x0
	s_add_u32 s2, s2, 12
	s_addc_u32 s3, s3, 0
	s_waitcnt lgkmcnt(0)
	v_mul_hi_u32 v3, s7, v1
	s_add_u32 s0, s0, 8
	s_addc_u32 s1, s1, 0
	s_add_i32 s4, s4, -1
	v_add_u32_e32 v3, v1, v3
	v_lshrrev_b32_e32 v4, s5, v3
	v_mul_lo_u32 v3, v4, s6
	s_cmp_lg_u32 s4, 0
	v_sub_u32_e32 v3, v1, v3
	v_mad_u64_u32 v[0:1], s[6:7], v3, s8, v[0:1]
	v_mad_u64_u32 v[2:3], s[6:7], v3, s9, v[2:3]
	v_mov_b32_e32 v1, v4
	s_cbranch_scc1 .LBB13_225
.LBB13_226:
	s_cbranch_execnz .LBB13_229
.LBB13_227:
	v_mul_hi_u32 v0, s21, v19
	s_andn2_b64 vcc, exec, s[42:43]
	v_add_u32_e32 v0, v19, v0
	v_lshrrev_b32_e32 v1, s22, v0
	v_mul_lo_u32 v0, v1, s20
	v_sub_u32_e32 v2, v19, v0
	v_mul_lo_u32 v0, v2, s24
	v_mul_lo_u32 v2, v2, s25
	s_cbranch_vccnz .LBB13_229
; %bb.228:
	v_mul_hi_u32 v3, s40, v1
	v_add_u32_e32 v3, v1, v3
	v_lshrrev_b32_e32 v3, s41, v3
	v_mul_lo_u32 v3, v3, s23
	v_sub_u32_e32 v3, v1, v3
	v_mad_u64_u32 v[0:1], s[0:1], v3, s26, v[0:1]
	v_mad_u64_u32 v[2:3], s[0:1], v3, s27, v[2:3]
.LBB13_229:
	global_load_ubyte v1, v2, s[18:19]
	s_and_b32 s0, s55, 0xff
	v_mov_b32_e32 v2, s56
	v_mov_b32_e32 v3, s57
	v_add_u32_e32 v19, 0x80, v19
	s_waitcnt vmcnt(0)
	v_cmp_lt_u16_e32 vcc, s0, v1
	v_cndmask_b32_e32 v1, v2, v3, vcc
	global_store_byte v0, v1, s[16:17]
	s_or_b64 exec, exec, s[48:49]
	v_cmp_gt_i32_e32 vcc, s58, v19
	s_and_saveexec_b64 s[48:49], vcc
	s_cbranch_execz .LBB13_220
.LBB13_230:
	s_andn2_b64 vcc, exec, s[36:37]
	s_cbranch_vccnz .LBB13_235
; %bb.231:
	s_andn2_b64 vcc, exec, s[46:47]
	s_cbranch_vccnz .LBB13_236
; %bb.232:
	s_add_i32 s59, s59, 1
	s_cmp_eq_u32 s54, 2
	s_cbranch_scc1 .LBB13_237
; %bb.233:
	s_and_b32 s50, s59, 28
	v_mov_b32_e32 v2, 0
	s_mov_b32 s51, 0
	s_mov_b64 s[46:47], s[34:35]
	v_mov_b32_e32 v0, 0
	v_mov_b32_e32 v1, v19
.LBB13_234:                             ; =>This Inner Loop Header: Depth=1
	s_load_dwordx8 s[8:15], s[46:47], 0x4
	s_load_dwordx4 s[28:31], s[46:47], 0x24
	s_load_dwordx8 s[0:7], s[44:45], 0x0
	s_add_u32 s46, s46, 48
	s_addc_u32 s47, s47, 0
	s_waitcnt lgkmcnt(0)
	v_mul_hi_u32 v3, s9, v1
	s_add_i32 s51, s51, 4
	s_add_u32 s44, s44, 32
	s_addc_u32 s45, s45, 0
	v_add_u32_e32 v3, v1, v3
	v_lshrrev_b32_e32 v3, s10, v3
	v_mul_lo_u32 v4, v3, s8
	v_mul_hi_u32 v5, s12, v3
	s_cmp_eq_u32 s50, s51
	v_sub_u32_e32 v1, v1, v4
	v_add_u32_e32 v4, v3, v5
	v_mul_lo_u32 v5, v1, s0
	v_mul_lo_u32 v6, v1, s1
	v_lshrrev_b32_e32 v1, s13, v4
	v_mul_lo_u32 v4, v1, s11
	v_mul_hi_u32 v7, s15, v1
	v_sub_u32_e32 v3, v3, v4
	v_add_u32_e32 v4, v1, v7
	v_lshrrev_b32_e32 v4, s28, v4
	v_mul_hi_u32 v8, s30, v4
	v_mul_lo_u32 v9, v4, s14
	v_mul_lo_u32 v7, v3, s2
	;; [unrolled: 1-line block ×3, first 2 shown]
	v_sub_u32_e32 v9, v1, v9
	v_add_u32_e32 v1, v4, v8
	v_lshrrev_b32_e32 v1, s31, v1
	v_mul_lo_u32 v8, v1, s29
	v_mul_lo_u32 v10, v9, s4
	;; [unrolled: 1-line block ×3, first 2 shown]
	v_add3_u32 v0, v5, v0, v7
	v_sub_u32_e32 v4, v4, v8
	v_mul_lo_u32 v8, v4, s6
	v_mul_lo_u32 v4, v4, s7
	v_add3_u32 v2, v6, v2, v3
	v_add3_u32 v0, v10, v0, v8
	;; [unrolled: 1-line block ×3, first 2 shown]
	s_cbranch_scc0 .LBB13_234
	s_branch .LBB13_238
.LBB13_235:
                                        ; implicit-def: $vgpr0
                                        ; implicit-def: $vgpr2
	s_branch .LBB13_242
.LBB13_236:
	v_mov_b32_e32 v0, 0
	v_mov_b32_e32 v2, 0
	s_branch .LBB13_241
.LBB13_237:
	s_mov_b32 s50, 0
	v_mov_b32_e32 v0, 0
	v_mov_b32_e32 v2, 0
	;; [unrolled: 1-line block ×3, first 2 shown]
.LBB13_238:
	s_and_b32 s4, s59, 3
	s_cmp_eq_u32 s4, 0
	s_cbranch_scc1 .LBB13_241
; %bb.239:
	s_lshl_b32 s0, s50, 3
	s_add_u32 s0, s34, s0
	s_addc_u32 s1, s35, 0
	s_add_u32 s0, s0, 0xc4
	s_addc_u32 s1, s1, 0
	s_mul_i32 s2, s50, 12
	s_add_u32 s2, s34, s2
	s_addc_u32 s3, s35, 0
.LBB13_240:                             ; =>This Inner Loop Header: Depth=1
	s_load_dwordx2 s[6:7], s[2:3], 0x4
	s_load_dword s5, s[2:3], 0xc
	s_load_dwordx2 s[8:9], s[0:1], 0x0
	s_add_u32 s2, s2, 12
	s_addc_u32 s3, s3, 0
	s_waitcnt lgkmcnt(0)
	v_mul_hi_u32 v3, s7, v1
	s_add_u32 s0, s0, 8
	s_addc_u32 s1, s1, 0
	s_add_i32 s4, s4, -1
	v_add_u32_e32 v3, v1, v3
	v_lshrrev_b32_e32 v4, s5, v3
	v_mul_lo_u32 v3, v4, s6
	s_cmp_lg_u32 s4, 0
	v_sub_u32_e32 v3, v1, v3
	v_mad_u64_u32 v[0:1], s[6:7], v3, s8, v[0:1]
	v_mad_u64_u32 v[2:3], s[6:7], v3, s9, v[2:3]
	v_mov_b32_e32 v1, v4
	s_cbranch_scc1 .LBB13_240
.LBB13_241:
	s_cbranch_execnz .LBB13_244
.LBB13_242:
	v_mul_hi_u32 v0, s21, v19
	s_andn2_b64 vcc, exec, s[42:43]
	v_add_u32_e32 v0, v19, v0
	v_lshrrev_b32_e32 v1, s22, v0
	v_mul_lo_u32 v0, v1, s20
	v_sub_u32_e32 v2, v19, v0
	v_mul_lo_u32 v0, v2, s24
	v_mul_lo_u32 v2, v2, s25
	s_cbranch_vccnz .LBB13_244
; %bb.243:
	v_mul_hi_u32 v3, s40, v1
	v_add_u32_e32 v3, v1, v3
	v_lshrrev_b32_e32 v3, s41, v3
	v_mul_lo_u32 v3, v3, s23
	v_sub_u32_e32 v3, v1, v3
	v_mad_u64_u32 v[0:1], s[0:1], v3, s26, v[0:1]
	v_mad_u64_u32 v[2:3], s[0:1], v3, s27, v[2:3]
.LBB13_244:
	global_load_ubyte v1, v2, s[18:19]
	s_and_b32 s0, s55, 0xff
	v_mov_b32_e32 v2, s56
	v_mov_b32_e32 v3, s57
	s_waitcnt vmcnt(0)
	v_cmp_lt_u16_e32 vcc, s0, v1
	v_cndmask_b32_e32 v1, v2, v3, vcc
	global_store_byte v0, v1, s[16:17]
	s_or_b64 exec, exec, s[48:49]
                                        ; implicit-def: $vgpr25
                                        ; implicit-def: $vgpr19
	s_andn2_saveexec_b64 s[0:1], s[38:39]
	s_cbranch_execz .LBB13_221
	s_branch .LBB13_8
	.section	.rodata,"a",@progbits
	.p2align	6, 0x0
	.amdhsa_kernel _ZN2at6native32elementwise_kernel_manual_unrollILi128ELi8EZNS0_22gpu_kernel_impl_nocastINS0_13BUnaryFunctorIhhhZNS0_12_GLOBAL__N_121threshold_kernel_implIhEEvRNS_18TensorIteratorBaseET_S8_EUlhhE_EEEEvS7_RKS8_EUlibE_EEviT1_
		.amdhsa_group_segment_fixed_size 0
		.amdhsa_private_segment_fixed_size 0
		.amdhsa_kernarg_size 360
		.amdhsa_user_sgpr_count 6
		.amdhsa_user_sgpr_private_segment_buffer 1
		.amdhsa_user_sgpr_dispatch_ptr 0
		.amdhsa_user_sgpr_queue_ptr 0
		.amdhsa_user_sgpr_kernarg_segment_ptr 1
		.amdhsa_user_sgpr_dispatch_id 0
		.amdhsa_user_sgpr_flat_scratch_init 0
		.amdhsa_user_sgpr_private_segment_size 0
		.amdhsa_uses_dynamic_stack 0
		.amdhsa_system_sgpr_private_segment_wavefront_offset 0
		.amdhsa_system_sgpr_workgroup_id_x 1
		.amdhsa_system_sgpr_workgroup_id_y 0
		.amdhsa_system_sgpr_workgroup_id_z 0
		.amdhsa_system_sgpr_workgroup_info 0
		.amdhsa_system_vgpr_workitem_id 0
		.amdhsa_next_free_vgpr 26
		.amdhsa_next_free_sgpr 63
		.amdhsa_reserve_vcc 1
		.amdhsa_reserve_flat_scratch 0
		.amdhsa_float_round_mode_32 0
		.amdhsa_float_round_mode_16_64 0
		.amdhsa_float_denorm_mode_32 3
		.amdhsa_float_denorm_mode_16_64 3
		.amdhsa_dx10_clamp 1
		.amdhsa_ieee_mode 1
		.amdhsa_fp16_overflow 0
		.amdhsa_exception_fp_ieee_invalid_op 0
		.amdhsa_exception_fp_denorm_src 0
		.amdhsa_exception_fp_ieee_div_zero 0
		.amdhsa_exception_fp_ieee_overflow 0
		.amdhsa_exception_fp_ieee_underflow 0
		.amdhsa_exception_fp_ieee_inexact 0
		.amdhsa_exception_int_div_zero 0
	.end_amdhsa_kernel
	.section	.text._ZN2at6native32elementwise_kernel_manual_unrollILi128ELi8EZNS0_22gpu_kernel_impl_nocastINS0_13BUnaryFunctorIhhhZNS0_12_GLOBAL__N_121threshold_kernel_implIhEEvRNS_18TensorIteratorBaseET_S8_EUlhhE_EEEEvS7_RKS8_EUlibE_EEviT1_,"axG",@progbits,_ZN2at6native32elementwise_kernel_manual_unrollILi128ELi8EZNS0_22gpu_kernel_impl_nocastINS0_13BUnaryFunctorIhhhZNS0_12_GLOBAL__N_121threshold_kernel_implIhEEvRNS_18TensorIteratorBaseET_S8_EUlhhE_EEEEvS7_RKS8_EUlibE_EEviT1_,comdat
.Lfunc_end13:
	.size	_ZN2at6native32elementwise_kernel_manual_unrollILi128ELi8EZNS0_22gpu_kernel_impl_nocastINS0_13BUnaryFunctorIhhhZNS0_12_GLOBAL__N_121threshold_kernel_implIhEEvRNS_18TensorIteratorBaseET_S8_EUlhhE_EEEEvS7_RKS8_EUlibE_EEviT1_, .Lfunc_end13-_ZN2at6native32elementwise_kernel_manual_unrollILi128ELi8EZNS0_22gpu_kernel_impl_nocastINS0_13BUnaryFunctorIhhhZNS0_12_GLOBAL__N_121threshold_kernel_implIhEEvRNS_18TensorIteratorBaseET_S8_EUlhhE_EEEEvS7_RKS8_EUlibE_EEviT1_
                                        ; -- End function
	.set _ZN2at6native32elementwise_kernel_manual_unrollILi128ELi8EZNS0_22gpu_kernel_impl_nocastINS0_13BUnaryFunctorIhhhZNS0_12_GLOBAL__N_121threshold_kernel_implIhEEvRNS_18TensorIteratorBaseET_S8_EUlhhE_EEEEvS7_RKS8_EUlibE_EEviT1_.num_vgpr, 26
	.set _ZN2at6native32elementwise_kernel_manual_unrollILi128ELi8EZNS0_22gpu_kernel_impl_nocastINS0_13BUnaryFunctorIhhhZNS0_12_GLOBAL__N_121threshold_kernel_implIhEEvRNS_18TensorIteratorBaseET_S8_EUlhhE_EEEEvS7_RKS8_EUlibE_EEviT1_.num_agpr, 0
	.set _ZN2at6native32elementwise_kernel_manual_unrollILi128ELi8EZNS0_22gpu_kernel_impl_nocastINS0_13BUnaryFunctorIhhhZNS0_12_GLOBAL__N_121threshold_kernel_implIhEEvRNS_18TensorIteratorBaseET_S8_EUlhhE_EEEEvS7_RKS8_EUlibE_EEviT1_.numbered_sgpr, 63
	.set _ZN2at6native32elementwise_kernel_manual_unrollILi128ELi8EZNS0_22gpu_kernel_impl_nocastINS0_13BUnaryFunctorIhhhZNS0_12_GLOBAL__N_121threshold_kernel_implIhEEvRNS_18TensorIteratorBaseET_S8_EUlhhE_EEEEvS7_RKS8_EUlibE_EEviT1_.num_named_barrier, 0
	.set _ZN2at6native32elementwise_kernel_manual_unrollILi128ELi8EZNS0_22gpu_kernel_impl_nocastINS0_13BUnaryFunctorIhhhZNS0_12_GLOBAL__N_121threshold_kernel_implIhEEvRNS_18TensorIteratorBaseET_S8_EUlhhE_EEEEvS7_RKS8_EUlibE_EEviT1_.private_seg_size, 0
	.set _ZN2at6native32elementwise_kernel_manual_unrollILi128ELi8EZNS0_22gpu_kernel_impl_nocastINS0_13BUnaryFunctorIhhhZNS0_12_GLOBAL__N_121threshold_kernel_implIhEEvRNS_18TensorIteratorBaseET_S8_EUlhhE_EEEEvS7_RKS8_EUlibE_EEviT1_.uses_vcc, 1
	.set _ZN2at6native32elementwise_kernel_manual_unrollILi128ELi8EZNS0_22gpu_kernel_impl_nocastINS0_13BUnaryFunctorIhhhZNS0_12_GLOBAL__N_121threshold_kernel_implIhEEvRNS_18TensorIteratorBaseET_S8_EUlhhE_EEEEvS7_RKS8_EUlibE_EEviT1_.uses_flat_scratch, 0
	.set _ZN2at6native32elementwise_kernel_manual_unrollILi128ELi8EZNS0_22gpu_kernel_impl_nocastINS0_13BUnaryFunctorIhhhZNS0_12_GLOBAL__N_121threshold_kernel_implIhEEvRNS_18TensorIteratorBaseET_S8_EUlhhE_EEEEvS7_RKS8_EUlibE_EEviT1_.has_dyn_sized_stack, 0
	.set _ZN2at6native32elementwise_kernel_manual_unrollILi128ELi8EZNS0_22gpu_kernel_impl_nocastINS0_13BUnaryFunctorIhhhZNS0_12_GLOBAL__N_121threshold_kernel_implIhEEvRNS_18TensorIteratorBaseET_S8_EUlhhE_EEEEvS7_RKS8_EUlibE_EEviT1_.has_recursion, 0
	.set _ZN2at6native32elementwise_kernel_manual_unrollILi128ELi8EZNS0_22gpu_kernel_impl_nocastINS0_13BUnaryFunctorIhhhZNS0_12_GLOBAL__N_121threshold_kernel_implIhEEvRNS_18TensorIteratorBaseET_S8_EUlhhE_EEEEvS7_RKS8_EUlibE_EEviT1_.has_indirect_call, 0
	.section	.AMDGPU.csdata,"",@progbits
; Kernel info:
; codeLenInByte = 11464
; TotalNumSgprs: 67
; NumVgprs: 26
; ScratchSize: 0
; MemoryBound: 0
; FloatMode: 240
; IeeeMode: 1
; LDSByteSize: 0 bytes/workgroup (compile time only)
; SGPRBlocks: 8
; VGPRBlocks: 6
; NumSGPRsForWavesPerEU: 67
; NumVGPRsForWavesPerEU: 26
; Occupancy: 9
; WaveLimiterHint : 1
; COMPUTE_PGM_RSRC2:SCRATCH_EN: 0
; COMPUTE_PGM_RSRC2:USER_SGPR: 6
; COMPUTE_PGM_RSRC2:TRAP_HANDLER: 0
; COMPUTE_PGM_RSRC2:TGID_X_EN: 1
; COMPUTE_PGM_RSRC2:TGID_Y_EN: 0
; COMPUTE_PGM_RSRC2:TGID_Z_EN: 0
; COMPUTE_PGM_RSRC2:TIDIG_COMP_CNT: 0
	.section	.text._ZN2at6native32elementwise_kernel_manual_unrollILi128ELi4EZNS0_15gpu_kernel_implINS0_13BUnaryFunctorIhhhZNS0_12_GLOBAL__N_121threshold_kernel_implIhEEvRNS_18TensorIteratorBaseET_S8_EUlhhE_EEEEvS7_RKS8_EUlibE_EEviT1_,"axG",@progbits,_ZN2at6native32elementwise_kernel_manual_unrollILi128ELi4EZNS0_15gpu_kernel_implINS0_13BUnaryFunctorIhhhZNS0_12_GLOBAL__N_121threshold_kernel_implIhEEvRNS_18TensorIteratorBaseET_S8_EUlhhE_EEEEvS7_RKS8_EUlibE_EEviT1_,comdat
	.globl	_ZN2at6native32elementwise_kernel_manual_unrollILi128ELi4EZNS0_15gpu_kernel_implINS0_13BUnaryFunctorIhhhZNS0_12_GLOBAL__N_121threshold_kernel_implIhEEvRNS_18TensorIteratorBaseET_S8_EUlhhE_EEEEvS7_RKS8_EUlibE_EEviT1_ ; -- Begin function _ZN2at6native32elementwise_kernel_manual_unrollILi128ELi4EZNS0_15gpu_kernel_implINS0_13BUnaryFunctorIhhhZNS0_12_GLOBAL__N_121threshold_kernel_implIhEEvRNS_18TensorIteratorBaseET_S8_EUlhhE_EEEEvS7_RKS8_EUlibE_EEviT1_
	.p2align	8
	.type	_ZN2at6native32elementwise_kernel_manual_unrollILi128ELi4EZNS0_15gpu_kernel_implINS0_13BUnaryFunctorIhhhZNS0_12_GLOBAL__N_121threshold_kernel_implIhEEvRNS_18TensorIteratorBaseET_S8_EUlhhE_EEEEvS7_RKS8_EUlibE_EEviT1_,@function
_ZN2at6native32elementwise_kernel_manual_unrollILi128ELi4EZNS0_15gpu_kernel_implINS0_13BUnaryFunctorIhhhZNS0_12_GLOBAL__N_121threshold_kernel_implIhEEvRNS_18TensorIteratorBaseET_S8_EUlhhE_EEEEvS7_RKS8_EUlibE_EEviT1_: ; @_ZN2at6native32elementwise_kernel_manual_unrollILi128ELi4EZNS0_15gpu_kernel_implINS0_13BUnaryFunctorIhhhZNS0_12_GLOBAL__N_121threshold_kernel_implIhEEvRNS_18TensorIteratorBaseET_S8_EUlhhE_EEEEvS7_RKS8_EUlibE_EEviT1_
; %bb.0:
	s_load_dwordx8 s[8:15], s[4:5], 0x8
	s_load_dword s42, s[4:5], 0x0
	v_lshl_or_b32 v7, s6, 9, v0
	v_or_b32_e32 v0, 0x180, v7
	s_mov_b64 s[4:5], 0
	s_waitcnt lgkmcnt(0)
	s_lshr_b32 s33, s14, 8
	s_lshr_b32 s46, s14, 16
	s_lshr_b64 s[2:3], s[14:15], 24
	v_cmp_le_i32_e32 vcc, s42, v0
	s_mov_b64 s[16:17], 0
	s_and_saveexec_b64 s[0:1], vcc
	s_xor_b64 s[6:7], exec, s[0:1]
	s_cbranch_execz .LBB14_1011
; %bb.1:
	v_cmp_gt_i32_e32 vcc, s42, v7
	s_mov_b64 s[22:23], -1
	s_mov_b64 s[24:25], 0
	s_mov_b64 s[18:19], 0
	s_and_saveexec_b64 s[20:21], vcc
	s_cbranch_execz .LBB14_248
; %bb.2:
	v_mul_lo_u32 v0, v7, s13
	v_mov_b32_e32 v1, s11
	s_and_b32 s3, s15, 0xff
	s_cmp_lt_i32 s3, 11
	v_ashrrev_i32_e32 v2, 31, v0
	v_add_co_u32_e32 v0, vcc, s10, v0
	v_addc_co_u32_e32 v1, vcc, v1, v2, vcc
	s_cbranch_scc1 .LBB14_9
; %bb.3:
	s_and_b32 s22, 0xffff, s3
	s_cmp_gt_i32 s22, 25
	s_cbranch_scc0 .LBB14_18
; %bb.4:
	s_cmp_gt_i32 s22, 28
	s_cbranch_scc0 .LBB14_22
; %bb.5:
	;; [unrolled: 3-line block ×4, first 2 shown]
	s_cmp_eq_u32 s22, 46
	s_cbranch_scc0 .LBB14_28
; %bb.8:
	global_load_dword v2, v[0:1], off
	s_mov_b32 s0, 0x2f800000
	s_mov_b32 s1, 0xcf800000
	s_waitcnt vmcnt(0)
	v_lshlrev_b32_e32 v2, 16, v2
	v_trunc_f32_e32 v2, v2
	v_mul_f32_e64 v3, |v2|, s0
	v_floor_f32_e32 v3, v3
	v_fma_f32 v3, v3, s1, |v2|
	v_cvt_u32_f32_e32 v3, v3
	v_ashrrev_i32_e32 v2, 31, v2
	s_mov_b64 s[0:1], -1
	v_xor_b32_e32 v3, v3, v2
	v_sub_u32_e32 v2, v3, v2
	s_branch .LBB14_30
.LBB14_9:
                                        ; implicit-def: $vgpr2
	s_mov_b64 s[0:1], 0
	s_cbranch_execnz .LBB14_199
.LBB14_10:
	s_andn2_b64 vcc, exec, s[0:1]
	s_cbranch_vccnz .LBB14_246
.LBB14_11:
	v_mul_lo_u32 v1, v7, s12
	s_and_b32 s0, s14, 0xff
	v_mov_b32_e32 v0, s33
	s_waitcnt vmcnt(0)
	v_mov_b32_e32 v3, s46
	v_cmp_gt_u16_sdwa vcc, v2, s0 src0_sel:BYTE_0 src1_sel:DWORD
	v_cndmask_b32_e32 v2, v0, v3, vcc
	v_ashrrev_i32_e32 v3, 31, v1
	v_mov_b32_e32 v4, s9
	s_and_b32 s3, s2, 0xff
	v_add_co_u32_e32 v0, vcc, s8, v1
	s_cmp_lt_i32 s3, 11
	v_addc_co_u32_e32 v1, vcc, v4, v3, vcc
	s_cbranch_scc1 .LBB14_19
; %bb.12:
	s_and_b32 s28, 0xffff, s3
	s_cmp_gt_i32 s28, 25
	s_cbranch_scc0 .LBB14_23
; %bb.13:
	s_cmp_gt_i32 s28, 28
	s_cbranch_scc0 .LBB14_25
; %bb.14:
	s_cmp_gt_i32 s28, 43
	s_cbranch_scc0 .LBB14_27
; %bb.15:
	s_cmp_gt_i32 s28, 45
	s_cbranch_scc0 .LBB14_33
; %bb.16:
	s_mov_b64 s[22:23], 0
	s_mov_b64 s[0:1], -1
	s_cmp_eq_u32 s28, 46
	s_mov_b64 s[16:17], 0
	s_cbranch_scc0 .LBB14_34
; %bb.17:
	v_cvt_f32_ubyte0_e32 v3, v2
	v_bfe_u32 v4, v3, 16, 1
	s_movk_i32 s0, 0x7fff
	v_add3_u32 v3, v3, v4, s0
	v_lshrrev_b32_e32 v3, 16, v3
	global_store_dword v[0:1], v3, off
	s_mov_b64 s[16:17], -1
	s_mov_b64 s[0:1], 0
	s_branch .LBB14_34
.LBB14_18:
	s_mov_b64 s[0:1], 0
                                        ; implicit-def: $vgpr2
	s_cbranch_execnz .LBB14_166
	s_branch .LBB14_198
.LBB14_19:
	s_mov_b64 s[0:1], 0
	s_mov_b64 s[16:17], 0
	s_cbranch_execnz .LBB14_103
.LBB14_20:
	s_andn2_b64 vcc, exec, s[16:17]
	s_cbranch_vccnz .LBB14_141
.LBB14_21:
	v_add_u32_e32 v7, 0x80, v7
	s_mov_b64 s[22:23], -1
	s_branch .LBB14_247
.LBB14_22:
	s_mov_b64 s[16:17], -1
	s_mov_b64 s[0:1], 0
                                        ; implicit-def: $vgpr2
	s_branch .LBB14_149
.LBB14_23:
	s_mov_b64 s[22:23], -1
	s_mov_b64 s[0:1], 0
	s_mov_b64 s[16:17], 0
	s_branch .LBB14_61
.LBB14_24:
	s_mov_b64 s[16:17], -1
	s_mov_b64 s[0:1], 0
                                        ; implicit-def: $vgpr2
	s_branch .LBB14_144
.LBB14_25:
	s_mov_b64 s[22:23], -1
	s_mov_b64 s[0:1], 0
	s_mov_b64 s[16:17], 0
	s_branch .LBB14_44
.LBB14_26:
	s_mov_b64 s[16:17], -1
	s_branch .LBB14_29
.LBB14_27:
	s_mov_b64 s[22:23], -1
	s_mov_b64 s[0:1], 0
	s_mov_b64 s[16:17], 0
	s_branch .LBB14_40
.LBB14_28:
	s_mov_b64 s[18:19], -1
.LBB14_29:
	s_mov_b64 s[0:1], 0
                                        ; implicit-def: $vgpr2
.LBB14_30:
	s_and_b64 vcc, exec, s[16:17]
	s_cbranch_vccz .LBB14_143
; %bb.31:
	s_cmp_eq_u32 s22, 44
	s_cbranch_scc0 .LBB14_142
; %bb.32:
	global_load_ubyte v2, v[0:1], off
	s_mov_b32 s0, 0x2f800000
	s_mov_b32 s1, 0xcf800000
	s_mov_b64 s[18:19], 0
	s_waitcnt vmcnt(0)
	v_lshlrev_b32_e32 v3, 23, v2
	v_trunc_f32_e32 v3, v3
	v_mul_f32_e64 v4, |v3|, s0
	v_floor_f32_e32 v4, v4
	v_fma_f32 v4, v4, s1, |v3|
	v_cvt_u32_f32_e32 v4, v4
	v_ashrrev_i32_e32 v3, 31, v3
	v_cmp_ne_u32_e32 vcc, 0, v2
	s_mov_b64 s[0:1], -1
	v_xor_b32_e32 v4, v4, v3
	v_sub_u32_e32 v3, v4, v3
	v_cndmask_b32_e32 v2, 0, v3, vcc
	s_branch .LBB14_143
.LBB14_33:
	s_mov_b64 s[22:23], -1
	s_mov_b64 s[0:1], 0
	s_mov_b64 s[16:17], 0
.LBB14_34:
	s_and_b64 vcc, exec, s[22:23]
	s_cbranch_vccz .LBB14_39
; %bb.35:
	s_cmp_eq_u32 s28, 44
	s_mov_b64 s[0:1], -1
	s_cbranch_scc0 .LBB14_39
; %bb.36:
	v_cvt_f32_ubyte0_e32 v4, v2
	v_lshrrev_b32_e32 v3, 23, v4
	s_movk_i32 s0, 0xff
	v_cmp_ne_u32_e32 vcc, s0, v3
	v_mov_b32_e32 v5, 0xff
	s_and_saveexec_b64 s[16:17], vcc
; %bb.37:
	s_mov_b32 s0, 0x3fffff
	v_and_b32_e32 v5, 0x400000, v4
	v_and_or_b32 v4, v4, s0, v3
	v_cmp_ne_u32_e32 vcc, 0, v5
	v_cmp_ne_u32_e64 s[0:1], 0, v4
	s_and_b64 s[0:1], vcc, s[0:1]
	v_cndmask_b32_e64 v4, 0, 1, s[0:1]
	v_add_u32_e32 v5, v3, v4
; %bb.38:
	s_or_b64 exec, exec, s[16:17]
	s_mov_b64 s[16:17], -1
	s_mov_b64 s[0:1], 0
	global_store_byte v[0:1], v5, off
.LBB14_39:
	s_mov_b64 s[22:23], 0
.LBB14_40:
	s_and_b64 vcc, exec, s[22:23]
	s_cbranch_vccz .LBB14_43
; %bb.41:
	s_cmp_eq_u32 s28, 29
	s_mov_b64 s[0:1], -1
	s_cbranch_scc0 .LBB14_43
; %bb.42:
	v_and_b32_e32 v3, 0xff, v2
	v_mov_b32_e32 v4, 0
	global_store_dwordx2 v[0:1], v[3:4], off
	s_mov_b64 s[16:17], -1
	s_mov_b64 s[0:1], 0
.LBB14_43:
	s_mov_b64 s[22:23], 0
.LBB14_44:
	s_and_b64 vcc, exec, s[22:23]
	s_cbranch_vccz .LBB14_60
; %bb.45:
	s_cmp_lt_i32 s28, 27
	s_mov_b64 s[16:17], -1
	s_cbranch_scc1 .LBB14_51
; %bb.46:
	s_cmp_gt_i32 s28, 27
	s_cbranch_scc0 .LBB14_48
; %bb.47:
	v_and_b32_e32 v3, 0xff, v2
	s_mov_b64 s[16:17], 0
	global_store_dword v[0:1], v3, off
.LBB14_48:
	s_andn2_b64 vcc, exec, s[16:17]
	s_cbranch_vccnz .LBB14_50
; %bb.49:
	v_and_b32_e32 v3, 0xff, v2
	global_store_short v[0:1], v3, off
.LBB14_50:
	s_mov_b64 s[16:17], 0
.LBB14_51:
	s_andn2_b64 vcc, exec, s[16:17]
	s_cbranch_vccnz .LBB14_59
; %bb.52:
	v_cvt_f32_ubyte0_e32 v4, v2
	s_mov_b32 s16, 0x43800000
	v_cmp_gt_u32_e32 vcc, s16, v4
	v_mov_b32_e32 v5, 0x80
	s_and_saveexec_b64 s[16:17], vcc
	s_cbranch_execz .LBB14_58
; %bb.53:
	s_mov_b32 s22, 0x3bffffff
	v_cmp_lt_u32_e32 vcc, s22, v4
	s_mov_b64 s[22:23], 0
                                        ; implicit-def: $vgpr3
	s_and_saveexec_b64 s[26:27], vcc
	s_xor_b64 s[26:27], exec, s[26:27]
	s_cbranch_execz .LBB14_275
; %bb.54:
	v_bfe_u32 v3, v4, 20, 1
	s_mov_b32 s29, 0x487ffff
	v_add3_u32 v3, v4, v3, s29
	s_mov_b64 s[22:23], exec
	v_lshrrev_b32_e32 v3, 20, v3
                                        ; implicit-def: $vgpr4
	s_andn2_saveexec_b64 s[26:27], s[26:27]
	s_cbranch_execnz .LBB14_276
.LBB14_55:
	s_or_b64 exec, exec, s[26:27]
	v_mov_b32_e32 v5, 0
	s_and_saveexec_b64 s[26:27], s[22:23]
.LBB14_56:
	v_mov_b32_e32 v5, v3
.LBB14_57:
	s_or_b64 exec, exec, s[26:27]
.LBB14_58:
	s_or_b64 exec, exec, s[16:17]
	global_store_byte v[0:1], v5, off
.LBB14_59:
	s_mov_b64 s[16:17], -1
.LBB14_60:
	s_mov_b64 s[22:23], 0
.LBB14_61:
	s_and_b64 vcc, exec, s[22:23]
	s_cbranch_vccz .LBB14_102
; %bb.62:
	s_cmp_gt_i32 s28, 22
	s_mov_b64 s[22:23], -1
	s_cbranch_scc0 .LBB14_94
; %bb.63:
	s_cmp_lt_i32 s28, 24
	s_mov_b64 s[16:17], -1
	s_cbranch_scc1 .LBB14_83
; %bb.64:
	s_cmp_gt_i32 s28, 24
	s_cbranch_scc0 .LBB14_72
; %bb.65:
	v_cvt_f32_ubyte0_e32 v4, v2
	s_mov_b32 s16, 0x47800000
	v_cmp_gt_u32_e32 vcc, s16, v4
	v_mov_b32_e32 v5, 0x80
	s_and_saveexec_b64 s[16:17], vcc
	s_cbranch_execz .LBB14_71
; %bb.66:
	s_mov_b32 s22, 0x37ffffff
	v_cmp_lt_u32_e32 vcc, s22, v4
	s_mov_b64 s[22:23], 0
                                        ; implicit-def: $vgpr3
	s_and_saveexec_b64 s[26:27], vcc
	s_xor_b64 s[26:27], exec, s[26:27]
	s_cbranch_execz .LBB14_279
; %bb.67:
	v_bfe_u32 v3, v4, 21, 1
	s_mov_b32 s29, 0x88fffff
	v_add3_u32 v3, v4, v3, s29
	s_mov_b64 s[22:23], exec
	v_lshrrev_b32_e32 v3, 21, v3
                                        ; implicit-def: $vgpr4
	s_andn2_saveexec_b64 s[26:27], s[26:27]
	s_cbranch_execnz .LBB14_280
.LBB14_68:
	s_or_b64 exec, exec, s[26:27]
	v_mov_b32_e32 v5, 0
	s_and_saveexec_b64 s[26:27], s[22:23]
.LBB14_69:
	v_mov_b32_e32 v5, v3
.LBB14_70:
	s_or_b64 exec, exec, s[26:27]
.LBB14_71:
	s_or_b64 exec, exec, s[16:17]
	s_mov_b64 s[16:17], 0
	global_store_byte v[0:1], v5, off
.LBB14_72:
	s_and_b64 vcc, exec, s[16:17]
	s_cbranch_vccz .LBB14_82
; %bb.73:
	v_cvt_f32_ubyte0_e32 v3, v2
	s_mov_b32 s16, 0x43f00000
	v_cmp_gt_u32_e32 vcc, s16, v3
                                        ; implicit-def: $vgpr4
	s_and_saveexec_b64 s[16:17], vcc
	s_xor_b64 s[16:17], exec, s[16:17]
	s_cbranch_execz .LBB14_79
; %bb.74:
	s_mov_b32 s22, 0x3c7fffff
	v_cmp_lt_u32_e32 vcc, s22, v3
                                        ; implicit-def: $vgpr4
	s_and_saveexec_b64 s[22:23], vcc
	s_xor_b64 s[22:23], exec, s[22:23]
; %bb.75:
	v_bfe_u32 v4, v3, 20, 1
	s_mov_b32 s26, 0x407ffff
	v_add3_u32 v3, v3, v4, s26
	v_lshrrev_b32_e32 v4, 20, v3
	v_and_b32_e32 v3, 0xff00000, v3
	s_mov_b32 s26, 0x7f00000
	v_mov_b32_e32 v5, 0x7e
	v_cmp_ne_u32_e32 vcc, s26, v3
	v_cndmask_b32_e32 v4, v5, v4, vcc
                                        ; implicit-def: $vgpr3
; %bb.76:
	s_andn2_saveexec_b64 s[22:23], s[22:23]
; %bb.77:
	v_add_f32_e32 v4, 0x46800000, v3
; %bb.78:
	s_or_b64 exec, exec, s[22:23]
                                        ; implicit-def: $vgpr3
.LBB14_79:
	s_andn2_saveexec_b64 s[16:17], s[16:17]
; %bb.80:
	s_mov_b32 s22, 0x7f800000
	v_mov_b32_e32 v4, 0x7e
	v_mov_b32_e32 v5, 0x7f
	v_cmp_lt_u32_e32 vcc, s22, v3
	v_cndmask_b32_e32 v4, v4, v5, vcc
; %bb.81:
	s_or_b64 exec, exec, s[16:17]
	global_store_byte v[0:1], v4, off
.LBB14_82:
	s_mov_b64 s[16:17], 0
.LBB14_83:
	s_andn2_b64 vcc, exec, s[16:17]
	s_cbranch_vccnz .LBB14_93
; %bb.84:
	v_cvt_f32_ubyte0_e32 v3, v2
	s_mov_b32 s16, 0x47800000
	v_cmp_gt_u32_e32 vcc, s16, v3
                                        ; implicit-def: $vgpr4
	s_and_saveexec_b64 s[16:17], vcc
	s_xor_b64 s[16:17], exec, s[16:17]
	s_cbranch_execz .LBB14_90
; %bb.85:
	s_mov_b32 s22, 0x387fffff
	v_cmp_lt_u32_e32 vcc, s22, v3
                                        ; implicit-def: $vgpr4
	s_and_saveexec_b64 s[22:23], vcc
	s_xor_b64 s[22:23], exec, s[22:23]
; %bb.86:
	v_bfe_u32 v4, v3, 21, 1
	s_mov_b32 s26, 0x80fffff
	v_add3_u32 v3, v3, v4, s26
	v_lshrrev_b32_e32 v4, 21, v3
                                        ; implicit-def: $vgpr3
; %bb.87:
	s_andn2_saveexec_b64 s[22:23], s[22:23]
; %bb.88:
	v_add_f32_e32 v4, 0x43000000, v3
; %bb.89:
	s_or_b64 exec, exec, s[22:23]
                                        ; implicit-def: $vgpr3
.LBB14_90:
	s_andn2_saveexec_b64 s[16:17], s[16:17]
; %bb.91:
	s_mov_b32 s22, 0x7f800000
	v_mov_b32_e32 v4, 0x7c
	v_mov_b32_e32 v5, 0x7f
	v_cmp_lt_u32_e32 vcc, s22, v3
	v_cndmask_b32_e32 v4, v4, v5, vcc
; %bb.92:
	s_or_b64 exec, exec, s[16:17]
	global_store_byte v[0:1], v4, off
.LBB14_93:
	s_mov_b64 s[22:23], 0
	s_mov_b64 s[16:17], -1
.LBB14_94:
	s_andn2_b64 vcc, exec, s[22:23]
	s_cbranch_vccnz .LBB14_102
; %bb.95:
	s_cmp_gt_i32 s28, 14
	s_mov_b64 s[22:23], -1
	s_cbranch_scc0 .LBB14_99
; %bb.96:
	s_cmp_eq_u32 s28, 15
	s_mov_b64 s[0:1], -1
	s_cbranch_scc0 .LBB14_98
; %bb.97:
	v_cvt_f32_ubyte0_e32 v3, v2
	v_bfe_u32 v4, v3, 16, 1
	s_movk_i32 s0, 0x7fff
	v_add3_u32 v3, v3, v4, s0
	global_store_short_d16_hi v[0:1], v3, off
	s_mov_b64 s[16:17], -1
	s_mov_b64 s[0:1], 0
.LBB14_98:
	s_mov_b64 s[22:23], 0
.LBB14_99:
	s_and_b64 vcc, exec, s[22:23]
	s_cbranch_vccz .LBB14_102
; %bb.100:
	s_cmp_eq_u32 s28, 11
	s_mov_b64 s[0:1], -1
	s_cbranch_scc0 .LBB14_102
; %bb.101:
	v_mov_b32_e32 v3, 0
	v_cmp_ne_u16_sdwa s[0:1], v2, v3 src0_sel:BYTE_0 src1_sel:DWORD
	v_cndmask_b32_e64 v3, 0, 1, s[0:1]
	s_mov_b64 s[16:17], -1
	s_mov_b64 s[0:1], 0
	global_store_byte v[0:1], v3, off
.LBB14_102:
	s_branch .LBB14_20
.LBB14_103:
	s_and_b32 s3, 0xffff, s3
	s_cmp_lt_i32 s3, 5
	s_mov_b64 s[16:17], -1
	s_cbranch_scc1 .LBB14_124
; %bb.104:
	s_cmp_lt_i32 s3, 8
	s_cbranch_scc1 .LBB14_114
; %bb.105:
	s_cmp_lt_i32 s3, 9
	s_cbranch_scc1 .LBB14_111
; %bb.106:
	s_cmp_gt_i32 s3, 9
	s_cbranch_scc0 .LBB14_108
; %bb.107:
	s_mov_b32 s16, 0xffff
	v_and_b32_sdwa v3, s16, v2 dst_sel:DWORD dst_unused:UNUSED_PAD src0_sel:DWORD src1_sel:BYTE_0
	v_cvt_f64_u32_e32 v[3:4], v3
	v_mov_b32_e32 v5, 0
	v_mov_b32_e32 v6, v5
	s_mov_b64 s[16:17], 0
	global_store_dwordx4 v[0:1], v[3:6], off
.LBB14_108:
	s_andn2_b64 vcc, exec, s[16:17]
	s_cbranch_vccnz .LBB14_110
; %bb.109:
	v_cvt_f32_ubyte0_e32 v3, v2
	v_mov_b32_e32 v4, 0
	global_store_dwordx2 v[0:1], v[3:4], off
.LBB14_110:
	s_mov_b64 s[16:17], 0
.LBB14_111:
	s_andn2_b64 vcc, exec, s[16:17]
	s_cbranch_vccnz .LBB14_113
; %bb.112:
	v_cvt_f16_u16_sdwa v3, v2 dst_sel:DWORD dst_unused:UNUSED_PAD src0_sel:BYTE_0
	global_store_dword v[0:1], v3, off
.LBB14_113:
	s_mov_b64 s[16:17], 0
.LBB14_114:
	s_andn2_b64 vcc, exec, s[16:17]
	s_cbranch_vccnz .LBB14_123
; %bb.115:
	s_cmp_lt_i32 s3, 6
	s_mov_b64 s[16:17], -1
	s_cbranch_scc1 .LBB14_121
; %bb.116:
	s_cmp_gt_i32 s3, 6
	s_cbranch_scc0 .LBB14_118
; %bb.117:
	s_mov_b32 s16, 0xffff
	v_and_b32_sdwa v3, s16, v2 dst_sel:DWORD dst_unused:UNUSED_PAD src0_sel:DWORD src1_sel:BYTE_0
	v_cvt_f64_u32_e32 v[3:4], v3
	s_mov_b64 s[16:17], 0
	global_store_dwordx2 v[0:1], v[3:4], off
.LBB14_118:
	s_andn2_b64 vcc, exec, s[16:17]
	s_cbranch_vccnz .LBB14_120
; %bb.119:
	v_cvt_f32_ubyte0_e32 v3, v2
	global_store_dword v[0:1], v3, off
.LBB14_120:
	s_mov_b64 s[16:17], 0
.LBB14_121:
	s_andn2_b64 vcc, exec, s[16:17]
	s_cbranch_vccnz .LBB14_123
; %bb.122:
	v_cvt_f16_u16_sdwa v3, v2 dst_sel:DWORD dst_unused:UNUSED_PAD src0_sel:BYTE_0
	global_store_short v[0:1], v3, off
.LBB14_123:
	s_mov_b64 s[16:17], 0
.LBB14_124:
	s_andn2_b64 vcc, exec, s[16:17]
	s_cbranch_vccnz .LBB14_140
; %bb.125:
	s_cmp_lt_i32 s3, 2
	s_mov_b64 s[16:17], -1
	s_cbranch_scc1 .LBB14_135
; %bb.126:
	s_cmp_lt_i32 s3, 3
	s_cbranch_scc1 .LBB14_132
; %bb.127:
	s_cmp_gt_i32 s3, 3
	s_cbranch_scc0 .LBB14_129
; %bb.128:
	v_and_b32_e32 v3, 0xff, v2
	v_mov_b32_e32 v4, 0
	global_store_dwordx2 v[0:1], v[3:4], off
	s_mov_b64 s[16:17], 0
.LBB14_129:
	s_andn2_b64 vcc, exec, s[16:17]
	s_cbranch_vccnz .LBB14_131
; %bb.130:
	v_and_b32_e32 v3, 0xff, v2
	global_store_dword v[0:1], v3, off
.LBB14_131:
	s_mov_b64 s[16:17], 0
.LBB14_132:
	s_andn2_b64 vcc, exec, s[16:17]
	s_cbranch_vccnz .LBB14_134
; %bb.133:
	v_and_b32_e32 v3, 0xff, v2
	global_store_short v[0:1], v3, off
.LBB14_134:
	s_mov_b64 s[16:17], 0
.LBB14_135:
	s_andn2_b64 vcc, exec, s[16:17]
	s_cbranch_vccnz .LBB14_140
; %bb.136:
	s_cmp_gt_i32 s3, 0
	s_mov_b64 s[16:17], -1
	s_cbranch_scc0 .LBB14_138
; %bb.137:
	global_store_byte v[0:1], v2, off
	s_mov_b64 s[16:17], 0
.LBB14_138:
	s_andn2_b64 vcc, exec, s[16:17]
	s_cbranch_vccnz .LBB14_140
; %bb.139:
	global_store_byte v[0:1], v2, off
.LBB14_140:
	s_branch .LBB14_21
.LBB14_141:
	s_mov_b64 s[22:23], 0
                                        ; implicit-def: $vgpr7
	s_branch .LBB14_247
.LBB14_142:
	s_mov_b64 s[18:19], -1
                                        ; implicit-def: $vgpr2
.LBB14_143:
	s_mov_b64 s[16:17], 0
.LBB14_144:
	s_and_b64 vcc, exec, s[16:17]
	s_cbranch_vccz .LBB14_148
; %bb.145:
	s_cmp_eq_u32 s22, 29
	s_cbranch_scc0 .LBB14_147
; %bb.146:
	global_load_dwordx2 v[2:3], v[0:1], off
	s_mov_b64 s[0:1], -1
	s_mov_b64 s[18:19], 0
	s_branch .LBB14_148
.LBB14_147:
	s_mov_b64 s[18:19], -1
                                        ; implicit-def: $vgpr2
.LBB14_148:
	s_mov_b64 s[16:17], 0
.LBB14_149:
	s_and_b64 vcc, exec, s[16:17]
	s_cbranch_vccz .LBB14_165
; %bb.150:
	s_cmp_lt_i32 s22, 27
	s_cbranch_scc1 .LBB14_153
; %bb.151:
	s_cmp_gt_i32 s22, 27
	s_cbranch_scc0 .LBB14_154
; %bb.152:
	global_load_dword v2, v[0:1], off
	s_mov_b64 s[0:1], 0
	s_branch .LBB14_155
.LBB14_153:
	s_mov_b64 s[0:1], -1
                                        ; implicit-def: $vgpr2
	s_branch .LBB14_158
.LBB14_154:
	s_mov_b64 s[0:1], -1
                                        ; implicit-def: $vgpr2
.LBB14_155:
	s_andn2_b64 vcc, exec, s[0:1]
	s_cbranch_vccnz .LBB14_157
; %bb.156:
	global_load_ushort v2, v[0:1], off
.LBB14_157:
	s_mov_b64 s[0:1], 0
.LBB14_158:
	s_andn2_b64 vcc, exec, s[0:1]
	s_cbranch_vccnz .LBB14_164
; %bb.159:
	global_load_ubyte v3, v[0:1], off
	s_movk_i32 s0, 0x7f
	s_mov_b64 s[16:17], 0
	s_waitcnt vmcnt(0)
	v_cmp_lt_i16_e32 vcc, s0, v3
	s_and_saveexec_b64 s[0:1], vcc
	s_xor_b64 s[0:1], exec, s[0:1]
	s_cbranch_execz .LBB14_175
; %bb.160:
	s_movk_i32 s16, 0x80
	v_cmp_ne_u16_e32 vcc, s16, v3
	s_and_b64 s[16:17], vcc, exec
	s_andn2_saveexec_b64 s[0:1], s[0:1]
	s_cbranch_execnz .LBB14_176
.LBB14_161:
	s_or_b64 exec, exec, s[0:1]
	v_mov_b32_e32 v2, 0
	s_and_saveexec_b64 s[0:1], s[16:17]
	s_cbranch_execz .LBB14_163
.LBB14_162:
	v_lshlrev_b32_e32 v2, 24, v3
	v_and_b32_e32 v3, 0xffff, v3
	v_and_b32_e32 v4, 7, v3
	v_ffbh_u32_e32 v6, v4
	v_min_u32_e32 v6, 32, v6
	v_subrev_u32_e32 v8, 28, v6
	v_bfe_u32 v5, v3, 3, 4
	v_lshlrev_b32_e32 v3, v8, v3
	v_sub_u32_e32 v6, 29, v6
	v_and_b32_e32 v3, 7, v3
	v_cmp_eq_u32_e32 vcc, 0, v5
	v_cndmask_b32_e32 v5, v5, v6, vcc
	v_cndmask_b32_e32 v3, v4, v3, vcc
	v_mov_b32_e32 v4, 0x3b800000
	v_lshlrev_b32_e32 v3, 20, v3
	v_and_b32_e32 v2, 0x80000000, v2
	v_lshl_add_u32 v4, v5, 23, v4
	v_or3_b32 v2, v2, v4, v3
	v_trunc_f32_e32 v2, v2
	s_mov_b32 s16, 0x2f800000
	v_mul_f32_e64 v3, |v2|, s16
	v_floor_f32_e32 v3, v3
	s_mov_b32 s16, 0xcf800000
	v_fma_f32 v3, v3, s16, |v2|
	v_cvt_u32_f32_e32 v3, v3
	v_ashrrev_i32_e32 v2, 31, v2
	v_xor_b32_e32 v3, v3, v2
	v_sub_u32_e32 v2, v3, v2
.LBB14_163:
	s_or_b64 exec, exec, s[0:1]
.LBB14_164:
	s_mov_b64 s[0:1], -1
.LBB14_165:
	s_branch .LBB14_198
.LBB14_166:
	s_cmp_gt_i32 s22, 22
	s_cbranch_scc0 .LBB14_174
; %bb.167:
	s_cmp_lt_i32 s22, 24
	s_cbranch_scc1 .LBB14_177
; %bb.168:
	s_cmp_gt_i32 s22, 24
	s_cbranch_scc0 .LBB14_178
; %bb.169:
	global_load_ubyte v3, v[0:1], off
	s_movk_i32 s0, 0x7f
	s_mov_b64 s[16:17], 0
	s_waitcnt vmcnt(0)
	v_cmp_lt_i16_e32 vcc, s0, v3
	s_and_saveexec_b64 s[0:1], vcc
	s_xor_b64 s[0:1], exec, s[0:1]
	s_cbranch_execz .LBB14_190
; %bb.170:
	s_movk_i32 s16, 0x80
	v_cmp_ne_u16_e32 vcc, s16, v3
	s_and_b64 s[16:17], vcc, exec
	s_andn2_saveexec_b64 s[0:1], s[0:1]
	s_cbranch_execnz .LBB14_191
.LBB14_171:
	s_or_b64 exec, exec, s[0:1]
	v_mov_b32_e32 v2, 0
	s_and_saveexec_b64 s[0:1], s[16:17]
	s_cbranch_execz .LBB14_173
.LBB14_172:
	v_lshlrev_b32_e32 v2, 24, v3
	v_and_b32_e32 v3, 0xffff, v3
	v_and_b32_e32 v4, 3, v3
	v_ffbh_u32_e32 v6, v4
	v_min_u32_e32 v6, 32, v6
	v_subrev_u32_e32 v8, 29, v6
	v_bfe_u32 v5, v3, 2, 5
	v_lshlrev_b32_e32 v3, v8, v3
	v_sub_u32_e32 v6, 30, v6
	v_and_b32_e32 v3, 3, v3
	v_cmp_eq_u32_e32 vcc, 0, v5
	v_cndmask_b32_e32 v5, v5, v6, vcc
	v_cndmask_b32_e32 v3, v4, v3, vcc
	v_mov_b32_e32 v4, 0x37800000
	v_lshlrev_b32_e32 v3, 21, v3
	v_and_b32_e32 v2, 0x80000000, v2
	v_lshl_add_u32 v4, v5, 23, v4
	v_or3_b32 v2, v2, v4, v3
	v_trunc_f32_e32 v2, v2
	s_mov_b32 s16, 0x2f800000
	v_mul_f32_e64 v3, |v2|, s16
	v_floor_f32_e32 v3, v3
	s_mov_b32 s16, 0xcf800000
	v_fma_f32 v3, v3, s16, |v2|
	v_cvt_u32_f32_e32 v3, v3
	v_ashrrev_i32_e32 v2, 31, v2
	v_xor_b32_e32 v3, v3, v2
	v_sub_u32_e32 v2, v3, v2
.LBB14_173:
	s_or_b64 exec, exec, s[0:1]
	s_mov_b64 s[0:1], 0
	s_branch .LBB14_179
.LBB14_174:
	s_mov_b64 s[16:17], -1
                                        ; implicit-def: $vgpr2
	s_branch .LBB14_185
.LBB14_175:
	s_andn2_saveexec_b64 s[0:1], s[0:1]
	s_cbranch_execz .LBB14_161
.LBB14_176:
	v_cmp_ne_u16_e32 vcc, 0, v3
	s_andn2_b64 s[16:17], s[16:17], exec
	s_and_b64 s[26:27], vcc, exec
	s_or_b64 s[16:17], s[16:17], s[26:27]
	s_or_b64 exec, exec, s[0:1]
	v_mov_b32_e32 v2, 0
	s_and_saveexec_b64 s[0:1], s[16:17]
	s_cbranch_execnz .LBB14_162
	s_branch .LBB14_163
.LBB14_177:
	s_mov_b64 s[0:1], -1
                                        ; implicit-def: $vgpr2
	s_branch .LBB14_182
.LBB14_178:
	s_mov_b64 s[0:1], -1
                                        ; implicit-def: $vgpr2
.LBB14_179:
	s_and_b64 vcc, exec, s[0:1]
	s_cbranch_vccz .LBB14_181
; %bb.180:
	global_load_ubyte v2, v[0:1], off
	s_mov_b32 s0, 0x7f800000
	s_brev_b32 s1, 1
	s_mov_b32 s16, 0x2f800000
	s_waitcnt vmcnt(0)
	v_lshlrev_b32_e32 v2, 24, v2
	v_and_b32_e32 v3, 0x7f000000, v2
	v_ffbh_u32_e32 v4, v3
	v_min_u32_e32 v4, 32, v4
	v_sub_u32_e64 v4, v4, 4 clamp
	v_lshlrev_b32_e32 v6, v4, v3
	v_lshlrev_b32_e32 v4, 23, v4
	v_lshrrev_b32_e32 v6, 4, v6
	v_add_u32_e32 v5, 0x1000000, v3
	v_sub_u32_e32 v4, v6, v4
	v_ashrrev_i32_e32 v5, 8, v5
	v_add_u32_e32 v4, 0x3c000000, v4
	v_and_or_b32 v4, v5, s0, v4
	v_cmp_ne_u32_e32 vcc, 0, v3
	v_cndmask_b32_e32 v3, 0, v4, vcc
	v_and_or_b32 v2, v2, s1, v3
	v_trunc_f32_e32 v2, v2
	v_mul_f32_e64 v3, |v2|, s16
	v_floor_f32_e32 v3, v3
	s_mov_b32 s0, 0xcf800000
	v_fma_f32 v3, v3, s0, |v2|
	v_cvt_u32_f32_e32 v3, v3
	v_ashrrev_i32_e32 v2, 31, v2
	v_xor_b32_e32 v3, v3, v2
	v_sub_u32_e32 v2, v3, v2
.LBB14_181:
	s_mov_b64 s[0:1], 0
.LBB14_182:
	s_andn2_b64 vcc, exec, s[0:1]
	s_cbranch_vccnz .LBB14_184
; %bb.183:
	global_load_ubyte v2, v[0:1], off
	s_movk_i32 s0, 0x7f00
	s_brev_b32 s1, 16
	s_brev_b32 s16, 1
	s_mov_b32 s17, 0x2f800000
	s_waitcnt vmcnt(0)
	v_lshlrev_b16_e32 v3, 8, v2
	v_lshlrev_b32_e32 v2, 25, v2
	v_lshrrev_b32_e32 v4, 4, v2
	v_and_or_b32 v5, v3, s0, 0.5
	v_or_b32_e32 v4, 0x70000000, v4
	v_add_f32_e32 v5, -0.5, v5
	v_mul_f32_e32 v4, 0x7800000, v4
	v_cmp_gt_u32_e32 vcc, s1, v2
	v_bfe_i32 v3, v3, 0, 16
	v_cndmask_b32_e32 v2, v4, v5, vcc
	v_and_or_b32 v2, v3, s16, v2
	v_trunc_f32_e32 v2, v2
	v_mul_f32_e64 v3, |v2|, s17
	v_floor_f32_e32 v3, v3
	s_mov_b32 s0, 0xcf800000
	v_fma_f32 v3, v3, s0, |v2|
	v_cvt_u32_f32_e32 v3, v3
	v_ashrrev_i32_e32 v2, 31, v2
	v_xor_b32_e32 v3, v3, v2
	v_sub_u32_e32 v2, v3, v2
.LBB14_184:
	s_mov_b64 s[16:17], 0
	s_mov_b64 s[0:1], -1
.LBB14_185:
	s_andn2_b64 vcc, exec, s[16:17]
	s_cbranch_vccnz .LBB14_198
; %bb.186:
	s_cmp_gt_i32 s22, 14
	s_cbranch_scc0 .LBB14_189
; %bb.187:
	s_cmp_eq_u32 s22, 15
	s_cbranch_scc0 .LBB14_192
; %bb.188:
	global_load_ushort v2, v[0:1], off
	s_mov_b32 s0, 0x2f800000
	s_mov_b32 s1, 0xcf800000
	s_mov_b64 s[18:19], 0
	s_waitcnt vmcnt(0)
	v_lshlrev_b32_e32 v2, 16, v2
	v_trunc_f32_e32 v2, v2
	v_mul_f32_e64 v3, |v2|, s0
	v_floor_f32_e32 v3, v3
	v_fma_f32 v3, v3, s1, |v2|
	v_cvt_u32_f32_e32 v3, v3
	v_ashrrev_i32_e32 v2, 31, v2
	s_mov_b64 s[0:1], -1
	v_xor_b32_e32 v3, v3, v2
	v_sub_u32_e32 v2, v3, v2
	s_branch .LBB14_193
.LBB14_189:
	s_mov_b64 s[16:17], -1
                                        ; implicit-def: $vgpr2
	s_branch .LBB14_194
.LBB14_190:
	s_andn2_saveexec_b64 s[0:1], s[0:1]
	s_cbranch_execz .LBB14_171
.LBB14_191:
	v_cmp_ne_u16_e32 vcc, 0, v3
	s_andn2_b64 s[16:17], s[16:17], exec
	s_and_b64 s[26:27], vcc, exec
	s_or_b64 s[16:17], s[16:17], s[26:27]
	s_or_b64 exec, exec, s[0:1]
	v_mov_b32_e32 v2, 0
	s_and_saveexec_b64 s[0:1], s[16:17]
	s_cbranch_execnz .LBB14_172
	s_branch .LBB14_173
.LBB14_192:
	s_mov_b64 s[18:19], -1
                                        ; implicit-def: $vgpr2
.LBB14_193:
	s_mov_b64 s[16:17], 0
.LBB14_194:
	s_and_b64 vcc, exec, s[16:17]
	s_cbranch_vccz .LBB14_198
; %bb.195:
	s_cmp_eq_u32 s22, 11
	s_cbranch_scc0 .LBB14_197
; %bb.196:
	global_load_ubyte v2, v[0:1], off
	s_mov_b64 s[0:1], -1
	s_mov_b64 s[18:19], 0
	s_waitcnt vmcnt(0)
	v_cmp_ne_u16_e32 vcc, 0, v2
	v_cndmask_b32_e64 v2, 0, 1, vcc
	s_branch .LBB14_198
.LBB14_197:
	s_mov_b64 s[18:19], -1
                                        ; implicit-def: $vgpr2
.LBB14_198:
	s_branch .LBB14_10
.LBB14_199:
	s_and_b32 s3, 0xffff, s3
	s_cmp_lt_i32 s3, 5
	s_cbranch_scc1 .LBB14_204
; %bb.200:
	s_cmp_lt_i32 s3, 8
	s_cbranch_scc1 .LBB14_205
; %bb.201:
	;; [unrolled: 3-line block ×3, first 2 shown]
	s_cmp_gt_i32 s3, 9
	s_cbranch_scc0 .LBB14_207
; %bb.203:
	global_load_dwordx2 v[2:3], v[0:1], off
	s_movk_i32 s0, 0xffe0
	s_waitcnt vmcnt(0)
	v_trunc_f64_e32 v[2:3], v[2:3]
	v_ldexp_f64 v[4:5], v[2:3], s0
	s_mov_b32 s0, 0
	s_mov_b32 s1, 0xc1f00000
	v_floor_f64_e32 v[4:5], v[4:5]
	v_fma_f64 v[2:3], v[4:5], s[0:1], v[2:3]
	s_mov_b64 s[0:1], 0
	v_cvt_u32_f64_e32 v2, v[2:3]
	s_branch .LBB14_208
.LBB14_204:
                                        ; implicit-def: $vgpr2
	s_branch .LBB14_226
.LBB14_205:
	s_mov_b64 s[0:1], -1
                                        ; implicit-def: $vgpr2
	s_branch .LBB14_214
.LBB14_206:
	s_mov_b64 s[0:1], -1
                                        ; implicit-def: $vgpr2
	s_branch .LBB14_211
.LBB14_207:
	s_mov_b64 s[0:1], -1
                                        ; implicit-def: $vgpr2
.LBB14_208:
	s_andn2_b64 vcc, exec, s[0:1]
	s_cbranch_vccnz .LBB14_210
; %bb.209:
	global_load_dword v2, v[0:1], off
	s_mov_b32 s0, 0x2f800000
	s_waitcnt vmcnt(0)
	v_trunc_f32_e32 v2, v2
	v_mul_f32_e64 v3, |v2|, s0
	v_floor_f32_e32 v3, v3
	s_mov_b32 s0, 0xcf800000
	v_fma_f32 v3, v3, s0, |v2|
	v_cvt_u32_f32_e32 v3, v3
	v_ashrrev_i32_e32 v2, 31, v2
	v_xor_b32_e32 v3, v3, v2
	v_sub_u32_e32 v2, v3, v2
.LBB14_210:
	s_mov_b64 s[0:1], 0
.LBB14_211:
	s_andn2_b64 vcc, exec, s[0:1]
	s_cbranch_vccnz .LBB14_213
; %bb.212:
	global_load_dword v2, v[0:1], off
	s_waitcnt vmcnt(0)
	v_cvt_f32_f16_e32 v2, v2
	v_cvt_i32_f32_e32 v2, v2
.LBB14_213:
	s_mov_b64 s[0:1], 0
.LBB14_214:
	s_andn2_b64 vcc, exec, s[0:1]
	s_cbranch_vccnz .LBB14_225
; %bb.215:
	s_cmp_lt_i32 s3, 6
	s_cbranch_scc1 .LBB14_218
; %bb.216:
	s_cmp_gt_i32 s3, 6
	s_cbranch_scc0 .LBB14_219
; %bb.217:
	global_load_dwordx2 v[2:3], v[0:1], off
	s_movk_i32 s0, 0xffe0
	s_waitcnt vmcnt(0)
	v_trunc_f64_e32 v[2:3], v[2:3]
	v_ldexp_f64 v[4:5], v[2:3], s0
	s_mov_b32 s0, 0
	s_mov_b32 s1, 0xc1f00000
	v_floor_f64_e32 v[4:5], v[4:5]
	v_fma_f64 v[2:3], v[4:5], s[0:1], v[2:3]
	s_mov_b64 s[0:1], 0
	v_cvt_u32_f64_e32 v2, v[2:3]
	s_branch .LBB14_220
.LBB14_218:
	s_mov_b64 s[0:1], -1
                                        ; implicit-def: $vgpr2
	s_branch .LBB14_223
.LBB14_219:
	s_mov_b64 s[0:1], -1
                                        ; implicit-def: $vgpr2
.LBB14_220:
	s_andn2_b64 vcc, exec, s[0:1]
	s_cbranch_vccnz .LBB14_222
; %bb.221:
	global_load_dword v2, v[0:1], off
	s_mov_b32 s0, 0x2f800000
	s_waitcnt vmcnt(0)
	v_trunc_f32_e32 v2, v2
	v_mul_f32_e64 v3, |v2|, s0
	v_floor_f32_e32 v3, v3
	s_mov_b32 s0, 0xcf800000
	v_fma_f32 v3, v3, s0, |v2|
	v_cvt_u32_f32_e32 v3, v3
	v_ashrrev_i32_e32 v2, 31, v2
	v_xor_b32_e32 v3, v3, v2
	v_sub_u32_e32 v2, v3, v2
.LBB14_222:
	s_mov_b64 s[0:1], 0
.LBB14_223:
	s_andn2_b64 vcc, exec, s[0:1]
	s_cbranch_vccnz .LBB14_225
; %bb.224:
	global_load_ushort v2, v[0:1], off
	s_waitcnt vmcnt(0)
	v_cvt_f32_f16_e32 v2, v2
	v_cvt_i32_f32_e32 v2, v2
.LBB14_225:
	s_cbranch_execnz .LBB14_245
.LBB14_226:
	s_cmp_lt_i32 s3, 2
	s_cbranch_scc1 .LBB14_230
; %bb.227:
	s_cmp_lt_i32 s3, 3
	s_cbranch_scc1 .LBB14_231
; %bb.228:
	s_cmp_gt_i32 s3, 3
	s_cbranch_scc0 .LBB14_232
; %bb.229:
	global_load_dwordx2 v[2:3], v[0:1], off
	s_mov_b64 s[0:1], 0
	s_branch .LBB14_233
.LBB14_230:
	s_mov_b64 s[0:1], -1
                                        ; implicit-def: $vgpr2
	s_branch .LBB14_239
.LBB14_231:
	s_mov_b64 s[0:1], -1
                                        ; implicit-def: $vgpr2
	s_branch .LBB14_236
.LBB14_232:
	s_mov_b64 s[0:1], -1
                                        ; implicit-def: $vgpr2
.LBB14_233:
	s_andn2_b64 vcc, exec, s[0:1]
	s_cbranch_vccnz .LBB14_235
; %bb.234:
	global_load_dword v2, v[0:1], off
.LBB14_235:
	s_mov_b64 s[0:1], 0
.LBB14_236:
	s_andn2_b64 vcc, exec, s[0:1]
	s_cbranch_vccnz .LBB14_238
; %bb.237:
	global_load_ushort v2, v[0:1], off
.LBB14_238:
	s_mov_b64 s[0:1], 0
.LBB14_239:
	s_andn2_b64 vcc, exec, s[0:1]
	s_cbranch_vccnz .LBB14_245
; %bb.240:
	s_cmp_gt_i32 s3, 0
	s_cbranch_scc0 .LBB14_242
; %bb.241:
	global_load_ubyte v2, v[0:1], off
	s_mov_b64 s[0:1], 0
	s_branch .LBB14_243
.LBB14_242:
	s_mov_b64 s[0:1], -1
                                        ; implicit-def: $vgpr2
.LBB14_243:
	s_andn2_b64 vcc, exec, s[0:1]
	s_cbranch_vccnz .LBB14_245
; %bb.244:
	global_load_ubyte v2, v[0:1], off
.LBB14_245:
	s_branch .LBB14_11
.LBB14_246:
	s_mov_b64 s[0:1], 0
                                        ; implicit-def: $vgpr7
	s_mov_b64 s[22:23], 0
.LBB14_247:
	s_and_b64 s[16:17], s[0:1], exec
	s_and_b64 s[18:19], s[18:19], exec
	s_orn2_b64 s[22:23], s[22:23], exec
.LBB14_248:
	s_or_b64 exec, exec, s[20:21]
	s_mov_b64 s[26:27], 0
	s_mov_b64 s[0:1], 0
                                        ; implicit-def: $sgpr3
                                        ; implicit-def: $vgpr0_vgpr1
                                        ; implicit-def: $vgpr2
	s_and_saveexec_b64 s[20:21], s[22:23]
	s_cbranch_execz .LBB14_257
; %bb.249:
	v_cmp_gt_i32_e32 vcc, s42, v7
	s_mov_b64 s[0:1], -1
	s_mov_b64 s[22:23], s[18:19]
	s_mov_b64 s[24:25], s[16:17]
	s_and_saveexec_b64 s[26:27], vcc
	s_cbranch_execz .LBB14_505
; %bb.250:
	v_mul_lo_u32 v0, v7, s13
	v_mov_b32_e32 v1, s11
	s_and_b32 s3, s15, 0xff
	s_cmp_lt_i32 s3, 11
	s_waitcnt vmcnt(0)
	v_ashrrev_i32_e32 v2, 31, v0
	v_add_co_u32_e32 v0, vcc, s10, v0
	v_addc_co_u32_e32 v1, vcc, v1, v2, vcc
	s_cbranch_scc1 .LBB14_260
; %bb.251:
	s_and_b32 s28, 0xffff, s3
	s_cmp_gt_i32 s28, 25
	s_cbranch_scc0 .LBB14_269
; %bb.252:
	s_cmp_gt_i32 s28, 28
	s_cbranch_scc0 .LBB14_271
; %bb.253:
	;; [unrolled: 3-line block ×4, first 2 shown]
	s_cmp_eq_u32 s28, 46
	s_mov_b64 s[24:25], 0
	s_cbranch_scc0 .LBB14_281
; %bb.256:
	global_load_dword v2, v[0:1], off
	s_mov_b32 s0, 0x2f800000
	s_mov_b32 s1, 0xcf800000
	s_mov_b64 s[22:23], 0
	s_waitcnt vmcnt(0)
	v_lshlrev_b32_e32 v2, 16, v2
	v_trunc_f32_e32 v2, v2
	v_mul_f32_e64 v3, |v2|, s0
	v_floor_f32_e32 v3, v3
	v_fma_f32 v3, v3, s1, |v2|
	v_cvt_u32_f32_e32 v3, v3
	v_ashrrev_i32_e32 v2, 31, v2
	s_mov_b64 s[0:1], -1
	v_xor_b32_e32 v3, v3, v2
	v_sub_u32_e32 v2, v3, v2
	s_branch .LBB14_282
.LBB14_257:
	s_or_b64 exec, exec, s[20:21]
	s_mov_b64 s[20:21], 0
	s_and_saveexec_b64 s[22:23], s[18:19]
	s_cbranch_execnz .LBB14_843
.LBB14_258:
	s_or_b64 exec, exec, s[22:23]
	s_and_saveexec_b64 s[18:19], s[24:25]
	s_xor_b64 s[18:19], exec, s[18:19]
	s_cbranch_execz .LBB14_844
.LBB14_259:
	global_load_ubyte v2, v[0:1], off
	s_or_b64 s[0:1], s[0:1], exec
	s_waitcnt vmcnt(0)
	v_cmp_ne_u16_e32 vcc, 0, v2
	v_cndmask_b32_e64 v2, 0, 1, vcc
	s_or_b64 exec, exec, s[18:19]
	s_and_saveexec_b64 s[18:19], s[26:27]
	s_cbranch_execz .LBB14_890
	s_branch .LBB14_845
.LBB14_260:
	s_mov_b64 s[0:1], 0
                                        ; implicit-def: $vgpr2
	s_mov_b64 s[22:23], s[18:19]
	s_cbranch_execnz .LBB14_455
.LBB14_261:
	s_andn2_b64 vcc, exec, s[0:1]
	s_cbranch_vccnz .LBB14_503
.LBB14_262:
	v_mul_lo_u32 v1, v7, s12
	s_and_b32 s0, s14, 0xff
	v_mov_b32_e32 v0, s33
	s_waitcnt vmcnt(0)
	v_mov_b32_e32 v3, s46
	v_cmp_gt_u16_sdwa vcc, v2, s0 src0_sel:BYTE_0 src1_sel:DWORD
	v_cndmask_b32_e32 v2, v0, v3, vcc
	v_ashrrev_i32_e32 v3, 31, v1
	v_mov_b32_e32 v4, s9
	s_and_b32 s3, s2, 0xff
	v_add_co_u32_e32 v0, vcc, s8, v1
	s_cmp_lt_i32 s3, 11
	v_addc_co_u32_e32 v1, vcc, v4, v3, vcc
	s_cbranch_scc1 .LBB14_270
; %bb.263:
	s_and_b32 s34, 0xffff, s3
	s_cmp_gt_i32 s34, 25
	s_cbranch_scc0 .LBB14_272
; %bb.264:
	s_cmp_gt_i32 s34, 28
	s_cbranch_scc0 .LBB14_274
; %bb.265:
	;; [unrolled: 3-line block ×4, first 2 shown]
	s_mov_b64 s[28:29], 0
	s_mov_b64 s[0:1], -1
	s_cmp_eq_u32 s34, 46
	s_mov_b64 s[24:25], 0
	s_cbranch_scc0 .LBB14_286
; %bb.268:
	v_cvt_f32_ubyte0_e32 v3, v2
	v_bfe_u32 v4, v3, 16, 1
	s_movk_i32 s0, 0x7fff
	v_add3_u32 v3, v3, v4, s0
	v_lshrrev_b32_e32 v3, 16, v3
	global_store_dword v[0:1], v3, off
	s_mov_b64 s[24:25], -1
	s_mov_b64 s[0:1], 0
	s_branch .LBB14_286
.LBB14_269:
	s_mov_b64 s[24:25], -1
	s_mov_b64 s[0:1], 0
	s_mov_b64 s[22:23], s[18:19]
                                        ; implicit-def: $vgpr2
	s_branch .LBB14_421
.LBB14_270:
	s_mov_b64 s[28:29], -1
	s_mov_b64 s[24:25], 0
	s_mov_b64 s[0:1], s[16:17]
	s_branch .LBB14_355
.LBB14_271:
	s_mov_b64 s[24:25], -1
	s_mov_b64 s[0:1], 0
	s_mov_b64 s[22:23], s[18:19]
                                        ; implicit-def: $vgpr2
	s_branch .LBB14_404
.LBB14_272:
	s_mov_b64 s[28:29], -1
	s_mov_b64 s[24:25], 0
	s_mov_b64 s[0:1], s[16:17]
	s_branch .LBB14_313
.LBB14_273:
	s_mov_b64 s[24:25], -1
	s_mov_b64 s[0:1], 0
	s_mov_b64 s[22:23], s[18:19]
                                        ; implicit-def: $vgpr2
	s_branch .LBB14_399
.LBB14_274:
	s_mov_b64 s[28:29], -1
	s_mov_b64 s[24:25], 0
	s_mov_b64 s[0:1], s[16:17]
	s_branch .LBB14_296
.LBB14_275:
	s_andn2_saveexec_b64 s[26:27], s[26:27]
	s_cbranch_execz .LBB14_55
.LBB14_276:
	v_add_f32_e32 v3, 0x46000000, v4
	v_and_b32_e32 v3, 0xff, v3
	v_cmp_ne_u32_e32 vcc, 0, v3
	s_andn2_b64 s[22:23], s[22:23], exec
	s_and_b64 s[30:31], vcc, exec
	s_or_b64 s[22:23], s[22:23], s[30:31]
	s_or_b64 exec, exec, s[26:27]
	v_mov_b32_e32 v5, 0
	s_and_saveexec_b64 s[26:27], s[22:23]
	s_cbranch_execnz .LBB14_56
	s_branch .LBB14_57
.LBB14_277:
	s_mov_b64 s[24:25], -1
	s_mov_b64 s[0:1], 0
	s_mov_b64 s[22:23], s[18:19]
                                        ; implicit-def: $vgpr2
	s_branch .LBB14_282
.LBB14_278:
	s_mov_b64 s[28:29], -1
	s_mov_b64 s[24:25], 0
	s_mov_b64 s[0:1], s[16:17]
	s_branch .LBB14_292
.LBB14_279:
	s_andn2_saveexec_b64 s[26:27], s[26:27]
	s_cbranch_execz .LBB14_68
.LBB14_280:
	v_add_f32_e32 v3, 0x42800000, v4
	v_and_b32_e32 v3, 0xff, v3
	v_cmp_ne_u32_e32 vcc, 0, v3
	s_andn2_b64 s[22:23], s[22:23], exec
	s_and_b64 s[30:31], vcc, exec
	s_or_b64 s[22:23], s[22:23], s[30:31]
	s_or_b64 exec, exec, s[26:27]
	v_mov_b32_e32 v5, 0
	s_and_saveexec_b64 s[26:27], s[22:23]
	s_cbranch_execnz .LBB14_69
	s_branch .LBB14_70
.LBB14_281:
	s_mov_b64 s[22:23], -1
                                        ; implicit-def: $vgpr2
	s_mov_b64 s[0:1], 0
.LBB14_282:
	s_and_b64 vcc, exec, s[24:25]
	s_cbranch_vccz .LBB14_398
; %bb.283:
	s_cmp_eq_u32 s28, 44
	s_cbranch_scc0 .LBB14_397
; %bb.284:
	global_load_ubyte v2, v[0:1], off
	s_mov_b32 s0, 0x2f800000
	s_mov_b32 s1, 0xcf800000
	s_mov_b64 s[22:23], 0
	s_waitcnt vmcnt(0)
	v_lshlrev_b32_e32 v3, 23, v2
	v_trunc_f32_e32 v3, v3
	v_mul_f32_e64 v4, |v3|, s0
	v_floor_f32_e32 v4, v4
	v_fma_f32 v4, v4, s1, |v3|
	v_cvt_u32_f32_e32 v4, v4
	v_ashrrev_i32_e32 v3, 31, v3
	v_cmp_ne_u32_e32 vcc, 0, v2
	s_mov_b64 s[0:1], -1
	v_xor_b32_e32 v4, v4, v3
	v_sub_u32_e32 v3, v4, v3
	v_cndmask_b32_e32 v2, 0, v3, vcc
	s_branch .LBB14_398
.LBB14_285:
	s_mov_b64 s[28:29], -1
	s_mov_b64 s[24:25], 0
	s_mov_b64 s[0:1], s[16:17]
.LBB14_286:
	s_and_b64 vcc, exec, s[28:29]
	s_cbranch_vccz .LBB14_291
; %bb.287:
	s_cmp_eq_u32 s34, 44
	s_mov_b64 s[0:1], -1
	s_cbranch_scc0 .LBB14_291
; %bb.288:
	v_cvt_f32_ubyte0_e32 v4, v2
	v_lshrrev_b32_e32 v3, 23, v4
	s_movk_i32 s0, 0xff
	v_cmp_ne_u32_e32 vcc, s0, v3
	v_mov_b32_e32 v5, 0xff
	s_and_saveexec_b64 s[24:25], vcc
; %bb.289:
	s_mov_b32 s0, 0x3fffff
	v_and_b32_e32 v5, 0x400000, v4
	v_and_or_b32 v4, v4, s0, v3
	v_cmp_ne_u32_e32 vcc, 0, v5
	v_cmp_ne_u32_e64 s[0:1], 0, v4
	s_and_b64 s[0:1], vcc, s[0:1]
	v_cndmask_b32_e64 v4, 0, 1, s[0:1]
	v_add_u32_e32 v5, v3, v4
; %bb.290:
	s_or_b64 exec, exec, s[24:25]
	s_mov_b64 s[24:25], -1
	s_mov_b64 s[0:1], 0
	global_store_byte v[0:1], v5, off
.LBB14_291:
	s_mov_b64 s[28:29], 0
.LBB14_292:
	s_and_b64 vcc, exec, s[28:29]
	s_cbranch_vccz .LBB14_295
; %bb.293:
	s_cmp_eq_u32 s34, 29
	s_mov_b64 s[0:1], -1
	s_cbranch_scc0 .LBB14_295
; %bb.294:
	v_and_b32_e32 v3, 0xff, v2
	v_mov_b32_e32 v4, 0
	global_store_dwordx2 v[0:1], v[3:4], off
	s_mov_b64 s[24:25], -1
	s_mov_b64 s[0:1], 0
.LBB14_295:
	s_mov_b64 s[28:29], 0
.LBB14_296:
	s_and_b64 vcc, exec, s[28:29]
	s_cbranch_vccz .LBB14_312
; %bb.297:
	s_cmp_lt_i32 s34, 27
	s_mov_b64 s[24:25], -1
	s_cbranch_scc1 .LBB14_303
; %bb.298:
	s_cmp_gt_i32 s34, 27
	s_cbranch_scc0 .LBB14_300
; %bb.299:
	v_and_b32_e32 v3, 0xff, v2
	s_mov_b64 s[24:25], 0
	global_store_dword v[0:1], v3, off
.LBB14_300:
	s_andn2_b64 vcc, exec, s[24:25]
	s_cbranch_vccnz .LBB14_302
; %bb.301:
	v_and_b32_e32 v3, 0xff, v2
	global_store_short v[0:1], v3, off
.LBB14_302:
	s_mov_b64 s[24:25], 0
.LBB14_303:
	s_andn2_b64 vcc, exec, s[24:25]
	s_cbranch_vccnz .LBB14_311
; %bb.304:
	v_cvt_f32_ubyte0_e32 v4, v2
	s_mov_b32 s24, 0x43800000
	v_cmp_gt_u32_e32 vcc, s24, v4
	v_mov_b32_e32 v5, 0x80
	s_and_saveexec_b64 s[24:25], vcc
	s_cbranch_execz .LBB14_310
; %bb.305:
	s_mov_b32 s28, 0x3bffffff
	v_cmp_lt_u32_e32 vcc, s28, v4
	s_mov_b64 s[28:29], 0
                                        ; implicit-def: $vgpr3
	s_and_saveexec_b64 s[30:31], vcc
	s_xor_b64 s[30:31], exec, s[30:31]
	s_cbranch_execz .LBB14_518
; %bb.306:
	v_bfe_u32 v3, v4, 20, 1
	s_mov_b32 s35, 0x487ffff
	v_add3_u32 v3, v4, v3, s35
	s_mov_b64 s[28:29], exec
	v_lshrrev_b32_e32 v3, 20, v3
                                        ; implicit-def: $vgpr4
	s_andn2_saveexec_b64 s[30:31], s[30:31]
	s_cbranch_execnz .LBB14_519
.LBB14_307:
	s_or_b64 exec, exec, s[30:31]
	v_mov_b32_e32 v5, 0
	s_and_saveexec_b64 s[30:31], s[28:29]
.LBB14_308:
	v_mov_b32_e32 v5, v3
.LBB14_309:
	s_or_b64 exec, exec, s[30:31]
.LBB14_310:
	s_or_b64 exec, exec, s[24:25]
	global_store_byte v[0:1], v5, off
.LBB14_311:
	s_mov_b64 s[24:25], -1
.LBB14_312:
	s_mov_b64 s[28:29], 0
.LBB14_313:
	s_and_b64 vcc, exec, s[28:29]
	s_cbranch_vccz .LBB14_354
; %bb.314:
	s_cmp_gt_i32 s34, 22
	s_mov_b64 s[28:29], -1
	s_cbranch_scc0 .LBB14_346
; %bb.315:
	s_cmp_lt_i32 s34, 24
	s_mov_b64 s[24:25], -1
	s_cbranch_scc1 .LBB14_335
; %bb.316:
	s_cmp_gt_i32 s34, 24
	s_cbranch_scc0 .LBB14_324
; %bb.317:
	v_cvt_f32_ubyte0_e32 v4, v2
	s_mov_b32 s24, 0x47800000
	v_cmp_gt_u32_e32 vcc, s24, v4
	v_mov_b32_e32 v5, 0x80
	s_and_saveexec_b64 s[24:25], vcc
	s_cbranch_execz .LBB14_323
; %bb.318:
	s_mov_b32 s28, 0x37ffffff
	v_cmp_lt_u32_e32 vcc, s28, v4
	s_mov_b64 s[28:29], 0
                                        ; implicit-def: $vgpr3
	s_and_saveexec_b64 s[30:31], vcc
	s_xor_b64 s[30:31], exec, s[30:31]
	s_cbranch_execz .LBB14_521
; %bb.319:
	v_bfe_u32 v3, v4, 21, 1
	s_mov_b32 s35, 0x88fffff
	v_add3_u32 v3, v4, v3, s35
	s_mov_b64 s[28:29], exec
	v_lshrrev_b32_e32 v3, 21, v3
                                        ; implicit-def: $vgpr4
	s_andn2_saveexec_b64 s[30:31], s[30:31]
	s_cbranch_execnz .LBB14_522
.LBB14_320:
	s_or_b64 exec, exec, s[30:31]
	v_mov_b32_e32 v5, 0
	s_and_saveexec_b64 s[30:31], s[28:29]
.LBB14_321:
	v_mov_b32_e32 v5, v3
.LBB14_322:
	s_or_b64 exec, exec, s[30:31]
.LBB14_323:
	s_or_b64 exec, exec, s[24:25]
	s_mov_b64 s[24:25], 0
	global_store_byte v[0:1], v5, off
.LBB14_324:
	s_and_b64 vcc, exec, s[24:25]
	s_cbranch_vccz .LBB14_334
; %bb.325:
	v_cvt_f32_ubyte0_e32 v3, v2
	s_mov_b32 s24, 0x43f00000
	v_cmp_gt_u32_e32 vcc, s24, v3
                                        ; implicit-def: $vgpr4
	s_and_saveexec_b64 s[24:25], vcc
	s_xor_b64 s[24:25], exec, s[24:25]
	s_cbranch_execz .LBB14_331
; %bb.326:
	s_mov_b32 s28, 0x3c7fffff
	v_cmp_lt_u32_e32 vcc, s28, v3
                                        ; implicit-def: $vgpr4
	s_and_saveexec_b64 s[28:29], vcc
	s_xor_b64 s[28:29], exec, s[28:29]
; %bb.327:
	v_bfe_u32 v4, v3, 20, 1
	s_mov_b32 s30, 0x407ffff
	v_add3_u32 v3, v3, v4, s30
	v_lshrrev_b32_e32 v4, 20, v3
	v_and_b32_e32 v3, 0xff00000, v3
	s_mov_b32 s30, 0x7f00000
	v_mov_b32_e32 v5, 0x7e
	v_cmp_ne_u32_e32 vcc, s30, v3
	v_cndmask_b32_e32 v4, v5, v4, vcc
                                        ; implicit-def: $vgpr3
; %bb.328:
	s_andn2_saveexec_b64 s[28:29], s[28:29]
; %bb.329:
	v_add_f32_e32 v4, 0x46800000, v3
; %bb.330:
	s_or_b64 exec, exec, s[28:29]
                                        ; implicit-def: $vgpr3
.LBB14_331:
	s_andn2_saveexec_b64 s[24:25], s[24:25]
; %bb.332:
	s_mov_b32 s28, 0x7f800000
	v_mov_b32_e32 v4, 0x7e
	v_mov_b32_e32 v5, 0x7f
	v_cmp_lt_u32_e32 vcc, s28, v3
	v_cndmask_b32_e32 v4, v4, v5, vcc
; %bb.333:
	s_or_b64 exec, exec, s[24:25]
	global_store_byte v[0:1], v4, off
.LBB14_334:
	s_mov_b64 s[24:25], 0
.LBB14_335:
	s_andn2_b64 vcc, exec, s[24:25]
	s_cbranch_vccnz .LBB14_345
; %bb.336:
	v_cvt_f32_ubyte0_e32 v3, v2
	s_mov_b32 s24, 0x47800000
	v_cmp_gt_u32_e32 vcc, s24, v3
                                        ; implicit-def: $vgpr4
	s_and_saveexec_b64 s[24:25], vcc
	s_xor_b64 s[24:25], exec, s[24:25]
	s_cbranch_execz .LBB14_342
; %bb.337:
	s_mov_b32 s28, 0x387fffff
	v_cmp_lt_u32_e32 vcc, s28, v3
                                        ; implicit-def: $vgpr4
	s_and_saveexec_b64 s[28:29], vcc
	s_xor_b64 s[28:29], exec, s[28:29]
; %bb.338:
	v_bfe_u32 v4, v3, 21, 1
	s_mov_b32 s30, 0x80fffff
	v_add3_u32 v3, v3, v4, s30
	v_lshrrev_b32_e32 v4, 21, v3
                                        ; implicit-def: $vgpr3
; %bb.339:
	s_andn2_saveexec_b64 s[28:29], s[28:29]
; %bb.340:
	v_add_f32_e32 v4, 0x43000000, v3
; %bb.341:
	s_or_b64 exec, exec, s[28:29]
                                        ; implicit-def: $vgpr3
.LBB14_342:
	s_andn2_saveexec_b64 s[24:25], s[24:25]
; %bb.343:
	s_mov_b32 s28, 0x7f800000
	v_mov_b32_e32 v4, 0x7c
	v_mov_b32_e32 v5, 0x7f
	v_cmp_lt_u32_e32 vcc, s28, v3
	v_cndmask_b32_e32 v4, v4, v5, vcc
; %bb.344:
	s_or_b64 exec, exec, s[24:25]
	global_store_byte v[0:1], v4, off
.LBB14_345:
	s_mov_b64 s[28:29], 0
	s_mov_b64 s[24:25], -1
.LBB14_346:
	s_andn2_b64 vcc, exec, s[28:29]
	s_cbranch_vccnz .LBB14_354
; %bb.347:
	s_cmp_gt_i32 s34, 14
	s_mov_b64 s[28:29], -1
	s_cbranch_scc0 .LBB14_351
; %bb.348:
	s_cmp_eq_u32 s34, 15
	s_mov_b64 s[0:1], -1
	s_cbranch_scc0 .LBB14_350
; %bb.349:
	v_cvt_f32_ubyte0_e32 v3, v2
	v_bfe_u32 v4, v3, 16, 1
	s_movk_i32 s0, 0x7fff
	v_add3_u32 v3, v3, v4, s0
	global_store_short_d16_hi v[0:1], v3, off
	s_mov_b64 s[24:25], -1
	s_mov_b64 s[0:1], 0
.LBB14_350:
	s_mov_b64 s[28:29], 0
.LBB14_351:
	s_and_b64 vcc, exec, s[28:29]
	s_cbranch_vccz .LBB14_354
; %bb.352:
	s_cmp_eq_u32 s34, 11
	s_mov_b64 s[0:1], -1
	s_cbranch_scc0 .LBB14_354
; %bb.353:
	v_mov_b32_e32 v3, 0
	v_cmp_ne_u16_sdwa s[0:1], v2, v3 src0_sel:BYTE_0 src1_sel:DWORD
	v_cndmask_b32_e64 v3, 0, 1, s[0:1]
	s_mov_b64 s[24:25], -1
	s_mov_b64 s[0:1], 0
	global_store_byte v[0:1], v3, off
.LBB14_354:
	s_mov_b64 s[28:29], 0
.LBB14_355:
	s_and_b64 vcc, exec, s[28:29]
	s_cbranch_vccz .LBB14_394
; %bb.356:
	s_and_b32 s3, 0xffff, s3
	s_cmp_lt_i32 s3, 5
	s_mov_b64 s[24:25], -1
	s_cbranch_scc1 .LBB14_377
; %bb.357:
	s_cmp_lt_i32 s3, 8
	s_cbranch_scc1 .LBB14_367
; %bb.358:
	s_cmp_lt_i32 s3, 9
	s_cbranch_scc1 .LBB14_364
; %bb.359:
	s_cmp_gt_i32 s3, 9
	s_cbranch_scc0 .LBB14_361
; %bb.360:
	s_mov_b32 s24, 0xffff
	v_and_b32_sdwa v3, s24, v2 dst_sel:DWORD dst_unused:UNUSED_PAD src0_sel:DWORD src1_sel:BYTE_0
	v_cvt_f64_u32_e32 v[3:4], v3
	v_mov_b32_e32 v5, 0
	v_mov_b32_e32 v6, v5
	s_mov_b64 s[24:25], 0
	global_store_dwordx4 v[0:1], v[3:6], off
.LBB14_361:
	s_andn2_b64 vcc, exec, s[24:25]
	s_cbranch_vccnz .LBB14_363
; %bb.362:
	v_cvt_f32_ubyte0_e32 v3, v2
	v_mov_b32_e32 v4, 0
	global_store_dwordx2 v[0:1], v[3:4], off
.LBB14_363:
	s_mov_b64 s[24:25], 0
.LBB14_364:
	s_andn2_b64 vcc, exec, s[24:25]
	s_cbranch_vccnz .LBB14_366
; %bb.365:
	v_cvt_f16_u16_sdwa v3, v2 dst_sel:DWORD dst_unused:UNUSED_PAD src0_sel:BYTE_0
	global_store_dword v[0:1], v3, off
.LBB14_366:
	s_mov_b64 s[24:25], 0
.LBB14_367:
	s_andn2_b64 vcc, exec, s[24:25]
	s_cbranch_vccnz .LBB14_376
; %bb.368:
	s_cmp_lt_i32 s3, 6
	s_mov_b64 s[24:25], -1
	s_cbranch_scc1 .LBB14_374
; %bb.369:
	s_cmp_gt_i32 s3, 6
	s_cbranch_scc0 .LBB14_371
; %bb.370:
	s_mov_b32 s24, 0xffff
	v_and_b32_sdwa v3, s24, v2 dst_sel:DWORD dst_unused:UNUSED_PAD src0_sel:DWORD src1_sel:BYTE_0
	v_cvt_f64_u32_e32 v[3:4], v3
	s_mov_b64 s[24:25], 0
	global_store_dwordx2 v[0:1], v[3:4], off
.LBB14_371:
	s_andn2_b64 vcc, exec, s[24:25]
	s_cbranch_vccnz .LBB14_373
; %bb.372:
	v_cvt_f32_ubyte0_e32 v3, v2
	global_store_dword v[0:1], v3, off
.LBB14_373:
	s_mov_b64 s[24:25], 0
.LBB14_374:
	s_andn2_b64 vcc, exec, s[24:25]
	s_cbranch_vccnz .LBB14_376
; %bb.375:
	v_cvt_f16_u16_sdwa v3, v2 dst_sel:DWORD dst_unused:UNUSED_PAD src0_sel:BYTE_0
	global_store_short v[0:1], v3, off
.LBB14_376:
	s_mov_b64 s[24:25], 0
.LBB14_377:
	s_andn2_b64 vcc, exec, s[24:25]
	s_cbranch_vccnz .LBB14_393
; %bb.378:
	s_cmp_lt_i32 s3, 2
	s_mov_b64 s[24:25], -1
	s_cbranch_scc1 .LBB14_388
; %bb.379:
	s_cmp_lt_i32 s3, 3
	s_cbranch_scc1 .LBB14_385
; %bb.380:
	s_cmp_gt_i32 s3, 3
	s_cbranch_scc0 .LBB14_382
; %bb.381:
	v_and_b32_e32 v3, 0xff, v2
	v_mov_b32_e32 v4, 0
	s_mov_b64 s[24:25], 0
	global_store_dwordx2 v[0:1], v[3:4], off
.LBB14_382:
	s_andn2_b64 vcc, exec, s[24:25]
	s_cbranch_vccnz .LBB14_384
; %bb.383:
	v_and_b32_e32 v3, 0xff, v2
	global_store_dword v[0:1], v3, off
.LBB14_384:
	s_mov_b64 s[24:25], 0
.LBB14_385:
	s_andn2_b64 vcc, exec, s[24:25]
	s_cbranch_vccnz .LBB14_387
; %bb.386:
	v_and_b32_e32 v3, 0xff, v2
	global_store_short v[0:1], v3, off
.LBB14_387:
	s_mov_b64 s[24:25], 0
.LBB14_388:
	s_andn2_b64 vcc, exec, s[24:25]
	s_cbranch_vccnz .LBB14_393
; %bb.389:
	s_cmp_gt_i32 s3, 0
	s_mov_b64 s[24:25], -1
	s_cbranch_scc0 .LBB14_391
; %bb.390:
	s_mov_b64 s[24:25], 0
	global_store_byte v[0:1], v2, off
.LBB14_391:
	s_andn2_b64 vcc, exec, s[24:25]
	s_cbranch_vccnz .LBB14_393
; %bb.392:
	global_store_byte v[0:1], v2, off
.LBB14_393:
	s_mov_b64 s[24:25], -1
.LBB14_394:
	s_andn2_b64 vcc, exec, s[24:25]
	s_cbranch_vccnz .LBB14_396
; %bb.395:
	v_add_u32_e32 v7, 0x80, v7
	s_mov_b64 s[28:29], -1
	s_branch .LBB14_504
.LBB14_396:
	s_mov_b64 s[28:29], 0
                                        ; implicit-def: $vgpr7
	s_branch .LBB14_504
.LBB14_397:
	s_mov_b64 s[22:23], -1
                                        ; implicit-def: $vgpr2
.LBB14_398:
	s_mov_b64 s[24:25], 0
.LBB14_399:
	s_and_b64 vcc, exec, s[24:25]
	s_cbranch_vccz .LBB14_403
; %bb.400:
	s_cmp_eq_u32 s28, 29
	s_cbranch_scc0 .LBB14_402
; %bb.401:
	global_load_dwordx2 v[2:3], v[0:1], off
	s_mov_b64 s[0:1], -1
	s_mov_b64 s[22:23], 0
	s_branch .LBB14_403
.LBB14_402:
	s_mov_b64 s[22:23], -1
                                        ; implicit-def: $vgpr2
.LBB14_403:
	s_mov_b64 s[24:25], 0
.LBB14_404:
	s_and_b64 vcc, exec, s[24:25]
	s_cbranch_vccz .LBB14_420
; %bb.405:
	s_cmp_lt_i32 s28, 27
	s_cbranch_scc1 .LBB14_408
; %bb.406:
	s_cmp_gt_i32 s28, 27
	s_cbranch_scc0 .LBB14_409
; %bb.407:
	global_load_dword v2, v[0:1], off
	s_mov_b64 s[0:1], 0
	s_branch .LBB14_410
.LBB14_408:
	s_mov_b64 s[0:1], -1
                                        ; implicit-def: $vgpr2
	s_branch .LBB14_413
.LBB14_409:
	s_mov_b64 s[0:1], -1
                                        ; implicit-def: $vgpr2
.LBB14_410:
	s_andn2_b64 vcc, exec, s[0:1]
	s_cbranch_vccnz .LBB14_412
; %bb.411:
	global_load_ushort v2, v[0:1], off
.LBB14_412:
	s_mov_b64 s[0:1], 0
.LBB14_413:
	s_andn2_b64 vcc, exec, s[0:1]
	s_cbranch_vccnz .LBB14_419
; %bb.414:
	global_load_ubyte v3, v[0:1], off
	s_movk_i32 s0, 0x7f
	s_mov_b64 s[24:25], 0
	s_waitcnt vmcnt(0)
	v_cmp_lt_i16_e32 vcc, s0, v3
	s_and_saveexec_b64 s[0:1], vcc
	s_xor_b64 s[0:1], exec, s[0:1]
	s_cbranch_execz .LBB14_431
; %bb.415:
	s_movk_i32 s24, 0x80
	v_cmp_ne_u16_e32 vcc, s24, v3
	s_and_b64 s[24:25], vcc, exec
	s_andn2_saveexec_b64 s[0:1], s[0:1]
	s_cbranch_execnz .LBB14_432
.LBB14_416:
	s_or_b64 exec, exec, s[0:1]
	v_mov_b32_e32 v2, 0
	s_and_saveexec_b64 s[0:1], s[24:25]
	s_cbranch_execz .LBB14_418
.LBB14_417:
	v_lshlrev_b32_e32 v2, 24, v3
	v_and_b32_e32 v3, 0xffff, v3
	v_and_b32_e32 v4, 7, v3
	v_ffbh_u32_e32 v6, v4
	v_min_u32_e32 v6, 32, v6
	v_subrev_u32_e32 v8, 28, v6
	v_bfe_u32 v5, v3, 3, 4
	v_lshlrev_b32_e32 v3, v8, v3
	v_sub_u32_e32 v6, 29, v6
	v_and_b32_e32 v3, 7, v3
	v_cmp_eq_u32_e32 vcc, 0, v5
	v_cndmask_b32_e32 v5, v5, v6, vcc
	v_cndmask_b32_e32 v3, v4, v3, vcc
	v_mov_b32_e32 v4, 0x3b800000
	v_lshlrev_b32_e32 v3, 20, v3
	v_and_b32_e32 v2, 0x80000000, v2
	v_lshl_add_u32 v4, v5, 23, v4
	v_or3_b32 v2, v2, v4, v3
	v_trunc_f32_e32 v2, v2
	s_mov_b32 s24, 0x2f800000
	v_mul_f32_e64 v3, |v2|, s24
	v_floor_f32_e32 v3, v3
	s_mov_b32 s24, 0xcf800000
	v_fma_f32 v3, v3, s24, |v2|
	v_cvt_u32_f32_e32 v3, v3
	v_ashrrev_i32_e32 v2, 31, v2
	v_xor_b32_e32 v3, v3, v2
	v_sub_u32_e32 v2, v3, v2
.LBB14_418:
	s_or_b64 exec, exec, s[0:1]
.LBB14_419:
	s_mov_b64 s[0:1], -1
.LBB14_420:
	s_mov_b64 s[24:25], 0
.LBB14_421:
	s_and_b64 vcc, exec, s[24:25]
	s_cbranch_vccz .LBB14_454
; %bb.422:
	s_cmp_gt_i32 s28, 22
	s_cbranch_scc0 .LBB14_430
; %bb.423:
	s_cmp_lt_i32 s28, 24
	s_cbranch_scc1 .LBB14_433
; %bb.424:
	s_cmp_gt_i32 s28, 24
	s_cbranch_scc0 .LBB14_434
; %bb.425:
	global_load_ubyte v3, v[0:1], off
	s_movk_i32 s0, 0x7f
	s_mov_b64 s[24:25], 0
	s_waitcnt vmcnt(0)
	v_cmp_lt_i16_e32 vcc, s0, v3
	s_and_saveexec_b64 s[0:1], vcc
	s_xor_b64 s[0:1], exec, s[0:1]
	s_cbranch_execz .LBB14_446
; %bb.426:
	s_movk_i32 s24, 0x80
	v_cmp_ne_u16_e32 vcc, s24, v3
	s_and_b64 s[24:25], vcc, exec
	s_andn2_saveexec_b64 s[0:1], s[0:1]
	s_cbranch_execnz .LBB14_447
.LBB14_427:
	s_or_b64 exec, exec, s[0:1]
	v_mov_b32_e32 v2, 0
	s_and_saveexec_b64 s[0:1], s[24:25]
	s_cbranch_execz .LBB14_429
.LBB14_428:
	v_lshlrev_b32_e32 v2, 24, v3
	v_and_b32_e32 v3, 0xffff, v3
	v_and_b32_e32 v4, 3, v3
	v_ffbh_u32_e32 v6, v4
	v_min_u32_e32 v6, 32, v6
	v_subrev_u32_e32 v8, 29, v6
	v_bfe_u32 v5, v3, 2, 5
	v_lshlrev_b32_e32 v3, v8, v3
	v_sub_u32_e32 v6, 30, v6
	v_and_b32_e32 v3, 3, v3
	v_cmp_eq_u32_e32 vcc, 0, v5
	v_cndmask_b32_e32 v5, v5, v6, vcc
	v_cndmask_b32_e32 v3, v4, v3, vcc
	v_mov_b32_e32 v4, 0x37800000
	v_lshlrev_b32_e32 v3, 21, v3
	v_and_b32_e32 v2, 0x80000000, v2
	v_lshl_add_u32 v4, v5, 23, v4
	v_or3_b32 v2, v2, v4, v3
	v_trunc_f32_e32 v2, v2
	s_mov_b32 s24, 0x2f800000
	v_mul_f32_e64 v3, |v2|, s24
	v_floor_f32_e32 v3, v3
	s_mov_b32 s24, 0xcf800000
	v_fma_f32 v3, v3, s24, |v2|
	v_cvt_u32_f32_e32 v3, v3
	v_ashrrev_i32_e32 v2, 31, v2
	v_xor_b32_e32 v3, v3, v2
	v_sub_u32_e32 v2, v3, v2
.LBB14_429:
	s_or_b64 exec, exec, s[0:1]
	s_mov_b64 s[0:1], 0
	s_branch .LBB14_435
.LBB14_430:
	s_mov_b64 s[24:25], -1
                                        ; implicit-def: $vgpr2
	s_branch .LBB14_441
.LBB14_431:
	s_andn2_saveexec_b64 s[0:1], s[0:1]
	s_cbranch_execz .LBB14_416
.LBB14_432:
	v_cmp_ne_u16_e32 vcc, 0, v3
	s_andn2_b64 s[24:25], s[24:25], exec
	s_and_b64 s[30:31], vcc, exec
	s_or_b64 s[24:25], s[24:25], s[30:31]
	s_or_b64 exec, exec, s[0:1]
	v_mov_b32_e32 v2, 0
	s_and_saveexec_b64 s[0:1], s[24:25]
	s_cbranch_execnz .LBB14_417
	s_branch .LBB14_418
.LBB14_433:
	s_mov_b64 s[0:1], -1
                                        ; implicit-def: $vgpr2
	s_branch .LBB14_438
.LBB14_434:
	s_mov_b64 s[0:1], -1
                                        ; implicit-def: $vgpr2
.LBB14_435:
	s_and_b64 vcc, exec, s[0:1]
	s_cbranch_vccz .LBB14_437
; %bb.436:
	global_load_ubyte v2, v[0:1], off
	s_mov_b32 s0, 0x7f800000
	s_brev_b32 s1, 1
	s_mov_b32 s24, 0x2f800000
	s_waitcnt vmcnt(0)
	v_lshlrev_b32_e32 v2, 24, v2
	v_and_b32_e32 v3, 0x7f000000, v2
	v_ffbh_u32_e32 v4, v3
	v_min_u32_e32 v4, 32, v4
	v_sub_u32_e64 v4, v4, 4 clamp
	v_lshlrev_b32_e32 v6, v4, v3
	v_lshlrev_b32_e32 v4, 23, v4
	v_lshrrev_b32_e32 v6, 4, v6
	v_add_u32_e32 v5, 0x1000000, v3
	v_sub_u32_e32 v4, v6, v4
	v_ashrrev_i32_e32 v5, 8, v5
	v_add_u32_e32 v4, 0x3c000000, v4
	v_and_or_b32 v4, v5, s0, v4
	v_cmp_ne_u32_e32 vcc, 0, v3
	v_cndmask_b32_e32 v3, 0, v4, vcc
	v_and_or_b32 v2, v2, s1, v3
	v_trunc_f32_e32 v2, v2
	v_mul_f32_e64 v3, |v2|, s24
	v_floor_f32_e32 v3, v3
	s_mov_b32 s0, 0xcf800000
	v_fma_f32 v3, v3, s0, |v2|
	v_cvt_u32_f32_e32 v3, v3
	v_ashrrev_i32_e32 v2, 31, v2
	v_xor_b32_e32 v3, v3, v2
	v_sub_u32_e32 v2, v3, v2
.LBB14_437:
	s_mov_b64 s[0:1], 0
.LBB14_438:
	s_andn2_b64 vcc, exec, s[0:1]
	s_cbranch_vccnz .LBB14_440
; %bb.439:
	global_load_ubyte v2, v[0:1], off
	s_movk_i32 s0, 0x7f00
	s_brev_b32 s1, 16
	s_brev_b32 s24, 1
	s_mov_b32 s25, 0x2f800000
	s_waitcnt vmcnt(0)
	v_lshlrev_b16_e32 v3, 8, v2
	v_lshlrev_b32_e32 v2, 25, v2
	v_lshrrev_b32_e32 v4, 4, v2
	v_and_or_b32 v5, v3, s0, 0.5
	v_or_b32_e32 v4, 0x70000000, v4
	v_add_f32_e32 v5, -0.5, v5
	v_mul_f32_e32 v4, 0x7800000, v4
	v_cmp_gt_u32_e32 vcc, s1, v2
	v_bfe_i32 v3, v3, 0, 16
	v_cndmask_b32_e32 v2, v4, v5, vcc
	v_and_or_b32 v2, v3, s24, v2
	v_trunc_f32_e32 v2, v2
	v_mul_f32_e64 v3, |v2|, s25
	v_floor_f32_e32 v3, v3
	s_mov_b32 s0, 0xcf800000
	v_fma_f32 v3, v3, s0, |v2|
	v_cvt_u32_f32_e32 v3, v3
	v_ashrrev_i32_e32 v2, 31, v2
	v_xor_b32_e32 v3, v3, v2
	v_sub_u32_e32 v2, v3, v2
.LBB14_440:
	s_mov_b64 s[24:25], 0
	s_mov_b64 s[0:1], -1
.LBB14_441:
	s_andn2_b64 vcc, exec, s[24:25]
	s_cbranch_vccnz .LBB14_454
; %bb.442:
	s_cmp_gt_i32 s28, 14
	s_cbranch_scc0 .LBB14_445
; %bb.443:
	s_cmp_eq_u32 s28, 15
	s_cbranch_scc0 .LBB14_448
; %bb.444:
	global_load_ushort v2, v[0:1], off
	s_mov_b32 s0, 0x2f800000
	s_mov_b32 s1, 0xcf800000
	s_mov_b64 s[22:23], 0
	s_waitcnt vmcnt(0)
	v_lshlrev_b32_e32 v2, 16, v2
	v_trunc_f32_e32 v2, v2
	v_mul_f32_e64 v3, |v2|, s0
	v_floor_f32_e32 v3, v3
	v_fma_f32 v3, v3, s1, |v2|
	v_cvt_u32_f32_e32 v3, v3
	v_ashrrev_i32_e32 v2, 31, v2
	s_mov_b64 s[0:1], -1
	v_xor_b32_e32 v3, v3, v2
	v_sub_u32_e32 v2, v3, v2
	s_branch .LBB14_449
.LBB14_445:
	s_mov_b64 s[24:25], -1
                                        ; implicit-def: $vgpr2
	s_branch .LBB14_450
.LBB14_446:
	s_andn2_saveexec_b64 s[0:1], s[0:1]
	s_cbranch_execz .LBB14_427
.LBB14_447:
	v_cmp_ne_u16_e32 vcc, 0, v3
	s_andn2_b64 s[24:25], s[24:25], exec
	s_and_b64 s[30:31], vcc, exec
	s_or_b64 s[24:25], s[24:25], s[30:31]
	s_or_b64 exec, exec, s[0:1]
	v_mov_b32_e32 v2, 0
	s_and_saveexec_b64 s[0:1], s[24:25]
	s_cbranch_execnz .LBB14_428
	s_branch .LBB14_429
.LBB14_448:
	s_mov_b64 s[22:23], -1
                                        ; implicit-def: $vgpr2
.LBB14_449:
	s_mov_b64 s[24:25], 0
.LBB14_450:
	s_and_b64 vcc, exec, s[24:25]
	s_cbranch_vccz .LBB14_454
; %bb.451:
	s_cmp_eq_u32 s28, 11
	s_cbranch_scc0 .LBB14_453
; %bb.452:
	global_load_ubyte v2, v[0:1], off
	s_mov_b64 s[0:1], -1
	s_mov_b64 s[22:23], 0
	s_waitcnt vmcnt(0)
	v_cmp_ne_u16_e32 vcc, 0, v2
	v_cndmask_b32_e64 v2, 0, 1, vcc
	s_branch .LBB14_454
.LBB14_453:
	s_mov_b64 s[22:23], -1
                                        ; implicit-def: $vgpr2
.LBB14_454:
	s_branch .LBB14_261
.LBB14_455:
	s_and_b32 s3, 0xffff, s3
	s_cmp_lt_i32 s3, 5
	s_cbranch_scc1 .LBB14_460
; %bb.456:
	s_cmp_lt_i32 s3, 8
	s_cbranch_scc1 .LBB14_461
; %bb.457:
	;; [unrolled: 3-line block ×3, first 2 shown]
	s_cmp_gt_i32 s3, 9
	s_cbranch_scc0 .LBB14_463
; %bb.459:
	global_load_dwordx2 v[2:3], v[0:1], off
	s_movk_i32 s0, 0xffe0
	s_waitcnt vmcnt(0)
	v_trunc_f64_e32 v[2:3], v[2:3]
	v_ldexp_f64 v[4:5], v[2:3], s0
	s_mov_b32 s0, 0
	s_mov_b32 s1, 0xc1f00000
	v_floor_f64_e32 v[4:5], v[4:5]
	v_fma_f64 v[2:3], v[4:5], s[0:1], v[2:3]
	s_mov_b64 s[0:1], 0
	v_cvt_u32_f64_e32 v2, v[2:3]
	s_branch .LBB14_464
.LBB14_460:
	s_mov_b64 s[0:1], -1
                                        ; implicit-def: $vgpr2
	s_branch .LBB14_482
.LBB14_461:
	s_mov_b64 s[0:1], -1
                                        ; implicit-def: $vgpr2
	s_branch .LBB14_470
.LBB14_462:
	s_mov_b64 s[0:1], -1
                                        ; implicit-def: $vgpr2
	s_branch .LBB14_467
.LBB14_463:
	s_mov_b64 s[0:1], -1
                                        ; implicit-def: $vgpr2
.LBB14_464:
	s_andn2_b64 vcc, exec, s[0:1]
	s_cbranch_vccnz .LBB14_466
; %bb.465:
	global_load_dword v2, v[0:1], off
	s_mov_b32 s0, 0x2f800000
	s_waitcnt vmcnt(0)
	v_trunc_f32_e32 v2, v2
	v_mul_f32_e64 v3, |v2|, s0
	v_floor_f32_e32 v3, v3
	s_mov_b32 s0, 0xcf800000
	v_fma_f32 v3, v3, s0, |v2|
	v_cvt_u32_f32_e32 v3, v3
	v_ashrrev_i32_e32 v2, 31, v2
	v_xor_b32_e32 v3, v3, v2
	v_sub_u32_e32 v2, v3, v2
.LBB14_466:
	s_mov_b64 s[0:1], 0
.LBB14_467:
	s_andn2_b64 vcc, exec, s[0:1]
	s_cbranch_vccnz .LBB14_469
; %bb.468:
	global_load_dword v2, v[0:1], off
	s_waitcnt vmcnt(0)
	v_cvt_f32_f16_e32 v2, v2
	v_cvt_i32_f32_e32 v2, v2
.LBB14_469:
	s_mov_b64 s[0:1], 0
.LBB14_470:
	s_andn2_b64 vcc, exec, s[0:1]
	s_cbranch_vccnz .LBB14_481
; %bb.471:
	s_cmp_lt_i32 s3, 6
	s_cbranch_scc1 .LBB14_474
; %bb.472:
	s_cmp_gt_i32 s3, 6
	s_cbranch_scc0 .LBB14_475
; %bb.473:
	global_load_dwordx2 v[2:3], v[0:1], off
	s_movk_i32 s0, 0xffe0
	s_waitcnt vmcnt(0)
	v_trunc_f64_e32 v[2:3], v[2:3]
	v_ldexp_f64 v[4:5], v[2:3], s0
	s_mov_b32 s0, 0
	s_mov_b32 s1, 0xc1f00000
	v_floor_f64_e32 v[4:5], v[4:5]
	v_fma_f64 v[2:3], v[4:5], s[0:1], v[2:3]
	s_mov_b64 s[0:1], 0
	v_cvt_u32_f64_e32 v2, v[2:3]
	s_branch .LBB14_476
.LBB14_474:
	s_mov_b64 s[0:1], -1
                                        ; implicit-def: $vgpr2
	s_branch .LBB14_479
.LBB14_475:
	s_mov_b64 s[0:1], -1
                                        ; implicit-def: $vgpr2
.LBB14_476:
	s_andn2_b64 vcc, exec, s[0:1]
	s_cbranch_vccnz .LBB14_478
; %bb.477:
	global_load_dword v2, v[0:1], off
	s_mov_b32 s0, 0x2f800000
	s_waitcnt vmcnt(0)
	v_trunc_f32_e32 v2, v2
	v_mul_f32_e64 v3, |v2|, s0
	v_floor_f32_e32 v3, v3
	s_mov_b32 s0, 0xcf800000
	v_fma_f32 v3, v3, s0, |v2|
	v_cvt_u32_f32_e32 v3, v3
	v_ashrrev_i32_e32 v2, 31, v2
	v_xor_b32_e32 v3, v3, v2
	v_sub_u32_e32 v2, v3, v2
.LBB14_478:
	s_mov_b64 s[0:1], 0
.LBB14_479:
	s_andn2_b64 vcc, exec, s[0:1]
	s_cbranch_vccnz .LBB14_481
; %bb.480:
	global_load_ushort v2, v[0:1], off
	s_waitcnt vmcnt(0)
	v_cvt_f32_f16_e32 v2, v2
	v_cvt_i32_f32_e32 v2, v2
.LBB14_481:
	s_mov_b64 s[0:1], 0
.LBB14_482:
	s_andn2_b64 vcc, exec, s[0:1]
	s_cbranch_vccnz .LBB14_502
; %bb.483:
	s_cmp_lt_i32 s3, 2
	s_cbranch_scc1 .LBB14_487
; %bb.484:
	s_cmp_lt_i32 s3, 3
	s_cbranch_scc1 .LBB14_488
; %bb.485:
	s_cmp_gt_i32 s3, 3
	s_cbranch_scc0 .LBB14_489
; %bb.486:
	global_load_dwordx2 v[2:3], v[0:1], off
	s_mov_b64 s[0:1], 0
	s_branch .LBB14_490
.LBB14_487:
	s_mov_b64 s[0:1], -1
                                        ; implicit-def: $vgpr2
	s_branch .LBB14_496
.LBB14_488:
	s_mov_b64 s[0:1], -1
                                        ; implicit-def: $vgpr2
	s_branch .LBB14_493
.LBB14_489:
	s_mov_b64 s[0:1], -1
                                        ; implicit-def: $vgpr2
.LBB14_490:
	s_andn2_b64 vcc, exec, s[0:1]
	s_cbranch_vccnz .LBB14_492
; %bb.491:
	global_load_dword v2, v[0:1], off
.LBB14_492:
	s_mov_b64 s[0:1], 0
.LBB14_493:
	s_andn2_b64 vcc, exec, s[0:1]
	s_cbranch_vccnz .LBB14_495
; %bb.494:
	global_load_ushort v2, v[0:1], off
.LBB14_495:
	s_mov_b64 s[0:1], 0
.LBB14_496:
	s_andn2_b64 vcc, exec, s[0:1]
	s_cbranch_vccnz .LBB14_502
; %bb.497:
	s_cmp_gt_i32 s3, 0
	s_cbranch_scc0 .LBB14_499
; %bb.498:
	global_load_ubyte v2, v[0:1], off
	s_mov_b64 s[0:1], 0
	s_branch .LBB14_500
.LBB14_499:
	s_mov_b64 s[0:1], -1
                                        ; implicit-def: $vgpr2
.LBB14_500:
	s_andn2_b64 vcc, exec, s[0:1]
	s_cbranch_vccnz .LBB14_502
; %bb.501:
	global_load_ubyte v2, v[0:1], off
.LBB14_502:
	s_branch .LBB14_262
.LBB14_503:
	s_mov_b64 s[28:29], 0
                                        ; implicit-def: $vgpr7
	s_mov_b64 s[0:1], s[16:17]
.LBB14_504:
	s_andn2_b64 s[24:25], s[16:17], exec
	s_and_b64 s[0:1], s[0:1], exec
	s_or_b64 s[24:25], s[24:25], s[0:1]
	s_andn2_b64 s[0:1], s[18:19], exec
	s_and_b64 s[22:23], s[22:23], exec
	s_or_b64 s[22:23], s[0:1], s[22:23]
	s_orn2_b64 s[0:1], s[28:29], exec
.LBB14_505:
	s_or_b64 exec, exec, s[26:27]
	s_mov_b64 s[28:29], 0
	s_mov_b64 s[30:31], 0
	;; [unrolled: 1-line block ×3, first 2 shown]
                                        ; implicit-def: $sgpr3
                                        ; implicit-def: $vgpr0_vgpr1
                                        ; implicit-def: $vgpr2
	s_and_saveexec_b64 s[26:27], s[0:1]
	s_cbranch_execz .LBB14_842
; %bb.506:
	v_cmp_gt_i32_e32 vcc, s42, v7
	s_mov_b64 s[38:39], -1
	s_mov_b64 s[0:1], s[22:23]
	s_mov_b64 s[34:35], s[24:25]
	s_and_saveexec_b64 s[28:29], vcc
	s_cbranch_execz .LBB14_760
; %bb.507:
	v_mul_lo_u32 v0, v7, s13
	v_mov_b32_e32 v1, s11
	s_and_b32 s3, s15, 0xff
	s_cmp_lt_i32 s3, 11
	s_waitcnt vmcnt(0)
	v_ashrrev_i32_e32 v2, 31, v0
	v_add_co_u32_e32 v0, vcc, s10, v0
	v_addc_co_u32_e32 v1, vcc, v1, v2, vcc
	s_cbranch_scc1 .LBB14_514
; %bb.508:
	s_and_b32 s36, 0xffff, s3
	s_cmp_gt_i32 s36, 25
	s_cbranch_scc0 .LBB14_515
; %bb.509:
	s_cmp_gt_i32 s36, 28
	s_cbranch_scc0 .LBB14_516
; %bb.510:
	;; [unrolled: 3-line block ×4, first 2 shown]
	s_cmp_eq_u32 s36, 46
	s_mov_b64 s[34:35], 0
	s_cbranch_scc0 .LBB14_523
; %bb.513:
	global_load_dword v2, v[0:1], off
	s_mov_b32 s0, 0x2f800000
	s_mov_b32 s1, 0xcf800000
	s_waitcnt vmcnt(0)
	v_lshlrev_b32_e32 v2, 16, v2
	v_trunc_f32_e32 v2, v2
	v_mul_f32_e64 v3, |v2|, s0
	v_floor_f32_e32 v3, v3
	v_fma_f32 v3, v3, s1, |v2|
	v_cvt_u32_f32_e32 v3, v3
	v_ashrrev_i32_e32 v2, 31, v2
	s_mov_b64 s[0:1], -1
	v_xor_b32_e32 v3, v3, v2
	v_sub_u32_e32 v2, v3, v2
	s_branch .LBB14_524
.LBB14_514:
	s_mov_b64 s[34:35], -1
	s_mov_b64 s[0:1], 0
                                        ; implicit-def: $vgpr2
	s_mov_b64 s[30:31], s[22:23]
	s_branch .LBB14_585
.LBB14_515:
	s_mov_b64 s[34:35], -1
	s_mov_b64 s[0:1], 0
	s_mov_b64 s[30:31], s[22:23]
                                        ; implicit-def: $vgpr2
	s_branch .LBB14_551
.LBB14_516:
	s_mov_b64 s[34:35], -1
	s_mov_b64 s[0:1], 0
	s_mov_b64 s[30:31], s[22:23]
                                        ; implicit-def: $vgpr2
	s_branch .LBB14_534
.LBB14_517:
	s_mov_b64 s[34:35], -1
	s_mov_b64 s[0:1], 0
	s_mov_b64 s[30:31], s[22:23]
                                        ; implicit-def: $vgpr2
	s_branch .LBB14_529
.LBB14_518:
	s_andn2_saveexec_b64 s[30:31], s[30:31]
	s_cbranch_execz .LBB14_307
.LBB14_519:
	v_add_f32_e32 v3, 0x46000000, v4
	v_and_b32_e32 v3, 0xff, v3
	v_cmp_ne_u32_e32 vcc, 0, v3
	s_andn2_b64 s[28:29], s[28:29], exec
	s_and_b64 s[36:37], vcc, exec
	s_or_b64 s[28:29], s[28:29], s[36:37]
	s_or_b64 exec, exec, s[30:31]
	v_mov_b32_e32 v5, 0
	s_and_saveexec_b64 s[30:31], s[28:29]
	s_cbranch_execnz .LBB14_308
	s_branch .LBB14_309
.LBB14_520:
	s_mov_b64 s[34:35], -1
	s_mov_b64 s[0:1], 0
	s_mov_b64 s[30:31], s[22:23]
                                        ; implicit-def: $vgpr2
	s_branch .LBB14_524
.LBB14_521:
	s_andn2_saveexec_b64 s[30:31], s[30:31]
	s_cbranch_execz .LBB14_320
.LBB14_522:
	v_add_f32_e32 v3, 0x42800000, v4
	v_and_b32_e32 v3, 0xff, v3
	v_cmp_ne_u32_e32 vcc, 0, v3
	s_andn2_b64 s[28:29], s[28:29], exec
	s_and_b64 s[36:37], vcc, exec
	s_or_b64 s[28:29], s[28:29], s[36:37]
	s_or_b64 exec, exec, s[30:31]
	v_mov_b32_e32 v5, 0
	s_and_saveexec_b64 s[30:31], s[28:29]
	s_cbranch_execnz .LBB14_321
	s_branch .LBB14_322
.LBB14_523:
	s_mov_b64 s[30:31], -1
                                        ; implicit-def: $vgpr2
	s_mov_b64 s[0:1], 0
.LBB14_524:
	s_and_b64 vcc, exec, s[34:35]
	s_cbranch_vccz .LBB14_528
; %bb.525:
	s_cmp_eq_u32 s36, 44
	s_cbranch_scc0 .LBB14_527
; %bb.526:
	global_load_ubyte v2, v[0:1], off
	s_mov_b32 s0, 0x2f800000
	s_mov_b32 s1, 0xcf800000
	s_mov_b64 s[30:31], 0
	s_waitcnt vmcnt(0)
	v_lshlrev_b32_e32 v3, 23, v2
	v_trunc_f32_e32 v3, v3
	v_mul_f32_e64 v4, |v3|, s0
	v_floor_f32_e32 v4, v4
	v_fma_f32 v4, v4, s1, |v3|
	v_cvt_u32_f32_e32 v4, v4
	v_ashrrev_i32_e32 v3, 31, v3
	v_cmp_ne_u32_e32 vcc, 0, v2
	s_mov_b64 s[0:1], -1
	v_xor_b32_e32 v4, v4, v3
	v_sub_u32_e32 v3, v4, v3
	v_cndmask_b32_e32 v2, 0, v3, vcc
	s_branch .LBB14_528
.LBB14_527:
	s_mov_b64 s[30:31], -1
                                        ; implicit-def: $vgpr2
.LBB14_528:
	s_mov_b64 s[34:35], 0
.LBB14_529:
	s_and_b64 vcc, exec, s[34:35]
	s_cbranch_vccz .LBB14_533
; %bb.530:
	s_cmp_eq_u32 s36, 29
	s_cbranch_scc0 .LBB14_532
; %bb.531:
	global_load_dwordx2 v[2:3], v[0:1], off
	s_mov_b64 s[0:1], -1
	s_mov_b64 s[30:31], 0
	s_branch .LBB14_533
.LBB14_532:
	s_mov_b64 s[30:31], -1
                                        ; implicit-def: $vgpr2
.LBB14_533:
	s_mov_b64 s[34:35], 0
.LBB14_534:
	s_and_b64 vcc, exec, s[34:35]
	s_cbranch_vccz .LBB14_550
; %bb.535:
	s_cmp_lt_i32 s36, 27
	s_cbranch_scc1 .LBB14_538
; %bb.536:
	s_cmp_gt_i32 s36, 27
	s_cbranch_scc0 .LBB14_539
; %bb.537:
	global_load_dword v2, v[0:1], off
	s_mov_b64 s[0:1], 0
	s_branch .LBB14_540
.LBB14_538:
	s_mov_b64 s[0:1], -1
                                        ; implicit-def: $vgpr2
	s_branch .LBB14_543
.LBB14_539:
	s_mov_b64 s[0:1], -1
                                        ; implicit-def: $vgpr2
.LBB14_540:
	s_andn2_b64 vcc, exec, s[0:1]
	s_cbranch_vccnz .LBB14_542
; %bb.541:
	global_load_ushort v2, v[0:1], off
.LBB14_542:
	s_mov_b64 s[0:1], 0
.LBB14_543:
	s_andn2_b64 vcc, exec, s[0:1]
	s_cbranch_vccnz .LBB14_549
; %bb.544:
	global_load_ubyte v3, v[0:1], off
	s_movk_i32 s0, 0x7f
	s_mov_b64 s[34:35], 0
	s_waitcnt vmcnt(0)
	v_cmp_lt_i16_e32 vcc, s0, v3
	s_and_saveexec_b64 s[0:1], vcc
	s_xor_b64 s[0:1], exec, s[0:1]
	s_cbranch_execz .LBB14_561
; %bb.545:
	s_movk_i32 s34, 0x80
	v_cmp_ne_u16_e32 vcc, s34, v3
	s_and_b64 s[34:35], vcc, exec
	s_andn2_saveexec_b64 s[0:1], s[0:1]
	s_cbranch_execnz .LBB14_562
.LBB14_546:
	s_or_b64 exec, exec, s[0:1]
	v_mov_b32_e32 v2, 0
	s_and_saveexec_b64 s[0:1], s[34:35]
	s_cbranch_execz .LBB14_548
.LBB14_547:
	v_lshlrev_b32_e32 v2, 24, v3
	v_and_b32_e32 v3, 0xffff, v3
	v_and_b32_e32 v4, 7, v3
	v_ffbh_u32_e32 v6, v4
	v_min_u32_e32 v6, 32, v6
	v_subrev_u32_e32 v8, 28, v6
	v_bfe_u32 v5, v3, 3, 4
	v_lshlrev_b32_e32 v3, v8, v3
	v_sub_u32_e32 v6, 29, v6
	v_and_b32_e32 v3, 7, v3
	v_cmp_eq_u32_e32 vcc, 0, v5
	v_cndmask_b32_e32 v5, v5, v6, vcc
	v_cndmask_b32_e32 v3, v4, v3, vcc
	v_mov_b32_e32 v4, 0x3b800000
	v_lshlrev_b32_e32 v3, 20, v3
	v_and_b32_e32 v2, 0x80000000, v2
	v_lshl_add_u32 v4, v5, 23, v4
	v_or3_b32 v2, v2, v4, v3
	v_trunc_f32_e32 v2, v2
	s_mov_b32 s34, 0x2f800000
	v_mul_f32_e64 v3, |v2|, s34
	v_floor_f32_e32 v3, v3
	s_mov_b32 s34, 0xcf800000
	v_fma_f32 v3, v3, s34, |v2|
	v_cvt_u32_f32_e32 v3, v3
	v_ashrrev_i32_e32 v2, 31, v2
	v_xor_b32_e32 v3, v3, v2
	v_sub_u32_e32 v2, v3, v2
.LBB14_548:
	s_or_b64 exec, exec, s[0:1]
.LBB14_549:
	s_mov_b64 s[0:1], -1
.LBB14_550:
	s_mov_b64 s[34:35], 0
.LBB14_551:
	s_and_b64 vcc, exec, s[34:35]
	s_cbranch_vccz .LBB14_584
; %bb.552:
	s_cmp_gt_i32 s36, 22
	s_cbranch_scc0 .LBB14_560
; %bb.553:
	s_cmp_lt_i32 s36, 24
	s_cbranch_scc1 .LBB14_563
; %bb.554:
	s_cmp_gt_i32 s36, 24
	s_cbranch_scc0 .LBB14_564
; %bb.555:
	global_load_ubyte v3, v[0:1], off
	s_movk_i32 s0, 0x7f
	s_mov_b64 s[34:35], 0
	s_waitcnt vmcnt(0)
	v_cmp_lt_i16_e32 vcc, s0, v3
	s_and_saveexec_b64 s[0:1], vcc
	s_xor_b64 s[0:1], exec, s[0:1]
	s_cbranch_execz .LBB14_576
; %bb.556:
	s_movk_i32 s34, 0x80
	v_cmp_ne_u16_e32 vcc, s34, v3
	s_and_b64 s[34:35], vcc, exec
	s_andn2_saveexec_b64 s[0:1], s[0:1]
	s_cbranch_execnz .LBB14_577
.LBB14_557:
	s_or_b64 exec, exec, s[0:1]
	v_mov_b32_e32 v2, 0
	s_and_saveexec_b64 s[0:1], s[34:35]
	s_cbranch_execz .LBB14_559
.LBB14_558:
	v_lshlrev_b32_e32 v2, 24, v3
	v_and_b32_e32 v3, 0xffff, v3
	v_and_b32_e32 v4, 3, v3
	v_ffbh_u32_e32 v6, v4
	v_min_u32_e32 v6, 32, v6
	v_subrev_u32_e32 v8, 29, v6
	v_bfe_u32 v5, v3, 2, 5
	v_lshlrev_b32_e32 v3, v8, v3
	v_sub_u32_e32 v6, 30, v6
	v_and_b32_e32 v3, 3, v3
	v_cmp_eq_u32_e32 vcc, 0, v5
	v_cndmask_b32_e32 v5, v5, v6, vcc
	v_cndmask_b32_e32 v3, v4, v3, vcc
	v_mov_b32_e32 v4, 0x37800000
	v_lshlrev_b32_e32 v3, 21, v3
	v_and_b32_e32 v2, 0x80000000, v2
	v_lshl_add_u32 v4, v5, 23, v4
	v_or3_b32 v2, v2, v4, v3
	v_trunc_f32_e32 v2, v2
	s_mov_b32 s34, 0x2f800000
	v_mul_f32_e64 v3, |v2|, s34
	v_floor_f32_e32 v3, v3
	s_mov_b32 s34, 0xcf800000
	v_fma_f32 v3, v3, s34, |v2|
	v_cvt_u32_f32_e32 v3, v3
	v_ashrrev_i32_e32 v2, 31, v2
	v_xor_b32_e32 v3, v3, v2
	v_sub_u32_e32 v2, v3, v2
.LBB14_559:
	s_or_b64 exec, exec, s[0:1]
	s_mov_b64 s[0:1], 0
	s_branch .LBB14_565
.LBB14_560:
	s_mov_b64 s[34:35], -1
                                        ; implicit-def: $vgpr2
	s_branch .LBB14_571
.LBB14_561:
	s_andn2_saveexec_b64 s[0:1], s[0:1]
	s_cbranch_execz .LBB14_546
.LBB14_562:
	v_cmp_ne_u16_e32 vcc, 0, v3
	s_andn2_b64 s[34:35], s[34:35], exec
	s_and_b64 s[38:39], vcc, exec
	s_or_b64 s[34:35], s[34:35], s[38:39]
	s_or_b64 exec, exec, s[0:1]
	v_mov_b32_e32 v2, 0
	s_and_saveexec_b64 s[0:1], s[34:35]
	s_cbranch_execnz .LBB14_547
	s_branch .LBB14_548
.LBB14_563:
	s_mov_b64 s[0:1], -1
                                        ; implicit-def: $vgpr2
	s_branch .LBB14_568
.LBB14_564:
	s_mov_b64 s[0:1], -1
                                        ; implicit-def: $vgpr2
.LBB14_565:
	s_and_b64 vcc, exec, s[0:1]
	s_cbranch_vccz .LBB14_567
; %bb.566:
	global_load_ubyte v2, v[0:1], off
	s_mov_b32 s0, 0x7f800000
	s_brev_b32 s1, 1
	s_mov_b32 s34, 0x2f800000
	s_waitcnt vmcnt(0)
	v_lshlrev_b32_e32 v2, 24, v2
	v_and_b32_e32 v3, 0x7f000000, v2
	v_ffbh_u32_e32 v4, v3
	v_min_u32_e32 v4, 32, v4
	v_sub_u32_e64 v4, v4, 4 clamp
	v_lshlrev_b32_e32 v6, v4, v3
	v_lshlrev_b32_e32 v4, 23, v4
	v_lshrrev_b32_e32 v6, 4, v6
	v_add_u32_e32 v5, 0x1000000, v3
	v_sub_u32_e32 v4, v6, v4
	v_ashrrev_i32_e32 v5, 8, v5
	v_add_u32_e32 v4, 0x3c000000, v4
	v_and_or_b32 v4, v5, s0, v4
	v_cmp_ne_u32_e32 vcc, 0, v3
	v_cndmask_b32_e32 v3, 0, v4, vcc
	v_and_or_b32 v2, v2, s1, v3
	v_trunc_f32_e32 v2, v2
	v_mul_f32_e64 v3, |v2|, s34
	v_floor_f32_e32 v3, v3
	s_mov_b32 s0, 0xcf800000
	v_fma_f32 v3, v3, s0, |v2|
	v_cvt_u32_f32_e32 v3, v3
	v_ashrrev_i32_e32 v2, 31, v2
	v_xor_b32_e32 v3, v3, v2
	v_sub_u32_e32 v2, v3, v2
.LBB14_567:
	s_mov_b64 s[0:1], 0
.LBB14_568:
	s_andn2_b64 vcc, exec, s[0:1]
	s_cbranch_vccnz .LBB14_570
; %bb.569:
	global_load_ubyte v2, v[0:1], off
	s_movk_i32 s0, 0x7f00
	s_brev_b32 s1, 16
	s_brev_b32 s34, 1
	s_mov_b32 s35, 0x2f800000
	s_waitcnt vmcnt(0)
	v_lshlrev_b16_e32 v3, 8, v2
	v_lshlrev_b32_e32 v2, 25, v2
	v_lshrrev_b32_e32 v4, 4, v2
	v_and_or_b32 v5, v3, s0, 0.5
	v_or_b32_e32 v4, 0x70000000, v4
	v_add_f32_e32 v5, -0.5, v5
	v_mul_f32_e32 v4, 0x7800000, v4
	v_cmp_gt_u32_e32 vcc, s1, v2
	v_bfe_i32 v3, v3, 0, 16
	v_cndmask_b32_e32 v2, v4, v5, vcc
	v_and_or_b32 v2, v3, s34, v2
	v_trunc_f32_e32 v2, v2
	v_mul_f32_e64 v3, |v2|, s35
	v_floor_f32_e32 v3, v3
	s_mov_b32 s0, 0xcf800000
	v_fma_f32 v3, v3, s0, |v2|
	v_cvt_u32_f32_e32 v3, v3
	v_ashrrev_i32_e32 v2, 31, v2
	v_xor_b32_e32 v3, v3, v2
	v_sub_u32_e32 v2, v3, v2
.LBB14_570:
	s_mov_b64 s[34:35], 0
	s_mov_b64 s[0:1], -1
.LBB14_571:
	s_andn2_b64 vcc, exec, s[34:35]
	s_cbranch_vccnz .LBB14_584
; %bb.572:
	s_cmp_gt_i32 s36, 14
	s_cbranch_scc0 .LBB14_575
; %bb.573:
	s_cmp_eq_u32 s36, 15
	s_cbranch_scc0 .LBB14_578
; %bb.574:
	global_load_ushort v2, v[0:1], off
	s_mov_b32 s0, 0x2f800000
	s_mov_b32 s1, 0xcf800000
	s_mov_b64 s[30:31], 0
	s_waitcnt vmcnt(0)
	v_lshlrev_b32_e32 v2, 16, v2
	v_trunc_f32_e32 v2, v2
	v_mul_f32_e64 v3, |v2|, s0
	v_floor_f32_e32 v3, v3
	v_fma_f32 v3, v3, s1, |v2|
	v_cvt_u32_f32_e32 v3, v3
	v_ashrrev_i32_e32 v2, 31, v2
	s_mov_b64 s[0:1], -1
	v_xor_b32_e32 v3, v3, v2
	v_sub_u32_e32 v2, v3, v2
	s_branch .LBB14_579
.LBB14_575:
	s_mov_b64 s[34:35], -1
                                        ; implicit-def: $vgpr2
	s_branch .LBB14_580
.LBB14_576:
	s_andn2_saveexec_b64 s[0:1], s[0:1]
	s_cbranch_execz .LBB14_557
.LBB14_577:
	v_cmp_ne_u16_e32 vcc, 0, v3
	s_andn2_b64 s[34:35], s[34:35], exec
	s_and_b64 s[38:39], vcc, exec
	s_or_b64 s[34:35], s[34:35], s[38:39]
	s_or_b64 exec, exec, s[0:1]
	v_mov_b32_e32 v2, 0
	s_and_saveexec_b64 s[0:1], s[34:35]
	s_cbranch_execnz .LBB14_558
	s_branch .LBB14_559
.LBB14_578:
	s_mov_b64 s[30:31], -1
                                        ; implicit-def: $vgpr2
.LBB14_579:
	s_mov_b64 s[34:35], 0
.LBB14_580:
	s_and_b64 vcc, exec, s[34:35]
	s_cbranch_vccz .LBB14_584
; %bb.581:
	s_cmp_eq_u32 s36, 11
	s_cbranch_scc0 .LBB14_583
; %bb.582:
	global_load_ubyte v2, v[0:1], off
	s_mov_b64 s[0:1], -1
	s_mov_b64 s[30:31], 0
	s_waitcnt vmcnt(0)
	v_cmp_ne_u16_e32 vcc, 0, v2
	v_cndmask_b32_e64 v2, 0, 1, vcc
	s_branch .LBB14_584
.LBB14_583:
	s_mov_b64 s[30:31], -1
                                        ; implicit-def: $vgpr2
.LBB14_584:
	s_mov_b64 s[34:35], 0
.LBB14_585:
	s_and_b64 vcc, exec, s[34:35]
	s_cbranch_vccz .LBB14_634
; %bb.586:
	s_and_b32 s3, 0xffff, s3
	s_cmp_lt_i32 s3, 5
	s_cbranch_scc1 .LBB14_591
; %bb.587:
	s_cmp_lt_i32 s3, 8
	s_cbranch_scc1 .LBB14_592
; %bb.588:
	;; [unrolled: 3-line block ×3, first 2 shown]
	s_cmp_gt_i32 s3, 9
	s_cbranch_scc0 .LBB14_594
; %bb.590:
	global_load_dwordx2 v[2:3], v[0:1], off
	s_movk_i32 s0, 0xffe0
	s_waitcnt vmcnt(0)
	v_trunc_f64_e32 v[2:3], v[2:3]
	v_ldexp_f64 v[4:5], v[2:3], s0
	s_mov_b32 s0, 0
	s_mov_b32 s1, 0xc1f00000
	v_floor_f64_e32 v[4:5], v[4:5]
	v_fma_f64 v[2:3], v[4:5], s[0:1], v[2:3]
	s_mov_b64 s[0:1], 0
	v_cvt_u32_f64_e32 v2, v[2:3]
	s_branch .LBB14_595
.LBB14_591:
	s_mov_b64 s[0:1], -1
                                        ; implicit-def: $vgpr2
	s_branch .LBB14_613
.LBB14_592:
	s_mov_b64 s[0:1], -1
                                        ; implicit-def: $vgpr2
	s_branch .LBB14_601
.LBB14_593:
	s_mov_b64 s[0:1], -1
                                        ; implicit-def: $vgpr2
	s_branch .LBB14_598
.LBB14_594:
	s_mov_b64 s[0:1], -1
                                        ; implicit-def: $vgpr2
.LBB14_595:
	s_andn2_b64 vcc, exec, s[0:1]
	s_cbranch_vccnz .LBB14_597
; %bb.596:
	global_load_dword v2, v[0:1], off
	s_mov_b32 s0, 0x2f800000
	s_waitcnt vmcnt(0)
	v_trunc_f32_e32 v2, v2
	v_mul_f32_e64 v3, |v2|, s0
	v_floor_f32_e32 v3, v3
	s_mov_b32 s0, 0xcf800000
	v_fma_f32 v3, v3, s0, |v2|
	v_cvt_u32_f32_e32 v3, v3
	v_ashrrev_i32_e32 v2, 31, v2
	v_xor_b32_e32 v3, v3, v2
	v_sub_u32_e32 v2, v3, v2
.LBB14_597:
	s_mov_b64 s[0:1], 0
.LBB14_598:
	s_andn2_b64 vcc, exec, s[0:1]
	s_cbranch_vccnz .LBB14_600
; %bb.599:
	global_load_dword v2, v[0:1], off
	s_waitcnt vmcnt(0)
	v_cvt_f32_f16_e32 v2, v2
	v_cvt_i32_f32_e32 v2, v2
.LBB14_600:
	s_mov_b64 s[0:1], 0
.LBB14_601:
	s_andn2_b64 vcc, exec, s[0:1]
	s_cbranch_vccnz .LBB14_612
; %bb.602:
	s_cmp_lt_i32 s3, 6
	s_cbranch_scc1 .LBB14_605
; %bb.603:
	s_cmp_gt_i32 s3, 6
	s_cbranch_scc0 .LBB14_606
; %bb.604:
	global_load_dwordx2 v[2:3], v[0:1], off
	s_movk_i32 s0, 0xffe0
	s_waitcnt vmcnt(0)
	v_trunc_f64_e32 v[2:3], v[2:3]
	v_ldexp_f64 v[4:5], v[2:3], s0
	s_mov_b32 s0, 0
	s_mov_b32 s1, 0xc1f00000
	v_floor_f64_e32 v[4:5], v[4:5]
	v_fma_f64 v[2:3], v[4:5], s[0:1], v[2:3]
	s_mov_b64 s[0:1], 0
	v_cvt_u32_f64_e32 v2, v[2:3]
	s_branch .LBB14_607
.LBB14_605:
	s_mov_b64 s[0:1], -1
                                        ; implicit-def: $vgpr2
	s_branch .LBB14_610
.LBB14_606:
	s_mov_b64 s[0:1], -1
                                        ; implicit-def: $vgpr2
.LBB14_607:
	s_andn2_b64 vcc, exec, s[0:1]
	s_cbranch_vccnz .LBB14_609
; %bb.608:
	global_load_dword v2, v[0:1], off
	s_mov_b32 s0, 0x2f800000
	s_waitcnt vmcnt(0)
	v_trunc_f32_e32 v2, v2
	v_mul_f32_e64 v3, |v2|, s0
	v_floor_f32_e32 v3, v3
	s_mov_b32 s0, 0xcf800000
	v_fma_f32 v3, v3, s0, |v2|
	v_cvt_u32_f32_e32 v3, v3
	v_ashrrev_i32_e32 v2, 31, v2
	v_xor_b32_e32 v3, v3, v2
	v_sub_u32_e32 v2, v3, v2
.LBB14_609:
	s_mov_b64 s[0:1], 0
.LBB14_610:
	s_andn2_b64 vcc, exec, s[0:1]
	s_cbranch_vccnz .LBB14_612
; %bb.611:
	global_load_ushort v2, v[0:1], off
	s_waitcnt vmcnt(0)
	v_cvt_f32_f16_e32 v2, v2
	v_cvt_i32_f32_e32 v2, v2
.LBB14_612:
	s_mov_b64 s[0:1], 0
.LBB14_613:
	s_andn2_b64 vcc, exec, s[0:1]
	s_cbranch_vccnz .LBB14_633
; %bb.614:
	s_cmp_lt_i32 s3, 2
	s_cbranch_scc1 .LBB14_618
; %bb.615:
	s_cmp_lt_i32 s3, 3
	s_cbranch_scc1 .LBB14_619
; %bb.616:
	s_cmp_gt_i32 s3, 3
	s_cbranch_scc0 .LBB14_620
; %bb.617:
	global_load_dwordx2 v[2:3], v[0:1], off
	s_mov_b64 s[0:1], 0
	s_branch .LBB14_621
.LBB14_618:
	s_mov_b64 s[0:1], -1
                                        ; implicit-def: $vgpr2
	s_branch .LBB14_627
.LBB14_619:
	s_mov_b64 s[0:1], -1
                                        ; implicit-def: $vgpr2
	s_branch .LBB14_624
.LBB14_620:
	s_mov_b64 s[0:1], -1
                                        ; implicit-def: $vgpr2
.LBB14_621:
	s_andn2_b64 vcc, exec, s[0:1]
	s_cbranch_vccnz .LBB14_623
; %bb.622:
	global_load_dword v2, v[0:1], off
.LBB14_623:
	s_mov_b64 s[0:1], 0
.LBB14_624:
	s_andn2_b64 vcc, exec, s[0:1]
	s_cbranch_vccnz .LBB14_626
; %bb.625:
	global_load_ushort v2, v[0:1], off
.LBB14_626:
	s_mov_b64 s[0:1], 0
.LBB14_627:
	s_andn2_b64 vcc, exec, s[0:1]
	s_cbranch_vccnz .LBB14_633
; %bb.628:
	s_cmp_gt_i32 s3, 0
	s_cbranch_scc0 .LBB14_630
; %bb.629:
	global_load_ubyte v2, v[0:1], off
	s_mov_b64 s[0:1], 0
	s_branch .LBB14_631
.LBB14_630:
	s_mov_b64 s[0:1], -1
                                        ; implicit-def: $vgpr2
.LBB14_631:
	s_andn2_b64 vcc, exec, s[0:1]
	s_cbranch_vccnz .LBB14_633
; %bb.632:
	global_load_ubyte v2, v[0:1], off
.LBB14_633:
	s_mov_b64 s[0:1], -1
.LBB14_634:
	s_andn2_b64 vcc, exec, s[0:1]
	s_cbranch_vccnz .LBB14_642
; %bb.635:
	v_mul_lo_u32 v1, v7, s12
	s_and_b32 s0, s14, 0xff
	v_mov_b32_e32 v0, s33
	s_waitcnt vmcnt(0)
	v_mov_b32_e32 v3, s46
	v_cmp_gt_u16_sdwa vcc, v2, s0 src0_sel:BYTE_0 src1_sel:DWORD
	v_cndmask_b32_e32 v2, v0, v3, vcc
	v_ashrrev_i32_e32 v3, 31, v1
	v_mov_b32_e32 v4, s9
	s_and_b32 s3, s2, 0xff
	v_add_co_u32_e32 v0, vcc, s8, v1
	s_cmp_lt_i32 s3, 11
	v_addc_co_u32_e32 v1, vcc, v4, v3, vcc
	s_cbranch_scc1 .LBB14_643
; %bb.636:
	s_and_b32 s40, 0xffff, s3
	s_cmp_gt_i32 s40, 25
	s_cbranch_scc0 .LBB14_644
; %bb.637:
	s_cmp_gt_i32 s40, 28
	s_cbranch_scc0 .LBB14_645
; %bb.638:
	;; [unrolled: 3-line block ×4, first 2 shown]
	s_mov_b64 s[36:37], 0
	s_mov_b64 s[0:1], -1
	s_cmp_eq_u32 s40, 46
	s_mov_b64 s[34:35], 0
	s_cbranch_scc0 .LBB14_648
; %bb.641:
	v_cvt_f32_ubyte0_e32 v3, v2
	v_bfe_u32 v4, v3, 16, 1
	s_movk_i32 s0, 0x7fff
	v_add3_u32 v3, v3, v4, s0
	v_lshrrev_b32_e32 v3, 16, v3
	global_store_dword v[0:1], v3, off
	s_mov_b64 s[34:35], -1
	s_mov_b64 s[0:1], 0
	s_branch .LBB14_648
.LBB14_642:
	s_mov_b64 s[36:37], 0
                                        ; implicit-def: $vgpr7
	s_mov_b64 s[0:1], s[24:25]
	s_branch .LBB14_759
.LBB14_643:
	s_mov_b64 s[36:37], -1
	s_mov_b64 s[34:35], 0
	s_mov_b64 s[0:1], s[24:25]
	s_branch .LBB14_717
.LBB14_644:
	s_mov_b64 s[36:37], -1
	s_mov_b64 s[34:35], 0
	s_mov_b64 s[0:1], s[24:25]
	s_branch .LBB14_675
.LBB14_645:
	s_mov_b64 s[36:37], -1
	s_mov_b64 s[34:35], 0
	s_mov_b64 s[0:1], s[24:25]
	s_branch .LBB14_658
.LBB14_646:
	s_mov_b64 s[36:37], -1
	s_mov_b64 s[34:35], 0
	s_mov_b64 s[0:1], s[24:25]
	s_branch .LBB14_654
.LBB14_647:
	s_mov_b64 s[36:37], -1
	s_mov_b64 s[34:35], 0
	s_mov_b64 s[0:1], s[24:25]
.LBB14_648:
	s_and_b64 vcc, exec, s[36:37]
	s_cbranch_vccz .LBB14_653
; %bb.649:
	s_cmp_eq_u32 s40, 44
	s_mov_b64 s[0:1], -1
	s_cbranch_scc0 .LBB14_653
; %bb.650:
	v_cvt_f32_ubyte0_e32 v4, v2
	v_lshrrev_b32_e32 v3, 23, v4
	s_movk_i32 s0, 0xff
	v_cmp_ne_u32_e32 vcc, s0, v3
	v_mov_b32_e32 v5, 0xff
	s_and_saveexec_b64 s[34:35], vcc
; %bb.651:
	s_mov_b32 s0, 0x3fffff
	v_and_b32_e32 v5, 0x400000, v4
	v_and_or_b32 v4, v4, s0, v3
	v_cmp_ne_u32_e32 vcc, 0, v5
	v_cmp_ne_u32_e64 s[0:1], 0, v4
	s_and_b64 s[0:1], vcc, s[0:1]
	v_cndmask_b32_e64 v4, 0, 1, s[0:1]
	v_add_u32_e32 v5, v3, v4
; %bb.652:
	s_or_b64 exec, exec, s[34:35]
	s_mov_b64 s[34:35], -1
	s_mov_b64 s[0:1], 0
	global_store_byte v[0:1], v5, off
.LBB14_653:
	s_mov_b64 s[36:37], 0
.LBB14_654:
	s_and_b64 vcc, exec, s[36:37]
	s_cbranch_vccz .LBB14_657
; %bb.655:
	s_cmp_eq_u32 s40, 29
	s_mov_b64 s[0:1], -1
	s_cbranch_scc0 .LBB14_657
; %bb.656:
	v_and_b32_e32 v3, 0xff, v2
	v_mov_b32_e32 v4, 0
	global_store_dwordx2 v[0:1], v[3:4], off
	s_mov_b64 s[34:35], -1
	s_mov_b64 s[0:1], 0
.LBB14_657:
	s_mov_b64 s[36:37], 0
.LBB14_658:
	s_and_b64 vcc, exec, s[36:37]
	s_cbranch_vccz .LBB14_674
; %bb.659:
	s_cmp_lt_i32 s40, 27
	s_mov_b64 s[34:35], -1
	s_cbranch_scc1 .LBB14_665
; %bb.660:
	s_cmp_gt_i32 s40, 27
	s_cbranch_scc0 .LBB14_662
; %bb.661:
	v_and_b32_e32 v3, 0xff, v2
	s_mov_b64 s[34:35], 0
	global_store_dword v[0:1], v3, off
.LBB14_662:
	s_andn2_b64 vcc, exec, s[34:35]
	s_cbranch_vccnz .LBB14_664
; %bb.663:
	v_and_b32_e32 v3, 0xff, v2
	global_store_short v[0:1], v3, off
.LBB14_664:
	s_mov_b64 s[34:35], 0
.LBB14_665:
	s_andn2_b64 vcc, exec, s[34:35]
	s_cbranch_vccnz .LBB14_673
; %bb.666:
	v_cvt_f32_ubyte0_e32 v4, v2
	s_mov_b32 s34, 0x43800000
	v_cmp_gt_u32_e32 vcc, s34, v4
	v_mov_b32_e32 v5, 0x80
	s_and_saveexec_b64 s[34:35], vcc
	s_cbranch_execz .LBB14_672
; %bb.667:
	s_mov_b32 s36, 0x3bffffff
	v_cmp_lt_u32_e32 vcc, s36, v4
	s_mov_b64 s[36:37], 0
                                        ; implicit-def: $vgpr3
	s_and_saveexec_b64 s[38:39], vcc
	s_xor_b64 s[38:39], exec, s[38:39]
	s_cbranch_execz .LBB14_773
; %bb.668:
	v_bfe_u32 v3, v4, 20, 1
	s_mov_b32 s41, 0x487ffff
	v_add3_u32 v3, v4, v3, s41
	s_mov_b64 s[36:37], exec
	v_lshrrev_b32_e32 v3, 20, v3
                                        ; implicit-def: $vgpr4
	s_andn2_saveexec_b64 s[38:39], s[38:39]
	s_cbranch_execnz .LBB14_774
.LBB14_669:
	s_or_b64 exec, exec, s[38:39]
	v_mov_b32_e32 v5, 0
	s_and_saveexec_b64 s[38:39], s[36:37]
.LBB14_670:
	v_mov_b32_e32 v5, v3
.LBB14_671:
	s_or_b64 exec, exec, s[38:39]
.LBB14_672:
	s_or_b64 exec, exec, s[34:35]
	global_store_byte v[0:1], v5, off
.LBB14_673:
	s_mov_b64 s[34:35], -1
.LBB14_674:
	s_mov_b64 s[36:37], 0
.LBB14_675:
	s_and_b64 vcc, exec, s[36:37]
	s_cbranch_vccz .LBB14_716
; %bb.676:
	s_cmp_gt_i32 s40, 22
	s_mov_b64 s[36:37], -1
	s_cbranch_scc0 .LBB14_708
; %bb.677:
	s_cmp_lt_i32 s40, 24
	s_mov_b64 s[34:35], -1
	s_cbranch_scc1 .LBB14_697
; %bb.678:
	s_cmp_gt_i32 s40, 24
	s_cbranch_scc0 .LBB14_686
; %bb.679:
	v_cvt_f32_ubyte0_e32 v4, v2
	s_mov_b32 s34, 0x47800000
	v_cmp_gt_u32_e32 vcc, s34, v4
	v_mov_b32_e32 v5, 0x80
	s_and_saveexec_b64 s[34:35], vcc
	s_cbranch_execz .LBB14_685
; %bb.680:
	s_mov_b32 s36, 0x37ffffff
	v_cmp_lt_u32_e32 vcc, s36, v4
	s_mov_b64 s[36:37], 0
                                        ; implicit-def: $vgpr3
	s_and_saveexec_b64 s[38:39], vcc
	s_xor_b64 s[38:39], exec, s[38:39]
	s_cbranch_execz .LBB14_776
; %bb.681:
	v_bfe_u32 v3, v4, 21, 1
	s_mov_b32 s41, 0x88fffff
	v_add3_u32 v3, v4, v3, s41
	s_mov_b64 s[36:37], exec
	v_lshrrev_b32_e32 v3, 21, v3
                                        ; implicit-def: $vgpr4
	s_andn2_saveexec_b64 s[38:39], s[38:39]
	s_cbranch_execnz .LBB14_777
.LBB14_682:
	s_or_b64 exec, exec, s[38:39]
	v_mov_b32_e32 v5, 0
	s_and_saveexec_b64 s[38:39], s[36:37]
.LBB14_683:
	v_mov_b32_e32 v5, v3
.LBB14_684:
	s_or_b64 exec, exec, s[38:39]
.LBB14_685:
	s_or_b64 exec, exec, s[34:35]
	s_mov_b64 s[34:35], 0
	global_store_byte v[0:1], v5, off
.LBB14_686:
	s_and_b64 vcc, exec, s[34:35]
	s_cbranch_vccz .LBB14_696
; %bb.687:
	v_cvt_f32_ubyte0_e32 v3, v2
	s_mov_b32 s34, 0x43f00000
	v_cmp_gt_u32_e32 vcc, s34, v3
                                        ; implicit-def: $vgpr4
	s_and_saveexec_b64 s[34:35], vcc
	s_xor_b64 s[34:35], exec, s[34:35]
	s_cbranch_execz .LBB14_693
; %bb.688:
	s_mov_b32 s36, 0x3c7fffff
	v_cmp_lt_u32_e32 vcc, s36, v3
                                        ; implicit-def: $vgpr4
	s_and_saveexec_b64 s[36:37], vcc
	s_xor_b64 s[36:37], exec, s[36:37]
; %bb.689:
	v_bfe_u32 v4, v3, 20, 1
	s_mov_b32 s38, 0x407ffff
	v_add3_u32 v3, v3, v4, s38
	v_lshrrev_b32_e32 v4, 20, v3
	v_and_b32_e32 v3, 0xff00000, v3
	s_mov_b32 s38, 0x7f00000
	v_mov_b32_e32 v5, 0x7e
	v_cmp_ne_u32_e32 vcc, s38, v3
	v_cndmask_b32_e32 v4, v5, v4, vcc
                                        ; implicit-def: $vgpr3
; %bb.690:
	s_andn2_saveexec_b64 s[36:37], s[36:37]
; %bb.691:
	v_add_f32_e32 v4, 0x46800000, v3
; %bb.692:
	s_or_b64 exec, exec, s[36:37]
                                        ; implicit-def: $vgpr3
.LBB14_693:
	s_andn2_saveexec_b64 s[34:35], s[34:35]
; %bb.694:
	s_mov_b32 s36, 0x7f800000
	v_mov_b32_e32 v4, 0x7e
	v_mov_b32_e32 v5, 0x7f
	v_cmp_lt_u32_e32 vcc, s36, v3
	v_cndmask_b32_e32 v4, v4, v5, vcc
; %bb.695:
	s_or_b64 exec, exec, s[34:35]
	global_store_byte v[0:1], v4, off
.LBB14_696:
	s_mov_b64 s[34:35], 0
.LBB14_697:
	s_andn2_b64 vcc, exec, s[34:35]
	s_cbranch_vccnz .LBB14_707
; %bb.698:
	v_cvt_f32_ubyte0_e32 v3, v2
	s_mov_b32 s34, 0x47800000
	v_cmp_gt_u32_e32 vcc, s34, v3
                                        ; implicit-def: $vgpr4
	s_and_saveexec_b64 s[34:35], vcc
	s_xor_b64 s[34:35], exec, s[34:35]
	s_cbranch_execz .LBB14_704
; %bb.699:
	s_mov_b32 s36, 0x387fffff
	v_cmp_lt_u32_e32 vcc, s36, v3
                                        ; implicit-def: $vgpr4
	s_and_saveexec_b64 s[36:37], vcc
	s_xor_b64 s[36:37], exec, s[36:37]
; %bb.700:
	v_bfe_u32 v4, v3, 21, 1
	s_mov_b32 s38, 0x80fffff
	v_add3_u32 v3, v3, v4, s38
	v_lshrrev_b32_e32 v4, 21, v3
                                        ; implicit-def: $vgpr3
; %bb.701:
	s_andn2_saveexec_b64 s[36:37], s[36:37]
; %bb.702:
	v_add_f32_e32 v4, 0x43000000, v3
; %bb.703:
	s_or_b64 exec, exec, s[36:37]
                                        ; implicit-def: $vgpr3
.LBB14_704:
	s_andn2_saveexec_b64 s[34:35], s[34:35]
; %bb.705:
	s_mov_b32 s36, 0x7f800000
	v_mov_b32_e32 v4, 0x7c
	v_mov_b32_e32 v5, 0x7f
	v_cmp_lt_u32_e32 vcc, s36, v3
	v_cndmask_b32_e32 v4, v4, v5, vcc
; %bb.706:
	s_or_b64 exec, exec, s[34:35]
	global_store_byte v[0:1], v4, off
.LBB14_707:
	s_mov_b64 s[36:37], 0
	s_mov_b64 s[34:35], -1
.LBB14_708:
	s_andn2_b64 vcc, exec, s[36:37]
	s_cbranch_vccnz .LBB14_716
; %bb.709:
	s_cmp_gt_i32 s40, 14
	s_mov_b64 s[36:37], -1
	s_cbranch_scc0 .LBB14_713
; %bb.710:
	s_cmp_eq_u32 s40, 15
	s_mov_b64 s[0:1], -1
	s_cbranch_scc0 .LBB14_712
; %bb.711:
	v_cvt_f32_ubyte0_e32 v3, v2
	v_bfe_u32 v4, v3, 16, 1
	s_movk_i32 s0, 0x7fff
	v_add3_u32 v3, v3, v4, s0
	global_store_short_d16_hi v[0:1], v3, off
	s_mov_b64 s[34:35], -1
	s_mov_b64 s[0:1], 0
.LBB14_712:
	s_mov_b64 s[36:37], 0
.LBB14_713:
	s_and_b64 vcc, exec, s[36:37]
	s_cbranch_vccz .LBB14_716
; %bb.714:
	s_cmp_eq_u32 s40, 11
	s_mov_b64 s[0:1], -1
	s_cbranch_scc0 .LBB14_716
; %bb.715:
	v_mov_b32_e32 v3, 0
	v_cmp_ne_u16_sdwa s[0:1], v2, v3 src0_sel:BYTE_0 src1_sel:DWORD
	v_cndmask_b32_e64 v3, 0, 1, s[0:1]
	s_mov_b64 s[34:35], -1
	s_mov_b64 s[0:1], 0
	global_store_byte v[0:1], v3, off
.LBB14_716:
	s_mov_b64 s[36:37], 0
.LBB14_717:
	s_and_b64 vcc, exec, s[36:37]
	s_cbranch_vccz .LBB14_756
; %bb.718:
	s_and_b32 s3, 0xffff, s3
	s_cmp_lt_i32 s3, 5
	s_mov_b64 s[34:35], -1
	s_cbranch_scc1 .LBB14_739
; %bb.719:
	s_cmp_lt_i32 s3, 8
	s_cbranch_scc1 .LBB14_729
; %bb.720:
	s_cmp_lt_i32 s3, 9
	s_cbranch_scc1 .LBB14_726
; %bb.721:
	s_cmp_gt_i32 s3, 9
	s_cbranch_scc0 .LBB14_723
; %bb.722:
	s_mov_b32 s34, 0xffff
	v_and_b32_sdwa v3, s34, v2 dst_sel:DWORD dst_unused:UNUSED_PAD src0_sel:DWORD src1_sel:BYTE_0
	v_cvt_f64_u32_e32 v[3:4], v3
	v_mov_b32_e32 v5, 0
	v_mov_b32_e32 v6, v5
	s_mov_b64 s[34:35], 0
	global_store_dwordx4 v[0:1], v[3:6], off
.LBB14_723:
	s_andn2_b64 vcc, exec, s[34:35]
	s_cbranch_vccnz .LBB14_725
; %bb.724:
	v_cvt_f32_ubyte0_e32 v3, v2
	v_mov_b32_e32 v4, 0
	global_store_dwordx2 v[0:1], v[3:4], off
.LBB14_725:
	s_mov_b64 s[34:35], 0
.LBB14_726:
	s_andn2_b64 vcc, exec, s[34:35]
	s_cbranch_vccnz .LBB14_728
; %bb.727:
	v_cvt_f16_u16_sdwa v3, v2 dst_sel:DWORD dst_unused:UNUSED_PAD src0_sel:BYTE_0
	global_store_dword v[0:1], v3, off
.LBB14_728:
	s_mov_b64 s[34:35], 0
.LBB14_729:
	s_andn2_b64 vcc, exec, s[34:35]
	s_cbranch_vccnz .LBB14_738
; %bb.730:
	s_cmp_lt_i32 s3, 6
	s_mov_b64 s[34:35], -1
	s_cbranch_scc1 .LBB14_736
; %bb.731:
	s_cmp_gt_i32 s3, 6
	s_cbranch_scc0 .LBB14_733
; %bb.732:
	s_mov_b32 s34, 0xffff
	v_and_b32_sdwa v3, s34, v2 dst_sel:DWORD dst_unused:UNUSED_PAD src0_sel:DWORD src1_sel:BYTE_0
	v_cvt_f64_u32_e32 v[3:4], v3
	s_mov_b64 s[34:35], 0
	global_store_dwordx2 v[0:1], v[3:4], off
.LBB14_733:
	s_andn2_b64 vcc, exec, s[34:35]
	s_cbranch_vccnz .LBB14_735
; %bb.734:
	v_cvt_f32_ubyte0_e32 v3, v2
	global_store_dword v[0:1], v3, off
.LBB14_735:
	s_mov_b64 s[34:35], 0
.LBB14_736:
	s_andn2_b64 vcc, exec, s[34:35]
	s_cbranch_vccnz .LBB14_738
; %bb.737:
	v_cvt_f16_u16_sdwa v3, v2 dst_sel:DWORD dst_unused:UNUSED_PAD src0_sel:BYTE_0
	global_store_short v[0:1], v3, off
.LBB14_738:
	s_mov_b64 s[34:35], 0
.LBB14_739:
	s_andn2_b64 vcc, exec, s[34:35]
	s_cbranch_vccnz .LBB14_755
; %bb.740:
	s_cmp_lt_i32 s3, 2
	s_mov_b64 s[34:35], -1
	s_cbranch_scc1 .LBB14_750
; %bb.741:
	s_cmp_lt_i32 s3, 3
	s_cbranch_scc1 .LBB14_747
; %bb.742:
	s_cmp_gt_i32 s3, 3
	s_cbranch_scc0 .LBB14_744
; %bb.743:
	v_and_b32_e32 v3, 0xff, v2
	v_mov_b32_e32 v4, 0
	s_mov_b64 s[34:35], 0
	global_store_dwordx2 v[0:1], v[3:4], off
.LBB14_744:
	s_andn2_b64 vcc, exec, s[34:35]
	s_cbranch_vccnz .LBB14_746
; %bb.745:
	v_and_b32_e32 v3, 0xff, v2
	global_store_dword v[0:1], v3, off
.LBB14_746:
	s_mov_b64 s[34:35], 0
.LBB14_747:
	s_andn2_b64 vcc, exec, s[34:35]
	s_cbranch_vccnz .LBB14_749
; %bb.748:
	v_and_b32_e32 v3, 0xff, v2
	global_store_short v[0:1], v3, off
.LBB14_749:
	s_mov_b64 s[34:35], 0
.LBB14_750:
	s_andn2_b64 vcc, exec, s[34:35]
	s_cbranch_vccnz .LBB14_755
; %bb.751:
	s_cmp_gt_i32 s3, 0
	s_mov_b64 s[34:35], -1
	s_cbranch_scc0 .LBB14_753
; %bb.752:
	s_mov_b64 s[34:35], 0
	global_store_byte v[0:1], v2, off
.LBB14_753:
	s_andn2_b64 vcc, exec, s[34:35]
	s_cbranch_vccnz .LBB14_755
; %bb.754:
	global_store_byte v[0:1], v2, off
.LBB14_755:
	s_mov_b64 s[34:35], -1
.LBB14_756:
	s_andn2_b64 vcc, exec, s[34:35]
	s_cbranch_vccnz .LBB14_758
; %bb.757:
	v_add_u32_e32 v7, 0x80, v7
	s_mov_b64 s[36:37], -1
	s_branch .LBB14_759
.LBB14_758:
	s_mov_b64 s[36:37], 0
                                        ; implicit-def: $vgpr7
.LBB14_759:
	s_andn2_b64 s[34:35], s[24:25], exec
	s_and_b64 s[0:1], s[0:1], exec
	s_or_b64 s[34:35], s[34:35], s[0:1]
	s_andn2_b64 s[0:1], s[22:23], exec
	s_and_b64 s[30:31], s[30:31], exec
	s_or_b64 s[0:1], s[0:1], s[30:31]
	s_orn2_b64 s[38:39], s[36:37], exec
.LBB14_760:
	s_or_b64 exec, exec, s[28:29]
	s_mov_b64 s[36:37], 0
	s_mov_b64 s[30:31], 0
	;; [unrolled: 1-line block ×3, first 2 shown]
                                        ; implicit-def: $sgpr3
                                        ; implicit-def: $vgpr0_vgpr1
                                        ; implicit-def: $vgpr2
	s_and_saveexec_b64 s[28:29], s[38:39]
	s_cbranch_execz .LBB14_841
; %bb.761:
	v_cmp_gt_i32_e32 vcc, s42, v7
	s_mov_b64 s[38:39], 0
	s_mov_b64 s[42:43], s[0:1]
	;; [unrolled: 1-line block ×3, first 2 shown]
                                        ; implicit-def: $sgpr3
                                        ; implicit-def: $vgpr0_vgpr1
                                        ; implicit-def: $vgpr2
	s_and_saveexec_b64 s[30:31], vcc
	s_cbranch_execz .LBB14_840
; %bb.762:
	v_mul_lo_u32 v0, v7, s13
	v_mov_b32_e32 v1, s11
	s_and_b32 s3, s15, 0xff
	s_cmp_lt_i32 s3, 11
	s_waitcnt vmcnt(0)
	v_ashrrev_i32_e32 v2, 31, v0
	v_add_co_u32_e32 v0, vcc, s10, v0
	v_addc_co_u32_e32 v1, vcc, v1, v2, vcc
	s_cbranch_scc1 .LBB14_769
; %bb.763:
	s_and_b32 s44, 0xffff, s3
	s_cmp_gt_i32 s44, 25
	s_cbranch_scc0 .LBB14_770
; %bb.764:
	s_cmp_gt_i32 s44, 28
	s_cbranch_scc0 .LBB14_771
; %bb.765:
	;; [unrolled: 3-line block ×4, first 2 shown]
	s_cmp_eq_u32 s44, 46
	s_mov_b64 s[42:43], 0
	s_cbranch_scc0 .LBB14_778
; %bb.768:
	global_load_dword v2, v[0:1], off
	s_mov_b32 s36, 0x2f800000
	s_mov_b32 s37, 0xcf800000
	s_mov_b64 s[40:41], -1
	s_waitcnt vmcnt(0)
	v_lshlrev_b32_e32 v2, 16, v2
	v_trunc_f32_e32 v2, v2
	v_mul_f32_e64 v3, |v2|, s36
	v_floor_f32_e32 v3, v3
	v_fma_f32 v3, v3, s37, |v2|
	v_cvt_u32_f32_e32 v3, v3
	v_ashrrev_i32_e32 v2, 31, v2
	s_mov_b64 s[36:37], 0
	v_xor_b32_e32 v3, v3, v2
	v_sub_u32_e32 v2, v3, v2
	s_branch .LBB14_780
.LBB14_769:
	s_mov_b64 s[42:43], -1
                                        ; implicit-def: $vgpr2
	s_mov_b64 s[36:37], s[0:1]
	s_branch .LBB14_839
.LBB14_770:
	s_mov_b64 s[42:43], -1
	s_mov_b64 s[36:37], s[0:1]
                                        ; implicit-def: $vgpr2
	s_branch .LBB14_807
.LBB14_771:
	s_mov_b64 s[42:43], -1
	s_mov_b64 s[36:37], s[0:1]
                                        ; implicit-def: $vgpr2
	s_branch .LBB14_790
.LBB14_772:
	s_mov_b64 s[42:43], -1
	s_mov_b64 s[36:37], s[0:1]
                                        ; implicit-def: $vgpr2
	s_branch .LBB14_785
.LBB14_773:
	s_andn2_saveexec_b64 s[38:39], s[38:39]
	s_cbranch_execz .LBB14_669
.LBB14_774:
	v_add_f32_e32 v3, 0x46000000, v4
	v_and_b32_e32 v3, 0xff, v3
	v_cmp_ne_u32_e32 vcc, 0, v3
	s_andn2_b64 s[36:37], s[36:37], exec
	s_and_b64 s[44:45], vcc, exec
	s_or_b64 s[36:37], s[36:37], s[44:45]
	s_or_b64 exec, exec, s[38:39]
	v_mov_b32_e32 v5, 0
	s_and_saveexec_b64 s[38:39], s[36:37]
	s_cbranch_execnz .LBB14_670
	s_branch .LBB14_671
.LBB14_775:
	s_mov_b64 s[42:43], -1
	s_mov_b64 s[36:37], s[0:1]
	s_branch .LBB14_779
.LBB14_776:
	s_andn2_saveexec_b64 s[38:39], s[38:39]
	s_cbranch_execz .LBB14_682
.LBB14_777:
	v_add_f32_e32 v3, 0x42800000, v4
	v_and_b32_e32 v3, 0xff, v3
	v_cmp_ne_u32_e32 vcc, 0, v3
	s_andn2_b64 s[36:37], s[36:37], exec
	s_and_b64 s[44:45], vcc, exec
	s_or_b64 s[36:37], s[36:37], s[44:45]
	s_or_b64 exec, exec, s[38:39]
	v_mov_b32_e32 v5, 0
	s_and_saveexec_b64 s[38:39], s[36:37]
	s_cbranch_execnz .LBB14_683
	s_branch .LBB14_684
.LBB14_778:
	s_mov_b64 s[36:37], -1
.LBB14_779:
                                        ; implicit-def: $vgpr2
.LBB14_780:
	s_and_b64 vcc, exec, s[42:43]
	s_cbranch_vccz .LBB14_784
; %bb.781:
	s_cmp_eq_u32 s44, 44
	s_cbranch_scc0 .LBB14_783
; %bb.782:
	global_load_ubyte v2, v[0:1], off
	s_mov_b32 s36, 0x2f800000
	s_mov_b32 s37, 0xcf800000
	s_mov_b64 s[40:41], -1
	s_waitcnt vmcnt(0)
	v_lshlrev_b32_e32 v3, 23, v2
	v_trunc_f32_e32 v3, v3
	v_mul_f32_e64 v4, |v3|, s36
	v_floor_f32_e32 v4, v4
	v_fma_f32 v4, v4, s37, |v3|
	v_cvt_u32_f32_e32 v4, v4
	v_ashrrev_i32_e32 v3, 31, v3
	v_cmp_ne_u32_e32 vcc, 0, v2
	s_mov_b64 s[36:37], 0
	v_xor_b32_e32 v4, v4, v3
	v_sub_u32_e32 v3, v4, v3
	v_cndmask_b32_e32 v2, 0, v3, vcc
	s_branch .LBB14_784
.LBB14_783:
	s_mov_b64 s[36:37], -1
                                        ; implicit-def: $vgpr2
.LBB14_784:
	s_mov_b64 s[42:43], 0
.LBB14_785:
	s_and_b64 vcc, exec, s[42:43]
	s_cbranch_vccz .LBB14_789
; %bb.786:
	s_cmp_eq_u32 s44, 29
	s_cbranch_scc0 .LBB14_788
; %bb.787:
	global_load_dwordx2 v[2:3], v[0:1], off
	s_mov_b64 s[36:37], 0
	s_mov_b64 s[40:41], -1
	s_branch .LBB14_789
.LBB14_788:
	s_mov_b64 s[36:37], -1
                                        ; implicit-def: $vgpr2
.LBB14_789:
	s_mov_b64 s[42:43], 0
.LBB14_790:
	s_and_b64 vcc, exec, s[42:43]
	s_cbranch_vccz .LBB14_806
; %bb.791:
	s_cmp_lt_i32 s44, 27
	s_cbranch_scc1 .LBB14_794
; %bb.792:
	s_cmp_gt_i32 s44, 27
	s_cbranch_scc0 .LBB14_795
; %bb.793:
	global_load_dword v2, v[0:1], off
	s_mov_b64 s[40:41], 0
	s_branch .LBB14_796
.LBB14_794:
	s_mov_b64 s[40:41], -1
                                        ; implicit-def: $vgpr2
	s_branch .LBB14_799
.LBB14_795:
	s_mov_b64 s[40:41], -1
                                        ; implicit-def: $vgpr2
.LBB14_796:
	s_andn2_b64 vcc, exec, s[40:41]
	s_cbranch_vccnz .LBB14_798
; %bb.797:
	global_load_ushort v2, v[0:1], off
.LBB14_798:
	s_mov_b64 s[40:41], 0
.LBB14_799:
	s_andn2_b64 vcc, exec, s[40:41]
	s_cbranch_vccnz .LBB14_805
; %bb.800:
	global_load_ubyte v3, v[0:1], off
	s_movk_i32 s40, 0x7f
	s_mov_b64 s[42:43], 0
	s_waitcnt vmcnt(0)
	v_cmp_lt_i16_e32 vcc, s40, v3
	s_and_saveexec_b64 s[40:41], vcc
	s_xor_b64 s[40:41], exec, s[40:41]
	s_cbranch_execz .LBB14_817
; %bb.801:
	s_movk_i32 s42, 0x80
	v_cmp_ne_u16_e32 vcc, s42, v3
	s_and_b64 s[42:43], vcc, exec
	s_andn2_saveexec_b64 s[40:41], s[40:41]
	s_cbranch_execnz .LBB14_818
.LBB14_802:
	s_or_b64 exec, exec, s[40:41]
	v_mov_b32_e32 v2, 0
	s_and_saveexec_b64 s[40:41], s[42:43]
	s_cbranch_execz .LBB14_804
.LBB14_803:
	v_lshlrev_b32_e32 v2, 24, v3
	v_and_b32_e32 v3, 0xffff, v3
	v_and_b32_e32 v4, 7, v3
	v_ffbh_u32_e32 v6, v4
	v_min_u32_e32 v6, 32, v6
	v_subrev_u32_e32 v8, 28, v6
	v_bfe_u32 v5, v3, 3, 4
	v_lshlrev_b32_e32 v3, v8, v3
	v_sub_u32_e32 v6, 29, v6
	v_and_b32_e32 v3, 7, v3
	v_cmp_eq_u32_e32 vcc, 0, v5
	v_cndmask_b32_e32 v5, v5, v6, vcc
	v_cndmask_b32_e32 v3, v4, v3, vcc
	v_mov_b32_e32 v4, 0x3b800000
	v_lshlrev_b32_e32 v3, 20, v3
	v_and_b32_e32 v2, 0x80000000, v2
	v_lshl_add_u32 v4, v5, 23, v4
	v_or3_b32 v2, v2, v4, v3
	v_trunc_f32_e32 v2, v2
	s_mov_b32 s42, 0x2f800000
	v_mul_f32_e64 v3, |v2|, s42
	v_floor_f32_e32 v3, v3
	s_mov_b32 s42, 0xcf800000
	v_fma_f32 v3, v3, s42, |v2|
	v_cvt_u32_f32_e32 v3, v3
	v_ashrrev_i32_e32 v2, 31, v2
	v_xor_b32_e32 v3, v3, v2
	v_sub_u32_e32 v2, v3, v2
.LBB14_804:
	s_or_b64 exec, exec, s[40:41]
.LBB14_805:
	s_mov_b64 s[40:41], -1
.LBB14_806:
	s_mov_b64 s[42:43], 0
.LBB14_807:
	s_and_b64 vcc, exec, s[42:43]
	s_cbranch_vccz .LBB14_838
; %bb.808:
	s_cmp_gt_i32 s44, 22
	s_cbranch_scc0 .LBB14_816
; %bb.809:
	s_cmp_lt_i32 s44, 24
	s_cbranch_scc1 .LBB14_819
; %bb.810:
	s_cmp_gt_i32 s44, 24
	s_cbranch_scc0 .LBB14_820
; %bb.811:
	global_load_ubyte v3, v[0:1], off
	s_movk_i32 s38, 0x7f
	s_mov_b64 s[40:41], 0
	s_waitcnt vmcnt(0)
	v_cmp_lt_i16_e32 vcc, s38, v3
	s_and_saveexec_b64 s[38:39], vcc
	s_xor_b64 s[38:39], exec, s[38:39]
	s_cbranch_execz .LBB14_832
; %bb.812:
	s_movk_i32 s40, 0x80
	v_cmp_ne_u16_e32 vcc, s40, v3
	s_and_b64 s[40:41], vcc, exec
	s_andn2_saveexec_b64 s[38:39], s[38:39]
	s_cbranch_execnz .LBB14_833
.LBB14_813:
	s_or_b64 exec, exec, s[38:39]
	v_mov_b32_e32 v2, 0
	s_and_saveexec_b64 s[38:39], s[40:41]
	s_cbranch_execz .LBB14_815
.LBB14_814:
	v_lshlrev_b32_e32 v2, 24, v3
	v_and_b32_e32 v3, 0xffff, v3
	v_and_b32_e32 v4, 3, v3
	v_ffbh_u32_e32 v6, v4
	v_min_u32_e32 v6, 32, v6
	v_subrev_u32_e32 v8, 29, v6
	v_bfe_u32 v5, v3, 2, 5
	v_lshlrev_b32_e32 v3, v8, v3
	v_sub_u32_e32 v6, 30, v6
	v_and_b32_e32 v3, 3, v3
	v_cmp_eq_u32_e32 vcc, 0, v5
	v_cndmask_b32_e32 v5, v5, v6, vcc
	v_cndmask_b32_e32 v3, v4, v3, vcc
	v_mov_b32_e32 v4, 0x37800000
	v_lshlrev_b32_e32 v3, 21, v3
	v_and_b32_e32 v2, 0x80000000, v2
	v_lshl_add_u32 v4, v5, 23, v4
	v_or3_b32 v2, v2, v4, v3
	v_trunc_f32_e32 v2, v2
	s_mov_b32 s40, 0x2f800000
	v_mul_f32_e64 v3, |v2|, s40
	v_floor_f32_e32 v3, v3
	s_mov_b32 s40, 0xcf800000
	v_fma_f32 v3, v3, s40, |v2|
	v_cvt_u32_f32_e32 v3, v3
	v_ashrrev_i32_e32 v2, 31, v2
	v_xor_b32_e32 v3, v3, v2
	v_sub_u32_e32 v2, v3, v2
.LBB14_815:
	s_or_b64 exec, exec, s[38:39]
	s_mov_b64 s[38:39], 0
	s_branch .LBB14_821
.LBB14_816:
	s_mov_b64 s[38:39], -1
                                        ; implicit-def: $vgpr2
	s_branch .LBB14_827
.LBB14_817:
	s_andn2_saveexec_b64 s[40:41], s[40:41]
	s_cbranch_execz .LBB14_802
.LBB14_818:
	v_cmp_ne_u16_e32 vcc, 0, v3
	s_andn2_b64 s[42:43], s[42:43], exec
	s_and_b64 s[48:49], vcc, exec
	s_or_b64 s[42:43], s[42:43], s[48:49]
	s_or_b64 exec, exec, s[40:41]
	v_mov_b32_e32 v2, 0
	s_and_saveexec_b64 s[40:41], s[42:43]
	s_cbranch_execnz .LBB14_803
	s_branch .LBB14_804
.LBB14_819:
	s_mov_b64 s[38:39], -1
                                        ; implicit-def: $vgpr2
	s_branch .LBB14_824
.LBB14_820:
	s_mov_b64 s[38:39], -1
                                        ; implicit-def: $vgpr2
.LBB14_821:
	s_and_b64 vcc, exec, s[38:39]
	s_cbranch_vccz .LBB14_823
; %bb.822:
	global_load_ubyte v2, v[0:1], off
	s_mov_b32 s38, 0x7f800000
	s_brev_b32 s39, 1
	s_mov_b32 s40, 0x2f800000
	s_waitcnt vmcnt(0)
	v_lshlrev_b32_e32 v2, 24, v2
	v_and_b32_e32 v3, 0x7f000000, v2
	v_ffbh_u32_e32 v4, v3
	v_min_u32_e32 v4, 32, v4
	v_sub_u32_e64 v4, v4, 4 clamp
	v_lshlrev_b32_e32 v6, v4, v3
	v_lshlrev_b32_e32 v4, 23, v4
	v_lshrrev_b32_e32 v6, 4, v6
	v_add_u32_e32 v5, 0x1000000, v3
	v_sub_u32_e32 v4, v6, v4
	v_ashrrev_i32_e32 v5, 8, v5
	v_add_u32_e32 v4, 0x3c000000, v4
	v_and_or_b32 v4, v5, s38, v4
	v_cmp_ne_u32_e32 vcc, 0, v3
	v_cndmask_b32_e32 v3, 0, v4, vcc
	v_and_or_b32 v2, v2, s39, v3
	v_trunc_f32_e32 v2, v2
	v_mul_f32_e64 v3, |v2|, s40
	v_floor_f32_e32 v3, v3
	s_mov_b32 s38, 0xcf800000
	v_fma_f32 v3, v3, s38, |v2|
	v_cvt_u32_f32_e32 v3, v3
	v_ashrrev_i32_e32 v2, 31, v2
	v_xor_b32_e32 v3, v3, v2
	v_sub_u32_e32 v2, v3, v2
.LBB14_823:
	s_mov_b64 s[38:39], 0
.LBB14_824:
	s_andn2_b64 vcc, exec, s[38:39]
	s_cbranch_vccnz .LBB14_826
; %bb.825:
	global_load_ubyte v2, v[0:1], off
	s_movk_i32 s38, 0x7f00
	s_brev_b32 s39, 16
	s_brev_b32 s40, 1
	s_mov_b32 s41, 0x2f800000
	s_waitcnt vmcnt(0)
	v_lshlrev_b16_e32 v3, 8, v2
	v_lshlrev_b32_e32 v2, 25, v2
	v_lshrrev_b32_e32 v4, 4, v2
	v_and_or_b32 v5, v3, s38, 0.5
	v_or_b32_e32 v4, 0x70000000, v4
	v_add_f32_e32 v5, -0.5, v5
	v_mul_f32_e32 v4, 0x7800000, v4
	v_cmp_gt_u32_e32 vcc, s39, v2
	v_bfe_i32 v3, v3, 0, 16
	v_cndmask_b32_e32 v2, v4, v5, vcc
	v_and_or_b32 v2, v3, s40, v2
	v_trunc_f32_e32 v2, v2
	v_mul_f32_e64 v3, |v2|, s41
	v_floor_f32_e32 v3, v3
	s_mov_b32 s38, 0xcf800000
	v_fma_f32 v3, v3, s38, |v2|
	v_cvt_u32_f32_e32 v3, v3
	v_ashrrev_i32_e32 v2, 31, v2
	v_xor_b32_e32 v3, v3, v2
	v_sub_u32_e32 v2, v3, v2
.LBB14_826:
	s_mov_b64 s[38:39], 0
	s_mov_b64 s[40:41], -1
.LBB14_827:
	s_andn2_b64 vcc, exec, s[38:39]
	s_mov_b64 s[38:39], 0
	s_cbranch_vccnz .LBB14_838
; %bb.828:
	s_cmp_gt_i32 s44, 14
	s_cbranch_scc0 .LBB14_831
; %bb.829:
	s_cmp_eq_u32 s44, 15
	s_cbranch_scc0 .LBB14_834
; %bb.830:
	global_load_ushort v2, v[0:1], off
	s_mov_b32 s36, 0x2f800000
	s_mov_b32 s37, 0xcf800000
	s_mov_b64 s[40:41], -1
	s_waitcnt vmcnt(0)
	v_lshlrev_b32_e32 v2, 16, v2
	v_trunc_f32_e32 v2, v2
	v_mul_f32_e64 v3, |v2|, s36
	v_floor_f32_e32 v3, v3
	v_fma_f32 v3, v3, s37, |v2|
	v_cvt_u32_f32_e32 v3, v3
	v_ashrrev_i32_e32 v2, 31, v2
	s_mov_b64 s[36:37], 0
	v_xor_b32_e32 v3, v3, v2
	v_sub_u32_e32 v2, v3, v2
	s_branch .LBB14_835
.LBB14_831:
	s_mov_b64 s[42:43], -1
                                        ; implicit-def: $vgpr2
	s_branch .LBB14_836
.LBB14_832:
	s_andn2_saveexec_b64 s[38:39], s[38:39]
	s_cbranch_execz .LBB14_813
.LBB14_833:
	v_cmp_ne_u16_e32 vcc, 0, v3
	s_andn2_b64 s[40:41], s[40:41], exec
	s_and_b64 s[42:43], vcc, exec
	s_or_b64 s[40:41], s[40:41], s[42:43]
	s_or_b64 exec, exec, s[38:39]
	v_mov_b32_e32 v2, 0
	s_and_saveexec_b64 s[38:39], s[40:41]
	s_cbranch_execnz .LBB14_814
	s_branch .LBB14_815
.LBB14_834:
	s_mov_b64 s[36:37], -1
                                        ; implicit-def: $vgpr2
.LBB14_835:
	s_mov_b64 s[42:43], 0
.LBB14_836:
	s_and_b64 vcc, exec, s[42:43]
	s_cbranch_vccz .LBB14_838
; %bb.837:
	s_cmp_lg_u32 s44, 11
	s_cselect_b64 s[42:43], -1, 0
	s_andn2_b64 s[36:37], s[36:37], exec
	s_and_b64 s[42:43], s[42:43], exec
	s_mov_b64 s[38:39], -1
	s_or_b64 s[36:37], s[36:37], s[42:43]
.LBB14_838:
	s_mov_b64 s[42:43], 0
.LBB14_839:
	s_and_b64 s[44:45], s[42:43], exec
	s_andn2_b64 s[42:43], s[0:1], exec
	s_and_b64 s[36:37], s[36:37], exec
	s_and_b64 s[40:41], s[40:41], exec
	;; [unrolled: 1-line block ×3, first 2 shown]
	s_or_b64 s[42:43], s[42:43], s[36:37]
.LBB14_840:
	s_or_b64 exec, exec, s[30:31]
	s_and_b64 s[36:37], s[38:39], exec
	s_andn2_b64 s[0:1], s[0:1], exec
	s_and_b64 s[38:39], s[42:43], exec
	s_and_b64 s[40:41], s[40:41], exec
	;; [unrolled: 1-line block ×3, first 2 shown]
	s_or_b64 s[0:1], s[0:1], s[38:39]
.LBB14_841:
	s_or_b64 exec, exec, s[28:29]
	s_andn2_b64 s[24:25], s[24:25], exec
	s_and_b64 s[28:29], s[34:35], exec
	s_andn2_b64 s[22:23], s[22:23], exec
	s_and_b64 s[0:1], s[0:1], exec
	s_or_b64 s[24:25], s[24:25], s[28:29]
	s_and_b64 s[34:35], s[40:41], exec
	s_and_b64 s[30:31], s[30:31], exec
	;; [unrolled: 1-line block ×3, first 2 shown]
	s_or_b64 s[22:23], s[22:23], s[0:1]
.LBB14_842:
	s_or_b64 exec, exec, s[26:27]
	s_andn2_b64 s[0:1], s[16:17], exec
	s_and_b64 s[16:17], s[24:25], exec
	s_andn2_b64 s[18:19], s[18:19], exec
	s_and_b64 s[22:23], s[22:23], exec
	s_or_b64 s[16:17], s[0:1], s[16:17]
	s_and_b64 s[0:1], s[34:35], exec
	s_and_b64 s[26:27], s[30:31], exec
	;; [unrolled: 1-line block ×3, first 2 shown]
	s_or_b64 s[18:19], s[18:19], s[22:23]
	s_or_b64 exec, exec, s[20:21]
	s_mov_b64 s[20:21], 0
	s_and_saveexec_b64 s[22:23], s[18:19]
	s_cbranch_execz .LBB14_258
.LBB14_843:
	s_mov_b64 s[20:21], exec
	s_andn2_b64 s[24:25], s[24:25], exec
	s_trap 2
	s_or_b64 exec, exec, s[22:23]
	s_and_saveexec_b64 s[18:19], s[24:25]
	s_xor_b64 s[18:19], exec, s[18:19]
	s_cbranch_execnz .LBB14_259
.LBB14_844:
	s_or_b64 exec, exec, s[18:19]
	s_and_saveexec_b64 s[18:19], s[26:27]
	s_cbranch_execz .LBB14_890
.LBB14_845:
	s_sext_i32_i16 s22, s3
	s_cmp_lt_i32 s22, 5
	s_cbranch_scc1 .LBB14_850
; %bb.846:
	s_cmp_lt_i32 s22, 8
	s_cbranch_scc1 .LBB14_851
; %bb.847:
	s_cmp_lt_i32 s22, 9
	s_cbranch_scc1 .LBB14_852
; %bb.848:
	s_cmp_gt_i32 s22, 9
	s_cbranch_scc0 .LBB14_853
; %bb.849:
	global_load_dwordx2 v[2:3], v[0:1], off
	s_movk_i32 s22, 0xffe0
	s_waitcnt vmcnt(0)
	v_trunc_f64_e32 v[2:3], v[2:3]
	v_ldexp_f64 v[4:5], v[2:3], s22
	s_mov_b32 s22, 0
	s_mov_b32 s23, 0xc1f00000
	v_floor_f64_e32 v[4:5], v[4:5]
	v_fma_f64 v[2:3], v[4:5], s[22:23], v[2:3]
	s_mov_b64 s[22:23], 0
	v_cvt_u32_f64_e32 v2, v[2:3]
	s_branch .LBB14_854
.LBB14_850:
                                        ; implicit-def: $vgpr2
	s_branch .LBB14_871
.LBB14_851:
                                        ; implicit-def: $vgpr2
	s_branch .LBB14_860
.LBB14_852:
	s_mov_b64 s[22:23], -1
                                        ; implicit-def: $vgpr2
	s_branch .LBB14_857
.LBB14_853:
	s_mov_b64 s[22:23], -1
                                        ; implicit-def: $vgpr2
.LBB14_854:
	s_andn2_b64 vcc, exec, s[22:23]
	s_cbranch_vccnz .LBB14_856
; %bb.855:
	global_load_dword v2, v[0:1], off
	s_mov_b32 s22, 0x2f800000
	s_waitcnt vmcnt(0)
	v_trunc_f32_e32 v2, v2
	v_mul_f32_e64 v3, |v2|, s22
	v_floor_f32_e32 v3, v3
	s_mov_b32 s22, 0xcf800000
	v_fma_f32 v3, v3, s22, |v2|
	v_cvt_u32_f32_e32 v3, v3
	v_ashrrev_i32_e32 v2, 31, v2
	v_xor_b32_e32 v3, v3, v2
	v_sub_u32_e32 v2, v3, v2
.LBB14_856:
	s_mov_b64 s[22:23], 0
.LBB14_857:
	s_andn2_b64 vcc, exec, s[22:23]
	s_cbranch_vccnz .LBB14_859
; %bb.858:
	global_load_dword v2, v[0:1], off
	s_waitcnt vmcnt(0)
	v_cvt_f32_f16_e32 v2, v2
	v_cvt_i32_f32_e32 v2, v2
.LBB14_859:
	s_cbranch_execnz .LBB14_870
.LBB14_860:
	s_sext_i32_i16 s22, s3
	s_cmp_lt_i32 s22, 6
	s_cbranch_scc1 .LBB14_863
; %bb.861:
	s_cmp_gt_i32 s22, 6
	s_cbranch_scc0 .LBB14_864
; %bb.862:
	global_load_dwordx2 v[2:3], v[0:1], off
	s_movk_i32 s22, 0xffe0
	s_waitcnt vmcnt(0)
	v_trunc_f64_e32 v[2:3], v[2:3]
	v_ldexp_f64 v[4:5], v[2:3], s22
	s_mov_b32 s22, 0
	s_mov_b32 s23, 0xc1f00000
	v_floor_f64_e32 v[4:5], v[4:5]
	v_fma_f64 v[2:3], v[4:5], s[22:23], v[2:3]
	s_mov_b64 s[22:23], 0
	v_cvt_u32_f64_e32 v2, v[2:3]
	s_branch .LBB14_865
.LBB14_863:
	s_mov_b64 s[22:23], -1
                                        ; implicit-def: $vgpr2
	s_branch .LBB14_868
.LBB14_864:
	s_mov_b64 s[22:23], -1
                                        ; implicit-def: $vgpr2
.LBB14_865:
	s_andn2_b64 vcc, exec, s[22:23]
	s_cbranch_vccnz .LBB14_867
; %bb.866:
	global_load_dword v2, v[0:1], off
	s_mov_b32 s22, 0x2f800000
	s_waitcnt vmcnt(0)
	v_trunc_f32_e32 v2, v2
	v_mul_f32_e64 v3, |v2|, s22
	v_floor_f32_e32 v3, v3
	s_mov_b32 s22, 0xcf800000
	v_fma_f32 v3, v3, s22, |v2|
	v_cvt_u32_f32_e32 v3, v3
	v_ashrrev_i32_e32 v2, 31, v2
	v_xor_b32_e32 v3, v3, v2
	v_sub_u32_e32 v2, v3, v2
.LBB14_867:
	s_mov_b64 s[22:23], 0
.LBB14_868:
	s_andn2_b64 vcc, exec, s[22:23]
	s_cbranch_vccnz .LBB14_870
; %bb.869:
	global_load_ushort v2, v[0:1], off
	s_waitcnt vmcnt(0)
	v_cvt_f32_f16_e32 v2, v2
	v_cvt_i32_f32_e32 v2, v2
.LBB14_870:
	s_cbranch_execnz .LBB14_889
.LBB14_871:
	s_sext_i32_i16 s22, s3
	s_cmp_lt_i32 s22, 2
	s_cbranch_scc1 .LBB14_875
; %bb.872:
	s_cmp_lt_i32 s22, 3
	s_cbranch_scc1 .LBB14_876
; %bb.873:
	s_cmp_gt_i32 s22, 3
	s_cbranch_scc0 .LBB14_877
; %bb.874:
	global_load_dwordx2 v[2:3], v[0:1], off
	s_mov_b64 s[22:23], 0
	s_branch .LBB14_878
.LBB14_875:
                                        ; implicit-def: $vgpr2
	s_branch .LBB14_884
.LBB14_876:
	s_mov_b64 s[22:23], -1
                                        ; implicit-def: $vgpr2
	s_branch .LBB14_881
.LBB14_877:
	s_mov_b64 s[22:23], -1
                                        ; implicit-def: $vgpr2
.LBB14_878:
	s_andn2_b64 vcc, exec, s[22:23]
	s_cbranch_vccnz .LBB14_880
; %bb.879:
	global_load_dword v2, v[0:1], off
.LBB14_880:
	s_mov_b64 s[22:23], 0
.LBB14_881:
	s_andn2_b64 vcc, exec, s[22:23]
	s_cbranch_vccnz .LBB14_883
; %bb.882:
	global_load_ushort v2, v[0:1], off
.LBB14_883:
	s_cbranch_execnz .LBB14_889
.LBB14_884:
	s_sext_i32_i16 s3, s3
	s_cmp_gt_i32 s3, 0
	s_cbranch_scc0 .LBB14_886
; %bb.885:
	global_load_ubyte v2, v[0:1], off
	s_mov_b64 s[22:23], 0
	s_branch .LBB14_887
.LBB14_886:
	s_mov_b64 s[22:23], -1
                                        ; implicit-def: $vgpr2
.LBB14_887:
	s_andn2_b64 vcc, exec, s[22:23]
	s_cbranch_vccnz .LBB14_889
; %bb.888:
	global_load_ubyte v2, v[0:1], off
.LBB14_889:
	s_or_b64 s[0:1], s[0:1], exec
.LBB14_890:
	s_or_b64 exec, exec, s[18:19]
	s_mov_b64 s[24:25], 0
	s_mov_b64 s[22:23], 0
                                        ; implicit-def: $sgpr3
                                        ; implicit-def: $vgpr0_vgpr1
                                        ; implicit-def: $vgpr3
	s_and_saveexec_b64 s[18:19], s[0:1]
	s_cbranch_execz .LBB14_965
; %bb.891:
	v_mul_lo_u32 v1, v7, s12
	s_and_b32 s0, s14, 0xff
	v_mov_b32_e32 v0, s33
	s_waitcnt vmcnt(0)
	v_mov_b32_e32 v3, s46
	v_cmp_gt_u16_sdwa vcc, v2, s0 src0_sel:BYTE_0 src1_sel:DWORD
	v_cndmask_b32_e32 v3, v0, v3, vcc
	v_ashrrev_i32_e32 v2, 31, v1
	v_mov_b32_e32 v4, s9
	s_and_b32 s3, s2, 0xff
	v_add_co_u32_e32 v0, vcc, s8, v1
	s_cmp_lt_i32 s3, 11
	v_addc_co_u32_e32 v1, vcc, v4, v2, vcc
	s_cbranch_scc1 .LBB14_968
; %bb.892:
	s_and_b32 s30, 0xffff, s3
	s_mov_b64 s[24:25], -1
	s_cmp_gt_i32 s30, 25
	s_mov_b64 s[0:1], s[16:17]
	s_cbranch_scc0 .LBB14_925
; %bb.893:
	s_mov_b64 s[22:23], -1
	s_cmp_gt_i32 s30, 28
	s_mov_b64 s[0:1], s[16:17]
	s_cbranch_scc0 .LBB14_909
; %bb.894:
	s_cmp_gt_i32 s30, 43
	s_mov_b64 s[0:1], s[16:17]
	s_cbranch_scc0 .LBB14_905
; %bb.895:
	;; [unrolled: 4-line block ×3, first 2 shown]
	s_cmp_eq_u32 s30, 46
	s_mov_b64 s[0:1], -1
	s_cbranch_scc0 .LBB14_898
; %bb.897:
	v_cvt_f32_ubyte0_e32 v2, v3
	v_bfe_u32 v4, v2, 16, 1
	s_movk_i32 s0, 0x7fff
	v_add3_u32 v2, v2, v4, s0
	v_lshrrev_b32_e32 v2, 16, v2
	global_store_dword v[0:1], v2, off
	s_mov_b64 s[0:1], 0
.LBB14_898:
	s_mov_b64 s[22:23], 0
.LBB14_899:
	s_and_b64 vcc, exec, s[22:23]
	s_cbranch_vccz .LBB14_904
; %bb.900:
	s_cmp_eq_u32 s30, 44
	s_mov_b64 s[0:1], -1
	s_cbranch_scc0 .LBB14_904
; %bb.901:
	v_cvt_f32_ubyte0_e32 v4, v3
	v_lshrrev_b32_e32 v2, 23, v4
	s_movk_i32 s0, 0xff
	v_cmp_ne_u32_e32 vcc, s0, v2
	v_mov_b32_e32 v5, 0xff
	s_and_saveexec_b64 s[22:23], vcc
; %bb.902:
	s_mov_b32 s0, 0x3fffff
	v_and_b32_e32 v5, 0x400000, v4
	v_and_or_b32 v4, v4, s0, v2
	v_cmp_ne_u32_e32 vcc, 0, v5
	v_cmp_ne_u32_e64 s[0:1], 0, v4
	s_and_b64 s[0:1], vcc, s[0:1]
	v_cndmask_b32_e64 v4, 0, 1, s[0:1]
	v_add_u32_e32 v5, v2, v4
; %bb.903:
	s_or_b64 exec, exec, s[22:23]
	s_mov_b64 s[0:1], 0
	global_store_byte v[0:1], v5, off
.LBB14_904:
	s_mov_b64 s[22:23], 0
.LBB14_905:
	s_and_b64 vcc, exec, s[22:23]
	s_cbranch_vccz .LBB14_908
; %bb.906:
	s_cmp_eq_u32 s30, 29
	s_mov_b64 s[0:1], -1
	s_cbranch_scc0 .LBB14_908
; %bb.907:
	v_and_b32_e32 v4, 0xff, v3
	v_mov_b32_e32 v5, 0
	global_store_dwordx2 v[0:1], v[4:5], off
	s_mov_b64 s[0:1], 0
.LBB14_908:
	s_mov_b64 s[22:23], 0
.LBB14_909:
	s_and_b64 vcc, exec, s[22:23]
	s_cbranch_vccz .LBB14_924
; %bb.910:
	s_cmp_lt_i32 s30, 27
	s_mov_b64 s[22:23], -1
	s_cbranch_scc1 .LBB14_916
; %bb.911:
	s_cmp_gt_i32 s30, 27
	s_cbranch_scc0 .LBB14_913
; %bb.912:
	v_and_b32_e32 v2, 0xff, v3
	s_mov_b64 s[22:23], 0
	global_store_dword v[0:1], v2, off
.LBB14_913:
	s_andn2_b64 vcc, exec, s[22:23]
	s_cbranch_vccnz .LBB14_915
; %bb.914:
	v_and_b32_e32 v2, 0xff, v3
	global_store_short v[0:1], v2, off
.LBB14_915:
	s_mov_b64 s[22:23], 0
.LBB14_916:
	s_andn2_b64 vcc, exec, s[22:23]
	s_cbranch_vccnz .LBB14_924
; %bb.917:
	v_cvt_f32_ubyte0_e32 v4, v3
	s_mov_b32 s22, 0x43800000
	v_cmp_gt_u32_e32 vcc, s22, v4
	v_mov_b32_e32 v5, 0x80
	s_and_saveexec_b64 s[22:23], vcc
	s_cbranch_execz .LBB14_923
; %bb.918:
	s_mov_b32 s24, 0x3bffffff
	v_cmp_lt_u32_e32 vcc, s24, v4
	s_mov_b64 s[24:25], 0
                                        ; implicit-def: $vgpr2
	s_and_saveexec_b64 s[26:27], vcc
	s_xor_b64 s[26:27], exec, s[26:27]
	s_cbranch_execz .LBB14_1025
; %bb.919:
	v_bfe_u32 v2, v4, 20, 1
	s_mov_b32 s28, 0x487ffff
	v_add3_u32 v2, v4, v2, s28
	s_mov_b64 s[24:25], exec
	v_lshrrev_b32_e32 v2, 20, v2
                                        ; implicit-def: $vgpr4
	s_andn2_saveexec_b64 s[26:27], s[26:27]
	s_cbranch_execnz .LBB14_1026
.LBB14_920:
	s_or_b64 exec, exec, s[26:27]
	v_mov_b32_e32 v5, 0
	s_and_saveexec_b64 s[26:27], s[24:25]
.LBB14_921:
	v_mov_b32_e32 v5, v2
.LBB14_922:
	s_or_b64 exec, exec, s[26:27]
.LBB14_923:
	s_or_b64 exec, exec, s[22:23]
	global_store_byte v[0:1], v5, off
.LBB14_924:
	s_mov_b64 s[24:25], 0
.LBB14_925:
	s_mov_b64 s[22:23], 0
	s_and_b64 vcc, exec, s[24:25]
	s_cbranch_vccz .LBB14_969
; %bb.926:
	s_cmp_gt_i32 s30, 22
	s_mov_b64 s[24:25], -1
	s_cbranch_scc0 .LBB14_958
; %bb.927:
	s_cmp_lt_i32 s30, 24
	s_cbranch_scc1 .LBB14_947
; %bb.928:
	s_cmp_gt_i32 s30, 24
	s_cbranch_scc0 .LBB14_936
; %bb.929:
	v_cvt_f32_ubyte0_e32 v4, v3
	s_mov_b32 s24, 0x47800000
	v_cmp_gt_u32_e32 vcc, s24, v4
	v_mov_b32_e32 v5, 0x80
	s_and_saveexec_b64 s[24:25], vcc
	s_cbranch_execz .LBB14_935
; %bb.930:
	s_mov_b32 s26, 0x37ffffff
	v_cmp_lt_u32_e32 vcc, s26, v4
	s_mov_b64 s[26:27], 0
                                        ; implicit-def: $vgpr2
	s_and_saveexec_b64 s[28:29], vcc
	s_xor_b64 s[28:29], exec, s[28:29]
	s_cbranch_execz .LBB14_1145
; %bb.931:
	v_bfe_u32 v2, v4, 21, 1
	s_mov_b32 s31, 0x88fffff
	v_add3_u32 v2, v4, v2, s31
	s_mov_b64 s[26:27], exec
	v_lshrrev_b32_e32 v2, 21, v2
                                        ; implicit-def: $vgpr4
	s_andn2_saveexec_b64 s[28:29], s[28:29]
	s_cbranch_execnz .LBB14_1146
.LBB14_932:
	s_or_b64 exec, exec, s[28:29]
	v_mov_b32_e32 v5, 0
	s_and_saveexec_b64 s[28:29], s[26:27]
.LBB14_933:
	v_mov_b32_e32 v5, v2
.LBB14_934:
	s_or_b64 exec, exec, s[28:29]
.LBB14_935:
	s_or_b64 exec, exec, s[24:25]
	s_mov_b64 s[24:25], 0
	global_store_byte v[0:1], v5, off
.LBB14_936:
	s_and_b64 vcc, exec, s[24:25]
	s_cbranch_vccz .LBB14_946
; %bb.937:
	v_cvt_f32_ubyte0_e32 v2, v3
	s_mov_b32 s24, 0x43f00000
	v_cmp_gt_u32_e32 vcc, s24, v2
                                        ; implicit-def: $vgpr4
	s_and_saveexec_b64 s[24:25], vcc
	s_xor_b64 s[24:25], exec, s[24:25]
	s_cbranch_execz .LBB14_943
; %bb.938:
	s_mov_b32 s26, 0x3c7fffff
	v_cmp_lt_u32_e32 vcc, s26, v2
                                        ; implicit-def: $vgpr4
	s_and_saveexec_b64 s[26:27], vcc
	s_xor_b64 s[26:27], exec, s[26:27]
; %bb.939:
	v_bfe_u32 v4, v2, 20, 1
	s_mov_b32 s28, 0x407ffff
	v_add3_u32 v2, v2, v4, s28
	v_lshrrev_b32_e32 v4, 20, v2
	v_and_b32_e32 v2, 0xff00000, v2
	s_mov_b32 s28, 0x7f00000
	v_mov_b32_e32 v5, 0x7e
	v_cmp_ne_u32_e32 vcc, s28, v2
	v_cndmask_b32_e32 v4, v5, v4, vcc
                                        ; implicit-def: $vgpr2
; %bb.940:
	s_andn2_saveexec_b64 s[26:27], s[26:27]
; %bb.941:
	v_add_f32_e32 v4, 0x46800000, v2
; %bb.942:
	s_or_b64 exec, exec, s[26:27]
                                        ; implicit-def: $vgpr2
.LBB14_943:
	s_andn2_saveexec_b64 s[24:25], s[24:25]
; %bb.944:
	s_mov_b32 s26, 0x7f800000
	v_mov_b32_e32 v4, 0x7e
	v_mov_b32_e32 v5, 0x7f
	v_cmp_lt_u32_e32 vcc, s26, v2
	v_cndmask_b32_e32 v4, v4, v5, vcc
; %bb.945:
	s_or_b64 exec, exec, s[24:25]
	global_store_byte v[0:1], v4, off
.LBB14_946:
	s_mov_b64 s[24:25], 0
.LBB14_947:
	s_andn2_b64 vcc, exec, s[24:25]
	s_cbranch_vccnz .LBB14_957
; %bb.948:
	v_cvt_f32_ubyte0_e32 v2, v3
	s_mov_b32 s24, 0x47800000
	v_cmp_gt_u32_e32 vcc, s24, v2
                                        ; implicit-def: $vgpr4
	s_and_saveexec_b64 s[24:25], vcc
	s_xor_b64 s[24:25], exec, s[24:25]
	s_cbranch_execz .LBB14_954
; %bb.949:
	s_mov_b32 s26, 0x387fffff
	v_cmp_lt_u32_e32 vcc, s26, v2
                                        ; implicit-def: $vgpr4
	s_and_saveexec_b64 s[26:27], vcc
	s_xor_b64 s[26:27], exec, s[26:27]
; %bb.950:
	v_bfe_u32 v4, v2, 21, 1
	s_mov_b32 s28, 0x80fffff
	v_add3_u32 v2, v2, v4, s28
	v_lshrrev_b32_e32 v4, 21, v2
                                        ; implicit-def: $vgpr2
; %bb.951:
	s_andn2_saveexec_b64 s[26:27], s[26:27]
; %bb.952:
	v_add_f32_e32 v4, 0x43000000, v2
; %bb.953:
	s_or_b64 exec, exec, s[26:27]
                                        ; implicit-def: $vgpr2
.LBB14_954:
	s_andn2_saveexec_b64 s[24:25], s[24:25]
; %bb.955:
	s_mov_b32 s26, 0x7f800000
	v_mov_b32_e32 v4, 0x7c
	v_mov_b32_e32 v5, 0x7f
	v_cmp_lt_u32_e32 vcc, s26, v2
	v_cndmask_b32_e32 v4, v4, v5, vcc
; %bb.956:
	s_or_b64 exec, exec, s[24:25]
	global_store_byte v[0:1], v4, off
.LBB14_957:
	s_mov_b64 s[24:25], 0
.LBB14_958:
	s_andn2_b64 vcc, exec, s[24:25]
	s_mov_b64 s[24:25], 0
	s_cbranch_vccnz .LBB14_970
; %bb.959:
	s_cmp_gt_i32 s30, 14
	s_mov_b64 s[26:27], -1
	s_cbranch_scc0 .LBB14_963
; %bb.960:
	s_cmp_eq_u32 s30, 15
	s_mov_b64 s[0:1], -1
	s_cbranch_scc0 .LBB14_962
; %bb.961:
	v_cvt_f32_ubyte0_e32 v2, v3
	v_bfe_u32 v4, v2, 16, 1
	s_movk_i32 s0, 0x7fff
	v_add3_u32 v2, v2, v4, s0
	global_store_short_d16_hi v[0:1], v2, off
	s_mov_b64 s[0:1], 0
.LBB14_962:
	s_mov_b64 s[26:27], 0
.LBB14_963:
	s_and_b64 vcc, exec, s[26:27]
	s_cbranch_vccz .LBB14_970
; %bb.964:
	s_cmp_lg_u32 s30, 11
	s_cselect_b64 s[26:27], -1, 0
	s_andn2_b64 s[0:1], s[0:1], exec
	s_and_b64 s[26:27], s[26:27], exec
	s_mov_b64 s[24:25], -1
	s_or_b64 s[0:1], s[0:1], s[26:27]
	s_branch .LBB14_970
.LBB14_965:
	s_or_b64 exec, exec, s[18:19]
	s_and_saveexec_b64 s[0:1], s[16:17]
	s_cbranch_execnz .LBB14_971
.LBB14_966:
	s_or_b64 exec, exec, s[0:1]
	s_and_saveexec_b64 s[0:1], s[24:25]
	s_xor_b64 s[0:1], exec, s[0:1]
	s_cbranch_execz .LBB14_972
.LBB14_967:
	s_waitcnt vmcnt(0)
	v_mov_b32_e32 v2, 0
	v_cmp_ne_u16_sdwa s[16:17], v3, v2 src0_sel:BYTE_0 src1_sel:DWORD
	v_cndmask_b32_e64 v2, 0, 1, s[16:17]
	global_store_byte v[0:1], v2, off
	s_or_b64 exec, exec, s[0:1]
	s_and_saveexec_b64 s[0:1], s[22:23]
	s_xor_b64 s[0:1], exec, s[0:1]
	s_cbranch_execz .LBB14_1010
	s_branch .LBB14_973
.LBB14_968:
	s_mov_b64 s[22:23], -1
	s_mov_b64 s[0:1], s[16:17]
	s_branch .LBB14_970
.LBB14_969:
	s_mov_b64 s[24:25], 0
.LBB14_970:
	s_andn2_b64 s[16:17], s[16:17], exec
	s_and_b64 s[0:1], s[0:1], exec
	s_and_b64 s[22:23], s[22:23], exec
	;; [unrolled: 1-line block ×3, first 2 shown]
	s_or_b64 s[16:17], s[16:17], s[0:1]
	s_or_b64 exec, exec, s[18:19]
	s_and_saveexec_b64 s[0:1], s[16:17]
	s_cbranch_execz .LBB14_966
.LBB14_971:
	s_or_b64 s[20:21], s[20:21], exec
	s_andn2_b64 s[24:25], s[24:25], exec
	s_trap 2
	s_or_b64 exec, exec, s[0:1]
	s_and_saveexec_b64 s[0:1], s[24:25]
	s_xor_b64 s[0:1], exec, s[0:1]
	s_cbranch_execnz .LBB14_967
.LBB14_972:
	s_or_b64 exec, exec, s[0:1]
	s_and_saveexec_b64 s[0:1], s[22:23]
	s_xor_b64 s[0:1], exec, s[0:1]
	s_cbranch_execz .LBB14_1010
.LBB14_973:
	s_sext_i32_i16 s18, s3
	s_cmp_lt_i32 s18, 5
	s_mov_b64 s[16:17], -1
	s_cbranch_scc1 .LBB14_994
; %bb.974:
	s_cmp_lt_i32 s18, 8
	s_cbranch_scc1 .LBB14_984
; %bb.975:
	s_cmp_lt_i32 s18, 9
	s_cbranch_scc1 .LBB14_981
; %bb.976:
	s_cmp_gt_i32 s18, 9
	s_cbranch_scc0 .LBB14_978
; %bb.977:
	s_mov_b32 s16, 0xffff
	s_waitcnt vmcnt(0)
	v_and_b32_sdwa v2, s16, v3 dst_sel:DWORD dst_unused:UNUSED_PAD src0_sel:DWORD src1_sel:BYTE_0
	v_cvt_f64_u32_e32 v[4:5], v2
	v_mov_b32_e32 v6, 0
	v_mov_b32_e32 v7, v6
	s_mov_b64 s[16:17], 0
	global_store_dwordx4 v[0:1], v[4:7], off
.LBB14_978:
	s_andn2_b64 vcc, exec, s[16:17]
	s_cbranch_vccnz .LBB14_980
; %bb.979:
	s_waitcnt vmcnt(0)
	v_cvt_f32_ubyte0_e32 v4, v3
	v_mov_b32_e32 v5, 0
	global_store_dwordx2 v[0:1], v[4:5], off
.LBB14_980:
	s_mov_b64 s[16:17], 0
.LBB14_981:
	s_andn2_b64 vcc, exec, s[16:17]
	s_cbranch_vccnz .LBB14_983
; %bb.982:
	s_waitcnt vmcnt(0)
	v_cvt_f16_u16_sdwa v2, v3 dst_sel:DWORD dst_unused:UNUSED_PAD src0_sel:BYTE_0
	global_store_dword v[0:1], v2, off
.LBB14_983:
	s_mov_b64 s[16:17], 0
.LBB14_984:
	s_andn2_b64 vcc, exec, s[16:17]
	s_cbranch_vccnz .LBB14_993
; %bb.985:
	s_sext_i32_i16 s18, s3
	s_cmp_lt_i32 s18, 6
	s_mov_b64 s[16:17], -1
	s_cbranch_scc1 .LBB14_991
; %bb.986:
	s_cmp_gt_i32 s18, 6
	s_cbranch_scc0 .LBB14_988
; %bb.987:
	s_mov_b32 s16, 0xffff
	s_waitcnt vmcnt(0)
	v_and_b32_sdwa v2, s16, v3 dst_sel:DWORD dst_unused:UNUSED_PAD src0_sel:DWORD src1_sel:BYTE_0
	v_cvt_f64_u32_e32 v[4:5], v2
	s_mov_b64 s[16:17], 0
	global_store_dwordx2 v[0:1], v[4:5], off
.LBB14_988:
	s_andn2_b64 vcc, exec, s[16:17]
	s_cbranch_vccnz .LBB14_990
; %bb.989:
	s_waitcnt vmcnt(0)
	v_cvt_f32_ubyte0_e32 v2, v3
	global_store_dword v[0:1], v2, off
.LBB14_990:
	s_mov_b64 s[16:17], 0
.LBB14_991:
	s_andn2_b64 vcc, exec, s[16:17]
	s_cbranch_vccnz .LBB14_993
; %bb.992:
	s_waitcnt vmcnt(0)
	v_cvt_f16_u16_sdwa v2, v3 dst_sel:DWORD dst_unused:UNUSED_PAD src0_sel:BYTE_0
	global_store_short v[0:1], v2, off
.LBB14_993:
	s_mov_b64 s[16:17], 0
.LBB14_994:
	s_andn2_b64 vcc, exec, s[16:17]
	s_cbranch_vccnz .LBB14_1010
; %bb.995:
	s_sext_i32_i16 s18, s3
	s_cmp_lt_i32 s18, 2
	s_mov_b64 s[16:17], -1
	s_cbranch_scc1 .LBB14_1005
; %bb.996:
	s_cmp_lt_i32 s18, 3
	s_cbranch_scc1 .LBB14_1002
; %bb.997:
	s_cmp_gt_i32 s18, 3
	s_cbranch_scc0 .LBB14_999
; %bb.998:
	s_waitcnt vmcnt(0)
	v_and_b32_e32 v4, 0xff, v3
	v_mov_b32_e32 v5, 0
	s_mov_b64 s[16:17], 0
	global_store_dwordx2 v[0:1], v[4:5], off
.LBB14_999:
	s_andn2_b64 vcc, exec, s[16:17]
	s_cbranch_vccnz .LBB14_1001
; %bb.1000:
	s_waitcnt vmcnt(0)
	v_and_b32_e32 v2, 0xff, v3
	global_store_dword v[0:1], v2, off
.LBB14_1001:
	s_mov_b64 s[16:17], 0
.LBB14_1002:
	s_andn2_b64 vcc, exec, s[16:17]
	s_cbranch_vccnz .LBB14_1004
; %bb.1003:
	s_waitcnt vmcnt(0)
	v_and_b32_e32 v2, 0xff, v3
	global_store_short v[0:1], v2, off
.LBB14_1004:
	s_mov_b64 s[16:17], 0
.LBB14_1005:
	s_andn2_b64 vcc, exec, s[16:17]
	s_cbranch_vccnz .LBB14_1010
; %bb.1006:
	s_sext_i32_i16 s3, s3
	s_cmp_gt_i32 s3, 0
	s_mov_b64 s[16:17], -1
	s_cbranch_scc0 .LBB14_1008
; %bb.1007:
	s_mov_b64 s[16:17], 0
	s_waitcnt vmcnt(0)
	global_store_byte v[0:1], v3, off
.LBB14_1008:
	s_andn2_b64 vcc, exec, s[16:17]
	s_cbranch_vccnz .LBB14_1010
; %bb.1009:
	s_waitcnt vmcnt(0)
	global_store_byte v[0:1], v3, off
.LBB14_1010:
	s_or_b64 exec, exec, s[0:1]
	s_and_b64 s[16:17], s[20:21], exec
                                        ; implicit-def: $vgpr7
.LBB14_1011:
	s_or_saveexec_b64 s[6:7], s[6:7]
	s_mov_b64 s[0:1], 0
                                        ; implicit-def: $sgpr20
                                        ; implicit-def: $vgpr0_vgpr1
                                        ; implicit-def: $vgpr2
	s_xor_b64 exec, exec, s[6:7]
	s_cbranch_execz .LBB14_1942
; %bb.1012:
	v_mul_lo_u32 v4, s13, v7
	v_mov_b32_e32 v0, s11
	s_and_b32 s3, s15, 0xff
	s_cmp_lt_i32 s3, 11
	v_ashrrev_i32_e32 v1, 31, v4
	s_waitcnt vmcnt(0)
	v_add_co_u32_e32 v2, vcc, s10, v4
	v_addc_co_u32_e32 v3, vcc, v0, v1, vcc
	s_cbranch_scc1 .LBB14_1019
; %bb.1013:
	s_and_b32 s15, 0xffff, s3
	s_cmp_gt_i32 s15, 25
	s_cbranch_scc0 .LBB14_1021
; %bb.1014:
	s_cmp_gt_i32 s15, 28
	s_cbranch_scc0 .LBB14_1022
; %bb.1015:
	;; [unrolled: 3-line block ×4, first 2 shown]
	s_cmp_eq_u32 s15, 46
	s_mov_b64 s[18:19], 0
	s_cbranch_scc0 .LBB14_1027
; %bb.1018:
	global_load_dword v0, v[2:3], off
	s_mov_b32 s0, 0x2f800000
	s_mov_b32 s1, 0xcf800000
	s_mov_b64 s[20:21], -1
	s_waitcnt vmcnt(0)
	v_lshlrev_b32_e32 v0, 16, v0
	v_trunc_f32_e32 v0, v0
	v_mul_f32_e64 v1, |v0|, s0
	v_floor_f32_e32 v1, v1
	v_fma_f32 v1, v1, s1, |v0|
	v_cvt_u32_f32_e32 v1, v1
	v_ashrrev_i32_e32 v0, 31, v0
	s_mov_b64 s[0:1], 0
	v_xor_b32_e32 v1, v1, v0
	v_sub_u32_e32 v0, v1, v0
	s_branch .LBB14_1028
.LBB14_1019:
	s_mov_b64 s[20:21], 0
                                        ; implicit-def: $vgpr0
	s_mov_b64 s[18:19], s[16:17]
	s_cbranch_execnz .LBB14_1086
.LBB14_1020:
	s_andn2_b64 vcc, exec, s[20:21]
	s_cbranch_vccz .LBB14_1131
	s_branch .LBB14_1940
.LBB14_1021:
	s_mov_b64 s[20:21], 0
                                        ; implicit-def: $vgpr0
	s_cbranch_execnz .LBB14_1053
	s_branch .LBB14_1082
.LBB14_1022:
	s_mov_b64 s[20:21], 0
                                        ; implicit-def: $vgpr0
	s_cbranch_execz .LBB14_1052
	s_branch .LBB14_1037
.LBB14_1023:
	s_mov_b64 s[20:21], 0
                                        ; implicit-def: $vgpr0
	s_cbranch_execnz .LBB14_1033
	s_branch .LBB14_1036
.LBB14_1024:
	s_mov_b64 s[18:19], -1
	s_mov_b64 s[20:21], 0
                                        ; implicit-def: $vgpr0
	s_branch .LBB14_1028
.LBB14_1025:
	s_andn2_saveexec_b64 s[26:27], s[26:27]
	s_cbranch_execz .LBB14_920
.LBB14_1026:
	v_add_f32_e32 v2, 0x46000000, v4
	v_and_b32_e32 v2, 0xff, v2
	v_cmp_ne_u32_e32 vcc, 0, v2
	s_andn2_b64 s[24:25], s[24:25], exec
	s_and_b64 s[28:29], vcc, exec
	s_or_b64 s[24:25], s[24:25], s[28:29]
	s_or_b64 exec, exec, s[26:27]
	v_mov_b32_e32 v5, 0
	s_and_saveexec_b64 s[26:27], s[24:25]
	s_cbranch_execnz .LBB14_921
	s_branch .LBB14_922
.LBB14_1027:
	s_mov_b64 s[0:1], -1
                                        ; implicit-def: $vgpr0
	s_mov_b64 s[20:21], 0
.LBB14_1028:
	s_and_b64 vcc, exec, s[18:19]
	s_cbranch_vccz .LBB14_1031
; %bb.1029:
	s_cmp_eq_u32 s15, 44
	s_cbranch_scc0 .LBB14_1032
; %bb.1030:
	global_load_ubyte v0, v[2:3], off
	s_mov_b32 s0, 0x2f800000
	s_mov_b32 s1, 0xcf800000
	s_mov_b64 s[20:21], -1
	s_waitcnt vmcnt(0)
	v_lshlrev_b32_e32 v1, 23, v0
	v_trunc_f32_e32 v1, v1
	v_mul_f32_e64 v5, |v1|, s0
	v_floor_f32_e32 v5, v5
	v_fma_f32 v5, v5, s1, |v1|
	v_cvt_u32_f32_e32 v5, v5
	v_ashrrev_i32_e32 v1, 31, v1
	v_cmp_ne_u32_e32 vcc, 0, v0
	s_mov_b64 s[0:1], 0
	v_xor_b32_e32 v5, v5, v1
	v_sub_u32_e32 v1, v5, v1
	v_cndmask_b32_e32 v0, 0, v1, vcc
.LBB14_1031:
	s_branch .LBB14_1036
.LBB14_1032:
	s_mov_b64 s[0:1], -1
                                        ; implicit-def: $vgpr0
	s_branch .LBB14_1036
.LBB14_1033:
	s_cmp_eq_u32 s15, 29
	s_cbranch_scc0 .LBB14_1035
; %bb.1034:
	global_load_dwordx2 v[0:1], v[2:3], off
	s_mov_b64 s[0:1], 0
	s_mov_b64 s[20:21], -1
	s_branch .LBB14_1036
.LBB14_1035:
	s_mov_b64 s[0:1], -1
                                        ; implicit-def: $vgpr0
.LBB14_1036:
	s_branch .LBB14_1052
.LBB14_1037:
	s_cmp_lt_i32 s15, 27
	s_cbranch_scc1 .LBB14_1040
; %bb.1038:
	s_cmp_gt_i32 s15, 27
	s_cbranch_scc0 .LBB14_1041
; %bb.1039:
	global_load_dword v0, v[2:3], off
	s_mov_b64 s[18:19], 0
	s_branch .LBB14_1042
.LBB14_1040:
	s_mov_b64 s[18:19], -1
                                        ; implicit-def: $vgpr0
	s_branch .LBB14_1045
.LBB14_1041:
	s_mov_b64 s[18:19], -1
                                        ; implicit-def: $vgpr0
.LBB14_1042:
	s_andn2_b64 vcc, exec, s[18:19]
	s_cbranch_vccnz .LBB14_1044
; %bb.1043:
	global_load_ushort v0, v[2:3], off
.LBB14_1044:
	s_mov_b64 s[18:19], 0
.LBB14_1045:
	s_andn2_b64 vcc, exec, s[18:19]
	s_cbranch_vccnz .LBB14_1051
; %bb.1046:
	global_load_ubyte v1, v[2:3], off
	s_movk_i32 s18, 0x7f
	s_mov_b64 s[20:21], 0
	s_waitcnt vmcnt(0)
	v_cmp_lt_i16_e32 vcc, s18, v1
	s_and_saveexec_b64 s[18:19], vcc
	s_xor_b64 s[18:19], exec, s[18:19]
	s_cbranch_execz .LBB14_1062
; %bb.1047:
	s_movk_i32 s20, 0x80
	v_cmp_ne_u16_e32 vcc, s20, v1
	s_and_b64 s[20:21], vcc, exec
	s_andn2_saveexec_b64 s[18:19], s[18:19]
	s_cbranch_execnz .LBB14_1063
.LBB14_1048:
	s_or_b64 exec, exec, s[18:19]
	v_mov_b32_e32 v0, 0
	s_and_saveexec_b64 s[18:19], s[20:21]
	s_cbranch_execz .LBB14_1050
.LBB14_1049:
	v_lshlrev_b32_e32 v0, 24, v1
	v_and_b32_e32 v1, 0xffff, v1
	v_and_b32_e32 v5, 7, v1
	v_ffbh_u32_e32 v8, v5
	v_min_u32_e32 v8, 32, v8
	v_subrev_u32_e32 v9, 28, v8
	v_bfe_u32 v6, v1, 3, 4
	v_lshlrev_b32_e32 v1, v9, v1
	v_sub_u32_e32 v8, 29, v8
	v_and_b32_e32 v1, 7, v1
	v_cmp_eq_u32_e32 vcc, 0, v6
	v_cndmask_b32_e32 v6, v6, v8, vcc
	v_cndmask_b32_e32 v1, v5, v1, vcc
	v_mov_b32_e32 v5, 0x3b800000
	v_lshlrev_b32_e32 v1, 20, v1
	v_and_b32_e32 v0, 0x80000000, v0
	v_lshl_add_u32 v5, v6, 23, v5
	v_or3_b32 v0, v0, v5, v1
	v_trunc_f32_e32 v0, v0
	s_mov_b32 s20, 0x2f800000
	v_mul_f32_e64 v1, |v0|, s20
	v_floor_f32_e32 v1, v1
	s_mov_b32 s20, 0xcf800000
	v_fma_f32 v1, v1, s20, |v0|
	v_cvt_u32_f32_e32 v1, v1
	v_ashrrev_i32_e32 v0, 31, v0
	v_xor_b32_e32 v1, v1, v0
	v_sub_u32_e32 v0, v1, v0
.LBB14_1050:
	s_or_b64 exec, exec, s[18:19]
.LBB14_1051:
	s_mov_b64 s[20:21], -1
.LBB14_1052:
	s_branch .LBB14_1082
.LBB14_1053:
	s_cmp_gt_i32 s15, 22
	s_cbranch_scc0 .LBB14_1061
; %bb.1054:
	s_cmp_lt_i32 s15, 24
	s_cbranch_scc1 .LBB14_1064
; %bb.1055:
	s_cmp_gt_i32 s15, 24
	s_cbranch_scc0 .LBB14_1065
; %bb.1056:
	global_load_ubyte v1, v[2:3], off
	s_movk_i32 s4, 0x7f
	s_mov_b64 s[18:19], 0
	s_waitcnt vmcnt(0)
	v_cmp_lt_i16_e32 vcc, s4, v1
	s_and_saveexec_b64 s[4:5], vcc
	s_xor_b64 s[4:5], exec, s[4:5]
	s_cbranch_execz .LBB14_1076
; %bb.1057:
	s_movk_i32 s18, 0x80
	v_cmp_ne_u16_e32 vcc, s18, v1
	s_and_b64 s[18:19], vcc, exec
	s_andn2_saveexec_b64 s[4:5], s[4:5]
	s_cbranch_execnz .LBB14_1077
.LBB14_1058:
	s_or_b64 exec, exec, s[4:5]
	v_mov_b32_e32 v0, 0
	s_and_saveexec_b64 s[4:5], s[18:19]
	s_cbranch_execz .LBB14_1060
.LBB14_1059:
	v_lshlrev_b32_e32 v0, 24, v1
	v_and_b32_e32 v1, 0xffff, v1
	v_and_b32_e32 v5, 3, v1
	v_ffbh_u32_e32 v8, v5
	v_min_u32_e32 v8, 32, v8
	v_subrev_u32_e32 v9, 29, v8
	v_bfe_u32 v6, v1, 2, 5
	v_lshlrev_b32_e32 v1, v9, v1
	v_sub_u32_e32 v8, 30, v8
	v_and_b32_e32 v1, 3, v1
	v_cmp_eq_u32_e32 vcc, 0, v6
	v_cndmask_b32_e32 v6, v6, v8, vcc
	v_cndmask_b32_e32 v1, v5, v1, vcc
	v_mov_b32_e32 v5, 0x37800000
	v_lshlrev_b32_e32 v1, 21, v1
	v_and_b32_e32 v0, 0x80000000, v0
	v_lshl_add_u32 v5, v6, 23, v5
	v_or3_b32 v0, v0, v5, v1
	v_trunc_f32_e32 v0, v0
	s_mov_b32 s18, 0x2f800000
	v_mul_f32_e64 v1, |v0|, s18
	v_floor_f32_e32 v1, v1
	s_mov_b32 s18, 0xcf800000
	v_fma_f32 v1, v1, s18, |v0|
	v_cvt_u32_f32_e32 v1, v1
	v_ashrrev_i32_e32 v0, 31, v0
	v_xor_b32_e32 v1, v1, v0
	v_sub_u32_e32 v0, v1, v0
.LBB14_1060:
	s_or_b64 exec, exec, s[4:5]
	s_mov_b64 s[4:5], 0
	s_branch .LBB14_1066
.LBB14_1061:
                                        ; implicit-def: $vgpr0
	s_mov_b64 s[4:5], 0
	s_branch .LBB14_1072
.LBB14_1062:
	s_andn2_saveexec_b64 s[18:19], s[18:19]
	s_cbranch_execz .LBB14_1048
.LBB14_1063:
	v_cmp_ne_u16_e32 vcc, 0, v1
	s_andn2_b64 s[20:21], s[20:21], exec
	s_and_b64 s[22:23], vcc, exec
	s_or_b64 s[20:21], s[20:21], s[22:23]
	s_or_b64 exec, exec, s[18:19]
	v_mov_b32_e32 v0, 0
	s_and_saveexec_b64 s[18:19], s[20:21]
	s_cbranch_execnz .LBB14_1049
	s_branch .LBB14_1050
.LBB14_1064:
	s_mov_b64 s[4:5], -1
                                        ; implicit-def: $vgpr0
	s_branch .LBB14_1069
.LBB14_1065:
	s_mov_b64 s[4:5], -1
                                        ; implicit-def: $vgpr0
.LBB14_1066:
	s_and_b64 vcc, exec, s[4:5]
	s_cbranch_vccz .LBB14_1068
; %bb.1067:
	global_load_ubyte v0, v[2:3], off
	s_mov_b32 s4, 0x7f800000
	s_brev_b32 s5, 1
	s_mov_b32 s18, 0x2f800000
	s_waitcnt vmcnt(0)
	v_lshlrev_b32_e32 v0, 24, v0
	v_and_b32_e32 v1, 0x7f000000, v0
	v_ffbh_u32_e32 v5, v1
	v_min_u32_e32 v5, 32, v5
	v_sub_u32_e64 v5, v5, 4 clamp
	v_lshlrev_b32_e32 v8, v5, v1
	v_lshlrev_b32_e32 v5, 23, v5
	v_lshrrev_b32_e32 v8, 4, v8
	v_add_u32_e32 v6, 0x1000000, v1
	v_sub_u32_e32 v5, v8, v5
	v_ashrrev_i32_e32 v6, 8, v6
	v_add_u32_e32 v5, 0x3c000000, v5
	v_and_or_b32 v5, v6, s4, v5
	v_cmp_ne_u32_e32 vcc, 0, v1
	v_cndmask_b32_e32 v1, 0, v5, vcc
	v_and_or_b32 v0, v0, s5, v1
	v_trunc_f32_e32 v0, v0
	v_mul_f32_e64 v1, |v0|, s18
	v_floor_f32_e32 v1, v1
	s_mov_b32 s4, 0xcf800000
	v_fma_f32 v1, v1, s4, |v0|
	v_cvt_u32_f32_e32 v1, v1
	v_ashrrev_i32_e32 v0, 31, v0
	v_xor_b32_e32 v1, v1, v0
	v_sub_u32_e32 v0, v1, v0
.LBB14_1068:
	s_mov_b64 s[4:5], 0
.LBB14_1069:
	s_andn2_b64 vcc, exec, s[4:5]
	s_cbranch_vccnz .LBB14_1071
; %bb.1070:
	global_load_ubyte v0, v[2:3], off
	s_movk_i32 s4, 0x7f00
	s_brev_b32 s5, 16
	s_brev_b32 s18, 1
	s_mov_b32 s19, 0x2f800000
	s_waitcnt vmcnt(0)
	v_lshlrev_b16_e32 v1, 8, v0
	v_lshlrev_b32_e32 v0, 25, v0
	v_lshrrev_b32_e32 v5, 4, v0
	v_and_or_b32 v6, v1, s4, 0.5
	v_or_b32_e32 v5, 0x70000000, v5
	v_add_f32_e32 v6, -0.5, v6
	v_mul_f32_e32 v5, 0x7800000, v5
	v_cmp_gt_u32_e32 vcc, s5, v0
	v_bfe_i32 v1, v1, 0, 16
	v_cndmask_b32_e32 v0, v5, v6, vcc
	v_and_or_b32 v0, v1, s18, v0
	v_trunc_f32_e32 v0, v0
	v_mul_f32_e64 v1, |v0|, s19
	v_floor_f32_e32 v1, v1
	s_mov_b32 s4, 0xcf800000
	v_fma_f32 v1, v1, s4, |v0|
	v_cvt_u32_f32_e32 v1, v1
	v_ashrrev_i32_e32 v0, 31, v0
	v_xor_b32_e32 v1, v1, v0
	v_sub_u32_e32 v0, v1, v0
.LBB14_1071:
	s_mov_b64 s[20:21], -1
	s_mov_b64 s[4:5], 0
	s_cbranch_execnz .LBB14_1082
.LBB14_1072:
	s_cmp_gt_i32 s15, 14
	s_cbranch_scc0 .LBB14_1075
; %bb.1073:
	s_cmp_eq_u32 s15, 15
	s_cbranch_scc0 .LBB14_1078
; %bb.1074:
	global_load_ushort v0, v[2:3], off
	s_mov_b32 s0, 0x2f800000
	s_mov_b32 s1, 0xcf800000
	s_mov_b64 s[20:21], -1
	s_waitcnt vmcnt(0)
	v_lshlrev_b32_e32 v0, 16, v0
	v_trunc_f32_e32 v0, v0
	v_mul_f32_e64 v1, |v0|, s0
	v_floor_f32_e32 v1, v1
	v_fma_f32 v1, v1, s1, |v0|
	v_cvt_u32_f32_e32 v1, v1
	v_ashrrev_i32_e32 v0, 31, v0
	s_mov_b64 s[0:1], 0
	v_xor_b32_e32 v1, v1, v0
	v_sub_u32_e32 v0, v1, v0
	s_branch .LBB14_1079
.LBB14_1075:
	s_mov_b64 s[18:19], -1
                                        ; implicit-def: $vgpr0
	s_branch .LBB14_1080
.LBB14_1076:
	s_andn2_saveexec_b64 s[4:5], s[4:5]
	s_cbranch_execz .LBB14_1058
.LBB14_1077:
	v_cmp_ne_u16_e32 vcc, 0, v1
	s_andn2_b64 s[18:19], s[18:19], exec
	s_and_b64 s[20:21], vcc, exec
	s_or_b64 s[18:19], s[18:19], s[20:21]
	s_or_b64 exec, exec, s[4:5]
	v_mov_b32_e32 v0, 0
	s_and_saveexec_b64 s[4:5], s[18:19]
	s_cbranch_execnz .LBB14_1059
	s_branch .LBB14_1060
.LBB14_1078:
	s_mov_b64 s[0:1], -1
                                        ; implicit-def: $vgpr0
.LBB14_1079:
	s_mov_b64 s[18:19], 0
.LBB14_1080:
	s_and_b64 vcc, exec, s[18:19]
	s_cbranch_vccz .LBB14_1082
; %bb.1081:
	s_cmp_lg_u32 s15, 11
	s_mov_b64 s[4:5], -1
	s_cselect_b64 s[0:1], -1, 0
.LBB14_1082:
	s_and_b64 vcc, exec, s[0:1]
	s_mov_b64 s[18:19], s[16:17]
	s_cbranch_vccnz .LBB14_1143
; %bb.1083:
	s_andn2_b64 vcc, exec, s[4:5]
	s_cbranch_vccnz .LBB14_1085
.LBB14_1084:
	global_load_ubyte v0, v[2:3], off
	s_mov_b64 s[20:21], -1
	s_waitcnt vmcnt(0)
	v_cmp_ne_u16_e32 vcc, 0, v0
	v_cndmask_b32_e64 v0, 0, 1, vcc
.LBB14_1085:
	s_branch .LBB14_1020
.LBB14_1086:
	s_and_b32 s4, 0xffff, s3
	s_cmp_lt_i32 s4, 5
	s_cbranch_scc1 .LBB14_1091
; %bb.1087:
	s_cmp_lt_i32 s4, 8
	s_cbranch_scc1 .LBB14_1092
; %bb.1088:
	;; [unrolled: 3-line block ×3, first 2 shown]
	s_cmp_gt_i32 s4, 9
	s_cbranch_scc0 .LBB14_1094
; %bb.1090:
	global_load_dwordx2 v[0:1], v[2:3], off
	s_movk_i32 s0, 0xffe0
	s_waitcnt vmcnt(0)
	v_trunc_f64_e32 v[0:1], v[0:1]
	v_ldexp_f64 v[5:6], v[0:1], s0
	s_mov_b32 s0, 0
	s_mov_b32 s1, 0xc1f00000
	v_floor_f64_e32 v[5:6], v[5:6]
	v_fma_f64 v[0:1], v[5:6], s[0:1], v[0:1]
	s_mov_b64 s[0:1], 0
	v_cvt_u32_f64_e32 v0, v[0:1]
	s_branch .LBB14_1095
.LBB14_1091:
                                        ; implicit-def: $vgpr0
	s_branch .LBB14_1112
.LBB14_1092:
                                        ; implicit-def: $vgpr0
	s_branch .LBB14_1101
.LBB14_1093:
	s_mov_b64 s[0:1], -1
                                        ; implicit-def: $vgpr0
	s_branch .LBB14_1098
.LBB14_1094:
	s_mov_b64 s[0:1], -1
                                        ; implicit-def: $vgpr0
.LBB14_1095:
	s_andn2_b64 vcc, exec, s[0:1]
	s_cbranch_vccnz .LBB14_1097
; %bb.1096:
	global_load_dword v0, v[2:3], off
	s_mov_b32 s0, 0x2f800000
	s_waitcnt vmcnt(0)
	v_trunc_f32_e32 v0, v0
	v_mul_f32_e64 v1, |v0|, s0
	v_floor_f32_e32 v1, v1
	s_mov_b32 s0, 0xcf800000
	v_fma_f32 v1, v1, s0, |v0|
	v_cvt_u32_f32_e32 v1, v1
	v_ashrrev_i32_e32 v0, 31, v0
	v_xor_b32_e32 v1, v1, v0
	v_sub_u32_e32 v0, v1, v0
.LBB14_1097:
	s_mov_b64 s[0:1], 0
.LBB14_1098:
	s_andn2_b64 vcc, exec, s[0:1]
	s_cbranch_vccnz .LBB14_1100
; %bb.1099:
	global_load_dword v0, v[2:3], off
	s_waitcnt vmcnt(0)
	v_cvt_f32_f16_e32 v0, v0
	v_cvt_i32_f32_e32 v0, v0
.LBB14_1100:
	s_cbranch_execnz .LBB14_1111
.LBB14_1101:
	s_cmp_lt_i32 s4, 6
	s_cbranch_scc1 .LBB14_1104
; %bb.1102:
	s_cmp_gt_i32 s4, 6
	s_cbranch_scc0 .LBB14_1105
; %bb.1103:
	global_load_dwordx2 v[0:1], v[2:3], off
	s_movk_i32 s0, 0xffe0
	s_waitcnt vmcnt(0)
	v_trunc_f64_e32 v[0:1], v[0:1]
	v_ldexp_f64 v[5:6], v[0:1], s0
	s_mov_b32 s0, 0
	s_mov_b32 s1, 0xc1f00000
	v_floor_f64_e32 v[5:6], v[5:6]
	v_fma_f64 v[0:1], v[5:6], s[0:1], v[0:1]
	s_mov_b64 s[0:1], 0
	v_cvt_u32_f64_e32 v0, v[0:1]
	s_branch .LBB14_1106
.LBB14_1104:
	s_mov_b64 s[0:1], -1
                                        ; implicit-def: $vgpr0
	s_branch .LBB14_1109
.LBB14_1105:
	s_mov_b64 s[0:1], -1
                                        ; implicit-def: $vgpr0
.LBB14_1106:
	s_andn2_b64 vcc, exec, s[0:1]
	s_cbranch_vccnz .LBB14_1108
; %bb.1107:
	global_load_dword v0, v[2:3], off
	s_mov_b32 s0, 0x2f800000
	s_waitcnt vmcnt(0)
	v_trunc_f32_e32 v0, v0
	v_mul_f32_e64 v1, |v0|, s0
	v_floor_f32_e32 v1, v1
	s_mov_b32 s0, 0xcf800000
	v_fma_f32 v1, v1, s0, |v0|
	v_cvt_u32_f32_e32 v1, v1
	v_ashrrev_i32_e32 v0, 31, v0
	v_xor_b32_e32 v1, v1, v0
	v_sub_u32_e32 v0, v1, v0
.LBB14_1108:
	s_mov_b64 s[0:1], 0
.LBB14_1109:
	s_andn2_b64 vcc, exec, s[0:1]
	s_cbranch_vccnz .LBB14_1111
; %bb.1110:
	global_load_ushort v0, v[2:3], off
	s_waitcnt vmcnt(0)
	v_cvt_f32_f16_e32 v0, v0
	v_cvt_i32_f32_e32 v0, v0
.LBB14_1111:
	s_cbranch_execnz .LBB14_1130
.LBB14_1112:
	s_cmp_lt_i32 s4, 2
	s_cbranch_scc1 .LBB14_1116
; %bb.1113:
	s_cmp_lt_i32 s4, 3
	s_cbranch_scc1 .LBB14_1117
; %bb.1114:
	s_cmp_gt_i32 s4, 3
	s_cbranch_scc0 .LBB14_1118
; %bb.1115:
	global_load_dwordx2 v[0:1], v[2:3], off
	s_mov_b64 s[0:1], 0
	s_branch .LBB14_1119
.LBB14_1116:
                                        ; implicit-def: $vgpr0
	s_branch .LBB14_1125
.LBB14_1117:
	s_mov_b64 s[0:1], -1
                                        ; implicit-def: $vgpr0
	s_branch .LBB14_1122
.LBB14_1118:
	s_mov_b64 s[0:1], -1
                                        ; implicit-def: $vgpr0
.LBB14_1119:
	s_andn2_b64 vcc, exec, s[0:1]
	s_cbranch_vccnz .LBB14_1121
; %bb.1120:
	global_load_dword v0, v[2:3], off
.LBB14_1121:
	s_mov_b64 s[0:1], 0
.LBB14_1122:
	s_andn2_b64 vcc, exec, s[0:1]
	s_cbranch_vccnz .LBB14_1124
; %bb.1123:
	global_load_ushort v0, v[2:3], off
.LBB14_1124:
	s_cbranch_execnz .LBB14_1130
.LBB14_1125:
	s_cmp_gt_i32 s4, 0
	s_cbranch_scc0 .LBB14_1127
; %bb.1126:
	global_load_ubyte v0, v[2:3], off
	s_mov_b64 s[0:1], 0
	s_branch .LBB14_1128
.LBB14_1127:
	s_mov_b64 s[0:1], -1
                                        ; implicit-def: $vgpr0
.LBB14_1128:
	s_andn2_b64 vcc, exec, s[0:1]
	s_cbranch_vccnz .LBB14_1130
; %bb.1129:
	global_load_ubyte v0, v[2:3], off
.LBB14_1130:
.LBB14_1131:
	s_lshl_b32 s13, s13, 7
	v_add_u32_e32 v5, s13, v4
	s_waitcnt vmcnt(0)
	v_ashrrev_i32_e32 v1, 31, v5
	v_mov_b32_e32 v2, s11
	v_add_co_u32_e32 v3, vcc, s10, v5
	s_cmp_lt_i32 s3, 11
	v_addc_co_u32_e32 v4, vcc, v2, v1, vcc
	s_cbranch_scc1 .LBB14_1138
; %bb.1132:
	s_and_b32 s15, 0xffff, s3
	s_cmp_gt_i32 s15, 25
	s_mov_b64 s[4:5], 0
	s_cbranch_scc0 .LBB14_1140
; %bb.1133:
	s_cmp_gt_i32 s15, 28
	s_cbranch_scc0 .LBB14_1141
; %bb.1134:
	s_cmp_gt_i32 s15, 43
	;; [unrolled: 3-line block ×3, first 2 shown]
	s_cbranch_scc0 .LBB14_1144
; %bb.1136:
	s_cmp_eq_u32 s15, 46
	s_mov_b64 s[22:23], 0
	s_cbranch_scc0 .LBB14_1147
; %bb.1137:
	global_load_dword v1, v[3:4], off
	s_mov_b32 s0, 0x2f800000
	s_mov_b32 s1, 0xcf800000
	s_mov_b64 s[20:21], -1
	s_waitcnt vmcnt(0)
	v_lshlrev_b32_e32 v1, 16, v1
	v_trunc_f32_e32 v1, v1
	v_mul_f32_e64 v2, |v1|, s0
	v_floor_f32_e32 v2, v2
	v_fma_f32 v2, v2, s1, |v1|
	v_cvt_u32_f32_e32 v2, v2
	v_ashrrev_i32_e32 v1, 31, v1
	s_mov_b64 s[0:1], 0
	v_xor_b32_e32 v2, v2, v1
	v_sub_u32_e32 v1, v2, v1
	s_branch .LBB14_1148
.LBB14_1138:
	s_mov_b64 s[20:21], 0
                                        ; implicit-def: $vgpr1
	s_cbranch_execnz .LBB14_1209
.LBB14_1139:
	s_andn2_b64 vcc, exec, s[20:21]
	s_cbranch_vccnz .LBB14_1940
	s_branch .LBB14_1256
.LBB14_1140:
	s_mov_b64 s[20:21], 0
	s_mov_b64 s[0:1], 0
                                        ; implicit-def: $vgpr1
	s_cbranch_execnz .LBB14_1175
	s_branch .LBB14_1205
.LBB14_1141:
	s_mov_b64 s[22:23], -1
	s_mov_b64 s[20:21], 0
	s_mov_b64 s[0:1], 0
                                        ; implicit-def: $vgpr1
	s_branch .LBB14_1158
.LBB14_1142:
	s_mov_b64 s[22:23], -1
	s_mov_b64 s[20:21], 0
	s_mov_b64 s[0:1], 0
                                        ; implicit-def: $vgpr1
	s_branch .LBB14_1153
.LBB14_1143:
	s_or_b64 s[18:19], s[16:17], exec
	s_trap 2
	s_cbranch_execz .LBB14_1084
	s_branch .LBB14_1085
.LBB14_1144:
	s_mov_b64 s[22:23], -1
	s_mov_b64 s[20:21], 0
	s_mov_b64 s[0:1], 0
                                        ; implicit-def: $vgpr1
	s_branch .LBB14_1148
.LBB14_1145:
	s_andn2_saveexec_b64 s[28:29], s[28:29]
	s_cbranch_execz .LBB14_932
.LBB14_1146:
	v_add_f32_e32 v2, 0x42800000, v4
	v_and_b32_e32 v2, 0xff, v2
	v_cmp_ne_u32_e32 vcc, 0, v2
	s_andn2_b64 s[26:27], s[26:27], exec
	s_and_b64 s[34:35], vcc, exec
	s_or_b64 s[26:27], s[26:27], s[34:35]
	s_or_b64 exec, exec, s[28:29]
	v_mov_b32_e32 v5, 0
	s_and_saveexec_b64 s[28:29], s[26:27]
	s_cbranch_execnz .LBB14_933
	s_branch .LBB14_934
.LBB14_1147:
	s_mov_b64 s[0:1], -1
                                        ; implicit-def: $vgpr1
	s_mov_b64 s[20:21], 0
.LBB14_1148:
	s_and_b64 vcc, exec, s[22:23]
	s_cbranch_vccz .LBB14_1152
; %bb.1149:
	s_cmp_eq_u32 s15, 44
	s_cbranch_scc0 .LBB14_1151
; %bb.1150:
	global_load_ubyte v1, v[3:4], off
	s_mov_b32 s0, 0x2f800000
	s_mov_b32 s1, 0xcf800000
	s_mov_b64 s[20:21], -1
	s_waitcnt vmcnt(0)
	v_lshlrev_b32_e32 v2, 23, v1
	v_trunc_f32_e32 v2, v2
	v_mul_f32_e64 v6, |v2|, s0
	v_floor_f32_e32 v6, v6
	v_fma_f32 v6, v6, s1, |v2|
	v_cvt_u32_f32_e32 v6, v6
	v_ashrrev_i32_e32 v2, 31, v2
	v_cmp_ne_u32_e32 vcc, 0, v1
	s_mov_b64 s[0:1], 0
	v_xor_b32_e32 v6, v6, v2
	v_sub_u32_e32 v2, v6, v2
	v_cndmask_b32_e32 v1, 0, v2, vcc
	s_branch .LBB14_1152
.LBB14_1151:
	s_mov_b64 s[0:1], -1
                                        ; implicit-def: $vgpr1
.LBB14_1152:
	s_mov_b64 s[22:23], 0
.LBB14_1153:
	s_and_b64 vcc, exec, s[22:23]
	s_cbranch_vccz .LBB14_1157
; %bb.1154:
	s_cmp_eq_u32 s15, 29
	s_cbranch_scc0 .LBB14_1156
; %bb.1155:
	global_load_dwordx2 v[1:2], v[3:4], off
	s_mov_b64 s[0:1], 0
	s_mov_b64 s[20:21], -1
	s_branch .LBB14_1157
.LBB14_1156:
	s_mov_b64 s[0:1], -1
                                        ; implicit-def: $vgpr1
.LBB14_1157:
	s_mov_b64 s[22:23], 0
.LBB14_1158:
	s_and_b64 vcc, exec, s[22:23]
	s_cbranch_vccz .LBB14_1174
; %bb.1159:
	s_cmp_lt_i32 s15, 27
	s_cbranch_scc1 .LBB14_1162
; %bb.1160:
	s_cmp_gt_i32 s15, 27
	s_cbranch_scc0 .LBB14_1163
; %bb.1161:
	global_load_dword v1, v[3:4], off
	s_mov_b64 s[20:21], 0
	s_branch .LBB14_1164
.LBB14_1162:
	s_mov_b64 s[20:21], -1
                                        ; implicit-def: $vgpr1
	s_branch .LBB14_1167
.LBB14_1163:
	s_mov_b64 s[20:21], -1
                                        ; implicit-def: $vgpr1
.LBB14_1164:
	s_andn2_b64 vcc, exec, s[20:21]
	s_cbranch_vccnz .LBB14_1166
; %bb.1165:
	global_load_ushort v1, v[3:4], off
.LBB14_1166:
	s_mov_b64 s[20:21], 0
.LBB14_1167:
	s_andn2_b64 vcc, exec, s[20:21]
	s_cbranch_vccnz .LBB14_1173
; %bb.1168:
	global_load_ubyte v2, v[3:4], off
	s_movk_i32 s20, 0x7f
	s_mov_b64 s[22:23], 0
	s_waitcnt vmcnt(0)
	v_cmp_lt_i16_e32 vcc, s20, v2
	s_and_saveexec_b64 s[20:21], vcc
	s_xor_b64 s[20:21], exec, s[20:21]
	s_cbranch_execz .LBB14_1184
; %bb.1169:
	s_movk_i32 s22, 0x80
	v_cmp_ne_u16_e32 vcc, s22, v2
	s_and_b64 s[22:23], vcc, exec
	s_andn2_saveexec_b64 s[20:21], s[20:21]
	s_cbranch_execnz .LBB14_1185
.LBB14_1170:
	s_or_b64 exec, exec, s[20:21]
	v_mov_b32_e32 v1, 0
	s_and_saveexec_b64 s[20:21], s[22:23]
	s_cbranch_execz .LBB14_1172
.LBB14_1171:
	v_lshlrev_b32_e32 v1, 24, v2
	v_and_b32_e32 v2, 0xffff, v2
	v_and_b32_e32 v6, 7, v2
	v_ffbh_u32_e32 v9, v6
	v_min_u32_e32 v9, 32, v9
	v_subrev_u32_e32 v10, 28, v9
	v_bfe_u32 v8, v2, 3, 4
	v_lshlrev_b32_e32 v2, v10, v2
	v_sub_u32_e32 v9, 29, v9
	v_and_b32_e32 v2, 7, v2
	v_cmp_eq_u32_e32 vcc, 0, v8
	v_cndmask_b32_e32 v8, v8, v9, vcc
	v_cndmask_b32_e32 v2, v6, v2, vcc
	v_mov_b32_e32 v6, 0x3b800000
	v_lshlrev_b32_e32 v2, 20, v2
	v_and_b32_e32 v1, 0x80000000, v1
	v_lshl_add_u32 v6, v8, 23, v6
	v_or3_b32 v1, v1, v6, v2
	v_trunc_f32_e32 v1, v1
	s_mov_b32 s22, 0x2f800000
	v_mul_f32_e64 v2, |v1|, s22
	v_floor_f32_e32 v2, v2
	s_mov_b32 s22, 0xcf800000
	v_fma_f32 v2, v2, s22, |v1|
	v_cvt_u32_f32_e32 v2, v2
	v_ashrrev_i32_e32 v1, 31, v1
	v_xor_b32_e32 v2, v2, v1
	v_sub_u32_e32 v1, v2, v1
.LBB14_1172:
	s_or_b64 exec, exec, s[20:21]
.LBB14_1173:
	s_mov_b64 s[20:21], -1
.LBB14_1174:
	s_branch .LBB14_1205
.LBB14_1175:
	s_cmp_gt_i32 s15, 22
	s_cbranch_scc0 .LBB14_1183
; %bb.1176:
	s_cmp_lt_i32 s15, 24
	s_cbranch_scc1 .LBB14_1186
; %bb.1177:
	s_cmp_gt_i32 s15, 24
	s_cbranch_scc0 .LBB14_1187
; %bb.1178:
	global_load_ubyte v2, v[3:4], off
	s_movk_i32 s4, 0x7f
	s_mov_b64 s[20:21], 0
	s_waitcnt vmcnt(0)
	v_cmp_lt_i16_e32 vcc, s4, v2
	s_and_saveexec_b64 s[4:5], vcc
	s_xor_b64 s[4:5], exec, s[4:5]
	s_cbranch_execz .LBB14_1199
; %bb.1179:
	s_movk_i32 s20, 0x80
	v_cmp_ne_u16_e32 vcc, s20, v2
	s_and_b64 s[20:21], vcc, exec
	s_andn2_saveexec_b64 s[4:5], s[4:5]
	s_cbranch_execnz .LBB14_1200
.LBB14_1180:
	s_or_b64 exec, exec, s[4:5]
	v_mov_b32_e32 v1, 0
	s_and_saveexec_b64 s[4:5], s[20:21]
	s_cbranch_execz .LBB14_1182
.LBB14_1181:
	v_lshlrev_b32_e32 v1, 24, v2
	v_and_b32_e32 v2, 0xffff, v2
	v_and_b32_e32 v6, 3, v2
	v_ffbh_u32_e32 v9, v6
	v_min_u32_e32 v9, 32, v9
	v_subrev_u32_e32 v10, 29, v9
	v_bfe_u32 v8, v2, 2, 5
	v_lshlrev_b32_e32 v2, v10, v2
	v_sub_u32_e32 v9, 30, v9
	v_and_b32_e32 v2, 3, v2
	v_cmp_eq_u32_e32 vcc, 0, v8
	v_cndmask_b32_e32 v8, v8, v9, vcc
	v_cndmask_b32_e32 v2, v6, v2, vcc
	v_mov_b32_e32 v6, 0x37800000
	v_lshlrev_b32_e32 v2, 21, v2
	v_and_b32_e32 v1, 0x80000000, v1
	v_lshl_add_u32 v6, v8, 23, v6
	v_or3_b32 v1, v1, v6, v2
	v_trunc_f32_e32 v1, v1
	s_mov_b32 s20, 0x2f800000
	v_mul_f32_e64 v2, |v1|, s20
	v_floor_f32_e32 v2, v2
	s_mov_b32 s20, 0xcf800000
	v_fma_f32 v2, v2, s20, |v1|
	v_cvt_u32_f32_e32 v2, v2
	v_ashrrev_i32_e32 v1, 31, v1
	v_xor_b32_e32 v2, v2, v1
	v_sub_u32_e32 v1, v2, v1
.LBB14_1182:
	s_or_b64 exec, exec, s[4:5]
	s_mov_b64 s[4:5], 0
	s_branch .LBB14_1188
.LBB14_1183:
	s_mov_b64 s[4:5], -1
                                        ; implicit-def: $vgpr1
	s_branch .LBB14_1194
.LBB14_1184:
	s_andn2_saveexec_b64 s[20:21], s[20:21]
	s_cbranch_execz .LBB14_1170
.LBB14_1185:
	v_cmp_ne_u16_e32 vcc, 0, v2
	s_andn2_b64 s[22:23], s[22:23], exec
	s_and_b64 s[24:25], vcc, exec
	s_or_b64 s[22:23], s[22:23], s[24:25]
	s_or_b64 exec, exec, s[20:21]
	v_mov_b32_e32 v1, 0
	s_and_saveexec_b64 s[20:21], s[22:23]
	s_cbranch_execnz .LBB14_1171
	s_branch .LBB14_1172
.LBB14_1186:
	s_mov_b64 s[4:5], -1
                                        ; implicit-def: $vgpr1
	s_branch .LBB14_1191
.LBB14_1187:
	s_mov_b64 s[4:5], -1
                                        ; implicit-def: $vgpr1
.LBB14_1188:
	s_and_b64 vcc, exec, s[4:5]
	s_cbranch_vccz .LBB14_1190
; %bb.1189:
	global_load_ubyte v1, v[3:4], off
	s_mov_b32 s4, 0x7f800000
	s_brev_b32 s5, 1
	s_mov_b32 s20, 0x2f800000
	s_waitcnt vmcnt(0)
	v_lshlrev_b32_e32 v1, 24, v1
	v_and_b32_e32 v2, 0x7f000000, v1
	v_ffbh_u32_e32 v6, v2
	v_min_u32_e32 v6, 32, v6
	v_sub_u32_e64 v6, v6, 4 clamp
	v_lshlrev_b32_e32 v9, v6, v2
	v_lshlrev_b32_e32 v6, 23, v6
	v_lshrrev_b32_e32 v9, 4, v9
	v_add_u32_e32 v8, 0x1000000, v2
	v_sub_u32_e32 v6, v9, v6
	v_ashrrev_i32_e32 v8, 8, v8
	v_add_u32_e32 v6, 0x3c000000, v6
	v_and_or_b32 v6, v8, s4, v6
	v_cmp_ne_u32_e32 vcc, 0, v2
	v_cndmask_b32_e32 v2, 0, v6, vcc
	v_and_or_b32 v1, v1, s5, v2
	v_trunc_f32_e32 v1, v1
	v_mul_f32_e64 v2, |v1|, s20
	v_floor_f32_e32 v2, v2
	s_mov_b32 s4, 0xcf800000
	v_fma_f32 v2, v2, s4, |v1|
	v_cvt_u32_f32_e32 v2, v2
	v_ashrrev_i32_e32 v1, 31, v1
	v_xor_b32_e32 v2, v2, v1
	v_sub_u32_e32 v1, v2, v1
.LBB14_1190:
	s_mov_b64 s[4:5], 0
.LBB14_1191:
	s_andn2_b64 vcc, exec, s[4:5]
	s_cbranch_vccnz .LBB14_1193
; %bb.1192:
	global_load_ubyte v1, v[3:4], off
	s_movk_i32 s4, 0x7f00
	s_brev_b32 s5, 16
	s_brev_b32 s20, 1
	s_mov_b32 s21, 0x2f800000
	s_waitcnt vmcnt(0)
	v_lshlrev_b16_e32 v2, 8, v1
	v_lshlrev_b32_e32 v1, 25, v1
	v_lshrrev_b32_e32 v6, 4, v1
	v_and_or_b32 v8, v2, s4, 0.5
	v_or_b32_e32 v6, 0x70000000, v6
	v_add_f32_e32 v8, -0.5, v8
	v_mul_f32_e32 v6, 0x7800000, v6
	v_cmp_gt_u32_e32 vcc, s5, v1
	v_bfe_i32 v2, v2, 0, 16
	v_cndmask_b32_e32 v1, v6, v8, vcc
	v_and_or_b32 v1, v2, s20, v1
	v_trunc_f32_e32 v1, v1
	v_mul_f32_e64 v2, |v1|, s21
	v_floor_f32_e32 v2, v2
	s_mov_b32 s4, 0xcf800000
	v_fma_f32 v2, v2, s4, |v1|
	v_cvt_u32_f32_e32 v2, v2
	v_ashrrev_i32_e32 v1, 31, v1
	v_xor_b32_e32 v2, v2, v1
	v_sub_u32_e32 v1, v2, v1
.LBB14_1193:
	s_mov_b64 s[4:5], 0
	s_mov_b64 s[20:21], -1
.LBB14_1194:
	s_andn2_b64 vcc, exec, s[4:5]
	s_mov_b64 s[4:5], 0
	s_cbranch_vccnz .LBB14_1205
; %bb.1195:
	s_cmp_gt_i32 s15, 14
	s_cbranch_scc0 .LBB14_1198
; %bb.1196:
	s_cmp_eq_u32 s15, 15
	s_cbranch_scc0 .LBB14_1201
; %bb.1197:
	global_load_ushort v1, v[3:4], off
	s_mov_b32 s0, 0x2f800000
	s_mov_b32 s1, 0xcf800000
	s_mov_b64 s[20:21], -1
	s_waitcnt vmcnt(0)
	v_lshlrev_b32_e32 v1, 16, v1
	v_trunc_f32_e32 v1, v1
	v_mul_f32_e64 v2, |v1|, s0
	v_floor_f32_e32 v2, v2
	v_fma_f32 v2, v2, s1, |v1|
	v_cvt_u32_f32_e32 v2, v2
	v_ashrrev_i32_e32 v1, 31, v1
	s_mov_b64 s[0:1], 0
	v_xor_b32_e32 v2, v2, v1
	v_sub_u32_e32 v1, v2, v1
	s_branch .LBB14_1202
.LBB14_1198:
	s_mov_b64 s[22:23], -1
                                        ; implicit-def: $vgpr1
	s_branch .LBB14_1203
.LBB14_1199:
	s_andn2_saveexec_b64 s[4:5], s[4:5]
	s_cbranch_execz .LBB14_1180
.LBB14_1200:
	v_cmp_ne_u16_e32 vcc, 0, v2
	s_andn2_b64 s[20:21], s[20:21], exec
	s_and_b64 s[22:23], vcc, exec
	s_or_b64 s[20:21], s[20:21], s[22:23]
	s_or_b64 exec, exec, s[4:5]
	v_mov_b32_e32 v1, 0
	s_and_saveexec_b64 s[4:5], s[20:21]
	s_cbranch_execnz .LBB14_1181
	s_branch .LBB14_1182
.LBB14_1201:
	s_mov_b64 s[0:1], -1
                                        ; implicit-def: $vgpr1
.LBB14_1202:
	s_mov_b64 s[22:23], 0
.LBB14_1203:
	s_and_b64 vcc, exec, s[22:23]
	s_cbranch_vccz .LBB14_1205
; %bb.1204:
	s_cmp_lg_u32 s15, 11
	s_mov_b64 s[4:5], -1
	s_cselect_b64 s[0:1], -1, 0
.LBB14_1205:
	s_and_b64 vcc, exec, s[0:1]
	s_cbranch_vccnz .LBB14_1268
; %bb.1206:
	s_andn2_b64 vcc, exec, s[4:5]
	s_cbranch_vccnz .LBB14_1208
.LBB14_1207:
	global_load_ubyte v1, v[3:4], off
	s_mov_b64 s[20:21], -1
	s_waitcnt vmcnt(0)
	v_cmp_ne_u16_e32 vcc, 0, v1
	v_cndmask_b32_e64 v1, 0, 1, vcc
.LBB14_1208:
	s_branch .LBB14_1139
.LBB14_1209:
	s_and_b32 s4, 0xffff, s3
	s_cmp_lt_i32 s4, 5
	s_cbranch_scc1 .LBB14_1214
; %bb.1210:
	s_cmp_lt_i32 s4, 8
	s_cbranch_scc1 .LBB14_1215
; %bb.1211:
	;; [unrolled: 3-line block ×3, first 2 shown]
	s_cmp_gt_i32 s4, 9
	s_cbranch_scc0 .LBB14_1217
; %bb.1213:
	global_load_dwordx2 v[1:2], v[3:4], off
	s_movk_i32 s0, 0xffe0
	s_waitcnt vmcnt(0)
	v_trunc_f64_e32 v[1:2], v[1:2]
	v_ldexp_f64 v[8:9], v[1:2], s0
	s_mov_b32 s0, 0
	s_mov_b32 s1, 0xc1f00000
	v_floor_f64_e32 v[8:9], v[8:9]
	v_fma_f64 v[1:2], v[8:9], s[0:1], v[1:2]
	s_mov_b64 s[0:1], 0
	v_cvt_u32_f64_e32 v1, v[1:2]
	s_branch .LBB14_1218
.LBB14_1214:
                                        ; implicit-def: $vgpr1
	s_branch .LBB14_1236
.LBB14_1215:
	s_mov_b64 s[0:1], -1
                                        ; implicit-def: $vgpr1
	s_branch .LBB14_1224
.LBB14_1216:
	s_mov_b64 s[0:1], -1
                                        ; implicit-def: $vgpr1
	s_branch .LBB14_1221
.LBB14_1217:
	s_mov_b64 s[0:1], -1
                                        ; implicit-def: $vgpr1
.LBB14_1218:
	s_andn2_b64 vcc, exec, s[0:1]
	s_cbranch_vccnz .LBB14_1220
; %bb.1219:
	global_load_dword v1, v[3:4], off
	s_mov_b32 s0, 0x2f800000
	s_waitcnt vmcnt(0)
	v_trunc_f32_e32 v1, v1
	v_mul_f32_e64 v2, |v1|, s0
	v_floor_f32_e32 v2, v2
	s_mov_b32 s0, 0xcf800000
	v_fma_f32 v2, v2, s0, |v1|
	v_cvt_u32_f32_e32 v2, v2
	v_ashrrev_i32_e32 v1, 31, v1
	v_xor_b32_e32 v2, v2, v1
	v_sub_u32_e32 v1, v2, v1
.LBB14_1220:
	s_mov_b64 s[0:1], 0
.LBB14_1221:
	s_andn2_b64 vcc, exec, s[0:1]
	s_cbranch_vccnz .LBB14_1223
; %bb.1222:
	global_load_dword v1, v[3:4], off
	s_waitcnt vmcnt(0)
	v_cvt_f32_f16_e32 v1, v1
	v_cvt_i32_f32_e32 v1, v1
.LBB14_1223:
	s_mov_b64 s[0:1], 0
.LBB14_1224:
	s_andn2_b64 vcc, exec, s[0:1]
	s_cbranch_vccnz .LBB14_1235
; %bb.1225:
	s_cmp_lt_i32 s4, 6
	s_cbranch_scc1 .LBB14_1228
; %bb.1226:
	s_cmp_gt_i32 s4, 6
	s_cbranch_scc0 .LBB14_1229
; %bb.1227:
	global_load_dwordx2 v[1:2], v[3:4], off
	s_movk_i32 s0, 0xffe0
	s_waitcnt vmcnt(0)
	v_trunc_f64_e32 v[1:2], v[1:2]
	v_ldexp_f64 v[8:9], v[1:2], s0
	s_mov_b32 s0, 0
	s_mov_b32 s1, 0xc1f00000
	v_floor_f64_e32 v[8:9], v[8:9]
	v_fma_f64 v[1:2], v[8:9], s[0:1], v[1:2]
	s_mov_b64 s[0:1], 0
	v_cvt_u32_f64_e32 v1, v[1:2]
	s_branch .LBB14_1230
.LBB14_1228:
	s_mov_b64 s[0:1], -1
                                        ; implicit-def: $vgpr1
	s_branch .LBB14_1233
.LBB14_1229:
	s_mov_b64 s[0:1], -1
                                        ; implicit-def: $vgpr1
.LBB14_1230:
	s_andn2_b64 vcc, exec, s[0:1]
	s_cbranch_vccnz .LBB14_1232
; %bb.1231:
	global_load_dword v1, v[3:4], off
	s_mov_b32 s0, 0x2f800000
	s_waitcnt vmcnt(0)
	v_trunc_f32_e32 v1, v1
	v_mul_f32_e64 v2, |v1|, s0
	v_floor_f32_e32 v2, v2
	s_mov_b32 s0, 0xcf800000
	v_fma_f32 v2, v2, s0, |v1|
	v_cvt_u32_f32_e32 v2, v2
	v_ashrrev_i32_e32 v1, 31, v1
	v_xor_b32_e32 v2, v2, v1
	v_sub_u32_e32 v1, v2, v1
.LBB14_1232:
	s_mov_b64 s[0:1], 0
.LBB14_1233:
	s_andn2_b64 vcc, exec, s[0:1]
	s_cbranch_vccnz .LBB14_1235
; %bb.1234:
	global_load_ushort v1, v[3:4], off
	s_waitcnt vmcnt(0)
	v_cvt_f32_f16_e32 v1, v1
	v_cvt_i32_f32_e32 v1, v1
.LBB14_1235:
	s_cbranch_execnz .LBB14_1255
.LBB14_1236:
	s_cmp_lt_i32 s4, 2
	s_cbranch_scc1 .LBB14_1240
; %bb.1237:
	s_cmp_lt_i32 s4, 3
	s_cbranch_scc1 .LBB14_1241
; %bb.1238:
	s_cmp_gt_i32 s4, 3
	s_cbranch_scc0 .LBB14_1242
; %bb.1239:
	global_load_dwordx2 v[1:2], v[3:4], off
	s_mov_b64 s[0:1], 0
	s_branch .LBB14_1243
.LBB14_1240:
	s_mov_b64 s[0:1], -1
                                        ; implicit-def: $vgpr1
	s_branch .LBB14_1249
.LBB14_1241:
	s_mov_b64 s[0:1], -1
                                        ; implicit-def: $vgpr1
	s_branch .LBB14_1246
.LBB14_1242:
	s_mov_b64 s[0:1], -1
                                        ; implicit-def: $vgpr1
.LBB14_1243:
	s_andn2_b64 vcc, exec, s[0:1]
	s_cbranch_vccnz .LBB14_1245
; %bb.1244:
	global_load_dword v1, v[3:4], off
.LBB14_1245:
	s_mov_b64 s[0:1], 0
.LBB14_1246:
	s_andn2_b64 vcc, exec, s[0:1]
	s_cbranch_vccnz .LBB14_1248
; %bb.1247:
	global_load_ushort v1, v[3:4], off
.LBB14_1248:
	s_mov_b64 s[0:1], 0
.LBB14_1249:
	s_andn2_b64 vcc, exec, s[0:1]
	s_cbranch_vccnz .LBB14_1255
; %bb.1250:
	s_cmp_gt_i32 s4, 0
	s_cbranch_scc0 .LBB14_1252
; %bb.1251:
	global_load_ubyte v1, v[3:4], off
	s_mov_b64 s[0:1], 0
	s_branch .LBB14_1253
.LBB14_1252:
	s_mov_b64 s[0:1], -1
                                        ; implicit-def: $vgpr1
.LBB14_1253:
	s_andn2_b64 vcc, exec, s[0:1]
	s_cbranch_vccnz .LBB14_1255
; %bb.1254:
	global_load_ubyte v1, v[3:4], off
.LBB14_1255:
.LBB14_1256:
	v_add_u32_e32 v6, s13, v5
	s_waitcnt vmcnt(0)
	v_ashrrev_i32_e32 v2, 31, v6
	v_mov_b32_e32 v3, s11
	v_add_co_u32_e32 v4, vcc, s10, v6
	s_cmp_lt_i32 s3, 11
	v_addc_co_u32_e32 v5, vcc, v3, v2, vcc
	s_cbranch_scc1 .LBB14_1263
; %bb.1257:
	s_and_b32 s15, 0xffff, s3
	s_cmp_gt_i32 s15, 25
	s_mov_b64 s[4:5], 0
	s_cbranch_scc0 .LBB14_1265
; %bb.1258:
	s_cmp_gt_i32 s15, 28
	s_cbranch_scc0 .LBB14_1266
; %bb.1259:
	s_cmp_gt_i32 s15, 43
	;; [unrolled: 3-line block ×3, first 2 shown]
	s_cbranch_scc0 .LBB14_1269
; %bb.1261:
	s_cmp_eq_u32 s15, 46
	s_mov_b64 s[22:23], 0
	s_cbranch_scc0 .LBB14_1270
; %bb.1262:
	global_load_dword v2, v[4:5], off
	s_mov_b32 s0, 0x2f800000
	s_mov_b32 s1, 0xcf800000
	s_mov_b64 s[20:21], -1
	s_waitcnt vmcnt(0)
	v_lshlrev_b32_e32 v2, 16, v2
	v_trunc_f32_e32 v2, v2
	v_mul_f32_e64 v3, |v2|, s0
	v_floor_f32_e32 v3, v3
	v_fma_f32 v3, v3, s1, |v2|
	v_cvt_u32_f32_e32 v3, v3
	v_ashrrev_i32_e32 v2, 31, v2
	s_mov_b64 s[0:1], 0
	v_xor_b32_e32 v3, v3, v2
	v_sub_u32_e32 v2, v3, v2
	s_branch .LBB14_1271
.LBB14_1263:
	s_mov_b64 s[20:21], 0
                                        ; implicit-def: $vgpr2
	s_cbranch_execnz .LBB14_1333
.LBB14_1264:
	s_andn2_b64 vcc, exec, s[20:21]
	s_cbranch_vccnz .LBB14_1940
	s_branch .LBB14_1381
.LBB14_1265:
	s_mov_b64 s[22:23], -1
	s_mov_b64 s[20:21], 0
	s_mov_b64 s[0:1], 0
                                        ; implicit-def: $vgpr2
	s_branch .LBB14_1298
.LBB14_1266:
	s_mov_b64 s[22:23], -1
	s_mov_b64 s[20:21], 0
	s_mov_b64 s[0:1], 0
                                        ; implicit-def: $vgpr2
	s_branch .LBB14_1281
.LBB14_1267:
	s_mov_b64 s[22:23], -1
	s_mov_b64 s[20:21], 0
	s_mov_b64 s[0:1], 0
                                        ; implicit-def: $vgpr2
	s_branch .LBB14_1276
.LBB14_1268:
	s_trap 2
	s_or_b64 s[18:19], s[18:19], exec
	s_cbranch_execz .LBB14_1207
	s_branch .LBB14_1208
.LBB14_1269:
	s_mov_b64 s[22:23], -1
	s_mov_b64 s[20:21], 0
	s_mov_b64 s[0:1], 0
                                        ; implicit-def: $vgpr2
	s_branch .LBB14_1271
.LBB14_1270:
	s_mov_b64 s[0:1], -1
                                        ; implicit-def: $vgpr2
	s_mov_b64 s[20:21], 0
.LBB14_1271:
	s_and_b64 vcc, exec, s[22:23]
	s_cbranch_vccz .LBB14_1275
; %bb.1272:
	s_cmp_eq_u32 s15, 44
	s_cbranch_scc0 .LBB14_1274
; %bb.1273:
	global_load_ubyte v2, v[4:5], off
	s_mov_b32 s0, 0x2f800000
	s_mov_b32 s1, 0xcf800000
	s_mov_b64 s[20:21], -1
	s_waitcnt vmcnt(0)
	v_lshlrev_b32_e32 v3, 23, v2
	v_trunc_f32_e32 v3, v3
	v_mul_f32_e64 v8, |v3|, s0
	v_floor_f32_e32 v8, v8
	v_fma_f32 v8, v8, s1, |v3|
	v_cvt_u32_f32_e32 v8, v8
	v_ashrrev_i32_e32 v3, 31, v3
	v_cmp_ne_u32_e32 vcc, 0, v2
	s_mov_b64 s[0:1], 0
	v_xor_b32_e32 v8, v8, v3
	v_sub_u32_e32 v3, v8, v3
	v_cndmask_b32_e32 v2, 0, v3, vcc
	s_branch .LBB14_1275
.LBB14_1274:
	s_mov_b64 s[0:1], -1
                                        ; implicit-def: $vgpr2
.LBB14_1275:
	s_mov_b64 s[22:23], 0
.LBB14_1276:
	s_and_b64 vcc, exec, s[22:23]
	s_cbranch_vccz .LBB14_1280
; %bb.1277:
	s_cmp_eq_u32 s15, 29
	s_cbranch_scc0 .LBB14_1279
; %bb.1278:
	global_load_dwordx2 v[2:3], v[4:5], off
	s_mov_b64 s[0:1], 0
	s_mov_b64 s[20:21], -1
	s_branch .LBB14_1280
.LBB14_1279:
	s_mov_b64 s[0:1], -1
                                        ; implicit-def: $vgpr2
.LBB14_1280:
	s_mov_b64 s[22:23], 0
.LBB14_1281:
	s_and_b64 vcc, exec, s[22:23]
	s_cbranch_vccz .LBB14_1297
; %bb.1282:
	s_cmp_lt_i32 s15, 27
	s_cbranch_scc1 .LBB14_1285
; %bb.1283:
	s_cmp_gt_i32 s15, 27
	s_cbranch_scc0 .LBB14_1286
; %bb.1284:
	global_load_dword v2, v[4:5], off
	s_mov_b64 s[20:21], 0
	s_branch .LBB14_1287
.LBB14_1285:
	s_mov_b64 s[20:21], -1
                                        ; implicit-def: $vgpr2
	s_branch .LBB14_1290
.LBB14_1286:
	s_mov_b64 s[20:21], -1
                                        ; implicit-def: $vgpr2
.LBB14_1287:
	s_andn2_b64 vcc, exec, s[20:21]
	s_cbranch_vccnz .LBB14_1289
; %bb.1288:
	global_load_ushort v2, v[4:5], off
.LBB14_1289:
	s_mov_b64 s[20:21], 0
.LBB14_1290:
	s_andn2_b64 vcc, exec, s[20:21]
	s_cbranch_vccnz .LBB14_1296
; %bb.1291:
	global_load_ubyte v3, v[4:5], off
	s_movk_i32 s20, 0x7f
	s_mov_b64 s[22:23], 0
	s_waitcnt vmcnt(0)
	v_cmp_lt_i16_e32 vcc, s20, v3
	s_and_saveexec_b64 s[20:21], vcc
	s_xor_b64 s[20:21], exec, s[20:21]
	s_cbranch_execz .LBB14_1308
; %bb.1292:
	s_movk_i32 s22, 0x80
	v_cmp_ne_u16_e32 vcc, s22, v3
	s_and_b64 s[22:23], vcc, exec
	s_andn2_saveexec_b64 s[20:21], s[20:21]
	s_cbranch_execnz .LBB14_1309
.LBB14_1293:
	s_or_b64 exec, exec, s[20:21]
	v_mov_b32_e32 v2, 0
	s_and_saveexec_b64 s[20:21], s[22:23]
	s_cbranch_execz .LBB14_1295
.LBB14_1294:
	v_lshlrev_b32_e32 v2, 24, v3
	v_and_b32_e32 v3, 0xffff, v3
	v_and_b32_e32 v8, 7, v3
	v_ffbh_u32_e32 v10, v8
	v_min_u32_e32 v10, 32, v10
	v_subrev_u32_e32 v11, 28, v10
	v_bfe_u32 v9, v3, 3, 4
	v_lshlrev_b32_e32 v3, v11, v3
	v_sub_u32_e32 v10, 29, v10
	v_and_b32_e32 v3, 7, v3
	v_cmp_eq_u32_e32 vcc, 0, v9
	v_cndmask_b32_e32 v9, v9, v10, vcc
	v_cndmask_b32_e32 v3, v8, v3, vcc
	v_mov_b32_e32 v8, 0x3b800000
	v_lshlrev_b32_e32 v3, 20, v3
	v_and_b32_e32 v2, 0x80000000, v2
	v_lshl_add_u32 v8, v9, 23, v8
	v_or3_b32 v2, v2, v8, v3
	v_trunc_f32_e32 v2, v2
	s_mov_b32 s22, 0x2f800000
	v_mul_f32_e64 v3, |v2|, s22
	v_floor_f32_e32 v3, v3
	s_mov_b32 s22, 0xcf800000
	v_fma_f32 v3, v3, s22, |v2|
	v_cvt_u32_f32_e32 v3, v3
	v_ashrrev_i32_e32 v2, 31, v2
	v_xor_b32_e32 v3, v3, v2
	v_sub_u32_e32 v2, v3, v2
.LBB14_1295:
	s_or_b64 exec, exec, s[20:21]
.LBB14_1296:
	s_mov_b64 s[20:21], -1
.LBB14_1297:
	s_mov_b64 s[22:23], 0
.LBB14_1298:
	s_and_b64 vcc, exec, s[22:23]
	s_cbranch_vccz .LBB14_1329
; %bb.1299:
	s_cmp_gt_i32 s15, 22
	s_cbranch_scc0 .LBB14_1307
; %bb.1300:
	s_cmp_lt_i32 s15, 24
	s_cbranch_scc1 .LBB14_1310
; %bb.1301:
	s_cmp_gt_i32 s15, 24
	s_cbranch_scc0 .LBB14_1311
; %bb.1302:
	global_load_ubyte v3, v[4:5], off
	s_movk_i32 s4, 0x7f
	s_mov_b64 s[20:21], 0
	s_waitcnt vmcnt(0)
	v_cmp_lt_i16_e32 vcc, s4, v3
	s_and_saveexec_b64 s[4:5], vcc
	s_xor_b64 s[4:5], exec, s[4:5]
	s_cbranch_execz .LBB14_1323
; %bb.1303:
	s_movk_i32 s20, 0x80
	v_cmp_ne_u16_e32 vcc, s20, v3
	s_and_b64 s[20:21], vcc, exec
	s_andn2_saveexec_b64 s[4:5], s[4:5]
	s_cbranch_execnz .LBB14_1324
.LBB14_1304:
	s_or_b64 exec, exec, s[4:5]
	v_mov_b32_e32 v2, 0
	s_and_saveexec_b64 s[4:5], s[20:21]
	s_cbranch_execz .LBB14_1306
.LBB14_1305:
	v_lshlrev_b32_e32 v2, 24, v3
	v_and_b32_e32 v3, 0xffff, v3
	v_and_b32_e32 v8, 3, v3
	v_ffbh_u32_e32 v10, v8
	v_min_u32_e32 v10, 32, v10
	v_subrev_u32_e32 v11, 29, v10
	v_bfe_u32 v9, v3, 2, 5
	v_lshlrev_b32_e32 v3, v11, v3
	v_sub_u32_e32 v10, 30, v10
	v_and_b32_e32 v3, 3, v3
	v_cmp_eq_u32_e32 vcc, 0, v9
	v_cndmask_b32_e32 v9, v9, v10, vcc
	v_cndmask_b32_e32 v3, v8, v3, vcc
	v_mov_b32_e32 v8, 0x37800000
	v_lshlrev_b32_e32 v3, 21, v3
	v_and_b32_e32 v2, 0x80000000, v2
	v_lshl_add_u32 v8, v9, 23, v8
	v_or3_b32 v2, v2, v8, v3
	v_trunc_f32_e32 v2, v2
	s_mov_b32 s20, 0x2f800000
	v_mul_f32_e64 v3, |v2|, s20
	v_floor_f32_e32 v3, v3
	s_mov_b32 s20, 0xcf800000
	v_fma_f32 v3, v3, s20, |v2|
	v_cvt_u32_f32_e32 v3, v3
	v_ashrrev_i32_e32 v2, 31, v2
	v_xor_b32_e32 v3, v3, v2
	v_sub_u32_e32 v2, v3, v2
.LBB14_1306:
	s_or_b64 exec, exec, s[4:5]
	s_mov_b64 s[4:5], 0
	s_branch .LBB14_1312
.LBB14_1307:
	s_mov_b64 s[4:5], -1
                                        ; implicit-def: $vgpr2
	s_branch .LBB14_1318
.LBB14_1308:
	s_andn2_saveexec_b64 s[20:21], s[20:21]
	s_cbranch_execz .LBB14_1293
.LBB14_1309:
	v_cmp_ne_u16_e32 vcc, 0, v3
	s_andn2_b64 s[22:23], s[22:23], exec
	s_and_b64 s[24:25], vcc, exec
	s_or_b64 s[22:23], s[22:23], s[24:25]
	s_or_b64 exec, exec, s[20:21]
	v_mov_b32_e32 v2, 0
	s_and_saveexec_b64 s[20:21], s[22:23]
	s_cbranch_execnz .LBB14_1294
	s_branch .LBB14_1295
.LBB14_1310:
	s_mov_b64 s[4:5], -1
                                        ; implicit-def: $vgpr2
	s_branch .LBB14_1315
.LBB14_1311:
	s_mov_b64 s[4:5], -1
                                        ; implicit-def: $vgpr2
.LBB14_1312:
	s_and_b64 vcc, exec, s[4:5]
	s_cbranch_vccz .LBB14_1314
; %bb.1313:
	global_load_ubyte v2, v[4:5], off
	s_mov_b32 s4, 0x7f800000
	s_brev_b32 s5, 1
	s_mov_b32 s20, 0x2f800000
	s_waitcnt vmcnt(0)
	v_lshlrev_b32_e32 v2, 24, v2
	v_and_b32_e32 v3, 0x7f000000, v2
	v_ffbh_u32_e32 v8, v3
	v_min_u32_e32 v8, 32, v8
	v_sub_u32_e64 v8, v8, 4 clamp
	v_lshlrev_b32_e32 v10, v8, v3
	v_lshlrev_b32_e32 v8, 23, v8
	v_lshrrev_b32_e32 v10, 4, v10
	v_add_u32_e32 v9, 0x1000000, v3
	v_sub_u32_e32 v8, v10, v8
	v_ashrrev_i32_e32 v9, 8, v9
	v_add_u32_e32 v8, 0x3c000000, v8
	v_and_or_b32 v8, v9, s4, v8
	v_cmp_ne_u32_e32 vcc, 0, v3
	v_cndmask_b32_e32 v3, 0, v8, vcc
	v_and_or_b32 v2, v2, s5, v3
	v_trunc_f32_e32 v2, v2
	v_mul_f32_e64 v3, |v2|, s20
	v_floor_f32_e32 v3, v3
	s_mov_b32 s4, 0xcf800000
	v_fma_f32 v3, v3, s4, |v2|
	v_cvt_u32_f32_e32 v3, v3
	v_ashrrev_i32_e32 v2, 31, v2
	v_xor_b32_e32 v3, v3, v2
	v_sub_u32_e32 v2, v3, v2
.LBB14_1314:
	s_mov_b64 s[4:5], 0
.LBB14_1315:
	s_andn2_b64 vcc, exec, s[4:5]
	s_cbranch_vccnz .LBB14_1317
; %bb.1316:
	global_load_ubyte v2, v[4:5], off
	s_movk_i32 s4, 0x7f00
	s_brev_b32 s5, 16
	s_brev_b32 s20, 1
	s_mov_b32 s21, 0x2f800000
	s_waitcnt vmcnt(0)
	v_lshlrev_b16_e32 v3, 8, v2
	v_lshlrev_b32_e32 v2, 25, v2
	v_lshrrev_b32_e32 v8, 4, v2
	v_and_or_b32 v9, v3, s4, 0.5
	v_or_b32_e32 v8, 0x70000000, v8
	v_add_f32_e32 v9, -0.5, v9
	v_mul_f32_e32 v8, 0x7800000, v8
	v_cmp_gt_u32_e32 vcc, s5, v2
	v_bfe_i32 v3, v3, 0, 16
	v_cndmask_b32_e32 v2, v8, v9, vcc
	v_and_or_b32 v2, v3, s20, v2
	v_trunc_f32_e32 v2, v2
	v_mul_f32_e64 v3, |v2|, s21
	v_floor_f32_e32 v3, v3
	s_mov_b32 s4, 0xcf800000
	v_fma_f32 v3, v3, s4, |v2|
	v_cvt_u32_f32_e32 v3, v3
	v_ashrrev_i32_e32 v2, 31, v2
	v_xor_b32_e32 v3, v3, v2
	v_sub_u32_e32 v2, v3, v2
.LBB14_1317:
	s_mov_b64 s[4:5], 0
	s_mov_b64 s[20:21], -1
.LBB14_1318:
	s_andn2_b64 vcc, exec, s[4:5]
	s_mov_b64 s[4:5], 0
	s_cbranch_vccnz .LBB14_1329
; %bb.1319:
	s_cmp_gt_i32 s15, 14
	s_cbranch_scc0 .LBB14_1322
; %bb.1320:
	s_cmp_eq_u32 s15, 15
	s_cbranch_scc0 .LBB14_1325
; %bb.1321:
	global_load_ushort v2, v[4:5], off
	s_mov_b32 s0, 0x2f800000
	s_mov_b32 s1, 0xcf800000
	s_mov_b64 s[20:21], -1
	s_waitcnt vmcnt(0)
	v_lshlrev_b32_e32 v2, 16, v2
	v_trunc_f32_e32 v2, v2
	v_mul_f32_e64 v3, |v2|, s0
	v_floor_f32_e32 v3, v3
	v_fma_f32 v3, v3, s1, |v2|
	v_cvt_u32_f32_e32 v3, v3
	v_ashrrev_i32_e32 v2, 31, v2
	s_mov_b64 s[0:1], 0
	v_xor_b32_e32 v3, v3, v2
	v_sub_u32_e32 v2, v3, v2
	s_branch .LBB14_1326
.LBB14_1322:
	s_mov_b64 s[22:23], -1
                                        ; implicit-def: $vgpr2
	s_branch .LBB14_1327
.LBB14_1323:
	s_andn2_saveexec_b64 s[4:5], s[4:5]
	s_cbranch_execz .LBB14_1304
.LBB14_1324:
	v_cmp_ne_u16_e32 vcc, 0, v3
	s_andn2_b64 s[20:21], s[20:21], exec
	s_and_b64 s[22:23], vcc, exec
	s_or_b64 s[20:21], s[20:21], s[22:23]
	s_or_b64 exec, exec, s[4:5]
	v_mov_b32_e32 v2, 0
	s_and_saveexec_b64 s[4:5], s[20:21]
	s_cbranch_execnz .LBB14_1305
	s_branch .LBB14_1306
.LBB14_1325:
	s_mov_b64 s[0:1], -1
                                        ; implicit-def: $vgpr2
.LBB14_1326:
	s_mov_b64 s[22:23], 0
.LBB14_1327:
	s_and_b64 vcc, exec, s[22:23]
	s_cbranch_vccz .LBB14_1329
; %bb.1328:
	s_cmp_lg_u32 s15, 11
	s_mov_b64 s[4:5], -1
	s_cselect_b64 s[0:1], -1, 0
.LBB14_1329:
	s_and_b64 vcc, exec, s[0:1]
	s_cbranch_vccnz .LBB14_1392
; %bb.1330:
	s_andn2_b64 vcc, exec, s[4:5]
	s_cbranch_vccnz .LBB14_1332
.LBB14_1331:
	global_load_ubyte v2, v[4:5], off
	s_mov_b64 s[20:21], -1
	s_waitcnt vmcnt(0)
	v_cmp_ne_u16_e32 vcc, 0, v2
	v_cndmask_b32_e64 v2, 0, 1, vcc
.LBB14_1332:
	s_branch .LBB14_1264
.LBB14_1333:
	s_and_b32 s4, 0xffff, s3
	s_cmp_lt_i32 s4, 5
	s_cbranch_scc1 .LBB14_1338
; %bb.1334:
	s_cmp_lt_i32 s4, 8
	s_cbranch_scc1 .LBB14_1339
; %bb.1335:
	;; [unrolled: 3-line block ×3, first 2 shown]
	s_cmp_gt_i32 s4, 9
	s_cbranch_scc0 .LBB14_1341
; %bb.1337:
	global_load_dwordx2 v[2:3], v[4:5], off
	s_movk_i32 s0, 0xffe0
	s_waitcnt vmcnt(0)
	v_trunc_f64_e32 v[2:3], v[2:3]
	v_ldexp_f64 v[8:9], v[2:3], s0
	s_mov_b32 s0, 0
	s_mov_b32 s1, 0xc1f00000
	v_floor_f64_e32 v[8:9], v[8:9]
	v_fma_f64 v[2:3], v[8:9], s[0:1], v[2:3]
	s_mov_b64 s[0:1], 0
	v_cvt_u32_f64_e32 v2, v[2:3]
	s_branch .LBB14_1342
.LBB14_1338:
	s_mov_b64 s[0:1], -1
                                        ; implicit-def: $vgpr2
	s_branch .LBB14_1360
.LBB14_1339:
	s_mov_b64 s[0:1], -1
                                        ; implicit-def: $vgpr2
	s_branch .LBB14_1348
.LBB14_1340:
	s_mov_b64 s[0:1], -1
                                        ; implicit-def: $vgpr2
	s_branch .LBB14_1345
.LBB14_1341:
	s_mov_b64 s[0:1], -1
                                        ; implicit-def: $vgpr2
.LBB14_1342:
	s_andn2_b64 vcc, exec, s[0:1]
	s_cbranch_vccnz .LBB14_1344
; %bb.1343:
	global_load_dword v2, v[4:5], off
	s_mov_b32 s0, 0x2f800000
	s_waitcnt vmcnt(0)
	v_trunc_f32_e32 v2, v2
	v_mul_f32_e64 v3, |v2|, s0
	v_floor_f32_e32 v3, v3
	s_mov_b32 s0, 0xcf800000
	v_fma_f32 v3, v3, s0, |v2|
	v_cvt_u32_f32_e32 v3, v3
	v_ashrrev_i32_e32 v2, 31, v2
	v_xor_b32_e32 v3, v3, v2
	v_sub_u32_e32 v2, v3, v2
.LBB14_1344:
	s_mov_b64 s[0:1], 0
.LBB14_1345:
	s_andn2_b64 vcc, exec, s[0:1]
	s_cbranch_vccnz .LBB14_1347
; %bb.1346:
	global_load_dword v2, v[4:5], off
	s_waitcnt vmcnt(0)
	v_cvt_f32_f16_e32 v2, v2
	v_cvt_i32_f32_e32 v2, v2
.LBB14_1347:
	s_mov_b64 s[0:1], 0
.LBB14_1348:
	s_andn2_b64 vcc, exec, s[0:1]
	s_cbranch_vccnz .LBB14_1359
; %bb.1349:
	s_cmp_lt_i32 s4, 6
	s_cbranch_scc1 .LBB14_1352
; %bb.1350:
	s_cmp_gt_i32 s4, 6
	s_cbranch_scc0 .LBB14_1353
; %bb.1351:
	global_load_dwordx2 v[2:3], v[4:5], off
	s_movk_i32 s0, 0xffe0
	s_waitcnt vmcnt(0)
	v_trunc_f64_e32 v[2:3], v[2:3]
	v_ldexp_f64 v[8:9], v[2:3], s0
	s_mov_b32 s0, 0
	s_mov_b32 s1, 0xc1f00000
	v_floor_f64_e32 v[8:9], v[8:9]
	v_fma_f64 v[2:3], v[8:9], s[0:1], v[2:3]
	s_mov_b64 s[0:1], 0
	v_cvt_u32_f64_e32 v2, v[2:3]
	s_branch .LBB14_1354
.LBB14_1352:
	s_mov_b64 s[0:1], -1
                                        ; implicit-def: $vgpr2
	s_branch .LBB14_1357
.LBB14_1353:
	s_mov_b64 s[0:1], -1
                                        ; implicit-def: $vgpr2
.LBB14_1354:
	s_andn2_b64 vcc, exec, s[0:1]
	s_cbranch_vccnz .LBB14_1356
; %bb.1355:
	global_load_dword v2, v[4:5], off
	s_mov_b32 s0, 0x2f800000
	s_waitcnt vmcnt(0)
	v_trunc_f32_e32 v2, v2
	v_mul_f32_e64 v3, |v2|, s0
	v_floor_f32_e32 v3, v3
	s_mov_b32 s0, 0xcf800000
	v_fma_f32 v3, v3, s0, |v2|
	v_cvt_u32_f32_e32 v3, v3
	v_ashrrev_i32_e32 v2, 31, v2
	v_xor_b32_e32 v3, v3, v2
	v_sub_u32_e32 v2, v3, v2
.LBB14_1356:
	s_mov_b64 s[0:1], 0
.LBB14_1357:
	s_andn2_b64 vcc, exec, s[0:1]
	s_cbranch_vccnz .LBB14_1359
; %bb.1358:
	global_load_ushort v2, v[4:5], off
	s_waitcnt vmcnt(0)
	v_cvt_f32_f16_e32 v2, v2
	v_cvt_i32_f32_e32 v2, v2
.LBB14_1359:
	s_mov_b64 s[0:1], 0
.LBB14_1360:
	s_andn2_b64 vcc, exec, s[0:1]
	s_cbranch_vccnz .LBB14_1380
; %bb.1361:
	s_cmp_lt_i32 s4, 2
	s_cbranch_scc1 .LBB14_1365
; %bb.1362:
	s_cmp_lt_i32 s4, 3
	s_cbranch_scc1 .LBB14_1366
; %bb.1363:
	s_cmp_gt_i32 s4, 3
	s_cbranch_scc0 .LBB14_1367
; %bb.1364:
	global_load_dwordx2 v[2:3], v[4:5], off
	s_mov_b64 s[0:1], 0
	s_branch .LBB14_1368
.LBB14_1365:
	s_mov_b64 s[0:1], -1
                                        ; implicit-def: $vgpr2
	s_branch .LBB14_1374
.LBB14_1366:
	s_mov_b64 s[0:1], -1
                                        ; implicit-def: $vgpr2
	s_branch .LBB14_1371
.LBB14_1367:
	s_mov_b64 s[0:1], -1
                                        ; implicit-def: $vgpr2
.LBB14_1368:
	s_andn2_b64 vcc, exec, s[0:1]
	s_cbranch_vccnz .LBB14_1370
; %bb.1369:
	global_load_dword v2, v[4:5], off
.LBB14_1370:
	s_mov_b64 s[0:1], 0
.LBB14_1371:
	s_andn2_b64 vcc, exec, s[0:1]
	s_cbranch_vccnz .LBB14_1373
; %bb.1372:
	global_load_ushort v2, v[4:5], off
.LBB14_1373:
	s_mov_b64 s[0:1], 0
.LBB14_1374:
	s_andn2_b64 vcc, exec, s[0:1]
	s_cbranch_vccnz .LBB14_1380
; %bb.1375:
	s_cmp_gt_i32 s4, 0
	s_cbranch_scc0 .LBB14_1377
; %bb.1376:
	global_load_ubyte v2, v[4:5], off
	s_mov_b64 s[0:1], 0
	s_branch .LBB14_1378
.LBB14_1377:
	s_mov_b64 s[0:1], -1
                                        ; implicit-def: $vgpr2
.LBB14_1378:
	s_andn2_b64 vcc, exec, s[0:1]
	s_cbranch_vccnz .LBB14_1380
; %bb.1379:
	global_load_ubyte v2, v[4:5], off
.LBB14_1380:
.LBB14_1381:
	s_waitcnt vmcnt(0)
	v_add_u32_e32 v3, s13, v6
	v_ashrrev_i32_e32 v4, 31, v3
	v_mov_b32_e32 v6, s11
	v_add_co_u32_e32 v5, vcc, s10, v3
	s_cmp_lt_i32 s3, 11
	v_addc_co_u32_e32 v6, vcc, v6, v4, vcc
	s_cbranch_scc1 .LBB14_1388
; %bb.1382:
	s_and_b32 s13, 0xffff, s3
	s_cmp_gt_i32 s13, 25
	s_mov_b64 s[4:5], 0
	s_cbranch_scc0 .LBB14_1389
; %bb.1383:
	s_cmp_gt_i32 s13, 28
	s_cbranch_scc0 .LBB14_1390
; %bb.1384:
	s_cmp_gt_i32 s13, 43
	;; [unrolled: 3-line block ×3, first 2 shown]
	s_cbranch_scc0 .LBB14_1393
; %bb.1386:
	s_cmp_eq_u32 s13, 46
	s_mov_b64 s[20:21], 0
	s_cbranch_scc0 .LBB14_1394
; %bb.1387:
	global_load_dword v3, v[5:6], off
	s_mov_b32 s0, 0x2f800000
	s_mov_b32 s1, 0xcf800000
	s_mov_b64 s[10:11], -1
	s_waitcnt vmcnt(0)
	v_lshlrev_b32_e32 v3, 16, v3
	v_trunc_f32_e32 v3, v3
	v_mul_f32_e64 v4, |v3|, s0
	v_floor_f32_e32 v4, v4
	v_fma_f32 v4, v4, s1, |v3|
	v_cvt_u32_f32_e32 v4, v4
	v_ashrrev_i32_e32 v3, 31, v3
	s_mov_b64 s[0:1], 0
	v_xor_b32_e32 v4, v4, v3
	v_sub_u32_e32 v3, v4, v3
	s_branch .LBB14_1395
.LBB14_1388:
	s_mov_b64 s[0:1], -1
	s_mov_b64 s[10:11], 0
                                        ; implicit-def: $vgpr3
	s_branch .LBB14_1457
.LBB14_1389:
	s_mov_b64 s[20:21], -1
	s_mov_b64 s[10:11], 0
	s_mov_b64 s[0:1], 0
                                        ; implicit-def: $vgpr3
	s_branch .LBB14_1422
.LBB14_1390:
	s_mov_b64 s[20:21], -1
	s_mov_b64 s[10:11], 0
	s_mov_b64 s[0:1], 0
                                        ; implicit-def: $vgpr3
	s_branch .LBB14_1405
.LBB14_1391:
	s_mov_b64 s[20:21], -1
	s_mov_b64 s[10:11], 0
	s_mov_b64 s[0:1], 0
                                        ; implicit-def: $vgpr3
	s_branch .LBB14_1400
.LBB14_1392:
	s_trap 2
	s_or_b64 s[18:19], s[18:19], exec
	s_cbranch_execz .LBB14_1331
	s_branch .LBB14_1332
.LBB14_1393:
	s_mov_b64 s[20:21], -1
	s_mov_b64 s[10:11], 0
	s_mov_b64 s[0:1], 0
                                        ; implicit-def: $vgpr3
	s_branch .LBB14_1395
.LBB14_1394:
	s_mov_b64 s[0:1], -1
                                        ; implicit-def: $vgpr3
	s_mov_b64 s[10:11], 0
.LBB14_1395:
	s_and_b64 vcc, exec, s[20:21]
	s_cbranch_vccz .LBB14_1399
; %bb.1396:
	s_cmp_eq_u32 s13, 44
	s_cbranch_scc0 .LBB14_1398
; %bb.1397:
	global_load_ubyte v3, v[5:6], off
	s_mov_b32 s0, 0x2f800000
	s_mov_b32 s1, 0xcf800000
	s_mov_b64 s[10:11], -1
	s_waitcnt vmcnt(0)
	v_lshlrev_b32_e32 v4, 23, v3
	v_trunc_f32_e32 v4, v4
	v_mul_f32_e64 v8, |v4|, s0
	v_floor_f32_e32 v8, v8
	v_fma_f32 v8, v8, s1, |v4|
	v_cvt_u32_f32_e32 v8, v8
	v_ashrrev_i32_e32 v4, 31, v4
	v_cmp_ne_u32_e32 vcc, 0, v3
	s_mov_b64 s[0:1], 0
	v_xor_b32_e32 v8, v8, v4
	v_sub_u32_e32 v4, v8, v4
	v_cndmask_b32_e32 v3, 0, v4, vcc
	s_branch .LBB14_1399
.LBB14_1398:
	s_mov_b64 s[0:1], -1
                                        ; implicit-def: $vgpr3
.LBB14_1399:
	s_mov_b64 s[20:21], 0
.LBB14_1400:
	s_and_b64 vcc, exec, s[20:21]
	s_cbranch_vccz .LBB14_1404
; %bb.1401:
	s_cmp_eq_u32 s13, 29
	s_cbranch_scc0 .LBB14_1403
; %bb.1402:
	global_load_dwordx2 v[3:4], v[5:6], off
	s_mov_b64 s[0:1], 0
	s_mov_b64 s[10:11], -1
	s_branch .LBB14_1404
.LBB14_1403:
	s_mov_b64 s[0:1], -1
                                        ; implicit-def: $vgpr3
.LBB14_1404:
	s_mov_b64 s[20:21], 0
.LBB14_1405:
	s_and_b64 vcc, exec, s[20:21]
	s_cbranch_vccz .LBB14_1421
; %bb.1406:
	s_cmp_lt_i32 s13, 27
	s_cbranch_scc1 .LBB14_1409
; %bb.1407:
	s_cmp_gt_i32 s13, 27
	s_cbranch_scc0 .LBB14_1410
; %bb.1408:
	global_load_dword v3, v[5:6], off
	s_mov_b64 s[10:11], 0
	s_branch .LBB14_1411
.LBB14_1409:
	s_mov_b64 s[10:11], -1
                                        ; implicit-def: $vgpr3
	s_branch .LBB14_1414
.LBB14_1410:
	s_mov_b64 s[10:11], -1
                                        ; implicit-def: $vgpr3
.LBB14_1411:
	s_andn2_b64 vcc, exec, s[10:11]
	s_cbranch_vccnz .LBB14_1413
; %bb.1412:
	global_load_ushort v3, v[5:6], off
.LBB14_1413:
	s_mov_b64 s[10:11], 0
.LBB14_1414:
	s_andn2_b64 vcc, exec, s[10:11]
	s_cbranch_vccnz .LBB14_1420
; %bb.1415:
	global_load_ubyte v4, v[5:6], off
	s_movk_i32 s10, 0x7f
	s_mov_b64 s[20:21], 0
	s_waitcnt vmcnt(0)
	v_cmp_lt_i16_e32 vcc, s10, v4
	s_and_saveexec_b64 s[10:11], vcc
	s_xor_b64 s[10:11], exec, s[10:11]
	s_cbranch_execz .LBB14_1432
; %bb.1416:
	s_movk_i32 s15, 0x80
	v_cmp_ne_u16_e32 vcc, s15, v4
	s_and_b64 s[20:21], vcc, exec
	s_andn2_saveexec_b64 s[10:11], s[10:11]
	s_cbranch_execnz .LBB14_1433
.LBB14_1417:
	s_or_b64 exec, exec, s[10:11]
	v_mov_b32_e32 v3, 0
	s_and_saveexec_b64 s[10:11], s[20:21]
	s_cbranch_execz .LBB14_1419
.LBB14_1418:
	v_lshlrev_b32_e32 v3, 24, v4
	v_and_b32_e32 v4, 0xffff, v4
	v_and_b32_e32 v8, 7, v4
	v_ffbh_u32_e32 v10, v8
	v_min_u32_e32 v10, 32, v10
	v_subrev_u32_e32 v11, 28, v10
	v_bfe_u32 v9, v4, 3, 4
	v_lshlrev_b32_e32 v4, v11, v4
	v_sub_u32_e32 v10, 29, v10
	v_and_b32_e32 v4, 7, v4
	v_cmp_eq_u32_e32 vcc, 0, v9
	v_cndmask_b32_e32 v9, v9, v10, vcc
	v_cndmask_b32_e32 v4, v8, v4, vcc
	v_mov_b32_e32 v8, 0x3b800000
	v_lshlrev_b32_e32 v4, 20, v4
	v_and_b32_e32 v3, 0x80000000, v3
	v_lshl_add_u32 v8, v9, 23, v8
	v_or3_b32 v3, v3, v8, v4
	v_trunc_f32_e32 v3, v3
	s_mov_b32 s15, 0x2f800000
	v_mul_f32_e64 v4, |v3|, s15
	v_floor_f32_e32 v4, v4
	s_mov_b32 s15, 0xcf800000
	v_fma_f32 v4, v4, s15, |v3|
	v_cvt_u32_f32_e32 v4, v4
	v_ashrrev_i32_e32 v3, 31, v3
	v_xor_b32_e32 v4, v4, v3
	v_sub_u32_e32 v3, v4, v3
.LBB14_1419:
	s_or_b64 exec, exec, s[10:11]
.LBB14_1420:
	s_mov_b64 s[10:11], -1
.LBB14_1421:
	s_mov_b64 s[20:21], 0
.LBB14_1422:
	s_and_b64 vcc, exec, s[20:21]
	s_cbranch_vccz .LBB14_1453
; %bb.1423:
	s_cmp_gt_i32 s13, 22
	s_cbranch_scc0 .LBB14_1431
; %bb.1424:
	s_cmp_lt_i32 s13, 24
	s_cbranch_scc1 .LBB14_1434
; %bb.1425:
	s_cmp_gt_i32 s13, 24
	s_cbranch_scc0 .LBB14_1435
; %bb.1426:
	global_load_ubyte v4, v[5:6], off
	s_movk_i32 s4, 0x7f
	s_mov_b64 s[10:11], 0
	s_waitcnt vmcnt(0)
	v_cmp_lt_i16_e32 vcc, s4, v4
	s_and_saveexec_b64 s[4:5], vcc
	s_xor_b64 s[4:5], exec, s[4:5]
	s_cbranch_execz .LBB14_1447
; %bb.1427:
	s_movk_i32 s10, 0x80
	v_cmp_ne_u16_e32 vcc, s10, v4
	s_and_b64 s[10:11], vcc, exec
	s_andn2_saveexec_b64 s[4:5], s[4:5]
	s_cbranch_execnz .LBB14_1448
.LBB14_1428:
	s_or_b64 exec, exec, s[4:5]
	v_mov_b32_e32 v3, 0
	s_and_saveexec_b64 s[4:5], s[10:11]
	s_cbranch_execz .LBB14_1430
.LBB14_1429:
	v_lshlrev_b32_e32 v3, 24, v4
	v_and_b32_e32 v4, 0xffff, v4
	v_and_b32_e32 v8, 3, v4
	v_ffbh_u32_e32 v10, v8
	v_min_u32_e32 v10, 32, v10
	v_subrev_u32_e32 v11, 29, v10
	v_bfe_u32 v9, v4, 2, 5
	v_lshlrev_b32_e32 v4, v11, v4
	v_sub_u32_e32 v10, 30, v10
	v_and_b32_e32 v4, 3, v4
	v_cmp_eq_u32_e32 vcc, 0, v9
	v_cndmask_b32_e32 v9, v9, v10, vcc
	v_cndmask_b32_e32 v4, v8, v4, vcc
	v_mov_b32_e32 v8, 0x37800000
	v_lshlrev_b32_e32 v4, 21, v4
	v_and_b32_e32 v3, 0x80000000, v3
	v_lshl_add_u32 v8, v9, 23, v8
	v_or3_b32 v3, v3, v8, v4
	v_trunc_f32_e32 v3, v3
	s_mov_b32 s10, 0x2f800000
	v_mul_f32_e64 v4, |v3|, s10
	v_floor_f32_e32 v4, v4
	s_mov_b32 s10, 0xcf800000
	v_fma_f32 v4, v4, s10, |v3|
	v_cvt_u32_f32_e32 v4, v4
	v_ashrrev_i32_e32 v3, 31, v3
	v_xor_b32_e32 v4, v4, v3
	v_sub_u32_e32 v3, v4, v3
.LBB14_1430:
	s_or_b64 exec, exec, s[4:5]
	s_mov_b64 s[4:5], 0
	s_branch .LBB14_1436
.LBB14_1431:
	s_mov_b64 s[4:5], -1
                                        ; implicit-def: $vgpr3
	s_branch .LBB14_1442
.LBB14_1432:
	s_andn2_saveexec_b64 s[10:11], s[10:11]
	s_cbranch_execz .LBB14_1417
.LBB14_1433:
	v_cmp_ne_u16_e32 vcc, 0, v4
	s_andn2_b64 s[20:21], s[20:21], exec
	s_and_b64 s[22:23], vcc, exec
	s_or_b64 s[20:21], s[20:21], s[22:23]
	s_or_b64 exec, exec, s[10:11]
	v_mov_b32_e32 v3, 0
	s_and_saveexec_b64 s[10:11], s[20:21]
	s_cbranch_execnz .LBB14_1418
	s_branch .LBB14_1419
.LBB14_1434:
	s_mov_b64 s[4:5], -1
                                        ; implicit-def: $vgpr3
	s_branch .LBB14_1439
.LBB14_1435:
	s_mov_b64 s[4:5], -1
                                        ; implicit-def: $vgpr3
.LBB14_1436:
	s_and_b64 vcc, exec, s[4:5]
	s_cbranch_vccz .LBB14_1438
; %bb.1437:
	global_load_ubyte v3, v[5:6], off
	s_mov_b32 s4, 0x7f800000
	s_brev_b32 s5, 1
	s_mov_b32 s10, 0x2f800000
	s_waitcnt vmcnt(0)
	v_lshlrev_b32_e32 v3, 24, v3
	v_and_b32_e32 v4, 0x7f000000, v3
	v_ffbh_u32_e32 v8, v4
	v_min_u32_e32 v8, 32, v8
	v_sub_u32_e64 v8, v8, 4 clamp
	v_lshlrev_b32_e32 v10, v8, v4
	v_lshlrev_b32_e32 v8, 23, v8
	v_lshrrev_b32_e32 v10, 4, v10
	v_add_u32_e32 v9, 0x1000000, v4
	v_sub_u32_e32 v8, v10, v8
	v_ashrrev_i32_e32 v9, 8, v9
	v_add_u32_e32 v8, 0x3c000000, v8
	v_and_or_b32 v8, v9, s4, v8
	v_cmp_ne_u32_e32 vcc, 0, v4
	v_cndmask_b32_e32 v4, 0, v8, vcc
	v_and_or_b32 v3, v3, s5, v4
	v_trunc_f32_e32 v3, v3
	v_mul_f32_e64 v4, |v3|, s10
	v_floor_f32_e32 v4, v4
	s_mov_b32 s4, 0xcf800000
	v_fma_f32 v4, v4, s4, |v3|
	v_cvt_u32_f32_e32 v4, v4
	v_ashrrev_i32_e32 v3, 31, v3
	v_xor_b32_e32 v4, v4, v3
	v_sub_u32_e32 v3, v4, v3
.LBB14_1438:
	s_mov_b64 s[4:5], 0
.LBB14_1439:
	s_andn2_b64 vcc, exec, s[4:5]
	s_cbranch_vccnz .LBB14_1441
; %bb.1440:
	global_load_ubyte v3, v[5:6], off
	s_movk_i32 s4, 0x7f00
	s_brev_b32 s5, 16
	s_brev_b32 s10, 1
	s_mov_b32 s11, 0x2f800000
	s_waitcnt vmcnt(0)
	v_lshlrev_b16_e32 v4, 8, v3
	v_lshlrev_b32_e32 v3, 25, v3
	v_lshrrev_b32_e32 v8, 4, v3
	v_and_or_b32 v9, v4, s4, 0.5
	v_or_b32_e32 v8, 0x70000000, v8
	v_add_f32_e32 v9, -0.5, v9
	v_mul_f32_e32 v8, 0x7800000, v8
	v_cmp_gt_u32_e32 vcc, s5, v3
	v_bfe_i32 v4, v4, 0, 16
	v_cndmask_b32_e32 v3, v8, v9, vcc
	v_and_or_b32 v3, v4, s10, v3
	v_trunc_f32_e32 v3, v3
	v_mul_f32_e64 v4, |v3|, s11
	v_floor_f32_e32 v4, v4
	s_mov_b32 s4, 0xcf800000
	v_fma_f32 v4, v4, s4, |v3|
	v_cvt_u32_f32_e32 v4, v4
	v_ashrrev_i32_e32 v3, 31, v3
	v_xor_b32_e32 v4, v4, v3
	v_sub_u32_e32 v3, v4, v3
.LBB14_1441:
	s_mov_b64 s[4:5], 0
	s_mov_b64 s[10:11], -1
.LBB14_1442:
	s_andn2_b64 vcc, exec, s[4:5]
	s_mov_b64 s[4:5], 0
	s_cbranch_vccnz .LBB14_1453
; %bb.1443:
	s_cmp_gt_i32 s13, 14
	s_cbranch_scc0 .LBB14_1446
; %bb.1444:
	s_cmp_eq_u32 s13, 15
	s_cbranch_scc0 .LBB14_1449
; %bb.1445:
	global_load_ushort v3, v[5:6], off
	s_mov_b32 s0, 0x2f800000
	s_mov_b32 s1, 0xcf800000
	s_mov_b64 s[10:11], -1
	s_waitcnt vmcnt(0)
	v_lshlrev_b32_e32 v3, 16, v3
	v_trunc_f32_e32 v3, v3
	v_mul_f32_e64 v4, |v3|, s0
	v_floor_f32_e32 v4, v4
	v_fma_f32 v4, v4, s1, |v3|
	v_cvt_u32_f32_e32 v4, v4
	v_ashrrev_i32_e32 v3, 31, v3
	s_mov_b64 s[0:1], 0
	v_xor_b32_e32 v4, v4, v3
	v_sub_u32_e32 v3, v4, v3
	s_branch .LBB14_1450
.LBB14_1446:
	s_mov_b64 s[20:21], -1
                                        ; implicit-def: $vgpr3
	s_branch .LBB14_1451
.LBB14_1447:
	s_andn2_saveexec_b64 s[4:5], s[4:5]
	s_cbranch_execz .LBB14_1428
.LBB14_1448:
	v_cmp_ne_u16_e32 vcc, 0, v4
	s_andn2_b64 s[10:11], s[10:11], exec
	s_and_b64 s[20:21], vcc, exec
	s_or_b64 s[10:11], s[10:11], s[20:21]
	s_or_b64 exec, exec, s[4:5]
	v_mov_b32_e32 v3, 0
	s_and_saveexec_b64 s[4:5], s[10:11]
	s_cbranch_execnz .LBB14_1429
	s_branch .LBB14_1430
.LBB14_1449:
	s_mov_b64 s[0:1], -1
                                        ; implicit-def: $vgpr3
.LBB14_1450:
	s_mov_b64 s[20:21], 0
.LBB14_1451:
	s_and_b64 vcc, exec, s[20:21]
	s_cbranch_vccz .LBB14_1453
; %bb.1452:
	s_cmp_lg_u32 s13, 11
	s_mov_b64 s[4:5], -1
	s_cselect_b64 s[0:1], -1, 0
.LBB14_1453:
	s_and_b64 vcc, exec, s[0:1]
	s_cbranch_vccnz .LBB14_1986
; %bb.1454:
	s_andn2_b64 vcc, exec, s[4:5]
	s_cbranch_vccnz .LBB14_1456
.LBB14_1455:
	global_load_ubyte v3, v[5:6], off
	s_mov_b64 s[10:11], -1
	s_waitcnt vmcnt(0)
	v_cmp_ne_u16_e32 vcc, 0, v3
	v_cndmask_b32_e64 v3, 0, 1, vcc
.LBB14_1456:
	s_mov_b64 s[0:1], 0
.LBB14_1457:
	s_and_b64 vcc, exec, s[0:1]
	s_cbranch_vccz .LBB14_1506
; %bb.1458:
	s_and_b32 s3, 0xffff, s3
	s_cmp_lt_i32 s3, 5
	s_cbranch_scc1 .LBB14_1463
; %bb.1459:
	s_cmp_lt_i32 s3, 8
	s_cbranch_scc1 .LBB14_1464
; %bb.1460:
	;; [unrolled: 3-line block ×3, first 2 shown]
	s_cmp_gt_i32 s3, 9
	s_cbranch_scc0 .LBB14_1466
; %bb.1462:
	global_load_dwordx2 v[3:4], v[5:6], off
	s_movk_i32 s0, 0xffe0
	s_waitcnt vmcnt(0)
	v_trunc_f64_e32 v[3:4], v[3:4]
	v_ldexp_f64 v[8:9], v[3:4], s0
	s_mov_b32 s0, 0
	s_mov_b32 s1, 0xc1f00000
	v_floor_f64_e32 v[8:9], v[8:9]
	v_fma_f64 v[3:4], v[8:9], s[0:1], v[3:4]
	s_mov_b64 s[0:1], 0
	v_cvt_u32_f64_e32 v3, v[3:4]
	s_branch .LBB14_1467
.LBB14_1463:
	s_mov_b64 s[0:1], -1
                                        ; implicit-def: $vgpr3
	s_branch .LBB14_1485
.LBB14_1464:
	s_mov_b64 s[0:1], -1
                                        ; implicit-def: $vgpr3
	s_branch .LBB14_1473
.LBB14_1465:
	s_mov_b64 s[0:1], -1
                                        ; implicit-def: $vgpr3
	s_branch .LBB14_1470
.LBB14_1466:
	s_mov_b64 s[0:1], -1
                                        ; implicit-def: $vgpr3
.LBB14_1467:
	s_andn2_b64 vcc, exec, s[0:1]
	s_cbranch_vccnz .LBB14_1469
; %bb.1468:
	global_load_dword v3, v[5:6], off
	s_mov_b32 s0, 0x2f800000
	s_waitcnt vmcnt(0)
	v_trunc_f32_e32 v3, v3
	v_mul_f32_e64 v4, |v3|, s0
	v_floor_f32_e32 v4, v4
	s_mov_b32 s0, 0xcf800000
	v_fma_f32 v4, v4, s0, |v3|
	v_cvt_u32_f32_e32 v4, v4
	v_ashrrev_i32_e32 v3, 31, v3
	v_xor_b32_e32 v4, v4, v3
	v_sub_u32_e32 v3, v4, v3
.LBB14_1469:
	s_mov_b64 s[0:1], 0
.LBB14_1470:
	s_andn2_b64 vcc, exec, s[0:1]
	s_cbranch_vccnz .LBB14_1472
; %bb.1471:
	global_load_dword v3, v[5:6], off
	s_waitcnt vmcnt(0)
	v_cvt_f32_f16_e32 v3, v3
	v_cvt_i32_f32_e32 v3, v3
.LBB14_1472:
	s_mov_b64 s[0:1], 0
.LBB14_1473:
	s_andn2_b64 vcc, exec, s[0:1]
	s_cbranch_vccnz .LBB14_1484
; %bb.1474:
	s_cmp_lt_i32 s3, 6
	s_cbranch_scc1 .LBB14_1477
; %bb.1475:
	s_cmp_gt_i32 s3, 6
	s_cbranch_scc0 .LBB14_1478
; %bb.1476:
	global_load_dwordx2 v[3:4], v[5:6], off
	s_movk_i32 s0, 0xffe0
	s_waitcnt vmcnt(0)
	v_trunc_f64_e32 v[3:4], v[3:4]
	v_ldexp_f64 v[8:9], v[3:4], s0
	s_mov_b32 s0, 0
	s_mov_b32 s1, 0xc1f00000
	v_floor_f64_e32 v[8:9], v[8:9]
	v_fma_f64 v[3:4], v[8:9], s[0:1], v[3:4]
	s_mov_b64 s[0:1], 0
	v_cvt_u32_f64_e32 v3, v[3:4]
	s_branch .LBB14_1479
.LBB14_1477:
	s_mov_b64 s[0:1], -1
                                        ; implicit-def: $vgpr3
	s_branch .LBB14_1482
.LBB14_1478:
	s_mov_b64 s[0:1], -1
                                        ; implicit-def: $vgpr3
.LBB14_1479:
	s_andn2_b64 vcc, exec, s[0:1]
	s_cbranch_vccnz .LBB14_1481
; %bb.1480:
	global_load_dword v3, v[5:6], off
	s_mov_b32 s0, 0x2f800000
	s_waitcnt vmcnt(0)
	v_trunc_f32_e32 v3, v3
	v_mul_f32_e64 v4, |v3|, s0
	v_floor_f32_e32 v4, v4
	s_mov_b32 s0, 0xcf800000
	v_fma_f32 v4, v4, s0, |v3|
	v_cvt_u32_f32_e32 v4, v4
	v_ashrrev_i32_e32 v3, 31, v3
	v_xor_b32_e32 v4, v4, v3
	v_sub_u32_e32 v3, v4, v3
.LBB14_1481:
	s_mov_b64 s[0:1], 0
.LBB14_1482:
	s_andn2_b64 vcc, exec, s[0:1]
	s_cbranch_vccnz .LBB14_1484
; %bb.1483:
	global_load_ushort v3, v[5:6], off
	s_waitcnt vmcnt(0)
	v_cvt_f32_f16_e32 v3, v3
	v_cvt_i32_f32_e32 v3, v3
.LBB14_1484:
	s_mov_b64 s[0:1], 0
.LBB14_1485:
	s_andn2_b64 vcc, exec, s[0:1]
	s_cbranch_vccnz .LBB14_1505
; %bb.1486:
	s_cmp_lt_i32 s3, 2
	s_cbranch_scc1 .LBB14_1490
; %bb.1487:
	s_cmp_lt_i32 s3, 3
	s_cbranch_scc1 .LBB14_1491
; %bb.1488:
	s_cmp_gt_i32 s3, 3
	s_cbranch_scc0 .LBB14_1492
; %bb.1489:
	global_load_dwordx2 v[3:4], v[5:6], off
	s_mov_b64 s[0:1], 0
	s_branch .LBB14_1493
.LBB14_1490:
	s_mov_b64 s[0:1], -1
                                        ; implicit-def: $vgpr3
	s_branch .LBB14_1499
.LBB14_1491:
	s_mov_b64 s[0:1], -1
                                        ; implicit-def: $vgpr3
	s_branch .LBB14_1496
.LBB14_1492:
	s_mov_b64 s[0:1], -1
                                        ; implicit-def: $vgpr3
.LBB14_1493:
	s_andn2_b64 vcc, exec, s[0:1]
	s_cbranch_vccnz .LBB14_1495
; %bb.1494:
	global_load_dword v3, v[5:6], off
.LBB14_1495:
	s_mov_b64 s[0:1], 0
.LBB14_1496:
	s_andn2_b64 vcc, exec, s[0:1]
	s_cbranch_vccnz .LBB14_1498
; %bb.1497:
	global_load_ushort v3, v[5:6], off
.LBB14_1498:
	s_mov_b64 s[0:1], 0
.LBB14_1499:
	s_andn2_b64 vcc, exec, s[0:1]
	s_cbranch_vccnz .LBB14_1505
; %bb.1500:
	s_cmp_gt_i32 s3, 0
	s_cbranch_scc0 .LBB14_1502
; %bb.1501:
	global_load_ubyte v3, v[5:6], off
	s_mov_b64 s[0:1], 0
	s_branch .LBB14_1503
.LBB14_1502:
	s_mov_b64 s[0:1], -1
                                        ; implicit-def: $vgpr3
.LBB14_1503:
	s_andn2_b64 vcc, exec, s[0:1]
	s_cbranch_vccnz .LBB14_1505
; %bb.1504:
	global_load_ubyte v3, v[5:6], off
.LBB14_1505:
	s_mov_b64 s[10:11], -1
.LBB14_1506:
	s_andn2_b64 vcc, exec, s[10:11]
	s_cbranch_vccnz .LBB14_1940
; %bb.1507:
	v_mul_lo_u32 v6, s12, v7
	s_and_b32 s21, s14, 0xff
	s_waitcnt vmcnt(0)
	v_mov_b32_e32 v4, s33
	v_mov_b32_e32 v5, s46
	v_cmp_gt_u16_sdwa vcc, v0, s21 src0_sel:BYTE_0 src1_sel:DWORD
	v_cndmask_b32_e32 v0, v4, v5, vcc
	v_ashrrev_i32_e32 v5, 31, v6
	v_mov_b32_e32 v7, s9
	s_and_b32 s20, s2, 0xff
	v_add_co_u32_e32 v4, vcc, s8, v6
	s_cmp_lt_i32 s20, 11
	v_addc_co_u32_e32 v5, vcc, v7, v5, vcc
	s_cbranch_scc1 .LBB14_1585
; %bb.1508:
	s_and_b32 s13, 0xffff, s20
	s_mov_b64 s[10:11], -1
	s_mov_b64 s[2:3], 0
	s_cmp_gt_i32 s13, 25
	s_mov_b64 s[4:5], 0
	s_mov_b64 s[0:1], 0
	s_cbranch_scc0 .LBB14_1541
; %bb.1509:
	s_cmp_gt_i32 s13, 28
	s_cbranch_scc0 .LBB14_1524
; %bb.1510:
	s_cmp_gt_i32 s13, 43
	;; [unrolled: 3-line block ×3, first 2 shown]
	s_cbranch_scc0 .LBB14_1514
; %bb.1512:
	s_mov_b64 s[0:1], -1
	s_mov_b64 s[10:11], 0
	s_cmp_eq_u32 s13, 46
	s_cbranch_scc0 .LBB14_1514
; %bb.1513:
	v_cvt_f32_ubyte0_e32 v7, v0
	v_bfe_u32 v8, v7, 16, 1
	s_movk_i32 s0, 0x7fff
	v_add3_u32 v7, v7, v8, s0
	v_lshrrev_b32_e32 v7, 16, v7
	global_store_dword v[4:5], v7, off
	s_mov_b64 s[0:1], 0
	s_mov_b64 s[4:5], -1
.LBB14_1514:
	s_and_b64 vcc, exec, s[10:11]
	s_cbranch_vccz .LBB14_1519
; %bb.1515:
	s_cmp_eq_u32 s13, 44
	s_mov_b64 s[0:1], -1
	s_cbranch_scc0 .LBB14_1519
; %bb.1516:
	v_cvt_f32_ubyte0_e32 v8, v0
	v_lshrrev_b32_e32 v7, 23, v8
	s_movk_i32 s0, 0xff
	v_cmp_ne_u32_e32 vcc, s0, v7
	v_mov_b32_e32 v9, 0xff
	s_and_saveexec_b64 s[4:5], vcc
; %bb.1517:
	s_mov_b32 s0, 0x3fffff
	v_and_b32_e32 v9, 0x400000, v8
	v_and_or_b32 v8, v8, s0, v7
	v_cmp_ne_u32_e32 vcc, 0, v9
	v_cmp_ne_u32_e64 s[0:1], 0, v8
	s_and_b64 s[0:1], vcc, s[0:1]
	v_cndmask_b32_e64 v8, 0, 1, s[0:1]
	v_add_u32_e32 v9, v7, v8
; %bb.1518:
	s_or_b64 exec, exec, s[4:5]
	s_mov_b64 s[0:1], 0
	s_mov_b64 s[4:5], -1
	global_store_byte v[4:5], v9, off
.LBB14_1519:
	s_mov_b64 s[10:11], 0
.LBB14_1520:
	s_and_b64 vcc, exec, s[10:11]
	s_cbranch_vccz .LBB14_1523
; %bb.1521:
	s_cmp_eq_u32 s13, 29
	s_mov_b64 s[0:1], -1
	s_cbranch_scc0 .LBB14_1523
; %bb.1522:
	v_and_b32_e32 v7, 0xff, v0
	v_mov_b32_e32 v8, 0
	global_store_dwordx2 v[4:5], v[7:8], off
	s_mov_b64 s[0:1], 0
	s_mov_b64 s[4:5], -1
.LBB14_1523:
	s_mov_b64 s[10:11], 0
.LBB14_1524:
	s_and_b64 vcc, exec, s[10:11]
	s_cbranch_vccz .LBB14_1540
; %bb.1525:
	s_cmp_lt_i32 s13, 27
	s_mov_b64 s[4:5], -1
	s_cbranch_scc1 .LBB14_1531
; %bb.1526:
	s_cmp_gt_i32 s13, 27
	s_cbranch_scc0 .LBB14_1528
; %bb.1527:
	v_and_b32_e32 v7, 0xff, v0
	s_mov_b64 s[4:5], 0
	global_store_dword v[4:5], v7, off
.LBB14_1528:
	s_andn2_b64 vcc, exec, s[4:5]
	s_cbranch_vccnz .LBB14_1530
; %bb.1529:
	v_and_b32_e32 v7, 0xff, v0
	global_store_short v[4:5], v7, off
.LBB14_1530:
	s_mov_b64 s[4:5], 0
.LBB14_1531:
	s_andn2_b64 vcc, exec, s[4:5]
	s_cbranch_vccnz .LBB14_1539
; %bb.1532:
	v_cvt_f32_ubyte0_e32 v8, v0
	s_mov_b32 s4, 0x43800000
	v_cmp_gt_u32_e32 vcc, s4, v8
	v_mov_b32_e32 v9, 0x80
	s_and_saveexec_b64 s[4:5], vcc
	s_cbranch_execz .LBB14_1538
; %bb.1533:
	s_mov_b32 s10, 0x3bffffff
	v_cmp_lt_u32_e32 vcc, s10, v8
	s_mov_b64 s[10:11], 0
                                        ; implicit-def: $vgpr7
	s_and_saveexec_b64 s[14:15], vcc
	s_xor_b64 s[14:15], exec, s[14:15]
	s_cbranch_execz .LBB14_1987
; %bb.1534:
	v_bfe_u32 v7, v8, 20, 1
	s_mov_b32 s22, 0x487ffff
	v_add3_u32 v7, v8, v7, s22
	s_mov_b64 s[10:11], exec
	v_lshrrev_b32_e32 v7, 20, v7
                                        ; implicit-def: $vgpr8
	s_andn2_saveexec_b64 s[14:15], s[14:15]
	s_cbranch_execnz .LBB14_1988
.LBB14_1535:
	s_or_b64 exec, exec, s[14:15]
	v_mov_b32_e32 v9, 0
	s_and_saveexec_b64 s[14:15], s[10:11]
.LBB14_1536:
	v_mov_b32_e32 v9, v7
.LBB14_1537:
	s_or_b64 exec, exec, s[14:15]
.LBB14_1538:
	s_or_b64 exec, exec, s[4:5]
	global_store_byte v[4:5], v9, off
.LBB14_1539:
	s_mov_b64 s[4:5], -1
.LBB14_1540:
	s_mov_b64 s[10:11], 0
.LBB14_1541:
	s_and_b64 vcc, exec, s[10:11]
	s_cbranch_vccz .LBB14_1581
; %bb.1542:
	s_cmp_gt_i32 s13, 22
	s_mov_b64 s[2:3], -1
	s_cbranch_scc0 .LBB14_1574
; %bb.1543:
	s_cmp_lt_i32 s13, 24
	s_cbranch_scc1 .LBB14_1563
; %bb.1544:
	s_cmp_gt_i32 s13, 24
	s_cbranch_scc0 .LBB14_1552
; %bb.1545:
	v_cvt_f32_ubyte0_e32 v8, v0
	s_mov_b32 s2, 0x47800000
	v_cmp_gt_u32_e32 vcc, s2, v8
	v_mov_b32_e32 v9, 0x80
	s_and_saveexec_b64 s[2:3], vcc
	s_cbranch_execz .LBB14_1551
; %bb.1546:
	s_mov_b32 s4, 0x37ffffff
	v_cmp_lt_u32_e32 vcc, s4, v8
	s_mov_b64 s[4:5], 0
                                        ; implicit-def: $vgpr7
	s_and_saveexec_b64 s[10:11], vcc
	s_xor_b64 s[10:11], exec, s[10:11]
	s_cbranch_execz .LBB14_1990
; %bb.1547:
	v_bfe_u32 v7, v8, 21, 1
	s_mov_b32 s14, 0x88fffff
	v_add3_u32 v7, v8, v7, s14
	s_mov_b64 s[4:5], exec
	v_lshrrev_b32_e32 v7, 21, v7
                                        ; implicit-def: $vgpr8
	s_andn2_saveexec_b64 s[10:11], s[10:11]
	s_cbranch_execnz .LBB14_1991
.LBB14_1548:
	s_or_b64 exec, exec, s[10:11]
	v_mov_b32_e32 v9, 0
	s_and_saveexec_b64 s[10:11], s[4:5]
.LBB14_1549:
	v_mov_b32_e32 v9, v7
.LBB14_1550:
	s_or_b64 exec, exec, s[10:11]
.LBB14_1551:
	s_or_b64 exec, exec, s[2:3]
	s_mov_b64 s[2:3], 0
	global_store_byte v[4:5], v9, off
.LBB14_1552:
	s_and_b64 vcc, exec, s[2:3]
	s_cbranch_vccz .LBB14_1562
; %bb.1553:
	v_cvt_f32_ubyte0_e32 v7, v0
	s_mov_b32 s2, 0x43f00000
	v_cmp_gt_u32_e32 vcc, s2, v7
                                        ; implicit-def: $vgpr8
	s_and_saveexec_b64 s[2:3], vcc
	s_xor_b64 s[2:3], exec, s[2:3]
	s_cbranch_execz .LBB14_1559
; %bb.1554:
	s_mov_b32 s4, 0x3c7fffff
	v_cmp_lt_u32_e32 vcc, s4, v7
                                        ; implicit-def: $vgpr8
	s_and_saveexec_b64 s[4:5], vcc
	s_xor_b64 s[4:5], exec, s[4:5]
; %bb.1555:
	v_bfe_u32 v8, v7, 20, 1
	s_mov_b32 s10, 0x407ffff
	v_add3_u32 v7, v7, v8, s10
	v_lshrrev_b32_e32 v8, 20, v7
	v_and_b32_e32 v7, 0xff00000, v7
	s_mov_b32 s10, 0x7f00000
	v_mov_b32_e32 v9, 0x7e
	v_cmp_ne_u32_e32 vcc, s10, v7
	v_cndmask_b32_e32 v8, v9, v8, vcc
                                        ; implicit-def: $vgpr7
; %bb.1556:
	s_andn2_saveexec_b64 s[4:5], s[4:5]
; %bb.1557:
	v_add_f32_e32 v8, 0x46800000, v7
; %bb.1558:
	s_or_b64 exec, exec, s[4:5]
                                        ; implicit-def: $vgpr7
.LBB14_1559:
	s_andn2_saveexec_b64 s[2:3], s[2:3]
; %bb.1560:
	s_mov_b32 s4, 0x7f800000
	v_mov_b32_e32 v8, 0x7e
	v_mov_b32_e32 v9, 0x7f
	v_cmp_lt_u32_e32 vcc, s4, v7
	v_cndmask_b32_e32 v8, v8, v9, vcc
; %bb.1561:
	s_or_b64 exec, exec, s[2:3]
	global_store_byte v[4:5], v8, off
.LBB14_1562:
	s_mov_b64 s[2:3], 0
.LBB14_1563:
	s_andn2_b64 vcc, exec, s[2:3]
	s_cbranch_vccnz .LBB14_1573
; %bb.1564:
	v_cvt_f32_ubyte0_e32 v7, v0
	s_mov_b32 s2, 0x47800000
	v_cmp_gt_u32_e32 vcc, s2, v7
                                        ; implicit-def: $vgpr8
	s_and_saveexec_b64 s[2:3], vcc
	s_xor_b64 s[2:3], exec, s[2:3]
	s_cbranch_execz .LBB14_1570
; %bb.1565:
	s_mov_b32 s4, 0x387fffff
	v_cmp_lt_u32_e32 vcc, s4, v7
                                        ; implicit-def: $vgpr8
	s_and_saveexec_b64 s[4:5], vcc
	s_xor_b64 s[4:5], exec, s[4:5]
; %bb.1566:
	v_bfe_u32 v8, v7, 21, 1
	s_mov_b32 s10, 0x80fffff
	v_add3_u32 v7, v7, v8, s10
	v_lshrrev_b32_e32 v8, 21, v7
                                        ; implicit-def: $vgpr7
; %bb.1567:
	s_andn2_saveexec_b64 s[4:5], s[4:5]
; %bb.1568:
	v_add_f32_e32 v8, 0x43000000, v7
; %bb.1569:
	s_or_b64 exec, exec, s[4:5]
                                        ; implicit-def: $vgpr7
.LBB14_1570:
	s_andn2_saveexec_b64 s[2:3], s[2:3]
; %bb.1571:
	s_mov_b32 s4, 0x7f800000
	v_mov_b32_e32 v8, 0x7c
	v_mov_b32_e32 v9, 0x7f
	v_cmp_lt_u32_e32 vcc, s4, v7
	v_cndmask_b32_e32 v8, v8, v9, vcc
; %bb.1572:
	s_or_b64 exec, exec, s[2:3]
	global_store_byte v[4:5], v8, off
.LBB14_1573:
	s_mov_b64 s[2:3], 0
	s_mov_b64 s[4:5], -1
.LBB14_1574:
	s_andn2_b64 vcc, exec, s[2:3]
	s_mov_b64 s[2:3], 0
	s_cbranch_vccnz .LBB14_1581
; %bb.1575:
	s_cmp_gt_i32 s13, 14
	s_mov_b64 s[10:11], -1
	s_cbranch_scc0 .LBB14_1579
; %bb.1576:
	s_cmp_eq_u32 s13, 15
	s_mov_b64 s[0:1], -1
	s_cbranch_scc0 .LBB14_1578
; %bb.1577:
	v_cvt_f32_ubyte0_e32 v7, v0
	v_bfe_u32 v8, v7, 16, 1
	s_movk_i32 s0, 0x7fff
	v_add3_u32 v7, v7, v8, s0
	global_store_short_d16_hi v[4:5], v7, off
	s_mov_b64 s[0:1], 0
	s_mov_b64 s[4:5], -1
.LBB14_1578:
	s_mov_b64 s[10:11], 0
.LBB14_1579:
	s_and_b64 vcc, exec, s[10:11]
	s_cbranch_vccz .LBB14_1581
; %bb.1580:
	s_cmp_lg_u32 s13, 11
	s_mov_b64 s[2:3], -1
	s_cselect_b64 s[0:1], -1, 0
.LBB14_1581:
	s_and_b64 vcc, exec, s[0:1]
	s_cbranch_vccnz .LBB14_1989
; %bb.1582:
	s_andn2_b64 vcc, exec, s[2:3]
	s_cbranch_vccnz .LBB14_1584
.LBB14_1583:
	v_mov_b32_e32 v7, 0
	v_cmp_ne_u16_sdwa s[0:1], v0, v7 src0_sel:BYTE_0 src1_sel:DWORD
	v_cndmask_b32_e64 v7, 0, 1, s[0:1]
	s_mov_b64 s[4:5], -1
	global_store_byte v[4:5], v7, off
.LBB14_1584:
	s_mov_b64 s[0:1], 0
	s_branch .LBB14_1586
.LBB14_1585:
	s_mov_b64 s[0:1], -1
	s_mov_b64 s[4:5], 0
.LBB14_1586:
	s_and_b64 vcc, exec, s[0:1]
	s_cbranch_vccz .LBB14_1625
; %bb.1587:
	s_and_b32 s2, 0xffff, s20
	s_cmp_lt_i32 s2, 5
	s_mov_b64 s[0:1], -1
	s_cbranch_scc1 .LBB14_1608
; %bb.1588:
	s_cmp_lt_i32 s2, 8
	s_cbranch_scc1 .LBB14_1598
; %bb.1589:
	s_cmp_lt_i32 s2, 9
	s_cbranch_scc1 .LBB14_1595
; %bb.1590:
	s_cmp_gt_i32 s2, 9
	s_cbranch_scc0 .LBB14_1592
; %bb.1591:
	s_mov_b32 s0, 0xffff
	v_and_b32_sdwa v7, s0, v0 dst_sel:DWORD dst_unused:UNUSED_PAD src0_sel:DWORD src1_sel:BYTE_0
	v_cvt_f64_u32_e32 v[7:8], v7
	v_mov_b32_e32 v9, 0
	v_mov_b32_e32 v10, v9
	s_mov_b64 s[0:1], 0
	global_store_dwordx4 v[4:5], v[7:10], off
.LBB14_1592:
	s_andn2_b64 vcc, exec, s[0:1]
	s_cbranch_vccnz .LBB14_1594
; %bb.1593:
	v_cvt_f32_ubyte0_e32 v7, v0
	v_mov_b32_e32 v8, 0
	global_store_dwordx2 v[4:5], v[7:8], off
.LBB14_1594:
	s_mov_b64 s[0:1], 0
.LBB14_1595:
	s_andn2_b64 vcc, exec, s[0:1]
	s_cbranch_vccnz .LBB14_1597
; %bb.1596:
	v_cvt_f16_u16_sdwa v7, v0 dst_sel:DWORD dst_unused:UNUSED_PAD src0_sel:BYTE_0
	global_store_dword v[4:5], v7, off
.LBB14_1597:
	s_mov_b64 s[0:1], 0
.LBB14_1598:
	s_andn2_b64 vcc, exec, s[0:1]
	s_cbranch_vccnz .LBB14_1607
; %bb.1599:
	s_cmp_lt_i32 s2, 6
	s_mov_b64 s[0:1], -1
	s_cbranch_scc1 .LBB14_1605
; %bb.1600:
	s_cmp_gt_i32 s2, 6
	s_cbranch_scc0 .LBB14_1602
; %bb.1601:
	s_mov_b32 s0, 0xffff
	v_and_b32_sdwa v7, s0, v0 dst_sel:DWORD dst_unused:UNUSED_PAD src0_sel:DWORD src1_sel:BYTE_0
	v_cvt_f64_u32_e32 v[7:8], v7
	s_mov_b64 s[0:1], 0
	global_store_dwordx2 v[4:5], v[7:8], off
.LBB14_1602:
	s_andn2_b64 vcc, exec, s[0:1]
	s_cbranch_vccnz .LBB14_1604
; %bb.1603:
	v_cvt_f32_ubyte0_e32 v7, v0
	global_store_dword v[4:5], v7, off
.LBB14_1604:
	s_mov_b64 s[0:1], 0
.LBB14_1605:
	s_andn2_b64 vcc, exec, s[0:1]
	s_cbranch_vccnz .LBB14_1607
; %bb.1606:
	v_cvt_f16_u16_sdwa v7, v0 dst_sel:DWORD dst_unused:UNUSED_PAD src0_sel:BYTE_0
	global_store_short v[4:5], v7, off
.LBB14_1607:
	s_mov_b64 s[0:1], 0
.LBB14_1608:
	s_andn2_b64 vcc, exec, s[0:1]
	s_cbranch_vccnz .LBB14_1624
; %bb.1609:
	s_cmp_lt_i32 s2, 2
	s_mov_b64 s[0:1], -1
	s_cbranch_scc1 .LBB14_1619
; %bb.1610:
	s_cmp_lt_i32 s2, 3
	s_cbranch_scc1 .LBB14_1616
; %bb.1611:
	s_cmp_gt_i32 s2, 3
	s_cbranch_scc0 .LBB14_1613
; %bb.1612:
	v_and_b32_e32 v7, 0xff, v0
	v_mov_b32_e32 v8, 0
	global_store_dwordx2 v[4:5], v[7:8], off
	s_mov_b64 s[0:1], 0
.LBB14_1613:
	s_andn2_b64 vcc, exec, s[0:1]
	s_cbranch_vccnz .LBB14_1615
; %bb.1614:
	v_and_b32_e32 v7, 0xff, v0
	global_store_dword v[4:5], v7, off
.LBB14_1615:
	s_mov_b64 s[0:1], 0
.LBB14_1616:
	s_andn2_b64 vcc, exec, s[0:1]
	s_cbranch_vccnz .LBB14_1618
; %bb.1617:
	v_and_b32_e32 v7, 0xff, v0
	global_store_short v[4:5], v7, off
.LBB14_1618:
	s_mov_b64 s[0:1], 0
.LBB14_1619:
	s_andn2_b64 vcc, exec, s[0:1]
	s_cbranch_vccnz .LBB14_1624
; %bb.1620:
	s_cmp_gt_i32 s2, 0
	s_mov_b64 s[0:1], -1
	s_cbranch_scc0 .LBB14_1622
; %bb.1621:
	global_store_byte v[4:5], v0, off
	s_mov_b64 s[0:1], 0
.LBB14_1622:
	s_andn2_b64 vcc, exec, s[0:1]
	s_cbranch_vccnz .LBB14_1624
; %bb.1623:
	global_store_byte v[4:5], v0, off
.LBB14_1624:
	s_mov_b64 s[4:5], -1
.LBB14_1625:
	s_andn2_b64 vcc, exec, s[4:5]
	s_cbranch_vccnz .LBB14_1940
; %bb.1626:
	v_mov_b32_e32 v0, s33
	v_mov_b32_e32 v4, s46
	v_cmp_gt_u16_sdwa vcc, v1, s21 src0_sel:BYTE_0 src1_sel:DWORD
	s_lshl_b32 s14, s12, 7
	v_cndmask_b32_e32 v5, v0, v4, vcc
	v_add_u32_e32 v4, s14, v6
	v_ashrrev_i32_e32 v1, 31, v4
	v_mov_b32_e32 v6, s9
	v_add_co_u32_e32 v0, vcc, s8, v4
	s_cmp_lt_i32 s20, 11
	v_addc_co_u32_e32 v1, vcc, v6, v1, vcc
	s_cbranch_scc1 .LBB14_1704
; %bb.1627:
	s_and_b32 s15, 0xffff, s20
	s_mov_b64 s[10:11], -1
	s_mov_b64 s[2:3], 0
	s_cmp_gt_i32 s15, 25
	s_mov_b64 s[4:5], 0
	s_mov_b64 s[0:1], 0
	s_cbranch_scc0 .LBB14_1660
; %bb.1628:
	s_cmp_gt_i32 s15, 28
	s_cbranch_scc0 .LBB14_1643
; %bb.1629:
	s_cmp_gt_i32 s15, 43
	;; [unrolled: 3-line block ×3, first 2 shown]
	s_cbranch_scc0 .LBB14_1633
; %bb.1631:
	s_mov_b64 s[0:1], -1
	s_mov_b64 s[10:11], 0
	s_cmp_eq_u32 s15, 46
	s_cbranch_scc0 .LBB14_1633
; %bb.1632:
	v_cvt_f32_ubyte0_e32 v6, v5
	v_bfe_u32 v7, v6, 16, 1
	s_movk_i32 s0, 0x7fff
	v_add3_u32 v6, v6, v7, s0
	v_lshrrev_b32_e32 v6, 16, v6
	global_store_dword v[0:1], v6, off
	s_mov_b64 s[0:1], 0
	s_mov_b64 s[4:5], -1
.LBB14_1633:
	s_and_b64 vcc, exec, s[10:11]
	s_cbranch_vccz .LBB14_1638
; %bb.1634:
	s_cmp_eq_u32 s15, 44
	s_mov_b64 s[0:1], -1
	s_cbranch_scc0 .LBB14_1638
; %bb.1635:
	v_cvt_f32_ubyte0_e32 v7, v5
	v_lshrrev_b32_e32 v6, 23, v7
	s_movk_i32 s0, 0xff
	v_cmp_ne_u32_e32 vcc, s0, v6
	v_mov_b32_e32 v8, 0xff
	s_and_saveexec_b64 s[4:5], vcc
; %bb.1636:
	s_mov_b32 s0, 0x3fffff
	v_and_b32_e32 v8, 0x400000, v7
	v_and_or_b32 v7, v7, s0, v6
	v_cmp_ne_u32_e32 vcc, 0, v8
	v_cmp_ne_u32_e64 s[0:1], 0, v7
	s_and_b64 s[0:1], vcc, s[0:1]
	v_cndmask_b32_e64 v7, 0, 1, s[0:1]
	v_add_u32_e32 v8, v6, v7
; %bb.1637:
	s_or_b64 exec, exec, s[4:5]
	s_mov_b64 s[0:1], 0
	s_mov_b64 s[4:5], -1
	global_store_byte v[0:1], v8, off
.LBB14_1638:
	s_mov_b64 s[10:11], 0
.LBB14_1639:
	s_and_b64 vcc, exec, s[10:11]
	s_cbranch_vccz .LBB14_1642
; %bb.1640:
	s_cmp_eq_u32 s15, 29
	s_mov_b64 s[0:1], -1
	s_cbranch_scc0 .LBB14_1642
; %bb.1641:
	v_and_b32_e32 v6, 0xff, v5
	v_mov_b32_e32 v7, 0
	global_store_dwordx2 v[0:1], v[6:7], off
	s_mov_b64 s[0:1], 0
	s_mov_b64 s[4:5], -1
.LBB14_1642:
	s_mov_b64 s[10:11], 0
.LBB14_1643:
	s_and_b64 vcc, exec, s[10:11]
	s_cbranch_vccz .LBB14_1659
; %bb.1644:
	s_cmp_lt_i32 s15, 27
	s_mov_b64 s[4:5], -1
	s_cbranch_scc1 .LBB14_1650
; %bb.1645:
	s_cmp_gt_i32 s15, 27
	s_cbranch_scc0 .LBB14_1647
; %bb.1646:
	v_and_b32_e32 v6, 0xff, v5
	s_mov_b64 s[4:5], 0
	global_store_dword v[0:1], v6, off
.LBB14_1647:
	s_andn2_b64 vcc, exec, s[4:5]
	s_cbranch_vccnz .LBB14_1649
; %bb.1648:
	v_and_b32_e32 v6, 0xff, v5
	global_store_short v[0:1], v6, off
.LBB14_1649:
	s_mov_b64 s[4:5], 0
.LBB14_1650:
	s_andn2_b64 vcc, exec, s[4:5]
	s_cbranch_vccnz .LBB14_1658
; %bb.1651:
	v_cvt_f32_ubyte0_e32 v7, v5
	s_mov_b32 s4, 0x43800000
	v_cmp_gt_u32_e32 vcc, s4, v7
	v_mov_b32_e32 v8, 0x80
	s_and_saveexec_b64 s[4:5], vcc
	s_cbranch_execz .LBB14_1657
; %bb.1652:
	s_mov_b32 s10, 0x3bffffff
	v_cmp_lt_u32_e32 vcc, s10, v7
	s_mov_b64 s[10:11], 0
                                        ; implicit-def: $vgpr6
	s_and_saveexec_b64 s[12:13], vcc
	s_xor_b64 s[12:13], exec, s[12:13]
	s_cbranch_execz .LBB14_1992
; %bb.1653:
	v_bfe_u32 v6, v7, 20, 1
	s_mov_b32 s22, 0x487ffff
	v_add3_u32 v6, v7, v6, s22
	s_mov_b64 s[10:11], exec
	v_lshrrev_b32_e32 v6, 20, v6
                                        ; implicit-def: $vgpr7
	s_andn2_saveexec_b64 s[12:13], s[12:13]
	s_cbranch_execnz .LBB14_1993
.LBB14_1654:
	s_or_b64 exec, exec, s[12:13]
	v_mov_b32_e32 v8, 0
	s_and_saveexec_b64 s[12:13], s[10:11]
.LBB14_1655:
	v_mov_b32_e32 v8, v6
.LBB14_1656:
	s_or_b64 exec, exec, s[12:13]
.LBB14_1657:
	s_or_b64 exec, exec, s[4:5]
	global_store_byte v[0:1], v8, off
.LBB14_1658:
	s_mov_b64 s[4:5], -1
.LBB14_1659:
	s_mov_b64 s[10:11], 0
.LBB14_1660:
	s_and_b64 vcc, exec, s[10:11]
	s_cbranch_vccz .LBB14_1700
; %bb.1661:
	s_cmp_gt_i32 s15, 22
	s_mov_b64 s[2:3], -1
	s_cbranch_scc0 .LBB14_1693
; %bb.1662:
	s_cmp_lt_i32 s15, 24
	s_cbranch_scc1 .LBB14_1682
; %bb.1663:
	s_cmp_gt_i32 s15, 24
	s_cbranch_scc0 .LBB14_1671
; %bb.1664:
	v_cvt_f32_ubyte0_e32 v7, v5
	s_mov_b32 s2, 0x47800000
	v_cmp_gt_u32_e32 vcc, s2, v7
	v_mov_b32_e32 v8, 0x80
	s_and_saveexec_b64 s[2:3], vcc
	s_cbranch_execz .LBB14_1670
; %bb.1665:
	s_mov_b32 s4, 0x37ffffff
	v_cmp_lt_u32_e32 vcc, s4, v7
	s_mov_b64 s[4:5], 0
                                        ; implicit-def: $vgpr6
	s_and_saveexec_b64 s[10:11], vcc
	s_xor_b64 s[10:11], exec, s[10:11]
	s_cbranch_execz .LBB14_1995
; %bb.1666:
	v_bfe_u32 v6, v7, 21, 1
	s_mov_b32 s12, 0x88fffff
	v_add3_u32 v6, v7, v6, s12
	s_mov_b64 s[4:5], exec
	v_lshrrev_b32_e32 v6, 21, v6
                                        ; implicit-def: $vgpr7
	s_andn2_saveexec_b64 s[10:11], s[10:11]
	s_cbranch_execnz .LBB14_1996
.LBB14_1667:
	s_or_b64 exec, exec, s[10:11]
	v_mov_b32_e32 v8, 0
	s_and_saveexec_b64 s[10:11], s[4:5]
.LBB14_1668:
	v_mov_b32_e32 v8, v6
.LBB14_1669:
	s_or_b64 exec, exec, s[10:11]
.LBB14_1670:
	s_or_b64 exec, exec, s[2:3]
	s_mov_b64 s[2:3], 0
	global_store_byte v[0:1], v8, off
.LBB14_1671:
	s_and_b64 vcc, exec, s[2:3]
	s_cbranch_vccz .LBB14_1681
; %bb.1672:
	v_cvt_f32_ubyte0_e32 v6, v5
	s_mov_b32 s2, 0x43f00000
	v_cmp_gt_u32_e32 vcc, s2, v6
                                        ; implicit-def: $vgpr7
	s_and_saveexec_b64 s[2:3], vcc
	s_xor_b64 s[2:3], exec, s[2:3]
	s_cbranch_execz .LBB14_1678
; %bb.1673:
	s_mov_b32 s4, 0x3c7fffff
	v_cmp_lt_u32_e32 vcc, s4, v6
                                        ; implicit-def: $vgpr7
	s_and_saveexec_b64 s[4:5], vcc
	s_xor_b64 s[4:5], exec, s[4:5]
; %bb.1674:
	v_bfe_u32 v7, v6, 20, 1
	s_mov_b32 s10, 0x407ffff
	v_add3_u32 v6, v6, v7, s10
	v_lshrrev_b32_e32 v7, 20, v6
	v_and_b32_e32 v6, 0xff00000, v6
	s_mov_b32 s10, 0x7f00000
	v_mov_b32_e32 v8, 0x7e
	v_cmp_ne_u32_e32 vcc, s10, v6
	v_cndmask_b32_e32 v7, v8, v7, vcc
                                        ; implicit-def: $vgpr6
; %bb.1675:
	s_andn2_saveexec_b64 s[4:5], s[4:5]
; %bb.1676:
	v_add_f32_e32 v7, 0x46800000, v6
; %bb.1677:
	s_or_b64 exec, exec, s[4:5]
                                        ; implicit-def: $vgpr6
.LBB14_1678:
	s_andn2_saveexec_b64 s[2:3], s[2:3]
; %bb.1679:
	s_mov_b32 s4, 0x7f800000
	v_mov_b32_e32 v7, 0x7e
	v_mov_b32_e32 v8, 0x7f
	v_cmp_lt_u32_e32 vcc, s4, v6
	v_cndmask_b32_e32 v7, v7, v8, vcc
; %bb.1680:
	s_or_b64 exec, exec, s[2:3]
	global_store_byte v[0:1], v7, off
.LBB14_1681:
	s_mov_b64 s[2:3], 0
.LBB14_1682:
	s_andn2_b64 vcc, exec, s[2:3]
	s_cbranch_vccnz .LBB14_1692
; %bb.1683:
	v_cvt_f32_ubyte0_e32 v6, v5
	s_mov_b32 s2, 0x47800000
	v_cmp_gt_u32_e32 vcc, s2, v6
                                        ; implicit-def: $vgpr7
	s_and_saveexec_b64 s[2:3], vcc
	s_xor_b64 s[2:3], exec, s[2:3]
	s_cbranch_execz .LBB14_1689
; %bb.1684:
	s_mov_b32 s4, 0x387fffff
	v_cmp_lt_u32_e32 vcc, s4, v6
                                        ; implicit-def: $vgpr7
	s_and_saveexec_b64 s[4:5], vcc
	s_xor_b64 s[4:5], exec, s[4:5]
; %bb.1685:
	v_bfe_u32 v7, v6, 21, 1
	s_mov_b32 s10, 0x80fffff
	v_add3_u32 v6, v6, v7, s10
	v_lshrrev_b32_e32 v7, 21, v6
                                        ; implicit-def: $vgpr6
; %bb.1686:
	s_andn2_saveexec_b64 s[4:5], s[4:5]
; %bb.1687:
	v_add_f32_e32 v7, 0x43000000, v6
; %bb.1688:
	s_or_b64 exec, exec, s[4:5]
                                        ; implicit-def: $vgpr6
.LBB14_1689:
	s_andn2_saveexec_b64 s[2:3], s[2:3]
; %bb.1690:
	s_mov_b32 s4, 0x7f800000
	v_mov_b32_e32 v7, 0x7c
	v_mov_b32_e32 v8, 0x7f
	v_cmp_lt_u32_e32 vcc, s4, v6
	v_cndmask_b32_e32 v7, v7, v8, vcc
; %bb.1691:
	s_or_b64 exec, exec, s[2:3]
	global_store_byte v[0:1], v7, off
.LBB14_1692:
	s_mov_b64 s[2:3], 0
	s_mov_b64 s[4:5], -1
.LBB14_1693:
	s_andn2_b64 vcc, exec, s[2:3]
	s_mov_b64 s[2:3], 0
	s_cbranch_vccnz .LBB14_1700
; %bb.1694:
	s_cmp_gt_i32 s15, 14
	s_mov_b64 s[10:11], -1
	s_cbranch_scc0 .LBB14_1698
; %bb.1695:
	s_cmp_eq_u32 s15, 15
	s_mov_b64 s[0:1], -1
	s_cbranch_scc0 .LBB14_1697
; %bb.1696:
	v_cvt_f32_ubyte0_e32 v6, v5
	v_bfe_u32 v7, v6, 16, 1
	s_movk_i32 s0, 0x7fff
	v_add3_u32 v6, v6, v7, s0
	global_store_short_d16_hi v[0:1], v6, off
	s_mov_b64 s[0:1], 0
	s_mov_b64 s[4:5], -1
.LBB14_1697:
	s_mov_b64 s[10:11], 0
.LBB14_1698:
	s_and_b64 vcc, exec, s[10:11]
	s_cbranch_vccz .LBB14_1700
; %bb.1699:
	s_cmp_lg_u32 s15, 11
	s_mov_b64 s[2:3], -1
	s_cselect_b64 s[0:1], -1, 0
.LBB14_1700:
	s_and_b64 vcc, exec, s[0:1]
	s_cbranch_vccnz .LBB14_1994
; %bb.1701:
	s_andn2_b64 vcc, exec, s[2:3]
	s_cbranch_vccnz .LBB14_1703
.LBB14_1702:
	v_mov_b32_e32 v6, 0
	v_cmp_ne_u16_sdwa s[0:1], v5, v6 src0_sel:BYTE_0 src1_sel:DWORD
	v_cndmask_b32_e64 v6, 0, 1, s[0:1]
	s_mov_b64 s[4:5], -1
	global_store_byte v[0:1], v6, off
.LBB14_1703:
	s_mov_b64 s[0:1], 0
	s_branch .LBB14_1705
.LBB14_1704:
	s_mov_b64 s[0:1], -1
	s_mov_b64 s[4:5], 0
.LBB14_1705:
	s_and_b64 vcc, exec, s[0:1]
	s_cbranch_vccz .LBB14_1744
; %bb.1706:
	s_and_b32 s2, 0xffff, s20
	s_cmp_lt_i32 s2, 5
	s_mov_b64 s[0:1], -1
	s_cbranch_scc1 .LBB14_1727
; %bb.1707:
	s_cmp_lt_i32 s2, 8
	s_cbranch_scc1 .LBB14_1717
; %bb.1708:
	s_cmp_lt_i32 s2, 9
	s_cbranch_scc1 .LBB14_1714
; %bb.1709:
	s_cmp_gt_i32 s2, 9
	s_cbranch_scc0 .LBB14_1711
; %bb.1710:
	s_mov_b32 s0, 0xffff
	v_and_b32_sdwa v6, s0, v5 dst_sel:DWORD dst_unused:UNUSED_PAD src0_sel:DWORD src1_sel:BYTE_0
	v_cvt_f64_u32_e32 v[6:7], v6
	v_mov_b32_e32 v8, 0
	v_mov_b32_e32 v9, v8
	s_mov_b64 s[0:1], 0
	global_store_dwordx4 v[0:1], v[6:9], off
.LBB14_1711:
	s_andn2_b64 vcc, exec, s[0:1]
	s_cbranch_vccnz .LBB14_1713
; %bb.1712:
	v_cvt_f32_ubyte0_e32 v6, v5
	v_mov_b32_e32 v7, 0
	global_store_dwordx2 v[0:1], v[6:7], off
.LBB14_1713:
	s_mov_b64 s[0:1], 0
.LBB14_1714:
	s_andn2_b64 vcc, exec, s[0:1]
	s_cbranch_vccnz .LBB14_1716
; %bb.1715:
	v_cvt_f16_u16_sdwa v6, v5 dst_sel:DWORD dst_unused:UNUSED_PAD src0_sel:BYTE_0
	global_store_dword v[0:1], v6, off
.LBB14_1716:
	s_mov_b64 s[0:1], 0
.LBB14_1717:
	s_andn2_b64 vcc, exec, s[0:1]
	s_cbranch_vccnz .LBB14_1726
; %bb.1718:
	s_cmp_lt_i32 s2, 6
	s_mov_b64 s[0:1], -1
	s_cbranch_scc1 .LBB14_1724
; %bb.1719:
	s_cmp_gt_i32 s2, 6
	s_cbranch_scc0 .LBB14_1721
; %bb.1720:
	s_mov_b32 s0, 0xffff
	v_and_b32_sdwa v6, s0, v5 dst_sel:DWORD dst_unused:UNUSED_PAD src0_sel:DWORD src1_sel:BYTE_0
	v_cvt_f64_u32_e32 v[6:7], v6
	s_mov_b64 s[0:1], 0
	global_store_dwordx2 v[0:1], v[6:7], off
.LBB14_1721:
	s_andn2_b64 vcc, exec, s[0:1]
	s_cbranch_vccnz .LBB14_1723
; %bb.1722:
	v_cvt_f32_ubyte0_e32 v6, v5
	global_store_dword v[0:1], v6, off
.LBB14_1723:
	s_mov_b64 s[0:1], 0
.LBB14_1724:
	s_andn2_b64 vcc, exec, s[0:1]
	s_cbranch_vccnz .LBB14_1726
; %bb.1725:
	v_cvt_f16_u16_sdwa v6, v5 dst_sel:DWORD dst_unused:UNUSED_PAD src0_sel:BYTE_0
	global_store_short v[0:1], v6, off
.LBB14_1726:
	s_mov_b64 s[0:1], 0
.LBB14_1727:
	s_andn2_b64 vcc, exec, s[0:1]
	s_cbranch_vccnz .LBB14_1743
; %bb.1728:
	s_cmp_lt_i32 s2, 2
	s_mov_b64 s[0:1], -1
	s_cbranch_scc1 .LBB14_1738
; %bb.1729:
	s_cmp_lt_i32 s2, 3
	s_cbranch_scc1 .LBB14_1735
; %bb.1730:
	s_cmp_gt_i32 s2, 3
	s_cbranch_scc0 .LBB14_1732
; %bb.1731:
	v_and_b32_e32 v6, 0xff, v5
	v_mov_b32_e32 v7, 0
	global_store_dwordx2 v[0:1], v[6:7], off
	s_mov_b64 s[0:1], 0
.LBB14_1732:
	s_andn2_b64 vcc, exec, s[0:1]
	s_cbranch_vccnz .LBB14_1734
; %bb.1733:
	v_and_b32_e32 v6, 0xff, v5
	global_store_dword v[0:1], v6, off
.LBB14_1734:
	s_mov_b64 s[0:1], 0
.LBB14_1735:
	s_andn2_b64 vcc, exec, s[0:1]
	s_cbranch_vccnz .LBB14_1737
; %bb.1736:
	v_and_b32_e32 v6, 0xff, v5
	global_store_short v[0:1], v6, off
.LBB14_1737:
	s_mov_b64 s[0:1], 0
.LBB14_1738:
	s_andn2_b64 vcc, exec, s[0:1]
	s_cbranch_vccnz .LBB14_1743
; %bb.1739:
	s_cmp_gt_i32 s2, 0
	s_mov_b64 s[0:1], -1
	s_cbranch_scc0 .LBB14_1741
; %bb.1740:
	global_store_byte v[0:1], v5, off
	s_mov_b64 s[0:1], 0
.LBB14_1741:
	s_andn2_b64 vcc, exec, s[0:1]
	s_cbranch_vccnz .LBB14_1743
; %bb.1742:
	global_store_byte v[0:1], v5, off
.LBB14_1743:
	s_mov_b64 s[4:5], -1
.LBB14_1744:
	s_andn2_b64 vcc, exec, s[4:5]
	s_cbranch_vccnz .LBB14_1940
; %bb.1745:
	v_mov_b32_e32 v0, s33
	v_mov_b32_e32 v1, s46
	v_cmp_gt_u16_sdwa vcc, v2, s21 src0_sel:BYTE_0 src1_sel:DWORD
	v_add_u32_e32 v4, s14, v4
	v_cndmask_b32_e32 v2, v0, v1, vcc
	v_ashrrev_i32_e32 v1, 31, v4
	v_mov_b32_e32 v5, s9
	v_add_co_u32_e32 v0, vcc, s8, v4
	s_cmp_lt_i32 s20, 11
	v_addc_co_u32_e32 v1, vcc, v5, v1, vcc
	s_cbranch_scc1 .LBB14_1823
; %bb.1746:
	s_and_b32 s15, 0xffff, s20
	s_mov_b64 s[10:11], -1
	s_mov_b64 s[2:3], 0
	s_cmp_gt_i32 s15, 25
	s_mov_b64 s[4:5], 0
	s_mov_b64 s[0:1], 0
	s_cbranch_scc0 .LBB14_1779
; %bb.1747:
	s_cmp_gt_i32 s15, 28
	s_cbranch_scc0 .LBB14_1762
; %bb.1748:
	s_cmp_gt_i32 s15, 43
	;; [unrolled: 3-line block ×3, first 2 shown]
	s_cbranch_scc0 .LBB14_1752
; %bb.1750:
	s_mov_b64 s[0:1], -1
	s_mov_b64 s[10:11], 0
	s_cmp_eq_u32 s15, 46
	s_cbranch_scc0 .LBB14_1752
; %bb.1751:
	v_cvt_f32_ubyte0_e32 v5, v2
	v_bfe_u32 v6, v5, 16, 1
	s_movk_i32 s0, 0x7fff
	v_add3_u32 v5, v5, v6, s0
	v_lshrrev_b32_e32 v5, 16, v5
	global_store_dword v[0:1], v5, off
	s_mov_b64 s[0:1], 0
	s_mov_b64 s[4:5], -1
.LBB14_1752:
	s_and_b64 vcc, exec, s[10:11]
	s_cbranch_vccz .LBB14_1757
; %bb.1753:
	s_cmp_eq_u32 s15, 44
	s_mov_b64 s[0:1], -1
	s_cbranch_scc0 .LBB14_1757
; %bb.1754:
	v_cvt_f32_ubyte0_e32 v6, v2
	v_lshrrev_b32_e32 v5, 23, v6
	s_movk_i32 s0, 0xff
	v_cmp_ne_u32_e32 vcc, s0, v5
	v_mov_b32_e32 v7, 0xff
	s_and_saveexec_b64 s[4:5], vcc
; %bb.1755:
	s_mov_b32 s0, 0x3fffff
	v_and_b32_e32 v7, 0x400000, v6
	v_and_or_b32 v6, v6, s0, v5
	v_cmp_ne_u32_e32 vcc, 0, v7
	v_cmp_ne_u32_e64 s[0:1], 0, v6
	s_and_b64 s[0:1], vcc, s[0:1]
	v_cndmask_b32_e64 v6, 0, 1, s[0:1]
	v_add_u32_e32 v7, v5, v6
; %bb.1756:
	s_or_b64 exec, exec, s[4:5]
	s_mov_b64 s[0:1], 0
	s_mov_b64 s[4:5], -1
	global_store_byte v[0:1], v7, off
.LBB14_1757:
	s_mov_b64 s[10:11], 0
.LBB14_1758:
	s_and_b64 vcc, exec, s[10:11]
	s_cbranch_vccz .LBB14_1761
; %bb.1759:
	s_cmp_eq_u32 s15, 29
	s_mov_b64 s[0:1], -1
	s_cbranch_scc0 .LBB14_1761
; %bb.1760:
	v_and_b32_e32 v5, 0xff, v2
	v_mov_b32_e32 v6, 0
	global_store_dwordx2 v[0:1], v[5:6], off
	s_mov_b64 s[0:1], 0
	s_mov_b64 s[4:5], -1
.LBB14_1761:
	s_mov_b64 s[10:11], 0
.LBB14_1762:
	s_and_b64 vcc, exec, s[10:11]
	s_cbranch_vccz .LBB14_1778
; %bb.1763:
	s_cmp_lt_i32 s15, 27
	s_mov_b64 s[4:5], -1
	s_cbranch_scc1 .LBB14_1769
; %bb.1764:
	s_cmp_gt_i32 s15, 27
	s_cbranch_scc0 .LBB14_1766
; %bb.1765:
	v_and_b32_e32 v5, 0xff, v2
	s_mov_b64 s[4:5], 0
	global_store_dword v[0:1], v5, off
.LBB14_1766:
	s_andn2_b64 vcc, exec, s[4:5]
	s_cbranch_vccnz .LBB14_1768
; %bb.1767:
	v_and_b32_e32 v5, 0xff, v2
	global_store_short v[0:1], v5, off
.LBB14_1768:
	s_mov_b64 s[4:5], 0
.LBB14_1769:
	s_andn2_b64 vcc, exec, s[4:5]
	s_cbranch_vccnz .LBB14_1777
; %bb.1770:
	v_cvt_f32_ubyte0_e32 v6, v2
	s_mov_b32 s4, 0x43800000
	v_cmp_gt_u32_e32 vcc, s4, v6
	v_mov_b32_e32 v7, 0x80
	s_and_saveexec_b64 s[4:5], vcc
	s_cbranch_execz .LBB14_1776
; %bb.1771:
	s_mov_b32 s10, 0x3bffffff
	v_cmp_lt_u32_e32 vcc, s10, v6
	s_mov_b64 s[10:11], 0
                                        ; implicit-def: $vgpr5
	s_and_saveexec_b64 s[12:13], vcc
	s_xor_b64 s[12:13], exec, s[12:13]
	s_cbranch_execz .LBB14_1997
; %bb.1772:
	v_bfe_u32 v5, v6, 20, 1
	s_mov_b32 s22, 0x487ffff
	v_add3_u32 v5, v6, v5, s22
	s_mov_b64 s[10:11], exec
	v_lshrrev_b32_e32 v5, 20, v5
                                        ; implicit-def: $vgpr6
	s_andn2_saveexec_b64 s[12:13], s[12:13]
	s_cbranch_execnz .LBB14_1998
.LBB14_1773:
	s_or_b64 exec, exec, s[12:13]
	v_mov_b32_e32 v7, 0
	s_and_saveexec_b64 s[12:13], s[10:11]
.LBB14_1774:
	v_mov_b32_e32 v7, v5
.LBB14_1775:
	s_or_b64 exec, exec, s[12:13]
.LBB14_1776:
	s_or_b64 exec, exec, s[4:5]
	global_store_byte v[0:1], v7, off
.LBB14_1777:
	s_mov_b64 s[4:5], -1
.LBB14_1778:
	s_mov_b64 s[10:11], 0
.LBB14_1779:
	s_and_b64 vcc, exec, s[10:11]
	s_cbranch_vccz .LBB14_1819
; %bb.1780:
	s_cmp_gt_i32 s15, 22
	s_mov_b64 s[2:3], -1
	s_cbranch_scc0 .LBB14_1812
; %bb.1781:
	s_cmp_lt_i32 s15, 24
	s_cbranch_scc1 .LBB14_1801
; %bb.1782:
	s_cmp_gt_i32 s15, 24
	s_cbranch_scc0 .LBB14_1790
; %bb.1783:
	v_cvt_f32_ubyte0_e32 v6, v2
	s_mov_b32 s2, 0x47800000
	v_cmp_gt_u32_e32 vcc, s2, v6
	v_mov_b32_e32 v7, 0x80
	s_and_saveexec_b64 s[2:3], vcc
	s_cbranch_execz .LBB14_1789
; %bb.1784:
	s_mov_b32 s4, 0x37ffffff
	v_cmp_lt_u32_e32 vcc, s4, v6
	s_mov_b64 s[4:5], 0
                                        ; implicit-def: $vgpr5
	s_and_saveexec_b64 s[10:11], vcc
	s_xor_b64 s[10:11], exec, s[10:11]
	s_cbranch_execz .LBB14_2000
; %bb.1785:
	v_bfe_u32 v5, v6, 21, 1
	s_mov_b32 s12, 0x88fffff
	v_add3_u32 v5, v6, v5, s12
	s_mov_b64 s[4:5], exec
	v_lshrrev_b32_e32 v5, 21, v5
                                        ; implicit-def: $vgpr6
	s_andn2_saveexec_b64 s[10:11], s[10:11]
	s_cbranch_execnz .LBB14_2001
.LBB14_1786:
	s_or_b64 exec, exec, s[10:11]
	v_mov_b32_e32 v7, 0
	s_and_saveexec_b64 s[10:11], s[4:5]
.LBB14_1787:
	v_mov_b32_e32 v7, v5
.LBB14_1788:
	s_or_b64 exec, exec, s[10:11]
.LBB14_1789:
	s_or_b64 exec, exec, s[2:3]
	s_mov_b64 s[2:3], 0
	global_store_byte v[0:1], v7, off
.LBB14_1790:
	s_and_b64 vcc, exec, s[2:3]
	s_cbranch_vccz .LBB14_1800
; %bb.1791:
	v_cvt_f32_ubyte0_e32 v5, v2
	s_mov_b32 s2, 0x43f00000
	v_cmp_gt_u32_e32 vcc, s2, v5
                                        ; implicit-def: $vgpr6
	s_and_saveexec_b64 s[2:3], vcc
	s_xor_b64 s[2:3], exec, s[2:3]
	s_cbranch_execz .LBB14_1797
; %bb.1792:
	s_mov_b32 s4, 0x3c7fffff
	v_cmp_lt_u32_e32 vcc, s4, v5
                                        ; implicit-def: $vgpr6
	s_and_saveexec_b64 s[4:5], vcc
	s_xor_b64 s[4:5], exec, s[4:5]
; %bb.1793:
	v_bfe_u32 v6, v5, 20, 1
	s_mov_b32 s10, 0x407ffff
	v_add3_u32 v5, v5, v6, s10
	v_lshrrev_b32_e32 v6, 20, v5
	v_and_b32_e32 v5, 0xff00000, v5
	s_mov_b32 s10, 0x7f00000
	v_mov_b32_e32 v7, 0x7e
	v_cmp_ne_u32_e32 vcc, s10, v5
	v_cndmask_b32_e32 v6, v7, v6, vcc
                                        ; implicit-def: $vgpr5
; %bb.1794:
	s_andn2_saveexec_b64 s[4:5], s[4:5]
; %bb.1795:
	v_add_f32_e32 v6, 0x46800000, v5
; %bb.1796:
	s_or_b64 exec, exec, s[4:5]
                                        ; implicit-def: $vgpr5
.LBB14_1797:
	s_andn2_saveexec_b64 s[2:3], s[2:3]
; %bb.1798:
	s_mov_b32 s4, 0x7f800000
	v_mov_b32_e32 v6, 0x7e
	v_mov_b32_e32 v7, 0x7f
	v_cmp_lt_u32_e32 vcc, s4, v5
	v_cndmask_b32_e32 v6, v6, v7, vcc
; %bb.1799:
	s_or_b64 exec, exec, s[2:3]
	global_store_byte v[0:1], v6, off
.LBB14_1800:
	s_mov_b64 s[2:3], 0
.LBB14_1801:
	s_andn2_b64 vcc, exec, s[2:3]
	s_cbranch_vccnz .LBB14_1811
; %bb.1802:
	v_cvt_f32_ubyte0_e32 v5, v2
	s_mov_b32 s2, 0x47800000
	v_cmp_gt_u32_e32 vcc, s2, v5
                                        ; implicit-def: $vgpr6
	s_and_saveexec_b64 s[2:3], vcc
	s_xor_b64 s[2:3], exec, s[2:3]
	s_cbranch_execz .LBB14_1808
; %bb.1803:
	s_mov_b32 s4, 0x387fffff
	v_cmp_lt_u32_e32 vcc, s4, v5
                                        ; implicit-def: $vgpr6
	s_and_saveexec_b64 s[4:5], vcc
	s_xor_b64 s[4:5], exec, s[4:5]
; %bb.1804:
	v_bfe_u32 v6, v5, 21, 1
	s_mov_b32 s10, 0x80fffff
	v_add3_u32 v5, v5, v6, s10
	v_lshrrev_b32_e32 v6, 21, v5
                                        ; implicit-def: $vgpr5
; %bb.1805:
	s_andn2_saveexec_b64 s[4:5], s[4:5]
; %bb.1806:
	v_add_f32_e32 v6, 0x43000000, v5
; %bb.1807:
	s_or_b64 exec, exec, s[4:5]
                                        ; implicit-def: $vgpr5
.LBB14_1808:
	s_andn2_saveexec_b64 s[2:3], s[2:3]
; %bb.1809:
	s_mov_b32 s4, 0x7f800000
	v_mov_b32_e32 v6, 0x7c
	v_mov_b32_e32 v7, 0x7f
	v_cmp_lt_u32_e32 vcc, s4, v5
	v_cndmask_b32_e32 v6, v6, v7, vcc
; %bb.1810:
	s_or_b64 exec, exec, s[2:3]
	global_store_byte v[0:1], v6, off
.LBB14_1811:
	s_mov_b64 s[2:3], 0
	s_mov_b64 s[4:5], -1
.LBB14_1812:
	s_andn2_b64 vcc, exec, s[2:3]
	s_mov_b64 s[2:3], 0
	s_cbranch_vccnz .LBB14_1819
; %bb.1813:
	s_cmp_gt_i32 s15, 14
	s_mov_b64 s[10:11], -1
	s_cbranch_scc0 .LBB14_1817
; %bb.1814:
	s_cmp_eq_u32 s15, 15
	s_mov_b64 s[0:1], -1
	s_cbranch_scc0 .LBB14_1816
; %bb.1815:
	v_cvt_f32_ubyte0_e32 v5, v2
	v_bfe_u32 v6, v5, 16, 1
	s_movk_i32 s0, 0x7fff
	v_add3_u32 v5, v5, v6, s0
	global_store_short_d16_hi v[0:1], v5, off
	s_mov_b64 s[0:1], 0
	s_mov_b64 s[4:5], -1
.LBB14_1816:
	s_mov_b64 s[10:11], 0
.LBB14_1817:
	s_and_b64 vcc, exec, s[10:11]
	s_cbranch_vccz .LBB14_1819
; %bb.1818:
	s_cmp_lg_u32 s15, 11
	s_mov_b64 s[2:3], -1
	s_cselect_b64 s[0:1], -1, 0
.LBB14_1819:
	s_and_b64 vcc, exec, s[0:1]
	s_cbranch_vccnz .LBB14_1999
; %bb.1820:
	s_andn2_b64 vcc, exec, s[2:3]
	s_cbranch_vccnz .LBB14_1822
.LBB14_1821:
	v_mov_b32_e32 v5, 0
	v_cmp_ne_u16_sdwa s[0:1], v2, v5 src0_sel:BYTE_0 src1_sel:DWORD
	v_cndmask_b32_e64 v5, 0, 1, s[0:1]
	s_mov_b64 s[4:5], -1
	global_store_byte v[0:1], v5, off
.LBB14_1822:
	s_mov_b64 s[0:1], 0
	s_branch .LBB14_1824
.LBB14_1823:
	s_mov_b64 s[0:1], -1
	s_mov_b64 s[4:5], 0
.LBB14_1824:
	s_and_b64 vcc, exec, s[0:1]
	s_cbranch_vccz .LBB14_1863
; %bb.1825:
	s_and_b32 s2, 0xffff, s20
	s_cmp_lt_i32 s2, 5
	s_mov_b64 s[0:1], -1
	s_cbranch_scc1 .LBB14_1846
; %bb.1826:
	s_cmp_lt_i32 s2, 8
	s_cbranch_scc1 .LBB14_1836
; %bb.1827:
	s_cmp_lt_i32 s2, 9
	s_cbranch_scc1 .LBB14_1833
; %bb.1828:
	s_cmp_gt_i32 s2, 9
	s_cbranch_scc0 .LBB14_1830
; %bb.1829:
	s_mov_b32 s0, 0xffff
	v_and_b32_sdwa v5, s0, v2 dst_sel:DWORD dst_unused:UNUSED_PAD src0_sel:DWORD src1_sel:BYTE_0
	v_cvt_f64_u32_e32 v[5:6], v5
	v_mov_b32_e32 v7, 0
	v_mov_b32_e32 v8, v7
	s_mov_b64 s[0:1], 0
	global_store_dwordx4 v[0:1], v[5:8], off
.LBB14_1830:
	s_andn2_b64 vcc, exec, s[0:1]
	s_cbranch_vccnz .LBB14_1832
; %bb.1831:
	v_cvt_f32_ubyte0_e32 v5, v2
	v_mov_b32_e32 v6, 0
	global_store_dwordx2 v[0:1], v[5:6], off
.LBB14_1832:
	s_mov_b64 s[0:1], 0
.LBB14_1833:
	s_andn2_b64 vcc, exec, s[0:1]
	s_cbranch_vccnz .LBB14_1835
; %bb.1834:
	v_cvt_f16_u16_sdwa v5, v2 dst_sel:DWORD dst_unused:UNUSED_PAD src0_sel:BYTE_0
	global_store_dword v[0:1], v5, off
.LBB14_1835:
	s_mov_b64 s[0:1], 0
.LBB14_1836:
	s_andn2_b64 vcc, exec, s[0:1]
	s_cbranch_vccnz .LBB14_1845
; %bb.1837:
	s_cmp_lt_i32 s2, 6
	s_mov_b64 s[0:1], -1
	s_cbranch_scc1 .LBB14_1843
; %bb.1838:
	s_cmp_gt_i32 s2, 6
	s_cbranch_scc0 .LBB14_1840
; %bb.1839:
	s_mov_b32 s0, 0xffff
	v_and_b32_sdwa v5, s0, v2 dst_sel:DWORD dst_unused:UNUSED_PAD src0_sel:DWORD src1_sel:BYTE_0
	v_cvt_f64_u32_e32 v[5:6], v5
	s_mov_b64 s[0:1], 0
	global_store_dwordx2 v[0:1], v[5:6], off
.LBB14_1840:
	s_andn2_b64 vcc, exec, s[0:1]
	s_cbranch_vccnz .LBB14_1842
; %bb.1841:
	v_cvt_f32_ubyte0_e32 v5, v2
	global_store_dword v[0:1], v5, off
.LBB14_1842:
	s_mov_b64 s[0:1], 0
.LBB14_1843:
	s_andn2_b64 vcc, exec, s[0:1]
	s_cbranch_vccnz .LBB14_1845
; %bb.1844:
	v_cvt_f16_u16_sdwa v5, v2 dst_sel:DWORD dst_unused:UNUSED_PAD src0_sel:BYTE_0
	global_store_short v[0:1], v5, off
.LBB14_1845:
	s_mov_b64 s[0:1], 0
.LBB14_1846:
	s_andn2_b64 vcc, exec, s[0:1]
	s_cbranch_vccnz .LBB14_1862
; %bb.1847:
	s_cmp_lt_i32 s2, 2
	s_mov_b64 s[0:1], -1
	s_cbranch_scc1 .LBB14_1857
; %bb.1848:
	s_cmp_lt_i32 s2, 3
	s_cbranch_scc1 .LBB14_1854
; %bb.1849:
	s_cmp_gt_i32 s2, 3
	s_cbranch_scc0 .LBB14_1851
; %bb.1850:
	v_and_b32_e32 v5, 0xff, v2
	v_mov_b32_e32 v6, 0
	global_store_dwordx2 v[0:1], v[5:6], off
	s_mov_b64 s[0:1], 0
.LBB14_1851:
	s_andn2_b64 vcc, exec, s[0:1]
	s_cbranch_vccnz .LBB14_1853
; %bb.1852:
	v_and_b32_e32 v5, 0xff, v2
	global_store_dword v[0:1], v5, off
.LBB14_1853:
	s_mov_b64 s[0:1], 0
.LBB14_1854:
	s_andn2_b64 vcc, exec, s[0:1]
	s_cbranch_vccnz .LBB14_1856
; %bb.1855:
	v_and_b32_e32 v5, 0xff, v2
	global_store_short v[0:1], v5, off
.LBB14_1856:
	s_mov_b64 s[0:1], 0
.LBB14_1857:
	s_andn2_b64 vcc, exec, s[0:1]
	s_cbranch_vccnz .LBB14_1862
; %bb.1858:
	s_cmp_gt_i32 s2, 0
	s_mov_b64 s[0:1], -1
	s_cbranch_scc0 .LBB14_1860
; %bb.1859:
	global_store_byte v[0:1], v2, off
	s_mov_b64 s[0:1], 0
.LBB14_1860:
	s_andn2_b64 vcc, exec, s[0:1]
	s_cbranch_vccnz .LBB14_1862
; %bb.1861:
	global_store_byte v[0:1], v2, off
.LBB14_1862:
	s_mov_b64 s[4:5], -1
.LBB14_1863:
	s_andn2_b64 vcc, exec, s[4:5]
	s_cbranch_vccnz .LBB14_1940
; %bb.1864:
	v_mov_b32_e32 v0, s33
	v_mov_b32_e32 v1, s46
	v_cmp_gt_u16_sdwa vcc, v3, s21 src0_sel:BYTE_0 src1_sel:DWORD
	v_cndmask_b32_e32 v2, v0, v1, vcc
	v_add_u32_e32 v0, s14, v4
	v_ashrrev_i32_e32 v1, 31, v0
	v_mov_b32_e32 v3, s9
	v_add_co_u32_e32 v0, vcc, s8, v0
	s_cmp_lt_i32 s20, 11
	v_addc_co_u32_e32 v1, vcc, v3, v1, vcc
	s_cbranch_scc1 .LBB14_1985
; %bb.1865:
	s_and_b32 s12, 0xffff, s20
	s_mov_b64 s[4:5], -1
	s_mov_b64 s[2:3], 0
	s_cmp_gt_i32 s12, 25
	s_mov_b64 s[0:1], 0
	s_cbranch_scc0 .LBB14_1898
; %bb.1866:
	s_cmp_gt_i32 s12, 28
	s_cbranch_scc0 .LBB14_1882
; %bb.1867:
	s_cmp_gt_i32 s12, 43
	;; [unrolled: 3-line block ×3, first 2 shown]
	s_cbranch_scc0 .LBB14_1872
; %bb.1869:
	s_cmp_eq_u32 s12, 46
	s_mov_b64 s[0:1], -1
	s_cbranch_scc0 .LBB14_1871
; %bb.1870:
	v_cvt_f32_ubyte0_e32 v3, v2
	v_bfe_u32 v4, v3, 16, 1
	s_movk_i32 s0, 0x7fff
	v_add3_u32 v3, v3, v4, s0
	v_lshrrev_b32_e32 v3, 16, v3
	global_store_dword v[0:1], v3, off
	s_mov_b64 s[0:1], 0
.LBB14_1871:
	s_mov_b64 s[4:5], 0
.LBB14_1872:
	s_and_b64 vcc, exec, s[4:5]
	s_cbranch_vccz .LBB14_1877
; %bb.1873:
	s_cmp_eq_u32 s12, 44
	s_mov_b64 s[0:1], -1
	s_cbranch_scc0 .LBB14_1877
; %bb.1874:
	v_cvt_f32_ubyte0_e32 v4, v2
	v_lshrrev_b32_e32 v3, 23, v4
	s_movk_i32 s0, 0xff
	v_cmp_ne_u32_e32 vcc, s0, v3
	v_mov_b32_e32 v5, 0xff
	s_and_saveexec_b64 s[4:5], vcc
; %bb.1875:
	s_mov_b32 s0, 0x3fffff
	v_and_b32_e32 v5, 0x400000, v4
	v_and_or_b32 v4, v4, s0, v3
	v_cmp_ne_u32_e32 vcc, 0, v5
	v_cmp_ne_u32_e64 s[0:1], 0, v4
	s_and_b64 s[0:1], vcc, s[0:1]
	v_cndmask_b32_e64 v4, 0, 1, s[0:1]
	v_add_u32_e32 v5, v3, v4
; %bb.1876:
	s_or_b64 exec, exec, s[4:5]
	s_mov_b64 s[0:1], 0
	global_store_byte v[0:1], v5, off
.LBB14_1877:
	s_mov_b64 s[4:5], 0
.LBB14_1878:
	s_and_b64 vcc, exec, s[4:5]
	s_cbranch_vccz .LBB14_1881
; %bb.1879:
	s_cmp_eq_u32 s12, 29
	s_mov_b64 s[0:1], -1
	s_cbranch_scc0 .LBB14_1881
; %bb.1880:
	v_and_b32_e32 v3, 0xff, v2
	v_mov_b32_e32 v4, 0
	global_store_dwordx2 v[0:1], v[3:4], off
	s_mov_b64 s[0:1], 0
.LBB14_1881:
	s_mov_b64 s[4:5], 0
.LBB14_1882:
	s_and_b64 vcc, exec, s[4:5]
	s_cbranch_vccz .LBB14_1897
; %bb.1883:
	s_cmp_lt_i32 s12, 27
	s_mov_b64 s[4:5], -1
	s_cbranch_scc1 .LBB14_1889
; %bb.1884:
	s_cmp_gt_i32 s12, 27
	s_cbranch_scc0 .LBB14_1886
; %bb.1885:
	v_and_b32_e32 v3, 0xff, v2
	global_store_dword v[0:1], v3, off
	s_mov_b64 s[4:5], 0
.LBB14_1886:
	s_andn2_b64 vcc, exec, s[4:5]
	s_cbranch_vccnz .LBB14_1888
; %bb.1887:
	v_and_b32_e32 v3, 0xff, v2
	global_store_short v[0:1], v3, off
.LBB14_1888:
	s_mov_b64 s[4:5], 0
.LBB14_1889:
	s_andn2_b64 vcc, exec, s[4:5]
	s_cbranch_vccnz .LBB14_1897
; %bb.1890:
	v_cvt_f32_ubyte0_e32 v4, v2
	s_mov_b32 s4, 0x43800000
	v_cmp_gt_u32_e32 vcc, s4, v4
	v_mov_b32_e32 v5, 0x80
	s_and_saveexec_b64 s[4:5], vcc
	s_cbranch_execz .LBB14_1896
; %bb.1891:
	s_mov_b32 s8, 0x3bffffff
	v_cmp_lt_u32_e32 vcc, s8, v4
	s_mov_b64 s[8:9], 0
                                        ; implicit-def: $vgpr3
	s_and_saveexec_b64 s[10:11], vcc
	s_xor_b64 s[10:11], exec, s[10:11]
	s_cbranch_execz .LBB14_2002
; %bb.1892:
	v_bfe_u32 v3, v4, 20, 1
	s_mov_b32 s13, 0x487ffff
	v_add3_u32 v3, v4, v3, s13
	s_mov_b64 s[8:9], exec
	v_lshrrev_b32_e32 v3, 20, v3
                                        ; implicit-def: $vgpr4
	s_andn2_saveexec_b64 s[10:11], s[10:11]
	s_cbranch_execnz .LBB14_2003
.LBB14_1893:
	s_or_b64 exec, exec, s[10:11]
	v_mov_b32_e32 v5, 0
	s_and_saveexec_b64 s[10:11], s[8:9]
.LBB14_1894:
	v_mov_b32_e32 v5, v3
.LBB14_1895:
	s_or_b64 exec, exec, s[10:11]
.LBB14_1896:
	s_or_b64 exec, exec, s[4:5]
	global_store_byte v[0:1], v5, off
.LBB14_1897:
	s_mov_b64 s[4:5], 0
.LBB14_1898:
	s_and_b64 vcc, exec, s[4:5]
	s_cbranch_vccz .LBB14_1938
; %bb.1899:
	s_cmp_gt_i32 s12, 22
	s_mov_b64 s[2:3], -1
	s_cbranch_scc0 .LBB14_1931
; %bb.1900:
	s_cmp_lt_i32 s12, 24
	s_cbranch_scc1 .LBB14_1920
; %bb.1901:
	s_cmp_gt_i32 s12, 24
	s_cbranch_scc0 .LBB14_1909
; %bb.1902:
	v_cvt_f32_ubyte0_e32 v4, v2
	s_mov_b32 s2, 0x47800000
	v_cmp_gt_u32_e32 vcc, s2, v4
	v_mov_b32_e32 v5, 0x80
	s_and_saveexec_b64 s[2:3], vcc
	s_cbranch_execz .LBB14_1908
; %bb.1903:
	s_mov_b32 s4, 0x37ffffff
	v_cmp_lt_u32_e32 vcc, s4, v4
	s_mov_b64 s[4:5], 0
                                        ; implicit-def: $vgpr3
	s_and_saveexec_b64 s[8:9], vcc
	s_xor_b64 s[8:9], exec, s[8:9]
	s_cbranch_execz .LBB14_2005
; %bb.1904:
	v_bfe_u32 v3, v4, 21, 1
	s_mov_b32 s10, 0x88fffff
	v_add3_u32 v3, v4, v3, s10
	s_mov_b64 s[4:5], exec
	v_lshrrev_b32_e32 v3, 21, v3
                                        ; implicit-def: $vgpr4
	s_andn2_saveexec_b64 s[8:9], s[8:9]
	s_cbranch_execnz .LBB14_2006
.LBB14_1905:
	s_or_b64 exec, exec, s[8:9]
	v_mov_b32_e32 v5, 0
	s_and_saveexec_b64 s[8:9], s[4:5]
.LBB14_1906:
	v_mov_b32_e32 v5, v3
.LBB14_1907:
	s_or_b64 exec, exec, s[8:9]
.LBB14_1908:
	s_or_b64 exec, exec, s[2:3]
	s_mov_b64 s[2:3], 0
	global_store_byte v[0:1], v5, off
.LBB14_1909:
	s_and_b64 vcc, exec, s[2:3]
	s_cbranch_vccz .LBB14_1919
; %bb.1910:
	v_cvt_f32_ubyte0_e32 v3, v2
	s_mov_b32 s2, 0x43f00000
	v_cmp_gt_u32_e32 vcc, s2, v3
                                        ; implicit-def: $vgpr4
	s_and_saveexec_b64 s[2:3], vcc
	s_xor_b64 s[2:3], exec, s[2:3]
	s_cbranch_execz .LBB14_1916
; %bb.1911:
	s_mov_b32 s4, 0x3c7fffff
	v_cmp_lt_u32_e32 vcc, s4, v3
                                        ; implicit-def: $vgpr4
	s_and_saveexec_b64 s[4:5], vcc
	s_xor_b64 s[4:5], exec, s[4:5]
; %bb.1912:
	v_bfe_u32 v4, v3, 20, 1
	s_mov_b32 s8, 0x407ffff
	v_add3_u32 v3, v3, v4, s8
	v_lshrrev_b32_e32 v4, 20, v3
	v_and_b32_e32 v3, 0xff00000, v3
	s_mov_b32 s8, 0x7f00000
	v_mov_b32_e32 v5, 0x7e
	v_cmp_ne_u32_e32 vcc, s8, v3
	v_cndmask_b32_e32 v4, v5, v4, vcc
                                        ; implicit-def: $vgpr3
; %bb.1913:
	s_andn2_saveexec_b64 s[4:5], s[4:5]
; %bb.1914:
	v_add_f32_e32 v4, 0x46800000, v3
; %bb.1915:
	s_or_b64 exec, exec, s[4:5]
                                        ; implicit-def: $vgpr3
.LBB14_1916:
	s_andn2_saveexec_b64 s[2:3], s[2:3]
; %bb.1917:
	s_mov_b32 s4, 0x7f800000
	v_mov_b32_e32 v4, 0x7e
	v_mov_b32_e32 v5, 0x7f
	v_cmp_lt_u32_e32 vcc, s4, v3
	v_cndmask_b32_e32 v4, v4, v5, vcc
; %bb.1918:
	s_or_b64 exec, exec, s[2:3]
	global_store_byte v[0:1], v4, off
.LBB14_1919:
	s_mov_b64 s[2:3], 0
.LBB14_1920:
	s_andn2_b64 vcc, exec, s[2:3]
	s_cbranch_vccnz .LBB14_1930
; %bb.1921:
	v_cvt_f32_ubyte0_e32 v3, v2
	s_mov_b32 s2, 0x47800000
	v_cmp_gt_u32_e32 vcc, s2, v3
                                        ; implicit-def: $vgpr4
	s_and_saveexec_b64 s[2:3], vcc
	s_xor_b64 s[2:3], exec, s[2:3]
	s_cbranch_execz .LBB14_1927
; %bb.1922:
	s_mov_b32 s4, 0x387fffff
	v_cmp_lt_u32_e32 vcc, s4, v3
                                        ; implicit-def: $vgpr4
	s_and_saveexec_b64 s[4:5], vcc
	s_xor_b64 s[4:5], exec, s[4:5]
; %bb.1923:
	v_bfe_u32 v4, v3, 21, 1
	s_mov_b32 s8, 0x80fffff
	v_add3_u32 v3, v3, v4, s8
	v_lshrrev_b32_e32 v4, 21, v3
                                        ; implicit-def: $vgpr3
; %bb.1924:
	s_andn2_saveexec_b64 s[4:5], s[4:5]
; %bb.1925:
	v_add_f32_e32 v4, 0x43000000, v3
; %bb.1926:
	s_or_b64 exec, exec, s[4:5]
                                        ; implicit-def: $vgpr3
.LBB14_1927:
	s_andn2_saveexec_b64 s[2:3], s[2:3]
; %bb.1928:
	s_mov_b32 s4, 0x7f800000
	v_mov_b32_e32 v4, 0x7c
	v_mov_b32_e32 v5, 0x7f
	v_cmp_lt_u32_e32 vcc, s4, v3
	v_cndmask_b32_e32 v4, v4, v5, vcc
; %bb.1929:
	s_or_b64 exec, exec, s[2:3]
	global_store_byte v[0:1], v4, off
.LBB14_1930:
	s_mov_b64 s[2:3], 0
.LBB14_1931:
	s_andn2_b64 vcc, exec, s[2:3]
	s_mov_b64 s[2:3], 0
	s_cbranch_vccnz .LBB14_1938
; %bb.1932:
	s_cmp_gt_i32 s12, 14
	s_mov_b64 s[4:5], -1
	s_cbranch_scc0 .LBB14_1936
; %bb.1933:
	s_cmp_eq_u32 s12, 15
	s_mov_b64 s[0:1], -1
	s_cbranch_scc0 .LBB14_1935
; %bb.1934:
	v_cvt_f32_ubyte0_e32 v3, v2
	v_bfe_u32 v4, v3, 16, 1
	s_movk_i32 s0, 0x7fff
	v_add3_u32 v3, v3, v4, s0
	global_store_short_d16_hi v[0:1], v3, off
	s_mov_b64 s[0:1], 0
.LBB14_1935:
	s_mov_b64 s[4:5], 0
.LBB14_1936:
	s_and_b64 vcc, exec, s[4:5]
	s_cbranch_vccz .LBB14_1938
; %bb.1937:
	s_cmp_lg_u32 s12, 11
	s_mov_b64 s[2:3], -1
	s_cselect_b64 s[0:1], -1, 0
.LBB14_1938:
	s_and_b64 vcc, exec, s[0:1]
	s_cbranch_vccnz .LBB14_2004
.LBB14_1939:
	s_mov_b64 s[0:1], 0
	s_branch .LBB14_1941
.LBB14_1940:
	s_mov_b64 s[0:1], 0
	s_mov_b64 s[2:3], 0
                                        ; implicit-def: $sgpr20
                                        ; implicit-def: $vgpr0_vgpr1
                                        ; implicit-def: $vgpr2
.LBB14_1941:
	s_and_b64 s[4:5], s[2:3], exec
	s_andn2_b64 s[2:3], s[16:17], exec
	s_and_b64 s[8:9], s[18:19], exec
	s_and_b64 s[0:1], s[0:1], exec
	s_or_b64 s[16:17], s[2:3], s[8:9]
.LBB14_1942:
	s_or_b64 exec, exec, s[6:7]
	s_and_saveexec_b64 s[2:3], s[16:17]
	s_cbranch_execz .LBB14_1945
; %bb.1943:
	; divergent unreachable
	s_or_b64 exec, exec, s[2:3]
	s_and_saveexec_b64 s[2:3], s[4:5]
	s_xor_b64 s[2:3], exec, s[2:3]
	s_cbranch_execnz .LBB14_1946
.LBB14_1944:
	s_or_b64 exec, exec, s[2:3]
	s_and_saveexec_b64 s[2:3], s[0:1]
	s_cbranch_execnz .LBB14_1947
	s_branch .LBB14_1984
.LBB14_1945:
	s_or_b64 exec, exec, s[2:3]
	s_and_saveexec_b64 s[2:3], s[4:5]
	s_xor_b64 s[2:3], exec, s[2:3]
	s_cbranch_execz .LBB14_1944
.LBB14_1946:
	s_waitcnt vmcnt(0)
	v_mov_b32_e32 v3, 0
	v_cmp_ne_u16_sdwa s[4:5], v2, v3 src0_sel:BYTE_0 src1_sel:DWORD
	v_cndmask_b32_e64 v3, 0, 1, s[4:5]
	global_store_byte v[0:1], v3, off
	s_or_b64 exec, exec, s[2:3]
	s_and_saveexec_b64 s[2:3], s[0:1]
	s_cbranch_execz .LBB14_1984
.LBB14_1947:
	s_sext_i32_i16 s2, s20
	s_cmp_lt_i32 s2, 5
	s_mov_b64 s[0:1], -1
	s_cbranch_scc1 .LBB14_1968
; %bb.1948:
	s_cmp_lt_i32 s2, 8
	s_cbranch_scc1 .LBB14_1958
; %bb.1949:
	s_cmp_lt_i32 s2, 9
	s_cbranch_scc1 .LBB14_1955
; %bb.1950:
	s_cmp_gt_i32 s2, 9
	s_cbranch_scc0 .LBB14_1952
; %bb.1951:
	s_mov_b32 s0, 0xffff
	s_waitcnt vmcnt(0)
	v_and_b32_sdwa v3, s0, v2 dst_sel:DWORD dst_unused:UNUSED_PAD src0_sel:DWORD src1_sel:BYTE_0
	v_cvt_f64_u32_e32 v[3:4], v3
	v_mov_b32_e32 v5, 0
	v_mov_b32_e32 v6, v5
	s_mov_b64 s[0:1], 0
	global_store_dwordx4 v[0:1], v[3:6], off
.LBB14_1952:
	s_andn2_b64 vcc, exec, s[0:1]
	s_cbranch_vccnz .LBB14_1954
; %bb.1953:
	s_waitcnt vmcnt(0)
	v_cvt_f32_ubyte0_e32 v3, v2
	v_mov_b32_e32 v4, 0
	global_store_dwordx2 v[0:1], v[3:4], off
.LBB14_1954:
	s_mov_b64 s[0:1], 0
.LBB14_1955:
	s_andn2_b64 vcc, exec, s[0:1]
	s_cbranch_vccnz .LBB14_1957
; %bb.1956:
	s_waitcnt vmcnt(0)
	v_cvt_f16_u16_sdwa v3, v2 dst_sel:DWORD dst_unused:UNUSED_PAD src0_sel:BYTE_0
	global_store_dword v[0:1], v3, off
.LBB14_1957:
	s_mov_b64 s[0:1], 0
.LBB14_1958:
	s_andn2_b64 vcc, exec, s[0:1]
	s_cbranch_vccnz .LBB14_1967
; %bb.1959:
	s_sext_i32_i16 s2, s20
	s_cmp_lt_i32 s2, 6
	s_mov_b64 s[0:1], -1
	s_cbranch_scc1 .LBB14_1965
; %bb.1960:
	s_cmp_gt_i32 s2, 6
	s_cbranch_scc0 .LBB14_1962
; %bb.1961:
	s_mov_b32 s0, 0xffff
	s_waitcnt vmcnt(0)
	v_and_b32_sdwa v3, s0, v2 dst_sel:DWORD dst_unused:UNUSED_PAD src0_sel:DWORD src1_sel:BYTE_0
	v_cvt_f64_u32_e32 v[3:4], v3
	s_mov_b64 s[0:1], 0
	global_store_dwordx2 v[0:1], v[3:4], off
.LBB14_1962:
	s_andn2_b64 vcc, exec, s[0:1]
	s_cbranch_vccnz .LBB14_1964
; %bb.1963:
	s_waitcnt vmcnt(0)
	v_cvt_f32_ubyte0_e32 v3, v2
	global_store_dword v[0:1], v3, off
.LBB14_1964:
	s_mov_b64 s[0:1], 0
.LBB14_1965:
	s_andn2_b64 vcc, exec, s[0:1]
	s_cbranch_vccnz .LBB14_1967
; %bb.1966:
	s_waitcnt vmcnt(0)
	v_cvt_f16_u16_sdwa v3, v2 dst_sel:DWORD dst_unused:UNUSED_PAD src0_sel:BYTE_0
	global_store_short v[0:1], v3, off
.LBB14_1967:
	s_mov_b64 s[0:1], 0
.LBB14_1968:
	s_andn2_b64 vcc, exec, s[0:1]
	s_cbranch_vccnz .LBB14_1984
; %bb.1969:
	s_sext_i32_i16 s2, s20
	s_cmp_lt_i32 s2, 2
	s_mov_b64 s[0:1], -1
	s_cbranch_scc1 .LBB14_1979
; %bb.1970:
	s_cmp_lt_i32 s2, 3
	s_cbranch_scc1 .LBB14_1976
; %bb.1971:
	s_cmp_gt_i32 s2, 3
	s_cbranch_scc0 .LBB14_1973
; %bb.1972:
	s_waitcnt vmcnt(0)
	v_and_b32_e32 v3, 0xff, v2
	v_mov_b32_e32 v4, 0
	global_store_dwordx2 v[0:1], v[3:4], off
	s_mov_b64 s[0:1], 0
.LBB14_1973:
	s_andn2_b64 vcc, exec, s[0:1]
	s_cbranch_vccnz .LBB14_1975
; %bb.1974:
	s_waitcnt vmcnt(0)
	v_and_b32_e32 v3, 0xff, v2
	global_store_dword v[0:1], v3, off
.LBB14_1975:
	s_mov_b64 s[0:1], 0
.LBB14_1976:
	s_andn2_b64 vcc, exec, s[0:1]
	s_cbranch_vccnz .LBB14_1978
; %bb.1977:
	s_waitcnt vmcnt(0)
	v_and_b32_e32 v3, 0xff, v2
	global_store_short v[0:1], v3, off
.LBB14_1978:
	s_mov_b64 s[0:1], 0
.LBB14_1979:
	s_andn2_b64 vcc, exec, s[0:1]
	s_cbranch_vccnz .LBB14_1984
; %bb.1980:
	s_sext_i32_i16 s0, s20
	s_cmp_gt_i32 s0, 0
	s_mov_b64 s[0:1], -1
	s_cbranch_scc0 .LBB14_1982
; %bb.1981:
	s_waitcnt vmcnt(0)
	global_store_byte v[0:1], v2, off
	s_mov_b64 s[0:1], 0
.LBB14_1982:
	s_andn2_b64 vcc, exec, s[0:1]
	s_cbranch_vccnz .LBB14_1984
; %bb.1983:
	s_waitcnt vmcnt(0)
	global_store_byte v[0:1], v2, off
	s_endpgm
.LBB14_1984:
	s_endpgm
.LBB14_1985:
	s_mov_b64 s[2:3], 0
	s_mov_b64 s[0:1], -1
	s_branch .LBB14_1941
.LBB14_1986:
	s_trap 2
	s_or_b64 s[18:19], s[18:19], exec
	s_cbranch_execz .LBB14_1455
	s_branch .LBB14_1456
.LBB14_1987:
	s_andn2_saveexec_b64 s[14:15], s[14:15]
	s_cbranch_execz .LBB14_1535
.LBB14_1988:
	v_add_f32_e32 v7, 0x46000000, v8
	v_and_b32_e32 v7, 0xff, v7
	v_cmp_ne_u32_e32 vcc, 0, v7
	s_andn2_b64 s[10:11], s[10:11], exec
	s_and_b64 s[22:23], vcc, exec
	s_or_b64 s[10:11], s[10:11], s[22:23]
	s_or_b64 exec, exec, s[14:15]
	v_mov_b32_e32 v9, 0
	s_and_saveexec_b64 s[14:15], s[10:11]
	s_cbranch_execnz .LBB14_1536
	s_branch .LBB14_1537
.LBB14_1989:
	s_trap 2
	s_or_b64 s[18:19], s[18:19], exec
	s_cbranch_execz .LBB14_1583
	s_branch .LBB14_1584
.LBB14_1990:
	s_andn2_saveexec_b64 s[10:11], s[10:11]
	s_cbranch_execz .LBB14_1548
.LBB14_1991:
	v_add_f32_e32 v7, 0x42800000, v8
	v_and_b32_e32 v7, 0xff, v7
	v_cmp_ne_u32_e32 vcc, 0, v7
	s_andn2_b64 s[4:5], s[4:5], exec
	s_and_b64 s[14:15], vcc, exec
	s_or_b64 s[4:5], s[4:5], s[14:15]
	s_or_b64 exec, exec, s[10:11]
	v_mov_b32_e32 v9, 0
	s_and_saveexec_b64 s[10:11], s[4:5]
	s_cbranch_execnz .LBB14_1549
	s_branch .LBB14_1550
.LBB14_1992:
	s_andn2_saveexec_b64 s[12:13], s[12:13]
	s_cbranch_execz .LBB14_1654
.LBB14_1993:
	v_add_f32_e32 v6, 0x46000000, v7
	v_and_b32_e32 v6, 0xff, v6
	v_cmp_ne_u32_e32 vcc, 0, v6
	s_andn2_b64 s[10:11], s[10:11], exec
	s_and_b64 s[22:23], vcc, exec
	s_or_b64 s[10:11], s[10:11], s[22:23]
	s_or_b64 exec, exec, s[12:13]
	v_mov_b32_e32 v8, 0
	s_and_saveexec_b64 s[12:13], s[10:11]
	s_cbranch_execnz .LBB14_1655
	s_branch .LBB14_1656
.LBB14_1994:
	s_trap 2
	s_or_b64 s[18:19], s[18:19], exec
	s_cbranch_execz .LBB14_1702
	s_branch .LBB14_1703
.LBB14_1995:
	s_andn2_saveexec_b64 s[10:11], s[10:11]
	s_cbranch_execz .LBB14_1667
.LBB14_1996:
	v_add_f32_e32 v6, 0x42800000, v7
	v_and_b32_e32 v6, 0xff, v6
	v_cmp_ne_u32_e32 vcc, 0, v6
	s_andn2_b64 s[4:5], s[4:5], exec
	s_and_b64 s[12:13], vcc, exec
	s_or_b64 s[4:5], s[4:5], s[12:13]
	s_or_b64 exec, exec, s[10:11]
	v_mov_b32_e32 v8, 0
	s_and_saveexec_b64 s[10:11], s[4:5]
	s_cbranch_execnz .LBB14_1668
	s_branch .LBB14_1669
.LBB14_1997:
	s_andn2_saveexec_b64 s[12:13], s[12:13]
	s_cbranch_execz .LBB14_1773
.LBB14_1998:
	v_add_f32_e32 v5, 0x46000000, v6
	v_and_b32_e32 v5, 0xff, v5
	v_cmp_ne_u32_e32 vcc, 0, v5
	s_andn2_b64 s[10:11], s[10:11], exec
	s_and_b64 s[22:23], vcc, exec
	s_or_b64 s[10:11], s[10:11], s[22:23]
	s_or_b64 exec, exec, s[12:13]
	v_mov_b32_e32 v7, 0
	s_and_saveexec_b64 s[12:13], s[10:11]
	s_cbranch_execnz .LBB14_1774
	s_branch .LBB14_1775
.LBB14_1999:
	s_trap 2
	s_or_b64 s[18:19], s[18:19], exec
	s_cbranch_execz .LBB14_1821
	s_branch .LBB14_1822
.LBB14_2000:
	s_andn2_saveexec_b64 s[10:11], s[10:11]
	s_cbranch_execz .LBB14_1786
.LBB14_2001:
	v_add_f32_e32 v5, 0x42800000, v6
	v_and_b32_e32 v5, 0xff, v5
	v_cmp_ne_u32_e32 vcc, 0, v5
	s_andn2_b64 s[4:5], s[4:5], exec
	s_and_b64 s[12:13], vcc, exec
	s_or_b64 s[4:5], s[4:5], s[12:13]
	s_or_b64 exec, exec, s[10:11]
	v_mov_b32_e32 v7, 0
	s_and_saveexec_b64 s[10:11], s[4:5]
	s_cbranch_execnz .LBB14_1787
	s_branch .LBB14_1788
.LBB14_2002:
	s_andn2_saveexec_b64 s[10:11], s[10:11]
	s_cbranch_execz .LBB14_1893
.LBB14_2003:
	v_add_f32_e32 v3, 0x46000000, v4
	v_and_b32_e32 v3, 0xff, v3
	v_cmp_ne_u32_e32 vcc, 0, v3
	s_andn2_b64 s[8:9], s[8:9], exec
	s_and_b64 s[14:15], vcc, exec
	s_or_b64 s[8:9], s[8:9], s[14:15]
	s_or_b64 exec, exec, s[10:11]
	v_mov_b32_e32 v5, 0
	s_and_saveexec_b64 s[10:11], s[8:9]
	s_cbranch_execnz .LBB14_1894
	s_branch .LBB14_1895
.LBB14_2004:
	s_mov_b64 s[2:3], 0
	s_or_b64 s[18:19], s[18:19], exec
	s_trap 2
	s_branch .LBB14_1939
.LBB14_2005:
	s_andn2_saveexec_b64 s[8:9], s[8:9]
	s_cbranch_execz .LBB14_1905
.LBB14_2006:
	v_add_f32_e32 v3, 0x42800000, v4
	v_and_b32_e32 v3, 0xff, v3
	v_cmp_ne_u32_e32 vcc, 0, v3
	s_andn2_b64 s[4:5], s[4:5], exec
	s_and_b64 s[10:11], vcc, exec
	s_or_b64 s[4:5], s[4:5], s[10:11]
	s_or_b64 exec, exec, s[8:9]
	v_mov_b32_e32 v5, 0
	s_and_saveexec_b64 s[8:9], s[4:5]
	s_cbranch_execnz .LBB14_1906
	s_branch .LBB14_1907
	.section	.rodata,"a",@progbits
	.p2align	6, 0x0
	.amdhsa_kernel _ZN2at6native32elementwise_kernel_manual_unrollILi128ELi4EZNS0_15gpu_kernel_implINS0_13BUnaryFunctorIhhhZNS0_12_GLOBAL__N_121threshold_kernel_implIhEEvRNS_18TensorIteratorBaseET_S8_EUlhhE_EEEEvS7_RKS8_EUlibE_EEviT1_
		.amdhsa_group_segment_fixed_size 0
		.amdhsa_private_segment_fixed_size 0
		.amdhsa_kernarg_size 40
		.amdhsa_user_sgpr_count 6
		.amdhsa_user_sgpr_private_segment_buffer 1
		.amdhsa_user_sgpr_dispatch_ptr 0
		.amdhsa_user_sgpr_queue_ptr 0
		.amdhsa_user_sgpr_kernarg_segment_ptr 1
		.amdhsa_user_sgpr_dispatch_id 0
		.amdhsa_user_sgpr_flat_scratch_init 0
		.amdhsa_user_sgpr_private_segment_size 0
		.amdhsa_uses_dynamic_stack 0
		.amdhsa_system_sgpr_private_segment_wavefront_offset 0
		.amdhsa_system_sgpr_workgroup_id_x 1
		.amdhsa_system_sgpr_workgroup_id_y 0
		.amdhsa_system_sgpr_workgroup_id_z 0
		.amdhsa_system_sgpr_workgroup_info 0
		.amdhsa_system_vgpr_workitem_id 0
		.amdhsa_next_free_vgpr 12
		.amdhsa_next_free_sgpr 50
		.amdhsa_reserve_vcc 1
		.amdhsa_reserve_flat_scratch 0
		.amdhsa_float_round_mode_32 0
		.amdhsa_float_round_mode_16_64 0
		.amdhsa_float_denorm_mode_32 3
		.amdhsa_float_denorm_mode_16_64 3
		.amdhsa_dx10_clamp 1
		.amdhsa_ieee_mode 1
		.amdhsa_fp16_overflow 0
		.amdhsa_exception_fp_ieee_invalid_op 0
		.amdhsa_exception_fp_denorm_src 0
		.amdhsa_exception_fp_ieee_div_zero 0
		.amdhsa_exception_fp_ieee_overflow 0
		.amdhsa_exception_fp_ieee_underflow 0
		.amdhsa_exception_fp_ieee_inexact 0
		.amdhsa_exception_int_div_zero 0
	.end_amdhsa_kernel
	.section	.text._ZN2at6native32elementwise_kernel_manual_unrollILi128ELi4EZNS0_15gpu_kernel_implINS0_13BUnaryFunctorIhhhZNS0_12_GLOBAL__N_121threshold_kernel_implIhEEvRNS_18TensorIteratorBaseET_S8_EUlhhE_EEEEvS7_RKS8_EUlibE_EEviT1_,"axG",@progbits,_ZN2at6native32elementwise_kernel_manual_unrollILi128ELi4EZNS0_15gpu_kernel_implINS0_13BUnaryFunctorIhhhZNS0_12_GLOBAL__N_121threshold_kernel_implIhEEvRNS_18TensorIteratorBaseET_S8_EUlhhE_EEEEvS7_RKS8_EUlibE_EEviT1_,comdat
.Lfunc_end14:
	.size	_ZN2at6native32elementwise_kernel_manual_unrollILi128ELi4EZNS0_15gpu_kernel_implINS0_13BUnaryFunctorIhhhZNS0_12_GLOBAL__N_121threshold_kernel_implIhEEvRNS_18TensorIteratorBaseET_S8_EUlhhE_EEEEvS7_RKS8_EUlibE_EEviT1_, .Lfunc_end14-_ZN2at6native32elementwise_kernel_manual_unrollILi128ELi4EZNS0_15gpu_kernel_implINS0_13BUnaryFunctorIhhhZNS0_12_GLOBAL__N_121threshold_kernel_implIhEEvRNS_18TensorIteratorBaseET_S8_EUlhhE_EEEEvS7_RKS8_EUlibE_EEviT1_
                                        ; -- End function
	.set _ZN2at6native32elementwise_kernel_manual_unrollILi128ELi4EZNS0_15gpu_kernel_implINS0_13BUnaryFunctorIhhhZNS0_12_GLOBAL__N_121threshold_kernel_implIhEEvRNS_18TensorIteratorBaseET_S8_EUlhhE_EEEEvS7_RKS8_EUlibE_EEviT1_.num_vgpr, 12
	.set _ZN2at6native32elementwise_kernel_manual_unrollILi128ELi4EZNS0_15gpu_kernel_implINS0_13BUnaryFunctorIhhhZNS0_12_GLOBAL__N_121threshold_kernel_implIhEEvRNS_18TensorIteratorBaseET_S8_EUlhhE_EEEEvS7_RKS8_EUlibE_EEviT1_.num_agpr, 0
	.set _ZN2at6native32elementwise_kernel_manual_unrollILi128ELi4EZNS0_15gpu_kernel_implINS0_13BUnaryFunctorIhhhZNS0_12_GLOBAL__N_121threshold_kernel_implIhEEvRNS_18TensorIteratorBaseET_S8_EUlhhE_EEEEvS7_RKS8_EUlibE_EEviT1_.numbered_sgpr, 50
	.set _ZN2at6native32elementwise_kernel_manual_unrollILi128ELi4EZNS0_15gpu_kernel_implINS0_13BUnaryFunctorIhhhZNS0_12_GLOBAL__N_121threshold_kernel_implIhEEvRNS_18TensorIteratorBaseET_S8_EUlhhE_EEEEvS7_RKS8_EUlibE_EEviT1_.num_named_barrier, 0
	.set _ZN2at6native32elementwise_kernel_manual_unrollILi128ELi4EZNS0_15gpu_kernel_implINS0_13BUnaryFunctorIhhhZNS0_12_GLOBAL__N_121threshold_kernel_implIhEEvRNS_18TensorIteratorBaseET_S8_EUlhhE_EEEEvS7_RKS8_EUlibE_EEviT1_.private_seg_size, 0
	.set _ZN2at6native32elementwise_kernel_manual_unrollILi128ELi4EZNS0_15gpu_kernel_implINS0_13BUnaryFunctorIhhhZNS0_12_GLOBAL__N_121threshold_kernel_implIhEEvRNS_18TensorIteratorBaseET_S8_EUlhhE_EEEEvS7_RKS8_EUlibE_EEviT1_.uses_vcc, 1
	.set _ZN2at6native32elementwise_kernel_manual_unrollILi128ELi4EZNS0_15gpu_kernel_implINS0_13BUnaryFunctorIhhhZNS0_12_GLOBAL__N_121threshold_kernel_implIhEEvRNS_18TensorIteratorBaseET_S8_EUlhhE_EEEEvS7_RKS8_EUlibE_EEviT1_.uses_flat_scratch, 0
	.set _ZN2at6native32elementwise_kernel_manual_unrollILi128ELi4EZNS0_15gpu_kernel_implINS0_13BUnaryFunctorIhhhZNS0_12_GLOBAL__N_121threshold_kernel_implIhEEvRNS_18TensorIteratorBaseET_S8_EUlhhE_EEEEvS7_RKS8_EUlibE_EEviT1_.has_dyn_sized_stack, 0
	.set _ZN2at6native32elementwise_kernel_manual_unrollILi128ELi4EZNS0_15gpu_kernel_implINS0_13BUnaryFunctorIhhhZNS0_12_GLOBAL__N_121threshold_kernel_implIhEEvRNS_18TensorIteratorBaseET_S8_EUlhhE_EEEEvS7_RKS8_EUlibE_EEviT1_.has_recursion, 0
	.set _ZN2at6native32elementwise_kernel_manual_unrollILi128ELi4EZNS0_15gpu_kernel_implINS0_13BUnaryFunctorIhhhZNS0_12_GLOBAL__N_121threshold_kernel_implIhEEvRNS_18TensorIteratorBaseET_S8_EUlhhE_EEEEvS7_RKS8_EUlibE_EEviT1_.has_indirect_call, 0
	.section	.AMDGPU.csdata,"",@progbits
; Kernel info:
; codeLenInByte = 33648
; TotalNumSgprs: 54
; NumVgprs: 12
; ScratchSize: 0
; MemoryBound: 1
; FloatMode: 240
; IeeeMode: 1
; LDSByteSize: 0 bytes/workgroup (compile time only)
; SGPRBlocks: 6
; VGPRBlocks: 2
; NumSGPRsForWavesPerEU: 54
; NumVGPRsForWavesPerEU: 12
; Occupancy: 10
; WaveLimiterHint : 0
; COMPUTE_PGM_RSRC2:SCRATCH_EN: 0
; COMPUTE_PGM_RSRC2:USER_SGPR: 6
; COMPUTE_PGM_RSRC2:TRAP_HANDLER: 0
; COMPUTE_PGM_RSRC2:TGID_X_EN: 1
; COMPUTE_PGM_RSRC2:TGID_Y_EN: 0
; COMPUTE_PGM_RSRC2:TGID_Z_EN: 0
; COMPUTE_PGM_RSRC2:TIDIG_COMP_CNT: 0
	.section	.text._ZN2at6native32elementwise_kernel_manual_unrollILi128ELi4EZNS0_15gpu_kernel_implINS0_13BUnaryFunctorIhhhZNS0_12_GLOBAL__N_121threshold_kernel_implIhEEvRNS_18TensorIteratorBaseET_S8_EUlhhE_EEEEvS7_RKS8_EUlibE0_EEviT1_,"axG",@progbits,_ZN2at6native32elementwise_kernel_manual_unrollILi128ELi4EZNS0_15gpu_kernel_implINS0_13BUnaryFunctorIhhhZNS0_12_GLOBAL__N_121threshold_kernel_implIhEEvRNS_18TensorIteratorBaseET_S8_EUlhhE_EEEEvS7_RKS8_EUlibE0_EEviT1_,comdat
	.globl	_ZN2at6native32elementwise_kernel_manual_unrollILi128ELi4EZNS0_15gpu_kernel_implINS0_13BUnaryFunctorIhhhZNS0_12_GLOBAL__N_121threshold_kernel_implIhEEvRNS_18TensorIteratorBaseET_S8_EUlhhE_EEEEvS7_RKS8_EUlibE0_EEviT1_ ; -- Begin function _ZN2at6native32elementwise_kernel_manual_unrollILi128ELi4EZNS0_15gpu_kernel_implINS0_13BUnaryFunctorIhhhZNS0_12_GLOBAL__N_121threshold_kernel_implIhEEvRNS_18TensorIteratorBaseET_S8_EUlhhE_EEEEvS7_RKS8_EUlibE0_EEviT1_
	.p2align	8
	.type	_ZN2at6native32elementwise_kernel_manual_unrollILi128ELi4EZNS0_15gpu_kernel_implINS0_13BUnaryFunctorIhhhZNS0_12_GLOBAL__N_121threshold_kernel_implIhEEvRNS_18TensorIteratorBaseET_S8_EUlhhE_EEEEvS7_RKS8_EUlibE0_EEviT1_,@function
_ZN2at6native32elementwise_kernel_manual_unrollILi128ELi4EZNS0_15gpu_kernel_implINS0_13BUnaryFunctorIhhhZNS0_12_GLOBAL__N_121threshold_kernel_implIhEEvRNS_18TensorIteratorBaseET_S8_EUlhhE_EEEEvS7_RKS8_EUlibE0_EEviT1_: ; @_ZN2at6native32elementwise_kernel_manual_unrollILi128ELi4EZNS0_15gpu_kernel_implINS0_13BUnaryFunctorIhhhZNS0_12_GLOBAL__N_121threshold_kernel_implIhEEvRNS_18TensorIteratorBaseET_S8_EUlhhE_EEEEvS7_RKS8_EUlibE0_EEviT1_
; %bb.0:
	s_load_dword s74, s[4:5], 0x0
	s_load_dword s33, s[4:5], 0x8
	s_add_u32 s34, s4, 8
	s_addc_u32 s35, s5, 0
	v_lshl_or_b32 v11, s6, 9, v0
	v_or_b32_e32 v13, 0x180, v11
	s_waitcnt lgkmcnt(0)
	s_add_i32 s76, s33, -1
	s_cmp_gt_u32 s76, 1
	v_cmp_le_i32_e32 vcc, s74, v13
	s_cselect_b64 s[40:41], -1, 0
	s_mov_b64 s[6:7], 0
	s_mov_b64 s[28:29], 0
	s_and_saveexec_b64 s[0:1], vcc
	s_xor_b64 s[42:43], exec, s[0:1]
	s_cbranch_execz .LBB15_1070
; %bb.1:
	s_load_dwordx4 s[28:31], s[34:35], 0x4
	s_load_dwordx2 s[48:49], s[34:35], 0x14
	s_load_dwordx2 s[46:47], s[34:35], 0x158
	s_cmp_lg_u32 s33, 0
	s_load_dwordx4 s[36:39], s[34:35], 0xc4
	s_load_dwordx4 s[24:27], s[34:35], 0x148
	s_cselect_b64 s[54:55], -1, 0
	s_add_u32 s52, s34, 0xc4
	s_addc_u32 s53, s35, 0
	s_min_u32 s79, s76, 15
	s_cmp_gt_u32 s33, 1
	s_cselect_b64 s[50:51], -1, 0
	s_waitcnt lgkmcnt(0)
	s_lshr_b32 s77, s46, 8
	s_lshr_b32 s78, s46, 16
	s_lshr_b64 s[44:45], s[46:47], 24
	v_cmp_gt_i32_e32 vcc, s74, v11
	s_mov_b64 s[2:3], -1
	s_mov_b64 s[64:65], 0
	s_mov_b64 s[58:59], 0
	;; [unrolled: 1-line block ×3, first 2 shown]
	s_and_saveexec_b64 s[60:61], vcc
	s_cbranch_execz .LBB15_262
; %bb.2:
	s_andn2_b64 vcc, exec, s[40:41]
	s_cbranch_vccnz .LBB15_7
; %bb.3:
	s_andn2_b64 vcc, exec, s[54:55]
	s_cbranch_vccnz .LBB15_8
; %bb.4:
	s_add_i32 s62, s79, 1
	s_cmp_eq_u32 s76, 2
	s_cbranch_scc1 .LBB15_9
; %bb.5:
	s_and_b32 s45, s62, 28
	v_mov_b32_e32 v2, 0
	s_mov_b32 s63, 0
	s_mov_b64 s[56:57], s[34:35]
	s_mov_b64 s[58:59], s[52:53]
	v_mov_b32_e32 v0, 0
	v_mov_b32_e32 v1, v11
.LBB15_6:                               ; =>This Inner Loop Header: Depth=1
	s_load_dwordx8 s[16:23], s[56:57], 0x4
	s_load_dwordx4 s[0:3], s[56:57], 0x24
	s_load_dwordx8 s[8:15], s[58:59], 0x0
	s_add_u32 s56, s56, 48
	s_addc_u32 s57, s57, 0
	s_waitcnt lgkmcnt(0)
	v_mul_hi_u32 v3, s17, v1
	s_add_i32 s63, s63, 4
	s_add_u32 s58, s58, 32
	s_addc_u32 s59, s59, 0
	v_add_u32_e32 v3, v1, v3
	v_lshrrev_b32_e32 v3, s18, v3
	v_mul_lo_u32 v4, v3, s16
	v_mul_hi_u32 v5, s20, v3
	s_cmp_lg_u32 s45, s63
	v_sub_u32_e32 v1, v1, v4
	v_add_u32_e32 v4, v3, v5
	v_mul_lo_u32 v5, v1, s8
	v_mul_lo_u32 v6, v1, s9
	v_lshrrev_b32_e32 v1, s21, v4
	v_mul_lo_u32 v4, v1, s19
	v_mul_hi_u32 v7, s23, v1
	v_sub_u32_e32 v3, v3, v4
	v_add_u32_e32 v4, v1, v7
	v_lshrrev_b32_e32 v4, s0, v4
	v_mul_hi_u32 v8, s2, v4
	v_mul_lo_u32 v9, v4, s22
	v_mul_lo_u32 v7, v3, s10
	;; [unrolled: 1-line block ×3, first 2 shown]
	v_sub_u32_e32 v9, v1, v9
	v_add_u32_e32 v1, v4, v8
	v_lshrrev_b32_e32 v1, s3, v1
	v_mul_lo_u32 v8, v1, s1
	v_mul_lo_u32 v10, v9, s12
	;; [unrolled: 1-line block ×3, first 2 shown]
	v_add3_u32 v0, v5, v0, v7
	v_sub_u32_e32 v4, v4, v8
	v_mul_lo_u32 v8, v4, s14
	v_mul_lo_u32 v4, v4, s15
	v_add3_u32 v2, v6, v2, v3
	v_add3_u32 v0, v10, v0, v8
	;; [unrolled: 1-line block ×3, first 2 shown]
	s_cbranch_scc1 .LBB15_6
	s_branch .LBB15_10
.LBB15_7:
                                        ; implicit-def: $vgpr0
                                        ; implicit-def: $vgpr2
	s_branch .LBB15_14
.LBB15_8:
	v_mov_b32_e32 v0, 0
	v_mov_b32_e32 v2, 0
	s_branch .LBB15_13
.LBB15_9:
	s_mov_b32 s45, 0
	v_mov_b32_e32 v0, 0
	v_mov_b32_e32 v2, 0
	;; [unrolled: 1-line block ×3, first 2 shown]
.LBB15_10:
	s_and_b32 s8, s62, 3
	s_cmp_eq_u32 s8, 0
	s_cbranch_scc1 .LBB15_13
; %bb.11:
	s_lshl_b32 s0, s45, 3
	s_add_u32 s0, s34, s0
	s_addc_u32 s1, s35, 0
	s_add_u32 s0, s0, 0xc4
	s_addc_u32 s1, s1, 0
	s_mul_i32 s2, s45, 12
	s_add_u32 s2, s34, s2
	s_addc_u32 s3, s35, 0
.LBB15_12:                              ; =>This Inner Loop Header: Depth=1
	s_load_dwordx2 s[10:11], s[2:3], 0x4
	s_load_dword s9, s[2:3], 0xc
	s_load_dwordx2 s[12:13], s[0:1], 0x0
	s_add_u32 s2, s2, 12
	s_addc_u32 s3, s3, 0
	s_waitcnt lgkmcnt(0)
	v_mul_hi_u32 v3, s11, v1
	s_add_u32 s0, s0, 8
	s_addc_u32 s1, s1, 0
	s_add_i32 s8, s8, -1
	v_add_u32_e32 v3, v1, v3
	v_lshrrev_b32_e32 v4, s9, v3
	v_mul_lo_u32 v3, v4, s10
	s_cmp_lg_u32 s8, 0
	v_sub_u32_e32 v3, v1, v3
	v_mad_u64_u32 v[0:1], s[10:11], v3, s12, v[0:1]
	v_mad_u64_u32 v[2:3], s[10:11], v3, s13, v[2:3]
	v_mov_b32_e32 v1, v4
	s_cbranch_scc1 .LBB15_12
.LBB15_13:
	s_cbranch_execnz .LBB15_16
.LBB15_14:
	v_mul_hi_u32 v0, s29, v11
	s_andn2_b64 vcc, exec, s[50:51]
	v_add_u32_e32 v0, v11, v0
	v_lshrrev_b32_e32 v1, s30, v0
	v_mul_lo_u32 v0, v1, s28
	v_sub_u32_e32 v2, v11, v0
	v_mul_lo_u32 v0, v2, s36
	v_mul_lo_u32 v2, v2, s37
	s_cbranch_vccnz .LBB15_16
; %bb.15:
	v_mul_hi_u32 v3, s48, v1
	v_add_u32_e32 v3, v1, v3
	v_lshrrev_b32_e32 v3, s49, v3
	v_mul_lo_u32 v3, v3, s31
	v_sub_u32_e32 v3, v1, v3
	v_mad_u64_u32 v[0:1], s[0:1], v3, s38, v[0:1]
	v_mad_u64_u32 v[2:3], s[0:1], v3, s39, v[2:3]
.LBB15_16:
	v_mov_b32_e32 v3, s27
	s_and_b32 s10, s47, 0xff
	v_add_co_u32_e32 v1, vcc, s26, v2
	s_cmp_lt_i32 s10, 11
	v_addc_co_u32_e32 v2, vcc, 0, v3, vcc
	s_cbranch_scc1 .LBB15_23
; %bb.17:
	s_and_b32 s11, 0xffff, s10
	s_cmp_gt_i32 s11, 25
	s_cbranch_scc0 .LBB15_32
; %bb.18:
	s_cmp_gt_i32 s11, 28
	s_cbranch_scc0 .LBB15_35
; %bb.19:
	;; [unrolled: 3-line block ×4, first 2 shown]
	s_cmp_eq_u32 s11, 46
	s_mov_b64 s[8:9], 0
	s_cbranch_scc0 .LBB15_41
; %bb.22:
	global_load_dword v3, v[1:2], off
	s_mov_b32 s0, 0x2f800000
	s_mov_b32 s1, 0xcf800000
	s_mov_b64 s[2:3], 0
	s_waitcnt vmcnt(0)
	v_lshlrev_b32_e32 v3, 16, v3
	v_trunc_f32_e32 v3, v3
	v_mul_f32_e64 v4, |v3|, s0
	v_floor_f32_e32 v4, v4
	v_fma_f32 v4, v4, s1, |v3|
	v_cvt_u32_f32_e32 v4, v4
	v_ashrrev_i32_e32 v3, 31, v3
	s_mov_b64 s[0:1], -1
	v_xor_b32_e32 v4, v4, v3
	v_sub_u32_e32 v3, v4, v3
	s_branch .LBB15_43
.LBB15_23:
	s_mov_b64 s[2:3], 0
                                        ; implicit-def: $vgpr3
	s_mov_b64 s[0:1], 0
	s_cbranch_execnz .LBB15_212
.LBB15_24:
	s_andn2_b64 vcc, exec, s[0:1]
	s_cbranch_vccnz .LBB15_259
.LBB15_25:
	s_and_b32 s0, s46, 0xff
	v_mov_b32_e32 v1, s77
	v_mov_b32_e32 v2, s78
	s_waitcnt vmcnt(0)
	v_cmp_gt_u16_sdwa vcc, v3, s0 src0_sel:BYTE_0 src1_sel:DWORD
	v_cndmask_b32_e32 v2, v1, v2, vcc
	v_mov_b32_e32 v1, s25
	s_and_b32 s14, s44, 0xff
	v_add_co_u32_e32 v0, vcc, s24, v0
	s_cmp_lt_i32 s14, 11
	v_addc_co_u32_e32 v1, vcc, 0, v1, vcc
	s_cbranch_scc1 .LBB15_33
; %bb.26:
	s_and_b32 s15, 0xffff, s14
	s_cmp_gt_i32 s15, 25
	s_cbranch_scc0 .LBB15_36
; %bb.27:
	s_cmp_gt_i32 s15, 28
	s_cbranch_scc0 .LBB15_38
; %bb.28:
	;; [unrolled: 3-line block ×4, first 2 shown]
	s_mov_b64 s[10:11], 0
	s_mov_b64 s[0:1], -1
	s_cmp_eq_u32 s15, 46
	s_mov_b64 s[8:9], 0
	s_cbranch_scc0 .LBB15_47
; %bb.31:
	v_cvt_f32_ubyte0_e32 v3, v2
	v_bfe_u32 v4, v3, 16, 1
	s_movk_i32 s0, 0x7fff
	v_add3_u32 v3, v3, v4, s0
	v_lshrrev_b32_e32 v3, 16, v3
	global_store_dword v[0:1], v3, off
	s_mov_b64 s[8:9], -1
	s_mov_b64 s[0:1], 0
	s_branch .LBB15_47
.LBB15_32:
	s_mov_b64 s[2:3], 0
	s_mov_b64 s[0:1], 0
                                        ; implicit-def: $vgpr3
	s_cbranch_execnz .LBB15_179
	s_branch .LBB15_211
.LBB15_33:
	s_mov_b64 s[0:1], 0
	s_mov_b64 s[8:9], 0
	s_cbranch_execnz .LBB15_116
.LBB15_34:
	s_andn2_b64 vcc, exec, s[8:9]
	s_cbranch_vccnz .LBB15_260
	s_branch .LBB15_154
.LBB15_35:
	s_mov_b64 s[8:9], -1
	s_mov_b64 s[2:3], 0
	s_mov_b64 s[0:1], 0
                                        ; implicit-def: $vgpr3
	s_branch .LBB15_162
.LBB15_36:
	s_mov_b64 s[10:11], -1
	s_mov_b64 s[0:1], 0
	s_mov_b64 s[8:9], 0
	s_branch .LBB15_74
.LBB15_37:
	s_mov_b64 s[8:9], -1
	s_mov_b64 s[2:3], 0
	s_mov_b64 s[0:1], 0
                                        ; implicit-def: $vgpr3
	s_branch .LBB15_157
.LBB15_38:
	s_mov_b64 s[10:11], -1
	s_mov_b64 s[0:1], 0
	s_mov_b64 s[8:9], 0
	s_branch .LBB15_57
.LBB15_39:
	s_mov_b64 s[8:9], -1
	s_mov_b64 s[2:3], 0
	s_branch .LBB15_42
.LBB15_40:
	s_mov_b64 s[10:11], -1
	s_mov_b64 s[0:1], 0
	s_mov_b64 s[8:9], 0
	s_branch .LBB15_53
.LBB15_41:
	s_mov_b64 s[2:3], -1
.LBB15_42:
	s_mov_b64 s[0:1], 0
                                        ; implicit-def: $vgpr3
.LBB15_43:
	s_and_b64 vcc, exec, s[8:9]
	s_cbranch_vccz .LBB15_156
; %bb.44:
	s_cmp_eq_u32 s11, 44
	s_cbranch_scc0 .LBB15_155
; %bb.45:
	global_load_ubyte v3, v[1:2], off
	s_mov_b32 s0, 0x2f800000
	s_mov_b32 s1, 0xcf800000
	s_mov_b64 s[2:3], 0
	s_waitcnt vmcnt(0)
	v_lshlrev_b32_e32 v4, 23, v3
	v_trunc_f32_e32 v4, v4
	v_mul_f32_e64 v5, |v4|, s0
	v_floor_f32_e32 v5, v5
	v_fma_f32 v5, v5, s1, |v4|
	v_cvt_u32_f32_e32 v5, v5
	v_ashrrev_i32_e32 v4, 31, v4
	v_cmp_ne_u32_e32 vcc, 0, v3
	s_mov_b64 s[0:1], -1
	v_xor_b32_e32 v5, v5, v4
	v_sub_u32_e32 v4, v5, v4
	v_cndmask_b32_e32 v3, 0, v4, vcc
	s_branch .LBB15_156
.LBB15_46:
	s_mov_b64 s[10:11], -1
	s_mov_b64 s[0:1], 0
	s_mov_b64 s[8:9], 0
.LBB15_47:
	s_and_b64 vcc, exec, s[10:11]
	s_cbranch_vccz .LBB15_52
; %bb.48:
	s_cmp_eq_u32 s15, 44
	s_mov_b64 s[0:1], -1
	s_cbranch_scc0 .LBB15_52
; %bb.49:
	v_cvt_f32_ubyte0_e32 v4, v2
	v_lshrrev_b32_e32 v3, 23, v4
	s_movk_i32 s0, 0xff
	v_cmp_ne_u32_e32 vcc, s0, v3
	v_mov_b32_e32 v5, 0xff
	s_and_saveexec_b64 s[8:9], vcc
; %bb.50:
	s_mov_b32 s0, 0x3fffff
	v_and_b32_e32 v5, 0x400000, v4
	v_and_or_b32 v4, v4, s0, v3
	v_cmp_ne_u32_e32 vcc, 0, v5
	v_cmp_ne_u32_e64 s[0:1], 0, v4
	s_and_b64 s[0:1], vcc, s[0:1]
	v_cndmask_b32_e64 v4, 0, 1, s[0:1]
	v_add_u32_e32 v5, v3, v4
; %bb.51:
	s_or_b64 exec, exec, s[8:9]
	s_mov_b64 s[8:9], -1
	s_mov_b64 s[0:1], 0
	global_store_byte v[0:1], v5, off
.LBB15_52:
	s_mov_b64 s[10:11], 0
.LBB15_53:
	s_and_b64 vcc, exec, s[10:11]
	s_cbranch_vccz .LBB15_56
; %bb.54:
	s_cmp_eq_u32 s15, 29
	s_mov_b64 s[0:1], -1
	s_cbranch_scc0 .LBB15_56
; %bb.55:
	v_and_b32_e32 v3, 0xff, v2
	v_mov_b32_e32 v4, 0
	global_store_dwordx2 v[0:1], v[3:4], off
	s_mov_b64 s[8:9], -1
	s_mov_b64 s[0:1], 0
.LBB15_56:
	s_mov_b64 s[10:11], 0
.LBB15_57:
	s_and_b64 vcc, exec, s[10:11]
	s_cbranch_vccz .LBB15_73
; %bb.58:
	s_cmp_lt_i32 s15, 27
	s_mov_b64 s[8:9], -1
	s_cbranch_scc1 .LBB15_64
; %bb.59:
	s_cmp_gt_i32 s15, 27
	s_cbranch_scc0 .LBB15_61
; %bb.60:
	v_and_b32_e32 v3, 0xff, v2
	s_mov_b64 s[8:9], 0
	global_store_dword v[0:1], v3, off
.LBB15_61:
	s_andn2_b64 vcc, exec, s[8:9]
	s_cbranch_vccnz .LBB15_63
; %bb.62:
	v_and_b32_e32 v3, 0xff, v2
	global_store_short v[0:1], v3, off
.LBB15_63:
	s_mov_b64 s[8:9], 0
.LBB15_64:
	s_andn2_b64 vcc, exec, s[8:9]
	s_cbranch_vccnz .LBB15_72
; %bb.65:
	v_cvt_f32_ubyte0_e32 v4, v2
	s_mov_b32 s8, 0x43800000
	v_cmp_gt_u32_e32 vcc, s8, v4
	v_mov_b32_e32 v5, 0x80
	s_and_saveexec_b64 s[8:9], vcc
	s_cbranch_execz .LBB15_71
; %bb.66:
	s_mov_b32 s10, 0x3bffffff
	v_cmp_lt_u32_e32 vcc, s10, v4
	s_mov_b64 s[10:11], 0
                                        ; implicit-def: $vgpr3
	s_and_saveexec_b64 s[12:13], vcc
	s_xor_b64 s[12:13], exec, s[12:13]
	s_cbranch_execz .LBB15_303
; %bb.67:
	v_bfe_u32 v3, v4, 20, 1
	s_mov_b32 s16, 0x487ffff
	v_add3_u32 v3, v4, v3, s16
	s_mov_b64 s[10:11], exec
	v_lshrrev_b32_e32 v3, 20, v3
                                        ; implicit-def: $vgpr4
	s_andn2_saveexec_b64 s[12:13], s[12:13]
	s_cbranch_execnz .LBB15_304
.LBB15_68:
	s_or_b64 exec, exec, s[12:13]
	v_mov_b32_e32 v5, 0
	s_and_saveexec_b64 s[12:13], s[10:11]
.LBB15_69:
	v_mov_b32_e32 v5, v3
.LBB15_70:
	s_or_b64 exec, exec, s[12:13]
.LBB15_71:
	s_or_b64 exec, exec, s[8:9]
	global_store_byte v[0:1], v5, off
.LBB15_72:
	s_mov_b64 s[8:9], -1
.LBB15_73:
	s_mov_b64 s[10:11], 0
.LBB15_74:
	s_and_b64 vcc, exec, s[10:11]
	s_cbranch_vccz .LBB15_115
; %bb.75:
	s_cmp_gt_i32 s15, 22
	s_mov_b64 s[10:11], -1
	s_cbranch_scc0 .LBB15_107
; %bb.76:
	s_cmp_lt_i32 s15, 24
	s_mov_b64 s[8:9], -1
	s_cbranch_scc1 .LBB15_96
; %bb.77:
	s_cmp_gt_i32 s15, 24
	s_cbranch_scc0 .LBB15_85
; %bb.78:
	v_cvt_f32_ubyte0_e32 v4, v2
	s_mov_b32 s8, 0x47800000
	v_cmp_gt_u32_e32 vcc, s8, v4
	v_mov_b32_e32 v5, 0x80
	s_and_saveexec_b64 s[8:9], vcc
	s_cbranch_execz .LBB15_84
; %bb.79:
	s_mov_b32 s10, 0x37ffffff
	v_cmp_lt_u32_e32 vcc, s10, v4
	s_mov_b64 s[10:11], 0
                                        ; implicit-def: $vgpr3
	s_and_saveexec_b64 s[12:13], vcc
	s_xor_b64 s[12:13], exec, s[12:13]
	s_cbranch_execz .LBB15_307
; %bb.80:
	v_bfe_u32 v3, v4, 21, 1
	s_mov_b32 s16, 0x88fffff
	v_add3_u32 v3, v4, v3, s16
	s_mov_b64 s[10:11], exec
	v_lshrrev_b32_e32 v3, 21, v3
                                        ; implicit-def: $vgpr4
	s_andn2_saveexec_b64 s[12:13], s[12:13]
	s_cbranch_execnz .LBB15_308
.LBB15_81:
	s_or_b64 exec, exec, s[12:13]
	v_mov_b32_e32 v5, 0
	s_and_saveexec_b64 s[12:13], s[10:11]
.LBB15_82:
	v_mov_b32_e32 v5, v3
.LBB15_83:
	s_or_b64 exec, exec, s[12:13]
.LBB15_84:
	s_or_b64 exec, exec, s[8:9]
	s_mov_b64 s[8:9], 0
	global_store_byte v[0:1], v5, off
.LBB15_85:
	s_and_b64 vcc, exec, s[8:9]
	s_cbranch_vccz .LBB15_95
; %bb.86:
	v_cvt_f32_ubyte0_e32 v3, v2
	s_mov_b32 s8, 0x43f00000
	v_cmp_gt_u32_e32 vcc, s8, v3
                                        ; implicit-def: $vgpr4
	s_and_saveexec_b64 s[8:9], vcc
	s_xor_b64 s[8:9], exec, s[8:9]
	s_cbranch_execz .LBB15_92
; %bb.87:
	s_mov_b32 s10, 0x3c7fffff
	v_cmp_lt_u32_e32 vcc, s10, v3
                                        ; implicit-def: $vgpr4
	s_and_saveexec_b64 s[10:11], vcc
	s_xor_b64 s[10:11], exec, s[10:11]
; %bb.88:
	v_bfe_u32 v4, v3, 20, 1
	s_mov_b32 s12, 0x407ffff
	v_add3_u32 v3, v3, v4, s12
	v_lshrrev_b32_e32 v4, 20, v3
	v_and_b32_e32 v3, 0xff00000, v3
	s_mov_b32 s12, 0x7f00000
	v_mov_b32_e32 v5, 0x7e
	v_cmp_ne_u32_e32 vcc, s12, v3
	v_cndmask_b32_e32 v4, v5, v4, vcc
                                        ; implicit-def: $vgpr3
; %bb.89:
	s_andn2_saveexec_b64 s[10:11], s[10:11]
; %bb.90:
	v_add_f32_e32 v4, 0x46800000, v3
; %bb.91:
	s_or_b64 exec, exec, s[10:11]
                                        ; implicit-def: $vgpr3
.LBB15_92:
	s_andn2_saveexec_b64 s[8:9], s[8:9]
; %bb.93:
	s_mov_b32 s10, 0x7f800000
	v_mov_b32_e32 v4, 0x7e
	v_mov_b32_e32 v5, 0x7f
	v_cmp_lt_u32_e32 vcc, s10, v3
	v_cndmask_b32_e32 v4, v4, v5, vcc
; %bb.94:
	s_or_b64 exec, exec, s[8:9]
	global_store_byte v[0:1], v4, off
.LBB15_95:
	s_mov_b64 s[8:9], 0
.LBB15_96:
	s_andn2_b64 vcc, exec, s[8:9]
	s_cbranch_vccnz .LBB15_106
; %bb.97:
	v_cvt_f32_ubyte0_e32 v3, v2
	s_mov_b32 s8, 0x47800000
	v_cmp_gt_u32_e32 vcc, s8, v3
                                        ; implicit-def: $vgpr4
	s_and_saveexec_b64 s[8:9], vcc
	s_xor_b64 s[8:9], exec, s[8:9]
	s_cbranch_execz .LBB15_103
; %bb.98:
	s_mov_b32 s10, 0x387fffff
	v_cmp_lt_u32_e32 vcc, s10, v3
                                        ; implicit-def: $vgpr4
	s_and_saveexec_b64 s[10:11], vcc
	s_xor_b64 s[10:11], exec, s[10:11]
; %bb.99:
	v_bfe_u32 v4, v3, 21, 1
	s_mov_b32 s12, 0x80fffff
	v_add3_u32 v3, v3, v4, s12
	v_lshrrev_b32_e32 v4, 21, v3
                                        ; implicit-def: $vgpr3
; %bb.100:
	s_andn2_saveexec_b64 s[10:11], s[10:11]
; %bb.101:
	v_add_f32_e32 v4, 0x43000000, v3
; %bb.102:
	s_or_b64 exec, exec, s[10:11]
                                        ; implicit-def: $vgpr3
.LBB15_103:
	s_andn2_saveexec_b64 s[8:9], s[8:9]
; %bb.104:
	s_mov_b32 s10, 0x7f800000
	v_mov_b32_e32 v4, 0x7c
	v_mov_b32_e32 v5, 0x7f
	v_cmp_lt_u32_e32 vcc, s10, v3
	v_cndmask_b32_e32 v4, v4, v5, vcc
; %bb.105:
	s_or_b64 exec, exec, s[8:9]
	global_store_byte v[0:1], v4, off
.LBB15_106:
	s_mov_b64 s[10:11], 0
	s_mov_b64 s[8:9], -1
.LBB15_107:
	s_andn2_b64 vcc, exec, s[10:11]
	s_cbranch_vccnz .LBB15_115
; %bb.108:
	s_cmp_gt_i32 s15, 14
	s_mov_b64 s[10:11], -1
	s_cbranch_scc0 .LBB15_112
; %bb.109:
	s_cmp_eq_u32 s15, 15
	s_mov_b64 s[0:1], -1
	s_cbranch_scc0 .LBB15_111
; %bb.110:
	v_cvt_f32_ubyte0_e32 v3, v2
	v_bfe_u32 v4, v3, 16, 1
	s_movk_i32 s0, 0x7fff
	v_add3_u32 v3, v3, v4, s0
	global_store_short_d16_hi v[0:1], v3, off
	s_mov_b64 s[8:9], -1
	s_mov_b64 s[0:1], 0
.LBB15_111:
	s_mov_b64 s[10:11], 0
.LBB15_112:
	s_and_b64 vcc, exec, s[10:11]
	s_cbranch_vccz .LBB15_115
; %bb.113:
	s_cmp_eq_u32 s15, 11
	s_mov_b64 s[0:1], -1
	s_cbranch_scc0 .LBB15_115
; %bb.114:
	v_mov_b32_e32 v3, 0
	v_cmp_ne_u16_sdwa s[0:1], v2, v3 src0_sel:BYTE_0 src1_sel:DWORD
	v_cndmask_b32_e64 v3, 0, 1, s[0:1]
	s_mov_b64 s[8:9], -1
	s_mov_b64 s[0:1], 0
	global_store_byte v[0:1], v3, off
.LBB15_115:
	s_branch .LBB15_34
.LBB15_116:
	s_and_b32 s10, 0xffff, s14
	s_cmp_lt_i32 s10, 5
	s_mov_b64 s[8:9], -1
	s_cbranch_scc1 .LBB15_137
; %bb.117:
	s_cmp_lt_i32 s10, 8
	s_cbranch_scc1 .LBB15_127
; %bb.118:
	s_cmp_lt_i32 s10, 9
	s_cbranch_scc1 .LBB15_124
; %bb.119:
	s_cmp_gt_i32 s10, 9
	s_cbranch_scc0 .LBB15_121
; %bb.120:
	s_mov_b32 s8, 0xffff
	v_and_b32_sdwa v3, s8, v2 dst_sel:DWORD dst_unused:UNUSED_PAD src0_sel:DWORD src1_sel:BYTE_0
	v_cvt_f64_u32_e32 v[3:4], v3
	v_mov_b32_e32 v5, 0
	v_mov_b32_e32 v6, v5
	s_mov_b64 s[8:9], 0
	global_store_dwordx4 v[0:1], v[3:6], off
.LBB15_121:
	s_andn2_b64 vcc, exec, s[8:9]
	s_cbranch_vccnz .LBB15_123
; %bb.122:
	v_cvt_f32_ubyte0_e32 v3, v2
	v_mov_b32_e32 v4, 0
	global_store_dwordx2 v[0:1], v[3:4], off
.LBB15_123:
	s_mov_b64 s[8:9], 0
.LBB15_124:
	s_andn2_b64 vcc, exec, s[8:9]
	s_cbranch_vccnz .LBB15_126
; %bb.125:
	v_cvt_f16_u16_sdwa v3, v2 dst_sel:DWORD dst_unused:UNUSED_PAD src0_sel:BYTE_0
	global_store_dword v[0:1], v3, off
.LBB15_126:
	s_mov_b64 s[8:9], 0
.LBB15_127:
	s_andn2_b64 vcc, exec, s[8:9]
	s_cbranch_vccnz .LBB15_136
; %bb.128:
	s_cmp_lt_i32 s10, 6
	s_mov_b64 s[8:9], -1
	s_cbranch_scc1 .LBB15_134
; %bb.129:
	s_cmp_gt_i32 s10, 6
	s_cbranch_scc0 .LBB15_131
; %bb.130:
	s_mov_b32 s8, 0xffff
	v_and_b32_sdwa v3, s8, v2 dst_sel:DWORD dst_unused:UNUSED_PAD src0_sel:DWORD src1_sel:BYTE_0
	v_cvt_f64_u32_e32 v[3:4], v3
	s_mov_b64 s[8:9], 0
	global_store_dwordx2 v[0:1], v[3:4], off
.LBB15_131:
	s_andn2_b64 vcc, exec, s[8:9]
	s_cbranch_vccnz .LBB15_133
; %bb.132:
	v_cvt_f32_ubyte0_e32 v3, v2
	global_store_dword v[0:1], v3, off
.LBB15_133:
	s_mov_b64 s[8:9], 0
.LBB15_134:
	s_andn2_b64 vcc, exec, s[8:9]
	s_cbranch_vccnz .LBB15_136
; %bb.135:
	v_cvt_f16_u16_sdwa v3, v2 dst_sel:DWORD dst_unused:UNUSED_PAD src0_sel:BYTE_0
	global_store_short v[0:1], v3, off
.LBB15_136:
	s_mov_b64 s[8:9], 0
.LBB15_137:
	s_andn2_b64 vcc, exec, s[8:9]
	s_cbranch_vccnz .LBB15_153
; %bb.138:
	s_cmp_lt_i32 s10, 2
	s_mov_b64 s[8:9], -1
	s_cbranch_scc1 .LBB15_148
; %bb.139:
	s_cmp_lt_i32 s10, 3
	s_cbranch_scc1 .LBB15_145
; %bb.140:
	s_cmp_gt_i32 s10, 3
	s_cbranch_scc0 .LBB15_142
; %bb.141:
	v_and_b32_e32 v3, 0xff, v2
	v_mov_b32_e32 v4, 0
	global_store_dwordx2 v[0:1], v[3:4], off
	s_mov_b64 s[8:9], 0
.LBB15_142:
	s_andn2_b64 vcc, exec, s[8:9]
	s_cbranch_vccnz .LBB15_144
; %bb.143:
	v_and_b32_e32 v3, 0xff, v2
	global_store_dword v[0:1], v3, off
.LBB15_144:
	s_mov_b64 s[8:9], 0
.LBB15_145:
	s_andn2_b64 vcc, exec, s[8:9]
	s_cbranch_vccnz .LBB15_147
; %bb.146:
	v_and_b32_e32 v3, 0xff, v2
	global_store_short v[0:1], v3, off
.LBB15_147:
	s_mov_b64 s[8:9], 0
.LBB15_148:
	s_andn2_b64 vcc, exec, s[8:9]
	s_cbranch_vccnz .LBB15_153
; %bb.149:
	s_cmp_gt_i32 s10, 0
	s_mov_b64 s[8:9], -1
	s_cbranch_scc0 .LBB15_151
; %bb.150:
	global_store_byte v[0:1], v2, off
	s_mov_b64 s[8:9], 0
.LBB15_151:
	s_andn2_b64 vcc, exec, s[8:9]
	s_cbranch_vccnz .LBB15_153
; %bb.152:
	global_store_byte v[0:1], v2, off
.LBB15_153:
.LBB15_154:
	v_add_u32_e32 v11, 0x80, v11
	s_mov_b64 s[8:9], -1
	s_branch .LBB15_261
.LBB15_155:
	s_mov_b64 s[2:3], -1
                                        ; implicit-def: $vgpr3
.LBB15_156:
	s_mov_b64 s[8:9], 0
.LBB15_157:
	s_and_b64 vcc, exec, s[8:9]
	s_cbranch_vccz .LBB15_161
; %bb.158:
	s_cmp_eq_u32 s11, 29
	s_cbranch_scc0 .LBB15_160
; %bb.159:
	global_load_dwordx2 v[3:4], v[1:2], off
	s_mov_b64 s[0:1], -1
	s_mov_b64 s[2:3], 0
	s_branch .LBB15_161
.LBB15_160:
	s_mov_b64 s[2:3], -1
                                        ; implicit-def: $vgpr3
.LBB15_161:
	s_mov_b64 s[8:9], 0
.LBB15_162:
	s_and_b64 vcc, exec, s[8:9]
	s_cbranch_vccz .LBB15_178
; %bb.163:
	s_cmp_lt_i32 s11, 27
	s_cbranch_scc1 .LBB15_166
; %bb.164:
	s_cmp_gt_i32 s11, 27
	s_cbranch_scc0 .LBB15_167
; %bb.165:
	global_load_dword v3, v[1:2], off
	s_mov_b64 s[0:1], 0
	s_branch .LBB15_168
.LBB15_166:
	s_mov_b64 s[0:1], -1
                                        ; implicit-def: $vgpr3
	s_branch .LBB15_171
.LBB15_167:
	s_mov_b64 s[0:1], -1
                                        ; implicit-def: $vgpr3
.LBB15_168:
	s_andn2_b64 vcc, exec, s[0:1]
	s_cbranch_vccnz .LBB15_170
; %bb.169:
	global_load_ushort v3, v[1:2], off
.LBB15_170:
	s_mov_b64 s[0:1], 0
.LBB15_171:
	s_andn2_b64 vcc, exec, s[0:1]
	s_cbranch_vccnz .LBB15_177
; %bb.172:
	global_load_ubyte v4, v[1:2], off
	s_movk_i32 s0, 0x7f
	s_mov_b64 s[8:9], 0
	s_waitcnt vmcnt(0)
	v_cmp_lt_i16_e32 vcc, s0, v4
	s_and_saveexec_b64 s[0:1], vcc
	s_xor_b64 s[0:1], exec, s[0:1]
	s_cbranch_execz .LBB15_188
; %bb.173:
	s_movk_i32 s8, 0x80
	v_cmp_ne_u16_e32 vcc, s8, v4
	s_and_b64 s[8:9], vcc, exec
	s_andn2_saveexec_b64 s[0:1], s[0:1]
	s_cbranch_execnz .LBB15_189
.LBB15_174:
	s_or_b64 exec, exec, s[0:1]
	v_mov_b32_e32 v3, 0
	s_and_saveexec_b64 s[0:1], s[8:9]
	s_cbranch_execz .LBB15_176
.LBB15_175:
	v_lshlrev_b32_e32 v3, 24, v4
	v_and_b32_e32 v4, 0xffff, v4
	v_and_b32_e32 v5, 7, v4
	v_ffbh_u32_e32 v7, v5
	v_min_u32_e32 v7, 32, v7
	v_subrev_u32_e32 v8, 28, v7
	v_bfe_u32 v6, v4, 3, 4
	v_lshlrev_b32_e32 v4, v8, v4
	v_sub_u32_e32 v7, 29, v7
	v_and_b32_e32 v4, 7, v4
	v_cmp_eq_u32_e32 vcc, 0, v6
	v_cndmask_b32_e32 v6, v6, v7, vcc
	v_cndmask_b32_e32 v4, v5, v4, vcc
	v_mov_b32_e32 v5, 0x3b800000
	v_lshlrev_b32_e32 v4, 20, v4
	v_and_b32_e32 v3, 0x80000000, v3
	v_lshl_add_u32 v5, v6, 23, v5
	v_or3_b32 v3, v3, v5, v4
	v_trunc_f32_e32 v3, v3
	s_mov_b32 s8, 0x2f800000
	v_mul_f32_e64 v4, |v3|, s8
	v_floor_f32_e32 v4, v4
	s_mov_b32 s8, 0xcf800000
	v_fma_f32 v4, v4, s8, |v3|
	v_cvt_u32_f32_e32 v4, v4
	v_ashrrev_i32_e32 v3, 31, v3
	v_xor_b32_e32 v4, v4, v3
	v_sub_u32_e32 v3, v4, v3
.LBB15_176:
	s_or_b64 exec, exec, s[0:1]
.LBB15_177:
	s_mov_b64 s[0:1], -1
.LBB15_178:
	s_branch .LBB15_211
.LBB15_179:
	s_cmp_gt_i32 s11, 22
	s_cbranch_scc0 .LBB15_187
; %bb.180:
	s_cmp_lt_i32 s11, 24
	s_cbranch_scc1 .LBB15_190
; %bb.181:
	s_cmp_gt_i32 s11, 24
	s_cbranch_scc0 .LBB15_191
; %bb.182:
	global_load_ubyte v4, v[1:2], off
	s_movk_i32 s0, 0x7f
	s_mov_b64 s[8:9], 0
	s_waitcnt vmcnt(0)
	v_cmp_lt_i16_e32 vcc, s0, v4
	s_and_saveexec_b64 s[0:1], vcc
	s_xor_b64 s[0:1], exec, s[0:1]
	s_cbranch_execz .LBB15_203
; %bb.183:
	s_movk_i32 s8, 0x80
	v_cmp_ne_u16_e32 vcc, s8, v4
	s_and_b64 s[8:9], vcc, exec
	s_andn2_saveexec_b64 s[0:1], s[0:1]
	s_cbranch_execnz .LBB15_204
.LBB15_184:
	s_or_b64 exec, exec, s[0:1]
	v_mov_b32_e32 v3, 0
	s_and_saveexec_b64 s[0:1], s[8:9]
	s_cbranch_execz .LBB15_186
.LBB15_185:
	v_lshlrev_b32_e32 v3, 24, v4
	v_and_b32_e32 v4, 0xffff, v4
	v_and_b32_e32 v5, 3, v4
	v_ffbh_u32_e32 v7, v5
	v_min_u32_e32 v7, 32, v7
	v_subrev_u32_e32 v8, 29, v7
	v_bfe_u32 v6, v4, 2, 5
	v_lshlrev_b32_e32 v4, v8, v4
	v_sub_u32_e32 v7, 30, v7
	v_and_b32_e32 v4, 3, v4
	v_cmp_eq_u32_e32 vcc, 0, v6
	v_cndmask_b32_e32 v6, v6, v7, vcc
	v_cndmask_b32_e32 v4, v5, v4, vcc
	v_mov_b32_e32 v5, 0x37800000
	v_lshlrev_b32_e32 v4, 21, v4
	v_and_b32_e32 v3, 0x80000000, v3
	v_lshl_add_u32 v5, v6, 23, v5
	v_or3_b32 v3, v3, v5, v4
	v_trunc_f32_e32 v3, v3
	s_mov_b32 s8, 0x2f800000
	v_mul_f32_e64 v4, |v3|, s8
	v_floor_f32_e32 v4, v4
	s_mov_b32 s8, 0xcf800000
	v_fma_f32 v4, v4, s8, |v3|
	v_cvt_u32_f32_e32 v4, v4
	v_ashrrev_i32_e32 v3, 31, v3
	v_xor_b32_e32 v4, v4, v3
	v_sub_u32_e32 v3, v4, v3
.LBB15_186:
	s_or_b64 exec, exec, s[0:1]
	s_mov_b64 s[0:1], 0
	s_branch .LBB15_192
.LBB15_187:
	s_mov_b64 s[8:9], -1
                                        ; implicit-def: $vgpr3
	s_branch .LBB15_198
.LBB15_188:
	s_andn2_saveexec_b64 s[0:1], s[0:1]
	s_cbranch_execz .LBB15_174
.LBB15_189:
	v_cmp_ne_u16_e32 vcc, 0, v4
	s_andn2_b64 s[8:9], s[8:9], exec
	s_and_b64 s[12:13], vcc, exec
	s_or_b64 s[8:9], s[8:9], s[12:13]
	s_or_b64 exec, exec, s[0:1]
	v_mov_b32_e32 v3, 0
	s_and_saveexec_b64 s[0:1], s[8:9]
	s_cbranch_execnz .LBB15_175
	s_branch .LBB15_176
.LBB15_190:
	s_mov_b64 s[0:1], -1
                                        ; implicit-def: $vgpr3
	s_branch .LBB15_195
.LBB15_191:
	s_mov_b64 s[0:1], -1
                                        ; implicit-def: $vgpr3
.LBB15_192:
	s_and_b64 vcc, exec, s[0:1]
	s_cbranch_vccz .LBB15_194
; %bb.193:
	global_load_ubyte v3, v[1:2], off
	s_mov_b32 s0, 0x7f800000
	s_brev_b32 s1, 1
	s_mov_b32 s8, 0x2f800000
	s_waitcnt vmcnt(0)
	v_lshlrev_b32_e32 v3, 24, v3
	v_and_b32_e32 v4, 0x7f000000, v3
	v_ffbh_u32_e32 v5, v4
	v_min_u32_e32 v5, 32, v5
	v_sub_u32_e64 v5, v5, 4 clamp
	v_lshlrev_b32_e32 v7, v5, v4
	v_lshlrev_b32_e32 v5, 23, v5
	v_lshrrev_b32_e32 v7, 4, v7
	v_add_u32_e32 v6, 0x1000000, v4
	v_sub_u32_e32 v5, v7, v5
	v_ashrrev_i32_e32 v6, 8, v6
	v_add_u32_e32 v5, 0x3c000000, v5
	v_and_or_b32 v5, v6, s0, v5
	v_cmp_ne_u32_e32 vcc, 0, v4
	v_cndmask_b32_e32 v4, 0, v5, vcc
	v_and_or_b32 v3, v3, s1, v4
	v_trunc_f32_e32 v3, v3
	v_mul_f32_e64 v4, |v3|, s8
	v_floor_f32_e32 v4, v4
	s_mov_b32 s0, 0xcf800000
	v_fma_f32 v4, v4, s0, |v3|
	v_cvt_u32_f32_e32 v4, v4
	v_ashrrev_i32_e32 v3, 31, v3
	v_xor_b32_e32 v4, v4, v3
	v_sub_u32_e32 v3, v4, v3
.LBB15_194:
	s_mov_b64 s[0:1], 0
.LBB15_195:
	s_andn2_b64 vcc, exec, s[0:1]
	s_cbranch_vccnz .LBB15_197
; %bb.196:
	global_load_ubyte v3, v[1:2], off
	s_movk_i32 s0, 0x7f00
	s_brev_b32 s1, 16
	s_brev_b32 s8, 1
	s_mov_b32 s9, 0x2f800000
	s_waitcnt vmcnt(0)
	v_lshlrev_b16_e32 v4, 8, v3
	v_lshlrev_b32_e32 v3, 25, v3
	v_lshrrev_b32_e32 v5, 4, v3
	v_and_or_b32 v6, v4, s0, 0.5
	v_or_b32_e32 v5, 0x70000000, v5
	v_add_f32_e32 v6, -0.5, v6
	v_mul_f32_e32 v5, 0x7800000, v5
	v_cmp_gt_u32_e32 vcc, s1, v3
	v_bfe_i32 v4, v4, 0, 16
	v_cndmask_b32_e32 v3, v5, v6, vcc
	v_and_or_b32 v3, v4, s8, v3
	v_trunc_f32_e32 v3, v3
	v_mul_f32_e64 v4, |v3|, s9
	v_floor_f32_e32 v4, v4
	s_mov_b32 s0, 0xcf800000
	v_fma_f32 v4, v4, s0, |v3|
	v_cvt_u32_f32_e32 v4, v4
	v_ashrrev_i32_e32 v3, 31, v3
	v_xor_b32_e32 v4, v4, v3
	v_sub_u32_e32 v3, v4, v3
.LBB15_197:
	s_mov_b64 s[8:9], 0
	s_mov_b64 s[0:1], -1
.LBB15_198:
	s_andn2_b64 vcc, exec, s[8:9]
	s_cbranch_vccnz .LBB15_211
; %bb.199:
	s_cmp_gt_i32 s11, 14
	s_cbranch_scc0 .LBB15_202
; %bb.200:
	s_cmp_eq_u32 s11, 15
	s_cbranch_scc0 .LBB15_205
; %bb.201:
	global_load_ushort v3, v[1:2], off
	s_mov_b32 s0, 0x2f800000
	s_mov_b32 s1, 0xcf800000
	s_mov_b64 s[2:3], 0
	s_waitcnt vmcnt(0)
	v_lshlrev_b32_e32 v3, 16, v3
	v_trunc_f32_e32 v3, v3
	v_mul_f32_e64 v4, |v3|, s0
	v_floor_f32_e32 v4, v4
	v_fma_f32 v4, v4, s1, |v3|
	v_cvt_u32_f32_e32 v4, v4
	v_ashrrev_i32_e32 v3, 31, v3
	s_mov_b64 s[0:1], -1
	v_xor_b32_e32 v4, v4, v3
	v_sub_u32_e32 v3, v4, v3
	s_branch .LBB15_206
.LBB15_202:
	s_mov_b64 s[8:9], -1
                                        ; implicit-def: $vgpr3
	s_branch .LBB15_207
.LBB15_203:
	s_andn2_saveexec_b64 s[0:1], s[0:1]
	s_cbranch_execz .LBB15_184
.LBB15_204:
	v_cmp_ne_u16_e32 vcc, 0, v4
	s_andn2_b64 s[8:9], s[8:9], exec
	s_and_b64 s[12:13], vcc, exec
	s_or_b64 s[8:9], s[8:9], s[12:13]
	s_or_b64 exec, exec, s[0:1]
	v_mov_b32_e32 v3, 0
	s_and_saveexec_b64 s[0:1], s[8:9]
	s_cbranch_execnz .LBB15_185
	s_branch .LBB15_186
.LBB15_205:
	s_mov_b64 s[2:3], -1
                                        ; implicit-def: $vgpr3
.LBB15_206:
	s_mov_b64 s[8:9], 0
.LBB15_207:
	s_and_b64 vcc, exec, s[8:9]
	s_cbranch_vccz .LBB15_211
; %bb.208:
	s_cmp_eq_u32 s11, 11
	s_cbranch_scc0 .LBB15_210
; %bb.209:
	global_load_ubyte v3, v[1:2], off
	s_mov_b64 s[0:1], -1
	s_mov_b64 s[2:3], 0
	s_waitcnt vmcnt(0)
	v_cmp_ne_u16_e32 vcc, 0, v3
	v_cndmask_b32_e64 v3, 0, 1, vcc
	s_branch .LBB15_211
.LBB15_210:
	s_mov_b64 s[2:3], -1
                                        ; implicit-def: $vgpr3
.LBB15_211:
	s_branch .LBB15_24
.LBB15_212:
	s_and_b32 s8, 0xffff, s10
	s_cmp_lt_i32 s8, 5
	s_cbranch_scc1 .LBB15_217
; %bb.213:
	s_cmp_lt_i32 s8, 8
	s_cbranch_scc1 .LBB15_218
; %bb.214:
	;; [unrolled: 3-line block ×3, first 2 shown]
	s_cmp_gt_i32 s8, 9
	s_cbranch_scc0 .LBB15_220
; %bb.216:
	global_load_dwordx2 v[3:4], v[1:2], off
	s_movk_i32 s0, 0xffe0
	s_waitcnt vmcnt(0)
	v_trunc_f64_e32 v[3:4], v[3:4]
	v_ldexp_f64 v[5:6], v[3:4], s0
	s_mov_b32 s0, 0
	s_mov_b32 s1, 0xc1f00000
	v_floor_f64_e32 v[5:6], v[5:6]
	v_fma_f64 v[3:4], v[5:6], s[0:1], v[3:4]
	s_mov_b64 s[0:1], 0
	v_cvt_u32_f64_e32 v3, v[3:4]
	s_branch .LBB15_221
.LBB15_217:
                                        ; implicit-def: $vgpr3
	s_branch .LBB15_239
.LBB15_218:
	s_mov_b64 s[0:1], -1
                                        ; implicit-def: $vgpr3
	s_branch .LBB15_227
.LBB15_219:
	s_mov_b64 s[0:1], -1
                                        ; implicit-def: $vgpr3
	s_branch .LBB15_224
.LBB15_220:
	s_mov_b64 s[0:1], -1
                                        ; implicit-def: $vgpr3
.LBB15_221:
	s_andn2_b64 vcc, exec, s[0:1]
	s_cbranch_vccnz .LBB15_223
; %bb.222:
	global_load_dword v3, v[1:2], off
	s_mov_b32 s0, 0x2f800000
	s_waitcnt vmcnt(0)
	v_trunc_f32_e32 v3, v3
	v_mul_f32_e64 v4, |v3|, s0
	v_floor_f32_e32 v4, v4
	s_mov_b32 s0, 0xcf800000
	v_fma_f32 v4, v4, s0, |v3|
	v_cvt_u32_f32_e32 v4, v4
	v_ashrrev_i32_e32 v3, 31, v3
	v_xor_b32_e32 v4, v4, v3
	v_sub_u32_e32 v3, v4, v3
.LBB15_223:
	s_mov_b64 s[0:1], 0
.LBB15_224:
	s_andn2_b64 vcc, exec, s[0:1]
	s_cbranch_vccnz .LBB15_226
; %bb.225:
	global_load_dword v3, v[1:2], off
	s_waitcnt vmcnt(0)
	v_cvt_f32_f16_e32 v3, v3
	v_cvt_i32_f32_e32 v3, v3
.LBB15_226:
	s_mov_b64 s[0:1], 0
.LBB15_227:
	s_andn2_b64 vcc, exec, s[0:1]
	s_cbranch_vccnz .LBB15_238
; %bb.228:
	s_cmp_lt_i32 s8, 6
	s_cbranch_scc1 .LBB15_231
; %bb.229:
	s_cmp_gt_i32 s8, 6
	s_cbranch_scc0 .LBB15_232
; %bb.230:
	global_load_dwordx2 v[3:4], v[1:2], off
	s_movk_i32 s0, 0xffe0
	s_waitcnt vmcnt(0)
	v_trunc_f64_e32 v[3:4], v[3:4]
	v_ldexp_f64 v[5:6], v[3:4], s0
	s_mov_b32 s0, 0
	s_mov_b32 s1, 0xc1f00000
	v_floor_f64_e32 v[5:6], v[5:6]
	v_fma_f64 v[3:4], v[5:6], s[0:1], v[3:4]
	s_mov_b64 s[0:1], 0
	v_cvt_u32_f64_e32 v3, v[3:4]
	s_branch .LBB15_233
.LBB15_231:
	s_mov_b64 s[0:1], -1
                                        ; implicit-def: $vgpr3
	s_branch .LBB15_236
.LBB15_232:
	s_mov_b64 s[0:1], -1
                                        ; implicit-def: $vgpr3
.LBB15_233:
	s_andn2_b64 vcc, exec, s[0:1]
	s_cbranch_vccnz .LBB15_235
; %bb.234:
	global_load_dword v3, v[1:2], off
	s_mov_b32 s0, 0x2f800000
	s_waitcnt vmcnt(0)
	v_trunc_f32_e32 v3, v3
	v_mul_f32_e64 v4, |v3|, s0
	v_floor_f32_e32 v4, v4
	s_mov_b32 s0, 0xcf800000
	v_fma_f32 v4, v4, s0, |v3|
	v_cvt_u32_f32_e32 v4, v4
	v_ashrrev_i32_e32 v3, 31, v3
	v_xor_b32_e32 v4, v4, v3
	v_sub_u32_e32 v3, v4, v3
.LBB15_235:
	s_mov_b64 s[0:1], 0
.LBB15_236:
	s_andn2_b64 vcc, exec, s[0:1]
	s_cbranch_vccnz .LBB15_238
; %bb.237:
	global_load_ushort v3, v[1:2], off
	s_waitcnt vmcnt(0)
	v_cvt_f32_f16_e32 v3, v3
	v_cvt_i32_f32_e32 v3, v3
.LBB15_238:
	s_cbranch_execnz .LBB15_258
.LBB15_239:
	s_cmp_lt_i32 s8, 2
	s_cbranch_scc1 .LBB15_243
; %bb.240:
	s_cmp_lt_i32 s8, 3
	s_cbranch_scc1 .LBB15_244
; %bb.241:
	s_cmp_gt_i32 s8, 3
	s_cbranch_scc0 .LBB15_245
; %bb.242:
	global_load_dwordx2 v[3:4], v[1:2], off
	s_mov_b64 s[0:1], 0
	s_branch .LBB15_246
.LBB15_243:
	s_mov_b64 s[0:1], -1
                                        ; implicit-def: $vgpr3
	s_branch .LBB15_252
.LBB15_244:
	s_mov_b64 s[0:1], -1
                                        ; implicit-def: $vgpr3
	s_branch .LBB15_249
.LBB15_245:
	s_mov_b64 s[0:1], -1
                                        ; implicit-def: $vgpr3
.LBB15_246:
	s_andn2_b64 vcc, exec, s[0:1]
	s_cbranch_vccnz .LBB15_248
; %bb.247:
	global_load_dword v3, v[1:2], off
.LBB15_248:
	s_mov_b64 s[0:1], 0
.LBB15_249:
	s_andn2_b64 vcc, exec, s[0:1]
	s_cbranch_vccnz .LBB15_251
; %bb.250:
	global_load_ushort v3, v[1:2], off
.LBB15_251:
	s_mov_b64 s[0:1], 0
.LBB15_252:
	s_andn2_b64 vcc, exec, s[0:1]
	s_cbranch_vccnz .LBB15_258
; %bb.253:
	s_cmp_gt_i32 s8, 0
	s_cbranch_scc0 .LBB15_255
; %bb.254:
	global_load_ubyte v3, v[1:2], off
	s_mov_b64 s[0:1], 0
	s_branch .LBB15_256
.LBB15_255:
	s_mov_b64 s[0:1], -1
                                        ; implicit-def: $vgpr3
.LBB15_256:
	s_andn2_b64 vcc, exec, s[0:1]
	s_cbranch_vccnz .LBB15_258
; %bb.257:
	global_load_ubyte v3, v[1:2], off
.LBB15_258:
	s_branch .LBB15_25
.LBB15_259:
	s_mov_b64 s[0:1], 0
.LBB15_260:
	s_mov_b64 s[8:9], 0
                                        ; implicit-def: $vgpr11
.LBB15_261:
	s_and_b64 s[56:57], s[0:1], exec
	s_and_b64 s[58:59], s[2:3], exec
	s_orn2_b64 s[2:3], s[8:9], exec
.LBB15_262:
	s_or_b64 exec, exec, s[60:61]
	s_mov_b64 s[10:11], 0
	s_mov_b64 s[0:1], 0
                                        ; implicit-def: $sgpr14
                                        ; implicit-def: $vgpr1_vgpr2
                                        ; implicit-def: $vgpr0
                                        ; implicit-def: $vgpr3
	s_and_saveexec_b64 s[60:61], s[2:3]
	s_cbranch_execz .LBB15_269
; %bb.263:
	v_cmp_gt_i32_e32 vcc, s74, v11
	s_mov_b64 s[0:1], -1
	s_mov_b64 s[62:63], s[58:59]
	s_mov_b64 s[64:65], s[56:57]
	s_and_saveexec_b64 s[66:67], vcc
	s_cbranch_execz .LBB15_534
; %bb.264:
	s_andn2_b64 vcc, exec, s[40:41]
	s_cbranch_vccnz .LBB15_272
; %bb.265:
	s_andn2_b64 vcc, exec, s[54:55]
	s_cbranch_vccnz .LBB15_273
; %bb.266:
	s_add_i32 s68, s79, 1
	s_cmp_eq_u32 s76, 2
	s_cbranch_scc1 .LBB15_274
; %bb.267:
	s_and_b32 s45, s68, 28
	v_mov_b32_e32 v2, 0
	s_mov_b32 s69, 0
	s_mov_b64 s[62:63], s[34:35]
	s_mov_b64 s[64:65], s[52:53]
	v_mov_b32_e32 v0, 0
	v_mov_b32_e32 v1, v11
.LBB15_268:                             ; =>This Inner Loop Header: Depth=1
	s_load_dwordx8 s[16:23], s[62:63], 0x4
	s_load_dwordx4 s[0:3], s[62:63], 0x24
	s_load_dwordx8 s[8:15], s[64:65], 0x0
	s_add_u32 s62, s62, 48
	s_addc_u32 s63, s63, 0
	s_waitcnt vmcnt(0) lgkmcnt(0)
	v_mul_hi_u32 v3, s17, v1
	s_add_i32 s69, s69, 4
	s_add_u32 s64, s64, 32
	s_addc_u32 s65, s65, 0
	v_add_u32_e32 v3, v1, v3
	v_lshrrev_b32_e32 v3, s18, v3
	v_mul_lo_u32 v4, v3, s16
	v_mul_hi_u32 v5, s20, v3
	s_cmp_eq_u32 s45, s69
	v_sub_u32_e32 v1, v1, v4
	v_add_u32_e32 v4, v3, v5
	v_mul_lo_u32 v5, v1, s8
	v_mul_lo_u32 v6, v1, s9
	v_lshrrev_b32_e32 v1, s21, v4
	v_mul_lo_u32 v4, v1, s19
	v_mul_hi_u32 v7, s23, v1
	v_sub_u32_e32 v3, v3, v4
	v_add_u32_e32 v4, v1, v7
	v_lshrrev_b32_e32 v4, s0, v4
	v_mul_hi_u32 v8, s2, v4
	v_mul_lo_u32 v9, v4, s22
	v_mul_lo_u32 v7, v3, s10
	;; [unrolled: 1-line block ×3, first 2 shown]
	v_sub_u32_e32 v9, v1, v9
	v_add_u32_e32 v1, v4, v8
	v_lshrrev_b32_e32 v1, s3, v1
	v_mul_lo_u32 v8, v1, s1
	v_mul_lo_u32 v10, v9, s12
	;; [unrolled: 1-line block ×3, first 2 shown]
	v_add3_u32 v0, v5, v0, v7
	v_sub_u32_e32 v4, v4, v8
	v_mul_lo_u32 v8, v4, s14
	v_mul_lo_u32 v4, v4, s15
	v_add3_u32 v2, v6, v2, v3
	v_add3_u32 v0, v10, v0, v8
	;; [unrolled: 1-line block ×3, first 2 shown]
	s_cbranch_scc0 .LBB15_268
	s_branch .LBB15_275
.LBB15_269:
	s_or_b64 exec, exec, s[60:61]
	s_mov_b64 s[2:3], 0
	s_and_saveexec_b64 s[8:9], s[58:59]
	s_cbranch_execnz .LBB15_902
.LBB15_270:
	s_or_b64 exec, exec, s[8:9]
	s_and_saveexec_b64 s[8:9], s[64:65]
	s_xor_b64 s[8:9], exec, s[8:9]
	s_cbranch_execz .LBB15_903
.LBB15_271:
	global_load_ubyte v3, v[1:2], off
	s_or_b64 s[0:1], s[0:1], exec
	s_waitcnt vmcnt(0)
	v_cmp_ne_u16_e32 vcc, 0, v3
	v_cndmask_b32_e64 v3, 0, 1, vcc
	s_or_b64 exec, exec, s[8:9]
	s_and_saveexec_b64 s[8:9], s[10:11]
	s_cbranch_execz .LBB15_949
	s_branch .LBB15_904
.LBB15_272:
                                        ; implicit-def: $vgpr0
                                        ; implicit-def: $vgpr2
	s_andn2_b64 vcc, exec, s[0:1]
	s_cbranch_vccz .LBB15_279
	s_branch .LBB15_281
.LBB15_273:
	v_mov_b32_e32 v0, 0
	v_mov_b32_e32 v2, 0
	s_branch .LBB15_278
.LBB15_274:
	s_mov_b32 s45, 0
	v_mov_b32_e32 v0, 0
	v_mov_b32_e32 v2, 0
	;; [unrolled: 1-line block ×3, first 2 shown]
.LBB15_275:
	s_and_b32 s8, s68, 3
	s_cmp_eq_u32 s8, 0
	s_cbranch_scc1 .LBB15_278
; %bb.276:
	s_lshl_b32 s0, s45, 3
	s_add_u32 s0, s34, s0
	s_addc_u32 s1, s35, 0
	s_add_u32 s0, s0, 0xc4
	s_addc_u32 s1, s1, 0
	s_mul_i32 s2, s45, 12
	s_add_u32 s2, s34, s2
	s_addc_u32 s3, s35, 0
.LBB15_277:                             ; =>This Inner Loop Header: Depth=1
	s_load_dwordx2 s[10:11], s[2:3], 0x4
	s_load_dword s9, s[2:3], 0xc
	s_load_dwordx2 s[12:13], s[0:1], 0x0
	s_add_u32 s2, s2, 12
	s_addc_u32 s3, s3, 0
	s_waitcnt vmcnt(0) lgkmcnt(0)
	v_mul_hi_u32 v3, s11, v1
	s_add_u32 s0, s0, 8
	s_addc_u32 s1, s1, 0
	s_add_i32 s8, s8, -1
	v_add_u32_e32 v3, v1, v3
	v_lshrrev_b32_e32 v4, s9, v3
	v_mul_lo_u32 v3, v4, s10
	s_cmp_lg_u32 s8, 0
	v_sub_u32_e32 v3, v1, v3
	v_mad_u64_u32 v[0:1], s[10:11], v3, s12, v[0:1]
	v_mad_u64_u32 v[2:3], s[10:11], v3, s13, v[2:3]
	v_mov_b32_e32 v1, v4
	s_cbranch_scc1 .LBB15_277
.LBB15_278:
	s_cbranch_execnz .LBB15_281
.LBB15_279:
	v_mul_hi_u32 v0, s29, v11
	s_andn2_b64 vcc, exec, s[50:51]
	v_add_u32_e32 v0, v11, v0
	v_lshrrev_b32_e32 v1, s30, v0
	v_mul_lo_u32 v0, v1, s28
	v_sub_u32_e32 v2, v11, v0
	v_mul_lo_u32 v0, v2, s36
	v_mul_lo_u32 v2, v2, s37
	s_cbranch_vccnz .LBB15_281
; %bb.280:
	s_waitcnt vmcnt(0)
	v_mul_hi_u32 v3, s48, v1
	v_add_u32_e32 v3, v1, v3
	v_lshrrev_b32_e32 v3, s49, v3
	v_mul_lo_u32 v3, v3, s31
	v_sub_u32_e32 v3, v1, v3
	v_mad_u64_u32 v[0:1], s[0:1], v3, s38, v[0:1]
	v_mad_u64_u32 v[2:3], s[0:1], v3, s39, v[2:3]
.LBB15_281:
	s_waitcnt vmcnt(0)
	v_mov_b32_e32 v3, s27
	s_and_b32 s10, s47, 0xff
	v_add_co_u32_e32 v1, vcc, s26, v2
	s_cmp_lt_i32 s10, 11
	v_addc_co_u32_e32 v2, vcc, 0, v3, vcc
	s_cbranch_scc1 .LBB15_288
; %bb.282:
	s_and_b32 s11, 0xffff, s10
	s_cmp_gt_i32 s11, 25
	s_cbranch_scc0 .LBB15_297
; %bb.283:
	s_cmp_gt_i32 s11, 28
	s_cbranch_scc0 .LBB15_299
; %bb.284:
	;; [unrolled: 3-line block ×4, first 2 shown]
	s_cmp_eq_u32 s11, 46
	s_mov_b64 s[8:9], 0
	s_cbranch_scc0 .LBB15_309
; %bb.287:
	global_load_dword v3, v[1:2], off
	s_mov_b32 s0, 0x2f800000
	s_mov_b32 s1, 0xcf800000
	s_mov_b64 s[2:3], 0
	s_waitcnt vmcnt(0)
	v_lshlrev_b32_e32 v3, 16, v3
	v_trunc_f32_e32 v3, v3
	v_mul_f32_e64 v4, |v3|, s0
	v_floor_f32_e32 v4, v4
	v_fma_f32 v4, v4, s1, |v3|
	v_cvt_u32_f32_e32 v4, v4
	v_ashrrev_i32_e32 v3, 31, v3
	s_mov_b64 s[0:1], -1
	v_xor_b32_e32 v4, v4, v3
	v_sub_u32_e32 v3, v4, v3
	s_branch .LBB15_310
.LBB15_288:
	s_mov_b64 s[0:1], 0
                                        ; implicit-def: $vgpr3
	s_mov_b64 s[2:3], s[58:59]
	s_cbranch_execnz .LBB15_483
.LBB15_289:
	s_andn2_b64 vcc, exec, s[0:1]
	s_cbranch_vccnz .LBB15_531
.LBB15_290:
	s_and_b32 s0, s46, 0xff
	v_mov_b32_e32 v1, s77
	v_mov_b32_e32 v2, s78
	s_waitcnt vmcnt(0)
	v_cmp_gt_u16_sdwa vcc, v3, s0 src0_sel:BYTE_0 src1_sel:DWORD
	v_cndmask_b32_e32 v2, v1, v2, vcc
	v_mov_b32_e32 v1, s25
	s_and_b32 s14, s44, 0xff
	v_add_co_u32_e32 v0, vcc, s24, v0
	s_cmp_lt_i32 s14, 11
	v_addc_co_u32_e32 v1, vcc, 0, v1, vcc
	s_cbranch_scc1 .LBB15_298
; %bb.291:
	s_and_b32 s15, 0xffff, s14
	s_cmp_gt_i32 s15, 25
	s_cbranch_scc0 .LBB15_300
; %bb.292:
	s_cmp_gt_i32 s15, 28
	s_cbranch_scc0 .LBB15_302
; %bb.293:
	;; [unrolled: 3-line block ×4, first 2 shown]
	s_mov_b64 s[10:11], 0
	s_mov_b64 s[0:1], -1
	s_cmp_eq_u32 s15, 46
	s_mov_b64 s[8:9], 0
	s_cbranch_scc0 .LBB15_314
; %bb.296:
	v_cvt_f32_ubyte0_e32 v3, v2
	v_bfe_u32 v4, v3, 16, 1
	s_movk_i32 s0, 0x7fff
	v_add3_u32 v3, v3, v4, s0
	v_lshrrev_b32_e32 v3, 16, v3
	global_store_dword v[0:1], v3, off
	s_mov_b64 s[8:9], -1
	s_mov_b64 s[0:1], 0
	s_branch .LBB15_314
.LBB15_297:
	s_mov_b64 s[8:9], -1
	s_mov_b64 s[0:1], 0
	s_mov_b64 s[2:3], s[58:59]
                                        ; implicit-def: $vgpr3
	s_branch .LBB15_449
.LBB15_298:
	s_mov_b64 s[10:11], -1
	s_mov_b64 s[8:9], 0
	s_mov_b64 s[0:1], s[56:57]
	s_branch .LBB15_383
.LBB15_299:
	s_mov_b64 s[8:9], -1
	s_mov_b64 s[0:1], 0
	s_mov_b64 s[2:3], s[58:59]
                                        ; implicit-def: $vgpr3
	s_branch .LBB15_432
.LBB15_300:
	s_mov_b64 s[10:11], -1
	s_mov_b64 s[8:9], 0
	s_mov_b64 s[0:1], s[56:57]
	s_branch .LBB15_341
.LBB15_301:
	s_mov_b64 s[8:9], -1
	s_mov_b64 s[0:1], 0
	s_mov_b64 s[2:3], s[58:59]
                                        ; implicit-def: $vgpr3
	s_branch .LBB15_427
.LBB15_302:
	s_mov_b64 s[10:11], -1
	s_mov_b64 s[8:9], 0
	s_mov_b64 s[0:1], s[56:57]
	s_branch .LBB15_324
.LBB15_303:
	s_andn2_saveexec_b64 s[12:13], s[12:13]
	s_cbranch_execz .LBB15_68
.LBB15_304:
	v_add_f32_e32 v3, 0x46000000, v4
	v_and_b32_e32 v3, 0xff, v3
	v_cmp_ne_u32_e32 vcc, 0, v3
	s_andn2_b64 s[10:11], s[10:11], exec
	s_and_b64 s[16:17], vcc, exec
	s_or_b64 s[10:11], s[10:11], s[16:17]
	s_or_b64 exec, exec, s[12:13]
	v_mov_b32_e32 v5, 0
	s_and_saveexec_b64 s[12:13], s[10:11]
	s_cbranch_execnz .LBB15_69
	s_branch .LBB15_70
.LBB15_305:
	s_mov_b64 s[8:9], -1
	s_mov_b64 s[0:1], 0
	s_mov_b64 s[2:3], s[58:59]
                                        ; implicit-def: $vgpr3
	s_branch .LBB15_310
.LBB15_306:
	s_mov_b64 s[10:11], -1
	s_mov_b64 s[8:9], 0
	s_mov_b64 s[0:1], s[56:57]
	s_branch .LBB15_320
.LBB15_307:
	s_andn2_saveexec_b64 s[12:13], s[12:13]
	s_cbranch_execz .LBB15_81
.LBB15_308:
	v_add_f32_e32 v3, 0x42800000, v4
	v_and_b32_e32 v3, 0xff, v3
	v_cmp_ne_u32_e32 vcc, 0, v3
	s_andn2_b64 s[10:11], s[10:11], exec
	s_and_b64 s[16:17], vcc, exec
	s_or_b64 s[10:11], s[10:11], s[16:17]
	s_or_b64 exec, exec, s[12:13]
	v_mov_b32_e32 v5, 0
	s_and_saveexec_b64 s[12:13], s[10:11]
	s_cbranch_execnz .LBB15_82
	s_branch .LBB15_83
.LBB15_309:
	s_mov_b64 s[2:3], -1
                                        ; implicit-def: $vgpr3
	s_mov_b64 s[0:1], 0
.LBB15_310:
	s_and_b64 vcc, exec, s[8:9]
	s_cbranch_vccz .LBB15_426
; %bb.311:
	s_cmp_eq_u32 s11, 44
	s_cbranch_scc0 .LBB15_425
; %bb.312:
	global_load_ubyte v3, v[1:2], off
	s_mov_b32 s0, 0x2f800000
	s_mov_b32 s1, 0xcf800000
	s_mov_b64 s[2:3], 0
	s_waitcnt vmcnt(0)
	v_lshlrev_b32_e32 v4, 23, v3
	v_trunc_f32_e32 v4, v4
	v_mul_f32_e64 v5, |v4|, s0
	v_floor_f32_e32 v5, v5
	v_fma_f32 v5, v5, s1, |v4|
	v_cvt_u32_f32_e32 v5, v5
	v_ashrrev_i32_e32 v4, 31, v4
	v_cmp_ne_u32_e32 vcc, 0, v3
	s_mov_b64 s[0:1], -1
	v_xor_b32_e32 v5, v5, v4
	v_sub_u32_e32 v4, v5, v4
	v_cndmask_b32_e32 v3, 0, v4, vcc
	s_branch .LBB15_426
.LBB15_313:
	s_mov_b64 s[10:11], -1
	s_mov_b64 s[8:9], 0
	s_mov_b64 s[0:1], s[56:57]
.LBB15_314:
	s_and_b64 vcc, exec, s[10:11]
	s_cbranch_vccz .LBB15_319
; %bb.315:
	s_cmp_eq_u32 s15, 44
	s_mov_b64 s[0:1], -1
	s_cbranch_scc0 .LBB15_319
; %bb.316:
	v_cvt_f32_ubyte0_e32 v4, v2
	v_lshrrev_b32_e32 v3, 23, v4
	s_movk_i32 s0, 0xff
	v_cmp_ne_u32_e32 vcc, s0, v3
	v_mov_b32_e32 v5, 0xff
	s_and_saveexec_b64 s[8:9], vcc
; %bb.317:
	s_mov_b32 s0, 0x3fffff
	v_and_b32_e32 v5, 0x400000, v4
	v_and_or_b32 v4, v4, s0, v3
	v_cmp_ne_u32_e32 vcc, 0, v5
	v_cmp_ne_u32_e64 s[0:1], 0, v4
	s_and_b64 s[0:1], vcc, s[0:1]
	v_cndmask_b32_e64 v4, 0, 1, s[0:1]
	v_add_u32_e32 v5, v3, v4
; %bb.318:
	s_or_b64 exec, exec, s[8:9]
	s_mov_b64 s[8:9], -1
	s_mov_b64 s[0:1], 0
	global_store_byte v[0:1], v5, off
.LBB15_319:
	s_mov_b64 s[10:11], 0
.LBB15_320:
	s_and_b64 vcc, exec, s[10:11]
	s_cbranch_vccz .LBB15_323
; %bb.321:
	s_cmp_eq_u32 s15, 29
	s_mov_b64 s[0:1], -1
	s_cbranch_scc0 .LBB15_323
; %bb.322:
	v_and_b32_e32 v3, 0xff, v2
	v_mov_b32_e32 v4, 0
	global_store_dwordx2 v[0:1], v[3:4], off
	s_mov_b64 s[8:9], -1
	s_mov_b64 s[0:1], 0
.LBB15_323:
	s_mov_b64 s[10:11], 0
.LBB15_324:
	s_and_b64 vcc, exec, s[10:11]
	s_cbranch_vccz .LBB15_340
; %bb.325:
	s_cmp_lt_i32 s15, 27
	s_mov_b64 s[8:9], -1
	s_cbranch_scc1 .LBB15_331
; %bb.326:
	s_cmp_gt_i32 s15, 27
	s_cbranch_scc0 .LBB15_328
; %bb.327:
	v_and_b32_e32 v3, 0xff, v2
	s_mov_b64 s[8:9], 0
	global_store_dword v[0:1], v3, off
.LBB15_328:
	s_andn2_b64 vcc, exec, s[8:9]
	s_cbranch_vccnz .LBB15_330
; %bb.329:
	v_and_b32_e32 v3, 0xff, v2
	global_store_short v[0:1], v3, off
.LBB15_330:
	s_mov_b64 s[8:9], 0
.LBB15_331:
	s_andn2_b64 vcc, exec, s[8:9]
	s_cbranch_vccnz .LBB15_339
; %bb.332:
	v_cvt_f32_ubyte0_e32 v4, v2
	s_mov_b32 s8, 0x43800000
	v_cmp_gt_u32_e32 vcc, s8, v4
	v_mov_b32_e32 v5, 0x80
	s_and_saveexec_b64 s[8:9], vcc
	s_cbranch_execz .LBB15_338
; %bb.333:
	s_mov_b32 s10, 0x3bffffff
	v_cmp_lt_u32_e32 vcc, s10, v4
	s_mov_b64 s[10:11], 0
                                        ; implicit-def: $vgpr3
	s_and_saveexec_b64 s[12:13], vcc
	s_xor_b64 s[12:13], exec, s[12:13]
	s_cbranch_execz .LBB15_562
; %bb.334:
	v_bfe_u32 v3, v4, 20, 1
	s_mov_b32 s16, 0x487ffff
	v_add3_u32 v3, v4, v3, s16
	s_mov_b64 s[10:11], exec
	v_lshrrev_b32_e32 v3, 20, v3
                                        ; implicit-def: $vgpr4
	s_andn2_saveexec_b64 s[12:13], s[12:13]
	s_cbranch_execnz .LBB15_563
.LBB15_335:
	s_or_b64 exec, exec, s[12:13]
	v_mov_b32_e32 v5, 0
	s_and_saveexec_b64 s[12:13], s[10:11]
.LBB15_336:
	v_mov_b32_e32 v5, v3
.LBB15_337:
	s_or_b64 exec, exec, s[12:13]
.LBB15_338:
	s_or_b64 exec, exec, s[8:9]
	global_store_byte v[0:1], v5, off
.LBB15_339:
	s_mov_b64 s[8:9], -1
.LBB15_340:
	s_mov_b64 s[10:11], 0
.LBB15_341:
	s_and_b64 vcc, exec, s[10:11]
	s_cbranch_vccz .LBB15_382
; %bb.342:
	s_cmp_gt_i32 s15, 22
	s_mov_b64 s[10:11], -1
	s_cbranch_scc0 .LBB15_374
; %bb.343:
	s_cmp_lt_i32 s15, 24
	s_mov_b64 s[8:9], -1
	s_cbranch_scc1 .LBB15_363
; %bb.344:
	s_cmp_gt_i32 s15, 24
	s_cbranch_scc0 .LBB15_352
; %bb.345:
	v_cvt_f32_ubyte0_e32 v4, v2
	s_mov_b32 s8, 0x47800000
	v_cmp_gt_u32_e32 vcc, s8, v4
	v_mov_b32_e32 v5, 0x80
	s_and_saveexec_b64 s[8:9], vcc
	s_cbranch_execz .LBB15_351
; %bb.346:
	s_mov_b32 s10, 0x37ffffff
	v_cmp_lt_u32_e32 vcc, s10, v4
	s_mov_b64 s[10:11], 0
                                        ; implicit-def: $vgpr3
	s_and_saveexec_b64 s[12:13], vcc
	s_xor_b64 s[12:13], exec, s[12:13]
	s_cbranch_execz .LBB15_565
; %bb.347:
	v_bfe_u32 v3, v4, 21, 1
	s_mov_b32 s16, 0x88fffff
	v_add3_u32 v3, v4, v3, s16
	s_mov_b64 s[10:11], exec
	v_lshrrev_b32_e32 v3, 21, v3
                                        ; implicit-def: $vgpr4
	s_andn2_saveexec_b64 s[12:13], s[12:13]
	s_cbranch_execnz .LBB15_566
.LBB15_348:
	s_or_b64 exec, exec, s[12:13]
	v_mov_b32_e32 v5, 0
	s_and_saveexec_b64 s[12:13], s[10:11]
.LBB15_349:
	v_mov_b32_e32 v5, v3
.LBB15_350:
	s_or_b64 exec, exec, s[12:13]
.LBB15_351:
	s_or_b64 exec, exec, s[8:9]
	s_mov_b64 s[8:9], 0
	global_store_byte v[0:1], v5, off
.LBB15_352:
	s_and_b64 vcc, exec, s[8:9]
	s_cbranch_vccz .LBB15_362
; %bb.353:
	v_cvt_f32_ubyte0_e32 v3, v2
	s_mov_b32 s8, 0x43f00000
	v_cmp_gt_u32_e32 vcc, s8, v3
                                        ; implicit-def: $vgpr4
	s_and_saveexec_b64 s[8:9], vcc
	s_xor_b64 s[8:9], exec, s[8:9]
	s_cbranch_execz .LBB15_359
; %bb.354:
	s_mov_b32 s10, 0x3c7fffff
	v_cmp_lt_u32_e32 vcc, s10, v3
                                        ; implicit-def: $vgpr4
	s_and_saveexec_b64 s[10:11], vcc
	s_xor_b64 s[10:11], exec, s[10:11]
; %bb.355:
	v_bfe_u32 v4, v3, 20, 1
	s_mov_b32 s12, 0x407ffff
	v_add3_u32 v3, v3, v4, s12
	v_lshrrev_b32_e32 v4, 20, v3
	v_and_b32_e32 v3, 0xff00000, v3
	s_mov_b32 s12, 0x7f00000
	v_mov_b32_e32 v5, 0x7e
	v_cmp_ne_u32_e32 vcc, s12, v3
	v_cndmask_b32_e32 v4, v5, v4, vcc
                                        ; implicit-def: $vgpr3
; %bb.356:
	s_andn2_saveexec_b64 s[10:11], s[10:11]
; %bb.357:
	v_add_f32_e32 v4, 0x46800000, v3
; %bb.358:
	s_or_b64 exec, exec, s[10:11]
                                        ; implicit-def: $vgpr3
.LBB15_359:
	s_andn2_saveexec_b64 s[8:9], s[8:9]
; %bb.360:
	s_mov_b32 s10, 0x7f800000
	v_mov_b32_e32 v4, 0x7e
	v_mov_b32_e32 v5, 0x7f
	v_cmp_lt_u32_e32 vcc, s10, v3
	v_cndmask_b32_e32 v4, v4, v5, vcc
; %bb.361:
	s_or_b64 exec, exec, s[8:9]
	global_store_byte v[0:1], v4, off
.LBB15_362:
	s_mov_b64 s[8:9], 0
.LBB15_363:
	s_andn2_b64 vcc, exec, s[8:9]
	s_cbranch_vccnz .LBB15_373
; %bb.364:
	v_cvt_f32_ubyte0_e32 v3, v2
	s_mov_b32 s8, 0x47800000
	v_cmp_gt_u32_e32 vcc, s8, v3
                                        ; implicit-def: $vgpr4
	s_and_saveexec_b64 s[8:9], vcc
	s_xor_b64 s[8:9], exec, s[8:9]
	s_cbranch_execz .LBB15_370
; %bb.365:
	s_mov_b32 s10, 0x387fffff
	v_cmp_lt_u32_e32 vcc, s10, v3
                                        ; implicit-def: $vgpr4
	s_and_saveexec_b64 s[10:11], vcc
	s_xor_b64 s[10:11], exec, s[10:11]
; %bb.366:
	v_bfe_u32 v4, v3, 21, 1
	s_mov_b32 s12, 0x80fffff
	v_add3_u32 v3, v3, v4, s12
	v_lshrrev_b32_e32 v4, 21, v3
                                        ; implicit-def: $vgpr3
; %bb.367:
	s_andn2_saveexec_b64 s[10:11], s[10:11]
; %bb.368:
	v_add_f32_e32 v4, 0x43000000, v3
; %bb.369:
	s_or_b64 exec, exec, s[10:11]
                                        ; implicit-def: $vgpr3
.LBB15_370:
	s_andn2_saveexec_b64 s[8:9], s[8:9]
; %bb.371:
	s_mov_b32 s10, 0x7f800000
	v_mov_b32_e32 v4, 0x7c
	v_mov_b32_e32 v5, 0x7f
	v_cmp_lt_u32_e32 vcc, s10, v3
	v_cndmask_b32_e32 v4, v4, v5, vcc
; %bb.372:
	s_or_b64 exec, exec, s[8:9]
	global_store_byte v[0:1], v4, off
.LBB15_373:
	s_mov_b64 s[10:11], 0
	s_mov_b64 s[8:9], -1
.LBB15_374:
	s_andn2_b64 vcc, exec, s[10:11]
	s_cbranch_vccnz .LBB15_382
; %bb.375:
	s_cmp_gt_i32 s15, 14
	s_mov_b64 s[10:11], -1
	s_cbranch_scc0 .LBB15_379
; %bb.376:
	s_cmp_eq_u32 s15, 15
	s_mov_b64 s[0:1], -1
	s_cbranch_scc0 .LBB15_378
; %bb.377:
	v_cvt_f32_ubyte0_e32 v3, v2
	v_bfe_u32 v4, v3, 16, 1
	s_movk_i32 s0, 0x7fff
	v_add3_u32 v3, v3, v4, s0
	global_store_short_d16_hi v[0:1], v3, off
	s_mov_b64 s[8:9], -1
	s_mov_b64 s[0:1], 0
.LBB15_378:
	s_mov_b64 s[10:11], 0
.LBB15_379:
	s_and_b64 vcc, exec, s[10:11]
	s_cbranch_vccz .LBB15_382
; %bb.380:
	s_cmp_eq_u32 s15, 11
	s_mov_b64 s[0:1], -1
	s_cbranch_scc0 .LBB15_382
; %bb.381:
	v_mov_b32_e32 v3, 0
	v_cmp_ne_u16_sdwa s[0:1], v2, v3 src0_sel:BYTE_0 src1_sel:DWORD
	v_cndmask_b32_e64 v3, 0, 1, s[0:1]
	s_mov_b64 s[8:9], -1
	s_mov_b64 s[0:1], 0
	global_store_byte v[0:1], v3, off
.LBB15_382:
	s_mov_b64 s[10:11], 0
.LBB15_383:
	s_and_b64 vcc, exec, s[10:11]
	s_cbranch_vccz .LBB15_422
; %bb.384:
	s_and_b32 s10, 0xffff, s14
	s_cmp_lt_i32 s10, 5
	s_mov_b64 s[8:9], -1
	s_cbranch_scc1 .LBB15_405
; %bb.385:
	s_cmp_lt_i32 s10, 8
	s_cbranch_scc1 .LBB15_395
; %bb.386:
	s_cmp_lt_i32 s10, 9
	s_cbranch_scc1 .LBB15_392
; %bb.387:
	s_cmp_gt_i32 s10, 9
	s_cbranch_scc0 .LBB15_389
; %bb.388:
	s_mov_b32 s8, 0xffff
	v_and_b32_sdwa v3, s8, v2 dst_sel:DWORD dst_unused:UNUSED_PAD src0_sel:DWORD src1_sel:BYTE_0
	v_cvt_f64_u32_e32 v[3:4], v3
	v_mov_b32_e32 v5, 0
	v_mov_b32_e32 v6, v5
	s_mov_b64 s[8:9], 0
	global_store_dwordx4 v[0:1], v[3:6], off
.LBB15_389:
	s_andn2_b64 vcc, exec, s[8:9]
	s_cbranch_vccnz .LBB15_391
; %bb.390:
	v_cvt_f32_ubyte0_e32 v3, v2
	v_mov_b32_e32 v4, 0
	global_store_dwordx2 v[0:1], v[3:4], off
.LBB15_391:
	s_mov_b64 s[8:9], 0
.LBB15_392:
	s_andn2_b64 vcc, exec, s[8:9]
	s_cbranch_vccnz .LBB15_394
; %bb.393:
	v_cvt_f16_u16_sdwa v3, v2 dst_sel:DWORD dst_unused:UNUSED_PAD src0_sel:BYTE_0
	global_store_dword v[0:1], v3, off
.LBB15_394:
	s_mov_b64 s[8:9], 0
.LBB15_395:
	s_andn2_b64 vcc, exec, s[8:9]
	s_cbranch_vccnz .LBB15_404
; %bb.396:
	s_cmp_lt_i32 s10, 6
	s_mov_b64 s[8:9], -1
	s_cbranch_scc1 .LBB15_402
; %bb.397:
	s_cmp_gt_i32 s10, 6
	s_cbranch_scc0 .LBB15_399
; %bb.398:
	s_mov_b32 s8, 0xffff
	v_and_b32_sdwa v3, s8, v2 dst_sel:DWORD dst_unused:UNUSED_PAD src0_sel:DWORD src1_sel:BYTE_0
	v_cvt_f64_u32_e32 v[3:4], v3
	s_mov_b64 s[8:9], 0
	global_store_dwordx2 v[0:1], v[3:4], off
.LBB15_399:
	s_andn2_b64 vcc, exec, s[8:9]
	s_cbranch_vccnz .LBB15_401
; %bb.400:
	v_cvt_f32_ubyte0_e32 v3, v2
	global_store_dword v[0:1], v3, off
.LBB15_401:
	s_mov_b64 s[8:9], 0
.LBB15_402:
	s_andn2_b64 vcc, exec, s[8:9]
	s_cbranch_vccnz .LBB15_404
; %bb.403:
	v_cvt_f16_u16_sdwa v3, v2 dst_sel:DWORD dst_unused:UNUSED_PAD src0_sel:BYTE_0
	global_store_short v[0:1], v3, off
.LBB15_404:
	s_mov_b64 s[8:9], 0
.LBB15_405:
	s_andn2_b64 vcc, exec, s[8:9]
	s_cbranch_vccnz .LBB15_421
; %bb.406:
	s_cmp_lt_i32 s10, 2
	s_mov_b64 s[8:9], -1
	s_cbranch_scc1 .LBB15_416
; %bb.407:
	s_cmp_lt_i32 s10, 3
	s_cbranch_scc1 .LBB15_413
; %bb.408:
	s_cmp_gt_i32 s10, 3
	s_cbranch_scc0 .LBB15_410
; %bb.409:
	v_and_b32_e32 v3, 0xff, v2
	v_mov_b32_e32 v4, 0
	s_mov_b64 s[8:9], 0
	global_store_dwordx2 v[0:1], v[3:4], off
.LBB15_410:
	s_andn2_b64 vcc, exec, s[8:9]
	s_cbranch_vccnz .LBB15_412
; %bb.411:
	v_and_b32_e32 v3, 0xff, v2
	global_store_dword v[0:1], v3, off
.LBB15_412:
	s_mov_b64 s[8:9], 0
.LBB15_413:
	s_andn2_b64 vcc, exec, s[8:9]
	s_cbranch_vccnz .LBB15_415
; %bb.414:
	v_and_b32_e32 v3, 0xff, v2
	global_store_short v[0:1], v3, off
.LBB15_415:
	s_mov_b64 s[8:9], 0
.LBB15_416:
	s_andn2_b64 vcc, exec, s[8:9]
	s_cbranch_vccnz .LBB15_421
; %bb.417:
	s_cmp_gt_i32 s10, 0
	s_mov_b64 s[8:9], -1
	s_cbranch_scc0 .LBB15_419
; %bb.418:
	s_mov_b64 s[8:9], 0
	global_store_byte v[0:1], v2, off
.LBB15_419:
	s_andn2_b64 vcc, exec, s[8:9]
	s_cbranch_vccnz .LBB15_421
; %bb.420:
	global_store_byte v[0:1], v2, off
.LBB15_421:
	s_mov_b64 s[8:9], -1
.LBB15_422:
	s_andn2_b64 vcc, exec, s[8:9]
	s_cbranch_vccnz .LBB15_424
; %bb.423:
	v_add_u32_e32 v11, 0x80, v11
	s_mov_b64 s[8:9], -1
	s_branch .LBB15_533
.LBB15_424:
	s_mov_b64 s[8:9], 0
	s_branch .LBB15_532
.LBB15_425:
	s_mov_b64 s[2:3], -1
                                        ; implicit-def: $vgpr3
.LBB15_426:
	s_mov_b64 s[8:9], 0
.LBB15_427:
	s_and_b64 vcc, exec, s[8:9]
	s_cbranch_vccz .LBB15_431
; %bb.428:
	s_cmp_eq_u32 s11, 29
	s_cbranch_scc0 .LBB15_430
; %bb.429:
	global_load_dwordx2 v[3:4], v[1:2], off
	s_mov_b64 s[0:1], -1
	s_mov_b64 s[2:3], 0
	s_branch .LBB15_431
.LBB15_430:
	s_mov_b64 s[2:3], -1
                                        ; implicit-def: $vgpr3
.LBB15_431:
	s_mov_b64 s[8:9], 0
.LBB15_432:
	s_and_b64 vcc, exec, s[8:9]
	s_cbranch_vccz .LBB15_448
; %bb.433:
	s_cmp_lt_i32 s11, 27
	s_cbranch_scc1 .LBB15_436
; %bb.434:
	s_cmp_gt_i32 s11, 27
	s_cbranch_scc0 .LBB15_437
; %bb.435:
	global_load_dword v3, v[1:2], off
	s_mov_b64 s[0:1], 0
	s_branch .LBB15_438
.LBB15_436:
	s_mov_b64 s[0:1], -1
                                        ; implicit-def: $vgpr3
	s_branch .LBB15_441
.LBB15_437:
	s_mov_b64 s[0:1], -1
                                        ; implicit-def: $vgpr3
.LBB15_438:
	s_andn2_b64 vcc, exec, s[0:1]
	s_cbranch_vccnz .LBB15_440
; %bb.439:
	global_load_ushort v3, v[1:2], off
.LBB15_440:
	s_mov_b64 s[0:1], 0
.LBB15_441:
	s_andn2_b64 vcc, exec, s[0:1]
	s_cbranch_vccnz .LBB15_447
; %bb.442:
	global_load_ubyte v4, v[1:2], off
	s_movk_i32 s0, 0x7f
	s_mov_b64 s[8:9], 0
	s_waitcnt vmcnt(0)
	v_cmp_lt_i16_e32 vcc, s0, v4
	s_and_saveexec_b64 s[0:1], vcc
	s_xor_b64 s[0:1], exec, s[0:1]
	s_cbranch_execz .LBB15_459
; %bb.443:
	s_movk_i32 s8, 0x80
	v_cmp_ne_u16_e32 vcc, s8, v4
	s_and_b64 s[8:9], vcc, exec
	s_andn2_saveexec_b64 s[0:1], s[0:1]
	s_cbranch_execnz .LBB15_460
.LBB15_444:
	s_or_b64 exec, exec, s[0:1]
	v_mov_b32_e32 v3, 0
	s_and_saveexec_b64 s[0:1], s[8:9]
	s_cbranch_execz .LBB15_446
.LBB15_445:
	v_lshlrev_b32_e32 v3, 24, v4
	v_and_b32_e32 v4, 0xffff, v4
	v_and_b32_e32 v5, 7, v4
	v_ffbh_u32_e32 v7, v5
	v_min_u32_e32 v7, 32, v7
	v_subrev_u32_e32 v8, 28, v7
	v_bfe_u32 v6, v4, 3, 4
	v_lshlrev_b32_e32 v4, v8, v4
	v_sub_u32_e32 v7, 29, v7
	v_and_b32_e32 v4, 7, v4
	v_cmp_eq_u32_e32 vcc, 0, v6
	v_cndmask_b32_e32 v6, v6, v7, vcc
	v_cndmask_b32_e32 v4, v5, v4, vcc
	v_mov_b32_e32 v5, 0x3b800000
	v_lshlrev_b32_e32 v4, 20, v4
	v_and_b32_e32 v3, 0x80000000, v3
	v_lshl_add_u32 v5, v6, 23, v5
	v_or3_b32 v3, v3, v5, v4
	v_trunc_f32_e32 v3, v3
	s_mov_b32 s8, 0x2f800000
	v_mul_f32_e64 v4, |v3|, s8
	v_floor_f32_e32 v4, v4
	s_mov_b32 s8, 0xcf800000
	v_fma_f32 v4, v4, s8, |v3|
	v_cvt_u32_f32_e32 v4, v4
	v_ashrrev_i32_e32 v3, 31, v3
	v_xor_b32_e32 v4, v4, v3
	v_sub_u32_e32 v3, v4, v3
.LBB15_446:
	s_or_b64 exec, exec, s[0:1]
.LBB15_447:
	s_mov_b64 s[0:1], -1
.LBB15_448:
	s_mov_b64 s[8:9], 0
.LBB15_449:
	s_and_b64 vcc, exec, s[8:9]
	s_cbranch_vccz .LBB15_482
; %bb.450:
	s_cmp_gt_i32 s11, 22
	s_cbranch_scc0 .LBB15_458
; %bb.451:
	s_cmp_lt_i32 s11, 24
	s_cbranch_scc1 .LBB15_461
; %bb.452:
	s_cmp_gt_i32 s11, 24
	s_cbranch_scc0 .LBB15_462
; %bb.453:
	global_load_ubyte v4, v[1:2], off
	s_movk_i32 s0, 0x7f
	s_mov_b64 s[8:9], 0
	s_waitcnt vmcnt(0)
	v_cmp_lt_i16_e32 vcc, s0, v4
	s_and_saveexec_b64 s[0:1], vcc
	s_xor_b64 s[0:1], exec, s[0:1]
	s_cbranch_execz .LBB15_474
; %bb.454:
	s_movk_i32 s8, 0x80
	v_cmp_ne_u16_e32 vcc, s8, v4
	s_and_b64 s[8:9], vcc, exec
	s_andn2_saveexec_b64 s[0:1], s[0:1]
	s_cbranch_execnz .LBB15_475
.LBB15_455:
	s_or_b64 exec, exec, s[0:1]
	v_mov_b32_e32 v3, 0
	s_and_saveexec_b64 s[0:1], s[8:9]
	s_cbranch_execz .LBB15_457
.LBB15_456:
	v_lshlrev_b32_e32 v3, 24, v4
	v_and_b32_e32 v4, 0xffff, v4
	v_and_b32_e32 v5, 3, v4
	v_ffbh_u32_e32 v7, v5
	v_min_u32_e32 v7, 32, v7
	v_subrev_u32_e32 v8, 29, v7
	v_bfe_u32 v6, v4, 2, 5
	v_lshlrev_b32_e32 v4, v8, v4
	v_sub_u32_e32 v7, 30, v7
	v_and_b32_e32 v4, 3, v4
	v_cmp_eq_u32_e32 vcc, 0, v6
	v_cndmask_b32_e32 v6, v6, v7, vcc
	v_cndmask_b32_e32 v4, v5, v4, vcc
	v_mov_b32_e32 v5, 0x37800000
	v_lshlrev_b32_e32 v4, 21, v4
	v_and_b32_e32 v3, 0x80000000, v3
	v_lshl_add_u32 v5, v6, 23, v5
	v_or3_b32 v3, v3, v5, v4
	v_trunc_f32_e32 v3, v3
	s_mov_b32 s8, 0x2f800000
	v_mul_f32_e64 v4, |v3|, s8
	v_floor_f32_e32 v4, v4
	s_mov_b32 s8, 0xcf800000
	v_fma_f32 v4, v4, s8, |v3|
	v_cvt_u32_f32_e32 v4, v4
	v_ashrrev_i32_e32 v3, 31, v3
	v_xor_b32_e32 v4, v4, v3
	v_sub_u32_e32 v3, v4, v3
.LBB15_457:
	s_or_b64 exec, exec, s[0:1]
	s_mov_b64 s[0:1], 0
	s_branch .LBB15_463
.LBB15_458:
	s_mov_b64 s[8:9], -1
                                        ; implicit-def: $vgpr3
	s_branch .LBB15_469
.LBB15_459:
	s_andn2_saveexec_b64 s[0:1], s[0:1]
	s_cbranch_execz .LBB15_444
.LBB15_460:
	v_cmp_ne_u16_e32 vcc, 0, v4
	s_andn2_b64 s[8:9], s[8:9], exec
	s_and_b64 s[12:13], vcc, exec
	s_or_b64 s[8:9], s[8:9], s[12:13]
	s_or_b64 exec, exec, s[0:1]
	v_mov_b32_e32 v3, 0
	s_and_saveexec_b64 s[0:1], s[8:9]
	s_cbranch_execnz .LBB15_445
	s_branch .LBB15_446
.LBB15_461:
	s_mov_b64 s[0:1], -1
                                        ; implicit-def: $vgpr3
	s_branch .LBB15_466
.LBB15_462:
	s_mov_b64 s[0:1], -1
                                        ; implicit-def: $vgpr3
.LBB15_463:
	s_and_b64 vcc, exec, s[0:1]
	s_cbranch_vccz .LBB15_465
; %bb.464:
	global_load_ubyte v3, v[1:2], off
	s_mov_b32 s0, 0x7f800000
	s_brev_b32 s1, 1
	s_mov_b32 s8, 0x2f800000
	s_waitcnt vmcnt(0)
	v_lshlrev_b32_e32 v3, 24, v3
	v_and_b32_e32 v4, 0x7f000000, v3
	v_ffbh_u32_e32 v5, v4
	v_min_u32_e32 v5, 32, v5
	v_sub_u32_e64 v5, v5, 4 clamp
	v_lshlrev_b32_e32 v7, v5, v4
	v_lshlrev_b32_e32 v5, 23, v5
	v_lshrrev_b32_e32 v7, 4, v7
	v_add_u32_e32 v6, 0x1000000, v4
	v_sub_u32_e32 v5, v7, v5
	v_ashrrev_i32_e32 v6, 8, v6
	v_add_u32_e32 v5, 0x3c000000, v5
	v_and_or_b32 v5, v6, s0, v5
	v_cmp_ne_u32_e32 vcc, 0, v4
	v_cndmask_b32_e32 v4, 0, v5, vcc
	v_and_or_b32 v3, v3, s1, v4
	v_trunc_f32_e32 v3, v3
	v_mul_f32_e64 v4, |v3|, s8
	v_floor_f32_e32 v4, v4
	s_mov_b32 s0, 0xcf800000
	v_fma_f32 v4, v4, s0, |v3|
	v_cvt_u32_f32_e32 v4, v4
	v_ashrrev_i32_e32 v3, 31, v3
	v_xor_b32_e32 v4, v4, v3
	v_sub_u32_e32 v3, v4, v3
.LBB15_465:
	s_mov_b64 s[0:1], 0
.LBB15_466:
	s_andn2_b64 vcc, exec, s[0:1]
	s_cbranch_vccnz .LBB15_468
; %bb.467:
	global_load_ubyte v3, v[1:2], off
	s_movk_i32 s0, 0x7f00
	s_brev_b32 s1, 16
	s_brev_b32 s8, 1
	s_mov_b32 s9, 0x2f800000
	s_waitcnt vmcnt(0)
	v_lshlrev_b16_e32 v4, 8, v3
	v_lshlrev_b32_e32 v3, 25, v3
	v_lshrrev_b32_e32 v5, 4, v3
	v_and_or_b32 v6, v4, s0, 0.5
	v_or_b32_e32 v5, 0x70000000, v5
	v_add_f32_e32 v6, -0.5, v6
	v_mul_f32_e32 v5, 0x7800000, v5
	v_cmp_gt_u32_e32 vcc, s1, v3
	v_bfe_i32 v4, v4, 0, 16
	v_cndmask_b32_e32 v3, v5, v6, vcc
	v_and_or_b32 v3, v4, s8, v3
	v_trunc_f32_e32 v3, v3
	v_mul_f32_e64 v4, |v3|, s9
	v_floor_f32_e32 v4, v4
	s_mov_b32 s0, 0xcf800000
	v_fma_f32 v4, v4, s0, |v3|
	v_cvt_u32_f32_e32 v4, v4
	v_ashrrev_i32_e32 v3, 31, v3
	v_xor_b32_e32 v4, v4, v3
	v_sub_u32_e32 v3, v4, v3
.LBB15_468:
	s_mov_b64 s[8:9], 0
	s_mov_b64 s[0:1], -1
.LBB15_469:
	s_andn2_b64 vcc, exec, s[8:9]
	s_cbranch_vccnz .LBB15_482
; %bb.470:
	s_cmp_gt_i32 s11, 14
	s_cbranch_scc0 .LBB15_473
; %bb.471:
	s_cmp_eq_u32 s11, 15
	s_cbranch_scc0 .LBB15_476
; %bb.472:
	global_load_ushort v3, v[1:2], off
	s_mov_b32 s0, 0x2f800000
	s_mov_b32 s1, 0xcf800000
	s_mov_b64 s[2:3], 0
	s_waitcnt vmcnt(0)
	v_lshlrev_b32_e32 v3, 16, v3
	v_trunc_f32_e32 v3, v3
	v_mul_f32_e64 v4, |v3|, s0
	v_floor_f32_e32 v4, v4
	v_fma_f32 v4, v4, s1, |v3|
	v_cvt_u32_f32_e32 v4, v4
	v_ashrrev_i32_e32 v3, 31, v3
	s_mov_b64 s[0:1], -1
	v_xor_b32_e32 v4, v4, v3
	v_sub_u32_e32 v3, v4, v3
	s_branch .LBB15_477
.LBB15_473:
	s_mov_b64 s[8:9], -1
                                        ; implicit-def: $vgpr3
	s_branch .LBB15_478
.LBB15_474:
	s_andn2_saveexec_b64 s[0:1], s[0:1]
	s_cbranch_execz .LBB15_455
.LBB15_475:
	v_cmp_ne_u16_e32 vcc, 0, v4
	s_andn2_b64 s[8:9], s[8:9], exec
	s_and_b64 s[12:13], vcc, exec
	s_or_b64 s[8:9], s[8:9], s[12:13]
	s_or_b64 exec, exec, s[0:1]
	v_mov_b32_e32 v3, 0
	s_and_saveexec_b64 s[0:1], s[8:9]
	s_cbranch_execnz .LBB15_456
	s_branch .LBB15_457
.LBB15_476:
	s_mov_b64 s[2:3], -1
                                        ; implicit-def: $vgpr3
.LBB15_477:
	s_mov_b64 s[8:9], 0
.LBB15_478:
	s_and_b64 vcc, exec, s[8:9]
	s_cbranch_vccz .LBB15_482
; %bb.479:
	s_cmp_eq_u32 s11, 11
	s_cbranch_scc0 .LBB15_481
; %bb.480:
	global_load_ubyte v3, v[1:2], off
	s_mov_b64 s[0:1], -1
	s_mov_b64 s[2:3], 0
	s_waitcnt vmcnt(0)
	v_cmp_ne_u16_e32 vcc, 0, v3
	v_cndmask_b32_e64 v3, 0, 1, vcc
	s_branch .LBB15_482
.LBB15_481:
	s_mov_b64 s[2:3], -1
                                        ; implicit-def: $vgpr3
.LBB15_482:
	s_branch .LBB15_289
.LBB15_483:
	s_and_b32 s8, 0xffff, s10
	s_cmp_lt_i32 s8, 5
	s_cbranch_scc1 .LBB15_488
; %bb.484:
	s_cmp_lt_i32 s8, 8
	s_cbranch_scc1 .LBB15_489
; %bb.485:
	;; [unrolled: 3-line block ×3, first 2 shown]
	s_cmp_gt_i32 s8, 9
	s_cbranch_scc0 .LBB15_491
; %bb.487:
	global_load_dwordx2 v[3:4], v[1:2], off
	s_movk_i32 s0, 0xffe0
	s_waitcnt vmcnt(0)
	v_trunc_f64_e32 v[3:4], v[3:4]
	v_ldexp_f64 v[5:6], v[3:4], s0
	s_mov_b32 s0, 0
	s_mov_b32 s1, 0xc1f00000
	v_floor_f64_e32 v[5:6], v[5:6]
	v_fma_f64 v[3:4], v[5:6], s[0:1], v[3:4]
	s_mov_b64 s[0:1], 0
	v_cvt_u32_f64_e32 v3, v[3:4]
	s_branch .LBB15_492
.LBB15_488:
	s_mov_b64 s[0:1], -1
                                        ; implicit-def: $vgpr3
	s_branch .LBB15_510
.LBB15_489:
	s_mov_b64 s[0:1], -1
                                        ; implicit-def: $vgpr3
	s_branch .LBB15_498
.LBB15_490:
	s_mov_b64 s[0:1], -1
                                        ; implicit-def: $vgpr3
	s_branch .LBB15_495
.LBB15_491:
	s_mov_b64 s[0:1], -1
                                        ; implicit-def: $vgpr3
.LBB15_492:
	s_andn2_b64 vcc, exec, s[0:1]
	s_cbranch_vccnz .LBB15_494
; %bb.493:
	global_load_dword v3, v[1:2], off
	s_mov_b32 s0, 0x2f800000
	s_waitcnt vmcnt(0)
	v_trunc_f32_e32 v3, v3
	v_mul_f32_e64 v4, |v3|, s0
	v_floor_f32_e32 v4, v4
	s_mov_b32 s0, 0xcf800000
	v_fma_f32 v4, v4, s0, |v3|
	v_cvt_u32_f32_e32 v4, v4
	v_ashrrev_i32_e32 v3, 31, v3
	v_xor_b32_e32 v4, v4, v3
	v_sub_u32_e32 v3, v4, v3
.LBB15_494:
	s_mov_b64 s[0:1], 0
.LBB15_495:
	s_andn2_b64 vcc, exec, s[0:1]
	s_cbranch_vccnz .LBB15_497
; %bb.496:
	global_load_dword v3, v[1:2], off
	s_waitcnt vmcnt(0)
	v_cvt_f32_f16_e32 v3, v3
	v_cvt_i32_f32_e32 v3, v3
.LBB15_497:
	s_mov_b64 s[0:1], 0
.LBB15_498:
	s_andn2_b64 vcc, exec, s[0:1]
	s_cbranch_vccnz .LBB15_509
; %bb.499:
	s_cmp_lt_i32 s8, 6
	s_cbranch_scc1 .LBB15_502
; %bb.500:
	s_cmp_gt_i32 s8, 6
	s_cbranch_scc0 .LBB15_503
; %bb.501:
	global_load_dwordx2 v[3:4], v[1:2], off
	s_movk_i32 s0, 0xffe0
	s_waitcnt vmcnt(0)
	v_trunc_f64_e32 v[3:4], v[3:4]
	v_ldexp_f64 v[5:6], v[3:4], s0
	s_mov_b32 s0, 0
	s_mov_b32 s1, 0xc1f00000
	v_floor_f64_e32 v[5:6], v[5:6]
	v_fma_f64 v[3:4], v[5:6], s[0:1], v[3:4]
	s_mov_b64 s[0:1], 0
	v_cvt_u32_f64_e32 v3, v[3:4]
	s_branch .LBB15_504
.LBB15_502:
	s_mov_b64 s[0:1], -1
                                        ; implicit-def: $vgpr3
	s_branch .LBB15_507
.LBB15_503:
	s_mov_b64 s[0:1], -1
                                        ; implicit-def: $vgpr3
.LBB15_504:
	s_andn2_b64 vcc, exec, s[0:1]
	s_cbranch_vccnz .LBB15_506
; %bb.505:
	global_load_dword v3, v[1:2], off
	s_mov_b32 s0, 0x2f800000
	s_waitcnt vmcnt(0)
	v_trunc_f32_e32 v3, v3
	v_mul_f32_e64 v4, |v3|, s0
	v_floor_f32_e32 v4, v4
	s_mov_b32 s0, 0xcf800000
	v_fma_f32 v4, v4, s0, |v3|
	v_cvt_u32_f32_e32 v4, v4
	v_ashrrev_i32_e32 v3, 31, v3
	v_xor_b32_e32 v4, v4, v3
	v_sub_u32_e32 v3, v4, v3
.LBB15_506:
	s_mov_b64 s[0:1], 0
.LBB15_507:
	s_andn2_b64 vcc, exec, s[0:1]
	s_cbranch_vccnz .LBB15_509
; %bb.508:
	global_load_ushort v3, v[1:2], off
	s_waitcnt vmcnt(0)
	v_cvt_f32_f16_e32 v3, v3
	v_cvt_i32_f32_e32 v3, v3
.LBB15_509:
	s_mov_b64 s[0:1], 0
.LBB15_510:
	s_andn2_b64 vcc, exec, s[0:1]
	s_cbranch_vccnz .LBB15_530
; %bb.511:
	s_cmp_lt_i32 s8, 2
	s_cbranch_scc1 .LBB15_515
; %bb.512:
	s_cmp_lt_i32 s8, 3
	s_cbranch_scc1 .LBB15_516
; %bb.513:
	s_cmp_gt_i32 s8, 3
	s_cbranch_scc0 .LBB15_517
; %bb.514:
	global_load_dwordx2 v[3:4], v[1:2], off
	s_mov_b64 s[0:1], 0
	s_branch .LBB15_518
.LBB15_515:
	s_mov_b64 s[0:1], -1
                                        ; implicit-def: $vgpr3
	s_branch .LBB15_524
.LBB15_516:
	s_mov_b64 s[0:1], -1
                                        ; implicit-def: $vgpr3
	s_branch .LBB15_521
.LBB15_517:
	s_mov_b64 s[0:1], -1
                                        ; implicit-def: $vgpr3
.LBB15_518:
	s_andn2_b64 vcc, exec, s[0:1]
	s_cbranch_vccnz .LBB15_520
; %bb.519:
	global_load_dword v3, v[1:2], off
.LBB15_520:
	s_mov_b64 s[0:1], 0
.LBB15_521:
	s_andn2_b64 vcc, exec, s[0:1]
	s_cbranch_vccnz .LBB15_523
; %bb.522:
	global_load_ushort v3, v[1:2], off
.LBB15_523:
	s_mov_b64 s[0:1], 0
.LBB15_524:
	s_andn2_b64 vcc, exec, s[0:1]
	s_cbranch_vccnz .LBB15_530
; %bb.525:
	s_cmp_gt_i32 s8, 0
	s_cbranch_scc0 .LBB15_527
; %bb.526:
	global_load_ubyte v3, v[1:2], off
	s_mov_b64 s[0:1], 0
	s_branch .LBB15_528
.LBB15_527:
	s_mov_b64 s[0:1], -1
                                        ; implicit-def: $vgpr3
.LBB15_528:
	s_andn2_b64 vcc, exec, s[0:1]
	s_cbranch_vccnz .LBB15_530
; %bb.529:
	global_load_ubyte v3, v[1:2], off
.LBB15_530:
	s_branch .LBB15_290
.LBB15_531:
	s_mov_b64 s[8:9], 0
	s_mov_b64 s[0:1], s[56:57]
.LBB15_532:
                                        ; implicit-def: $vgpr11
.LBB15_533:
	s_andn2_b64 s[10:11], s[56:57], exec
	s_and_b64 s[0:1], s[0:1], exec
	s_or_b64 s[64:65], s[10:11], s[0:1]
	s_andn2_b64 s[0:1], s[58:59], exec
	s_and_b64 s[2:3], s[2:3], exec
	s_or_b64 s[62:63], s[0:1], s[2:3]
	s_orn2_b64 s[0:1], s[8:9], exec
.LBB15_534:
	s_or_b64 exec, exec, s[66:67]
	s_mov_b64 s[2:3], 0
	s_mov_b64 s[8:9], 0
	;; [unrolled: 1-line block ×3, first 2 shown]
                                        ; implicit-def: $sgpr14
                                        ; implicit-def: $vgpr1_vgpr2
                                        ; implicit-def: $vgpr0
                                        ; implicit-def: $vgpr3
	s_and_saveexec_b64 s[66:67], s[0:1]
	s_cbranch_execz .LBB15_901
; %bb.535:
	v_cmp_gt_i32_e32 vcc, s74, v11
	s_mov_b64 s[2:3], -1
	s_mov_b64 s[70:71], s[62:63]
	s_mov_b64 s[72:73], s[64:65]
	s_and_saveexec_b64 s[68:69], vcc
	s_cbranch_execz .LBB15_805
; %bb.536:
	s_andn2_b64 vcc, exec, s[40:41]
	s_cbranch_vccnz .LBB15_541
; %bb.537:
	s_andn2_b64 vcc, exec, s[54:55]
	s_cbranch_vccnz .LBB15_542
; %bb.538:
	s_add_i32 s75, s79, 1
	s_cmp_eq_u32 s76, 2
	s_cbranch_scc1 .LBB15_543
; %bb.539:
	s_and_b32 s45, s75, 28
	v_mov_b32_e32 v2, 0
	s_mov_b32 s80, 0
	s_mov_b64 s[70:71], s[34:35]
	s_mov_b64 s[72:73], s[52:53]
	v_mov_b32_e32 v0, 0
	v_mov_b32_e32 v1, v11
.LBB15_540:                             ; =>This Inner Loop Header: Depth=1
	s_load_dwordx8 s[16:23], s[70:71], 0x4
	s_load_dwordx4 s[0:3], s[70:71], 0x24
	s_load_dwordx8 s[8:15], s[72:73], 0x0
	s_add_u32 s70, s70, 48
	s_addc_u32 s71, s71, 0
	s_waitcnt vmcnt(0) lgkmcnt(0)
	v_mul_hi_u32 v3, s17, v1
	s_add_i32 s80, s80, 4
	s_add_u32 s72, s72, 32
	s_addc_u32 s73, s73, 0
	v_add_u32_e32 v3, v1, v3
	v_lshrrev_b32_e32 v3, s18, v3
	v_mul_lo_u32 v4, v3, s16
	v_mul_hi_u32 v5, s20, v3
	s_cmp_eq_u32 s45, s80
	v_sub_u32_e32 v1, v1, v4
	v_add_u32_e32 v4, v3, v5
	v_mul_lo_u32 v5, v1, s8
	v_mul_lo_u32 v6, v1, s9
	v_lshrrev_b32_e32 v1, s21, v4
	v_mul_lo_u32 v4, v1, s19
	v_mul_hi_u32 v7, s23, v1
	v_sub_u32_e32 v3, v3, v4
	v_add_u32_e32 v4, v1, v7
	v_lshrrev_b32_e32 v4, s0, v4
	v_mul_hi_u32 v8, s2, v4
	v_mul_lo_u32 v9, v4, s22
	v_mul_lo_u32 v7, v3, s10
	;; [unrolled: 1-line block ×3, first 2 shown]
	v_sub_u32_e32 v9, v1, v9
	v_add_u32_e32 v1, v4, v8
	v_lshrrev_b32_e32 v1, s3, v1
	v_mul_lo_u32 v8, v1, s1
	v_mul_lo_u32 v10, v9, s12
	;; [unrolled: 1-line block ×3, first 2 shown]
	v_add3_u32 v0, v5, v0, v7
	v_sub_u32_e32 v4, v4, v8
	v_mul_lo_u32 v8, v4, s14
	v_mul_lo_u32 v4, v4, s15
	v_add3_u32 v2, v6, v2, v3
	v_add3_u32 v0, v10, v0, v8
	;; [unrolled: 1-line block ×3, first 2 shown]
	s_cbranch_scc0 .LBB15_540
	s_branch .LBB15_544
.LBB15_541:
	s_mov_b64 s[0:1], -1
                                        ; implicit-def: $vgpr0
                                        ; implicit-def: $vgpr2
	s_branch .LBB15_548
.LBB15_542:
	v_mov_b32_e32 v0, 0
	v_mov_b32_e32 v2, 0
	s_branch .LBB15_547
.LBB15_543:
	s_mov_b32 s45, 0
	v_mov_b32_e32 v0, 0
	v_mov_b32_e32 v2, 0
	;; [unrolled: 1-line block ×3, first 2 shown]
.LBB15_544:
	s_and_b32 s8, s75, 3
	s_cmp_eq_u32 s8, 0
	s_cbranch_scc1 .LBB15_547
; %bb.545:
	s_lshl_b32 s0, s45, 3
	s_add_u32 s0, s34, s0
	s_addc_u32 s1, s35, 0
	s_add_u32 s0, s0, 0xc4
	s_addc_u32 s1, s1, 0
	s_mul_i32 s2, s45, 12
	s_add_u32 s2, s34, s2
	s_addc_u32 s3, s35, 0
.LBB15_546:                             ; =>This Inner Loop Header: Depth=1
	s_load_dwordx2 s[10:11], s[2:3], 0x4
	s_load_dword s9, s[2:3], 0xc
	s_load_dwordx2 s[12:13], s[0:1], 0x0
	s_add_u32 s2, s2, 12
	s_addc_u32 s3, s3, 0
	s_waitcnt vmcnt(0) lgkmcnt(0)
	v_mul_hi_u32 v3, s11, v1
	s_add_u32 s0, s0, 8
	s_addc_u32 s1, s1, 0
	s_add_i32 s8, s8, -1
	v_add_u32_e32 v3, v1, v3
	v_lshrrev_b32_e32 v4, s9, v3
	v_mul_lo_u32 v3, v4, s10
	s_cmp_lg_u32 s8, 0
	v_sub_u32_e32 v3, v1, v3
	v_mad_u64_u32 v[0:1], s[10:11], v3, s12, v[0:1]
	v_mad_u64_u32 v[2:3], s[10:11], v3, s13, v[2:3]
	v_mov_b32_e32 v1, v4
	s_cbranch_scc1 .LBB15_546
.LBB15_547:
	s_mov_b64 s[0:1], 0
.LBB15_548:
	s_andn2_b64 vcc, exec, s[0:1]
	s_cbranch_vccnz .LBB15_551
; %bb.549:
	v_mul_hi_u32 v0, s29, v11
	s_andn2_b64 vcc, exec, s[50:51]
	v_add_u32_e32 v0, v11, v0
	v_lshrrev_b32_e32 v1, s30, v0
	v_mul_lo_u32 v0, v1, s28
	v_sub_u32_e32 v2, v11, v0
	v_mul_lo_u32 v0, v2, s36
	v_mul_lo_u32 v2, v2, s37
	s_cbranch_vccnz .LBB15_551
; %bb.550:
	s_waitcnt vmcnt(0)
	v_mul_hi_u32 v3, s48, v1
	v_add_u32_e32 v3, v1, v3
	v_lshrrev_b32_e32 v3, s49, v3
	v_mul_lo_u32 v3, v3, s31
	v_sub_u32_e32 v3, v1, v3
	v_mad_u64_u32 v[0:1], s[0:1], v3, s38, v[0:1]
	v_mad_u64_u32 v[2:3], s[0:1], v3, s39, v[2:3]
.LBB15_551:
	s_waitcnt vmcnt(0)
	v_mov_b32_e32 v3, s27
	s_and_b32 s10, s47, 0xff
	v_add_co_u32_e32 v1, vcc, s26, v2
	s_cmp_lt_i32 s10, 11
	v_addc_co_u32_e32 v2, vcc, 0, v3, vcc
	s_cbranch_scc1 .LBB15_558
; %bb.552:
	s_and_b32 s11, 0xffff, s10
	s_cmp_gt_i32 s11, 25
	s_cbranch_scc0 .LBB15_559
; %bb.553:
	s_cmp_gt_i32 s11, 28
	s_cbranch_scc0 .LBB15_560
; %bb.554:
	;; [unrolled: 3-line block ×4, first 2 shown]
	s_cmp_eq_u32 s11, 46
	s_mov_b64 s[8:9], 0
	s_cbranch_scc0 .LBB15_567
; %bb.557:
	global_load_dword v3, v[1:2], off
	s_mov_b32 s0, 0x2f800000
	s_mov_b32 s1, 0xcf800000
	s_mov_b64 s[2:3], 0
	s_waitcnt vmcnt(0)
	v_lshlrev_b32_e32 v3, 16, v3
	v_trunc_f32_e32 v3, v3
	v_mul_f32_e64 v4, |v3|, s0
	v_floor_f32_e32 v4, v4
	v_fma_f32 v4, v4, s1, |v3|
	v_cvt_u32_f32_e32 v4, v4
	v_ashrrev_i32_e32 v3, 31, v3
	s_mov_b64 s[0:1], -1
	v_xor_b32_e32 v4, v4, v3
	v_sub_u32_e32 v3, v4, v3
	s_branch .LBB15_568
.LBB15_558:
	s_mov_b64 s[8:9], -1
	s_mov_b64 s[0:1], 0
                                        ; implicit-def: $vgpr3
	s_mov_b64 s[2:3], s[62:63]
	s_branch .LBB15_629
.LBB15_559:
	s_mov_b64 s[8:9], -1
	s_mov_b64 s[0:1], 0
	s_mov_b64 s[2:3], s[62:63]
                                        ; implicit-def: $vgpr3
	s_branch .LBB15_595
.LBB15_560:
	s_mov_b64 s[8:9], -1
	s_mov_b64 s[0:1], 0
	s_mov_b64 s[2:3], s[62:63]
                                        ; implicit-def: $vgpr3
	s_branch .LBB15_578
.LBB15_561:
	s_mov_b64 s[8:9], -1
	s_mov_b64 s[0:1], 0
	s_mov_b64 s[2:3], s[62:63]
                                        ; implicit-def: $vgpr3
	s_branch .LBB15_573
.LBB15_562:
	s_andn2_saveexec_b64 s[12:13], s[12:13]
	s_cbranch_execz .LBB15_335
.LBB15_563:
	v_add_f32_e32 v3, 0x46000000, v4
	v_and_b32_e32 v3, 0xff, v3
	v_cmp_ne_u32_e32 vcc, 0, v3
	s_andn2_b64 s[10:11], s[10:11], exec
	s_and_b64 s[16:17], vcc, exec
	s_or_b64 s[10:11], s[10:11], s[16:17]
	s_or_b64 exec, exec, s[12:13]
	v_mov_b32_e32 v5, 0
	s_and_saveexec_b64 s[12:13], s[10:11]
	s_cbranch_execnz .LBB15_336
	s_branch .LBB15_337
.LBB15_564:
	s_mov_b64 s[8:9], -1
	s_mov_b64 s[0:1], 0
	s_mov_b64 s[2:3], s[62:63]
                                        ; implicit-def: $vgpr3
	s_branch .LBB15_568
.LBB15_565:
	s_andn2_saveexec_b64 s[12:13], s[12:13]
	s_cbranch_execz .LBB15_348
.LBB15_566:
	v_add_f32_e32 v3, 0x42800000, v4
	v_and_b32_e32 v3, 0xff, v3
	v_cmp_ne_u32_e32 vcc, 0, v3
	s_andn2_b64 s[10:11], s[10:11], exec
	s_and_b64 s[16:17], vcc, exec
	s_or_b64 s[10:11], s[10:11], s[16:17]
	s_or_b64 exec, exec, s[12:13]
	v_mov_b32_e32 v5, 0
	s_and_saveexec_b64 s[12:13], s[10:11]
	s_cbranch_execnz .LBB15_349
	s_branch .LBB15_350
.LBB15_567:
	s_mov_b64 s[2:3], -1
                                        ; implicit-def: $vgpr3
	s_mov_b64 s[0:1], 0
.LBB15_568:
	s_and_b64 vcc, exec, s[8:9]
	s_cbranch_vccz .LBB15_572
; %bb.569:
	s_cmp_eq_u32 s11, 44
	s_cbranch_scc0 .LBB15_571
; %bb.570:
	global_load_ubyte v3, v[1:2], off
	s_mov_b32 s0, 0x2f800000
	s_mov_b32 s1, 0xcf800000
	s_mov_b64 s[2:3], 0
	s_waitcnt vmcnt(0)
	v_lshlrev_b32_e32 v4, 23, v3
	v_trunc_f32_e32 v4, v4
	v_mul_f32_e64 v5, |v4|, s0
	v_floor_f32_e32 v5, v5
	v_fma_f32 v5, v5, s1, |v4|
	v_cvt_u32_f32_e32 v5, v5
	v_ashrrev_i32_e32 v4, 31, v4
	v_cmp_ne_u32_e32 vcc, 0, v3
	s_mov_b64 s[0:1], -1
	v_xor_b32_e32 v5, v5, v4
	v_sub_u32_e32 v4, v5, v4
	v_cndmask_b32_e32 v3, 0, v4, vcc
	s_branch .LBB15_572
.LBB15_571:
	s_mov_b64 s[2:3], -1
                                        ; implicit-def: $vgpr3
.LBB15_572:
	s_mov_b64 s[8:9], 0
.LBB15_573:
	s_and_b64 vcc, exec, s[8:9]
	s_cbranch_vccz .LBB15_577
; %bb.574:
	s_cmp_eq_u32 s11, 29
	s_cbranch_scc0 .LBB15_576
; %bb.575:
	global_load_dwordx2 v[3:4], v[1:2], off
	s_mov_b64 s[0:1], -1
	s_mov_b64 s[2:3], 0
	s_branch .LBB15_577
.LBB15_576:
	s_mov_b64 s[2:3], -1
                                        ; implicit-def: $vgpr3
.LBB15_577:
	s_mov_b64 s[8:9], 0
.LBB15_578:
	s_and_b64 vcc, exec, s[8:9]
	s_cbranch_vccz .LBB15_594
; %bb.579:
	s_cmp_lt_i32 s11, 27
	s_cbranch_scc1 .LBB15_582
; %bb.580:
	s_cmp_gt_i32 s11, 27
	s_cbranch_scc0 .LBB15_583
; %bb.581:
	global_load_dword v3, v[1:2], off
	s_mov_b64 s[0:1], 0
	s_branch .LBB15_584
.LBB15_582:
	s_mov_b64 s[0:1], -1
                                        ; implicit-def: $vgpr3
	s_branch .LBB15_587
.LBB15_583:
	s_mov_b64 s[0:1], -1
                                        ; implicit-def: $vgpr3
.LBB15_584:
	s_andn2_b64 vcc, exec, s[0:1]
	s_cbranch_vccnz .LBB15_586
; %bb.585:
	global_load_ushort v3, v[1:2], off
.LBB15_586:
	s_mov_b64 s[0:1], 0
.LBB15_587:
	s_andn2_b64 vcc, exec, s[0:1]
	s_cbranch_vccnz .LBB15_593
; %bb.588:
	global_load_ubyte v4, v[1:2], off
	s_movk_i32 s0, 0x7f
	s_mov_b64 s[8:9], 0
	s_waitcnt vmcnt(0)
	v_cmp_lt_i16_e32 vcc, s0, v4
	s_and_saveexec_b64 s[0:1], vcc
	s_xor_b64 s[0:1], exec, s[0:1]
	s_cbranch_execz .LBB15_605
; %bb.589:
	s_movk_i32 s8, 0x80
	v_cmp_ne_u16_e32 vcc, s8, v4
	s_and_b64 s[8:9], vcc, exec
	s_andn2_saveexec_b64 s[0:1], s[0:1]
	s_cbranch_execnz .LBB15_606
.LBB15_590:
	s_or_b64 exec, exec, s[0:1]
	v_mov_b32_e32 v3, 0
	s_and_saveexec_b64 s[0:1], s[8:9]
	s_cbranch_execz .LBB15_592
.LBB15_591:
	v_lshlrev_b32_e32 v3, 24, v4
	v_and_b32_e32 v4, 0xffff, v4
	v_and_b32_e32 v5, 7, v4
	v_ffbh_u32_e32 v7, v5
	v_min_u32_e32 v7, 32, v7
	v_subrev_u32_e32 v8, 28, v7
	v_bfe_u32 v6, v4, 3, 4
	v_lshlrev_b32_e32 v4, v8, v4
	v_sub_u32_e32 v7, 29, v7
	v_and_b32_e32 v4, 7, v4
	v_cmp_eq_u32_e32 vcc, 0, v6
	v_cndmask_b32_e32 v6, v6, v7, vcc
	v_cndmask_b32_e32 v4, v5, v4, vcc
	v_mov_b32_e32 v5, 0x3b800000
	v_lshlrev_b32_e32 v4, 20, v4
	v_and_b32_e32 v3, 0x80000000, v3
	v_lshl_add_u32 v5, v6, 23, v5
	v_or3_b32 v3, v3, v5, v4
	v_trunc_f32_e32 v3, v3
	s_mov_b32 s8, 0x2f800000
	v_mul_f32_e64 v4, |v3|, s8
	v_floor_f32_e32 v4, v4
	s_mov_b32 s8, 0xcf800000
	v_fma_f32 v4, v4, s8, |v3|
	v_cvt_u32_f32_e32 v4, v4
	v_ashrrev_i32_e32 v3, 31, v3
	v_xor_b32_e32 v4, v4, v3
	v_sub_u32_e32 v3, v4, v3
.LBB15_592:
	s_or_b64 exec, exec, s[0:1]
.LBB15_593:
	s_mov_b64 s[0:1], -1
.LBB15_594:
	s_mov_b64 s[8:9], 0
.LBB15_595:
	s_and_b64 vcc, exec, s[8:9]
	s_cbranch_vccz .LBB15_628
; %bb.596:
	s_cmp_gt_i32 s11, 22
	s_cbranch_scc0 .LBB15_604
; %bb.597:
	s_cmp_lt_i32 s11, 24
	s_cbranch_scc1 .LBB15_607
; %bb.598:
	s_cmp_gt_i32 s11, 24
	s_cbranch_scc0 .LBB15_608
; %bb.599:
	global_load_ubyte v4, v[1:2], off
	s_movk_i32 s0, 0x7f
	s_mov_b64 s[8:9], 0
	s_waitcnt vmcnt(0)
	v_cmp_lt_i16_e32 vcc, s0, v4
	s_and_saveexec_b64 s[0:1], vcc
	s_xor_b64 s[0:1], exec, s[0:1]
	s_cbranch_execz .LBB15_620
; %bb.600:
	s_movk_i32 s8, 0x80
	v_cmp_ne_u16_e32 vcc, s8, v4
	s_and_b64 s[8:9], vcc, exec
	s_andn2_saveexec_b64 s[0:1], s[0:1]
	s_cbranch_execnz .LBB15_621
.LBB15_601:
	s_or_b64 exec, exec, s[0:1]
	v_mov_b32_e32 v3, 0
	s_and_saveexec_b64 s[0:1], s[8:9]
	s_cbranch_execz .LBB15_603
.LBB15_602:
	v_lshlrev_b32_e32 v3, 24, v4
	v_and_b32_e32 v4, 0xffff, v4
	v_and_b32_e32 v5, 3, v4
	v_ffbh_u32_e32 v7, v5
	v_min_u32_e32 v7, 32, v7
	v_subrev_u32_e32 v8, 29, v7
	v_bfe_u32 v6, v4, 2, 5
	v_lshlrev_b32_e32 v4, v8, v4
	v_sub_u32_e32 v7, 30, v7
	v_and_b32_e32 v4, 3, v4
	v_cmp_eq_u32_e32 vcc, 0, v6
	v_cndmask_b32_e32 v6, v6, v7, vcc
	v_cndmask_b32_e32 v4, v5, v4, vcc
	v_mov_b32_e32 v5, 0x37800000
	v_lshlrev_b32_e32 v4, 21, v4
	v_and_b32_e32 v3, 0x80000000, v3
	v_lshl_add_u32 v5, v6, 23, v5
	v_or3_b32 v3, v3, v5, v4
	v_trunc_f32_e32 v3, v3
	s_mov_b32 s8, 0x2f800000
	v_mul_f32_e64 v4, |v3|, s8
	v_floor_f32_e32 v4, v4
	s_mov_b32 s8, 0xcf800000
	v_fma_f32 v4, v4, s8, |v3|
	v_cvt_u32_f32_e32 v4, v4
	v_ashrrev_i32_e32 v3, 31, v3
	v_xor_b32_e32 v4, v4, v3
	v_sub_u32_e32 v3, v4, v3
.LBB15_603:
	s_or_b64 exec, exec, s[0:1]
	s_mov_b64 s[0:1], 0
	s_branch .LBB15_609
.LBB15_604:
	s_mov_b64 s[8:9], -1
                                        ; implicit-def: $vgpr3
	s_branch .LBB15_615
.LBB15_605:
	s_andn2_saveexec_b64 s[0:1], s[0:1]
	s_cbranch_execz .LBB15_590
.LBB15_606:
	v_cmp_ne_u16_e32 vcc, 0, v4
	s_andn2_b64 s[8:9], s[8:9], exec
	s_and_b64 s[12:13], vcc, exec
	s_or_b64 s[8:9], s[8:9], s[12:13]
	s_or_b64 exec, exec, s[0:1]
	v_mov_b32_e32 v3, 0
	s_and_saveexec_b64 s[0:1], s[8:9]
	s_cbranch_execnz .LBB15_591
	s_branch .LBB15_592
.LBB15_607:
	s_mov_b64 s[0:1], -1
                                        ; implicit-def: $vgpr3
	s_branch .LBB15_612
.LBB15_608:
	s_mov_b64 s[0:1], -1
                                        ; implicit-def: $vgpr3
.LBB15_609:
	s_and_b64 vcc, exec, s[0:1]
	s_cbranch_vccz .LBB15_611
; %bb.610:
	global_load_ubyte v3, v[1:2], off
	s_mov_b32 s0, 0x7f800000
	s_brev_b32 s1, 1
	s_mov_b32 s8, 0x2f800000
	s_waitcnt vmcnt(0)
	v_lshlrev_b32_e32 v3, 24, v3
	v_and_b32_e32 v4, 0x7f000000, v3
	v_ffbh_u32_e32 v5, v4
	v_min_u32_e32 v5, 32, v5
	v_sub_u32_e64 v5, v5, 4 clamp
	v_lshlrev_b32_e32 v7, v5, v4
	v_lshlrev_b32_e32 v5, 23, v5
	v_lshrrev_b32_e32 v7, 4, v7
	v_add_u32_e32 v6, 0x1000000, v4
	v_sub_u32_e32 v5, v7, v5
	v_ashrrev_i32_e32 v6, 8, v6
	v_add_u32_e32 v5, 0x3c000000, v5
	v_and_or_b32 v5, v6, s0, v5
	v_cmp_ne_u32_e32 vcc, 0, v4
	v_cndmask_b32_e32 v4, 0, v5, vcc
	v_and_or_b32 v3, v3, s1, v4
	v_trunc_f32_e32 v3, v3
	v_mul_f32_e64 v4, |v3|, s8
	v_floor_f32_e32 v4, v4
	s_mov_b32 s0, 0xcf800000
	v_fma_f32 v4, v4, s0, |v3|
	v_cvt_u32_f32_e32 v4, v4
	v_ashrrev_i32_e32 v3, 31, v3
	v_xor_b32_e32 v4, v4, v3
	v_sub_u32_e32 v3, v4, v3
.LBB15_611:
	s_mov_b64 s[0:1], 0
.LBB15_612:
	s_andn2_b64 vcc, exec, s[0:1]
	s_cbranch_vccnz .LBB15_614
; %bb.613:
	global_load_ubyte v3, v[1:2], off
	s_movk_i32 s0, 0x7f00
	s_brev_b32 s1, 16
	s_brev_b32 s8, 1
	s_mov_b32 s9, 0x2f800000
	s_waitcnt vmcnt(0)
	v_lshlrev_b16_e32 v4, 8, v3
	v_lshlrev_b32_e32 v3, 25, v3
	v_lshrrev_b32_e32 v5, 4, v3
	v_and_or_b32 v6, v4, s0, 0.5
	v_or_b32_e32 v5, 0x70000000, v5
	v_add_f32_e32 v6, -0.5, v6
	v_mul_f32_e32 v5, 0x7800000, v5
	v_cmp_gt_u32_e32 vcc, s1, v3
	v_bfe_i32 v4, v4, 0, 16
	v_cndmask_b32_e32 v3, v5, v6, vcc
	v_and_or_b32 v3, v4, s8, v3
	v_trunc_f32_e32 v3, v3
	v_mul_f32_e64 v4, |v3|, s9
	v_floor_f32_e32 v4, v4
	s_mov_b32 s0, 0xcf800000
	v_fma_f32 v4, v4, s0, |v3|
	v_cvt_u32_f32_e32 v4, v4
	v_ashrrev_i32_e32 v3, 31, v3
	v_xor_b32_e32 v4, v4, v3
	v_sub_u32_e32 v3, v4, v3
.LBB15_614:
	s_mov_b64 s[8:9], 0
	s_mov_b64 s[0:1], -1
.LBB15_615:
	s_andn2_b64 vcc, exec, s[8:9]
	s_cbranch_vccnz .LBB15_628
; %bb.616:
	s_cmp_gt_i32 s11, 14
	s_cbranch_scc0 .LBB15_619
; %bb.617:
	s_cmp_eq_u32 s11, 15
	s_cbranch_scc0 .LBB15_622
; %bb.618:
	global_load_ushort v3, v[1:2], off
	s_mov_b32 s0, 0x2f800000
	s_mov_b32 s1, 0xcf800000
	s_mov_b64 s[2:3], 0
	s_waitcnt vmcnt(0)
	v_lshlrev_b32_e32 v3, 16, v3
	v_trunc_f32_e32 v3, v3
	v_mul_f32_e64 v4, |v3|, s0
	v_floor_f32_e32 v4, v4
	v_fma_f32 v4, v4, s1, |v3|
	v_cvt_u32_f32_e32 v4, v4
	v_ashrrev_i32_e32 v3, 31, v3
	s_mov_b64 s[0:1], -1
	v_xor_b32_e32 v4, v4, v3
	v_sub_u32_e32 v3, v4, v3
	s_branch .LBB15_623
.LBB15_619:
	s_mov_b64 s[8:9], -1
                                        ; implicit-def: $vgpr3
	s_branch .LBB15_624
.LBB15_620:
	s_andn2_saveexec_b64 s[0:1], s[0:1]
	s_cbranch_execz .LBB15_601
.LBB15_621:
	v_cmp_ne_u16_e32 vcc, 0, v4
	s_andn2_b64 s[8:9], s[8:9], exec
	s_and_b64 s[12:13], vcc, exec
	s_or_b64 s[8:9], s[8:9], s[12:13]
	s_or_b64 exec, exec, s[0:1]
	v_mov_b32_e32 v3, 0
	s_and_saveexec_b64 s[0:1], s[8:9]
	s_cbranch_execnz .LBB15_602
	s_branch .LBB15_603
.LBB15_622:
	s_mov_b64 s[2:3], -1
                                        ; implicit-def: $vgpr3
.LBB15_623:
	s_mov_b64 s[8:9], 0
.LBB15_624:
	s_and_b64 vcc, exec, s[8:9]
	s_cbranch_vccz .LBB15_628
; %bb.625:
	s_cmp_eq_u32 s11, 11
	s_cbranch_scc0 .LBB15_627
; %bb.626:
	global_load_ubyte v3, v[1:2], off
	s_mov_b64 s[0:1], -1
	s_mov_b64 s[2:3], 0
	s_waitcnt vmcnt(0)
	v_cmp_ne_u16_e32 vcc, 0, v3
	v_cndmask_b32_e64 v3, 0, 1, vcc
	s_branch .LBB15_628
.LBB15_627:
	s_mov_b64 s[2:3], -1
                                        ; implicit-def: $vgpr3
.LBB15_628:
	s_mov_b64 s[8:9], 0
.LBB15_629:
	s_and_b64 vcc, exec, s[8:9]
	s_cbranch_vccz .LBB15_678
; %bb.630:
	s_and_b32 s8, 0xffff, s10
	s_cmp_lt_i32 s8, 5
	s_cbranch_scc1 .LBB15_635
; %bb.631:
	s_cmp_lt_i32 s8, 8
	s_cbranch_scc1 .LBB15_636
; %bb.632:
	;; [unrolled: 3-line block ×3, first 2 shown]
	s_cmp_gt_i32 s8, 9
	s_cbranch_scc0 .LBB15_638
; %bb.634:
	global_load_dwordx2 v[3:4], v[1:2], off
	s_movk_i32 s0, 0xffe0
	s_waitcnt vmcnt(0)
	v_trunc_f64_e32 v[3:4], v[3:4]
	v_ldexp_f64 v[5:6], v[3:4], s0
	s_mov_b32 s0, 0
	s_mov_b32 s1, 0xc1f00000
	v_floor_f64_e32 v[5:6], v[5:6]
	v_fma_f64 v[3:4], v[5:6], s[0:1], v[3:4]
	s_mov_b64 s[0:1], 0
	v_cvt_u32_f64_e32 v3, v[3:4]
	s_branch .LBB15_639
.LBB15_635:
	s_mov_b64 s[0:1], -1
                                        ; implicit-def: $vgpr3
	s_branch .LBB15_657
.LBB15_636:
	s_mov_b64 s[0:1], -1
                                        ; implicit-def: $vgpr3
	s_branch .LBB15_645
.LBB15_637:
	s_mov_b64 s[0:1], -1
                                        ; implicit-def: $vgpr3
	s_branch .LBB15_642
.LBB15_638:
	s_mov_b64 s[0:1], -1
                                        ; implicit-def: $vgpr3
.LBB15_639:
	s_andn2_b64 vcc, exec, s[0:1]
	s_cbranch_vccnz .LBB15_641
; %bb.640:
	global_load_dword v3, v[1:2], off
	s_mov_b32 s0, 0x2f800000
	s_waitcnt vmcnt(0)
	v_trunc_f32_e32 v3, v3
	v_mul_f32_e64 v4, |v3|, s0
	v_floor_f32_e32 v4, v4
	s_mov_b32 s0, 0xcf800000
	v_fma_f32 v4, v4, s0, |v3|
	v_cvt_u32_f32_e32 v4, v4
	v_ashrrev_i32_e32 v3, 31, v3
	v_xor_b32_e32 v4, v4, v3
	v_sub_u32_e32 v3, v4, v3
.LBB15_641:
	s_mov_b64 s[0:1], 0
.LBB15_642:
	s_andn2_b64 vcc, exec, s[0:1]
	s_cbranch_vccnz .LBB15_644
; %bb.643:
	global_load_dword v3, v[1:2], off
	s_waitcnt vmcnt(0)
	v_cvt_f32_f16_e32 v3, v3
	v_cvt_i32_f32_e32 v3, v3
.LBB15_644:
	s_mov_b64 s[0:1], 0
.LBB15_645:
	s_andn2_b64 vcc, exec, s[0:1]
	s_cbranch_vccnz .LBB15_656
; %bb.646:
	s_cmp_lt_i32 s8, 6
	s_cbranch_scc1 .LBB15_649
; %bb.647:
	s_cmp_gt_i32 s8, 6
	s_cbranch_scc0 .LBB15_650
; %bb.648:
	global_load_dwordx2 v[3:4], v[1:2], off
	s_movk_i32 s0, 0xffe0
	s_waitcnt vmcnt(0)
	v_trunc_f64_e32 v[3:4], v[3:4]
	v_ldexp_f64 v[5:6], v[3:4], s0
	s_mov_b32 s0, 0
	s_mov_b32 s1, 0xc1f00000
	v_floor_f64_e32 v[5:6], v[5:6]
	v_fma_f64 v[3:4], v[5:6], s[0:1], v[3:4]
	s_mov_b64 s[0:1], 0
	v_cvt_u32_f64_e32 v3, v[3:4]
	s_branch .LBB15_651
.LBB15_649:
	s_mov_b64 s[0:1], -1
                                        ; implicit-def: $vgpr3
	s_branch .LBB15_654
.LBB15_650:
	s_mov_b64 s[0:1], -1
                                        ; implicit-def: $vgpr3
.LBB15_651:
	s_andn2_b64 vcc, exec, s[0:1]
	s_cbranch_vccnz .LBB15_653
; %bb.652:
	global_load_dword v3, v[1:2], off
	s_mov_b32 s0, 0x2f800000
	s_waitcnt vmcnt(0)
	v_trunc_f32_e32 v3, v3
	v_mul_f32_e64 v4, |v3|, s0
	v_floor_f32_e32 v4, v4
	s_mov_b32 s0, 0xcf800000
	v_fma_f32 v4, v4, s0, |v3|
	v_cvt_u32_f32_e32 v4, v4
	v_ashrrev_i32_e32 v3, 31, v3
	v_xor_b32_e32 v4, v4, v3
	v_sub_u32_e32 v3, v4, v3
.LBB15_653:
	s_mov_b64 s[0:1], 0
.LBB15_654:
	s_andn2_b64 vcc, exec, s[0:1]
	s_cbranch_vccnz .LBB15_656
; %bb.655:
	global_load_ushort v3, v[1:2], off
	s_waitcnt vmcnt(0)
	v_cvt_f32_f16_e32 v3, v3
	v_cvt_i32_f32_e32 v3, v3
.LBB15_656:
	s_mov_b64 s[0:1], 0
.LBB15_657:
	s_andn2_b64 vcc, exec, s[0:1]
	s_cbranch_vccnz .LBB15_677
; %bb.658:
	s_cmp_lt_i32 s8, 2
	s_cbranch_scc1 .LBB15_662
; %bb.659:
	s_cmp_lt_i32 s8, 3
	s_cbranch_scc1 .LBB15_663
; %bb.660:
	s_cmp_gt_i32 s8, 3
	s_cbranch_scc0 .LBB15_664
; %bb.661:
	global_load_dwordx2 v[3:4], v[1:2], off
	s_mov_b64 s[0:1], 0
	s_branch .LBB15_665
.LBB15_662:
	s_mov_b64 s[0:1], -1
                                        ; implicit-def: $vgpr3
	s_branch .LBB15_671
.LBB15_663:
	s_mov_b64 s[0:1], -1
                                        ; implicit-def: $vgpr3
	s_branch .LBB15_668
.LBB15_664:
	s_mov_b64 s[0:1], -1
                                        ; implicit-def: $vgpr3
.LBB15_665:
	s_andn2_b64 vcc, exec, s[0:1]
	s_cbranch_vccnz .LBB15_667
; %bb.666:
	global_load_dword v3, v[1:2], off
.LBB15_667:
	s_mov_b64 s[0:1], 0
.LBB15_668:
	s_andn2_b64 vcc, exec, s[0:1]
	s_cbranch_vccnz .LBB15_670
; %bb.669:
	global_load_ushort v3, v[1:2], off
.LBB15_670:
	s_mov_b64 s[0:1], 0
.LBB15_671:
	s_andn2_b64 vcc, exec, s[0:1]
	s_cbranch_vccnz .LBB15_677
; %bb.672:
	s_cmp_gt_i32 s8, 0
	s_cbranch_scc0 .LBB15_674
; %bb.673:
	global_load_ubyte v3, v[1:2], off
	s_mov_b64 s[0:1], 0
	s_branch .LBB15_675
.LBB15_674:
	s_mov_b64 s[0:1], -1
                                        ; implicit-def: $vgpr3
.LBB15_675:
	s_andn2_b64 vcc, exec, s[0:1]
	s_cbranch_vccnz .LBB15_677
; %bb.676:
	global_load_ubyte v3, v[1:2], off
.LBB15_677:
	s_mov_b64 s[0:1], -1
.LBB15_678:
	s_andn2_b64 vcc, exec, s[0:1]
	s_cbranch_vccnz .LBB15_686
; %bb.679:
	s_and_b32 s0, s46, 0xff
	v_mov_b32_e32 v1, s77
	v_mov_b32_e32 v2, s78
	s_waitcnt vmcnt(0)
	v_cmp_gt_u16_sdwa vcc, v3, s0 src0_sel:BYTE_0 src1_sel:DWORD
	v_cndmask_b32_e32 v2, v1, v2, vcc
	v_mov_b32_e32 v1, s25
	s_and_b32 s14, s44, 0xff
	v_add_co_u32_e32 v0, vcc, s24, v0
	s_cmp_lt_i32 s14, 11
	v_addc_co_u32_e32 v1, vcc, 0, v1, vcc
	s_cbranch_scc1 .LBB15_687
; %bb.680:
	s_and_b32 s15, 0xffff, s14
	s_cmp_gt_i32 s15, 25
	s_cbranch_scc0 .LBB15_688
; %bb.681:
	s_cmp_gt_i32 s15, 28
	s_cbranch_scc0 .LBB15_689
; %bb.682:
	;; [unrolled: 3-line block ×4, first 2 shown]
	s_mov_b64 s[10:11], 0
	s_mov_b64 s[0:1], -1
	s_cmp_eq_u32 s15, 46
	s_mov_b64 s[8:9], 0
	s_cbranch_scc0 .LBB15_692
; %bb.685:
	v_cvt_f32_ubyte0_e32 v3, v2
	v_bfe_u32 v4, v3, 16, 1
	s_movk_i32 s0, 0x7fff
	v_add3_u32 v3, v3, v4, s0
	v_lshrrev_b32_e32 v3, 16, v3
	global_store_dword v[0:1], v3, off
	s_mov_b64 s[8:9], -1
	s_mov_b64 s[0:1], 0
	s_branch .LBB15_692
.LBB15_686:
	s_mov_b64 s[8:9], 0
	s_mov_b64 s[0:1], s[64:65]
	s_branch .LBB15_803
.LBB15_687:
	s_mov_b64 s[10:11], -1
	s_mov_b64 s[8:9], 0
	s_mov_b64 s[0:1], s[64:65]
	s_branch .LBB15_761
.LBB15_688:
	s_mov_b64 s[10:11], -1
	s_mov_b64 s[8:9], 0
	s_mov_b64 s[0:1], s[64:65]
	s_branch .LBB15_719
.LBB15_689:
	s_mov_b64 s[10:11], -1
	s_mov_b64 s[8:9], 0
	s_mov_b64 s[0:1], s[64:65]
	s_branch .LBB15_702
.LBB15_690:
	s_mov_b64 s[10:11], -1
	s_mov_b64 s[8:9], 0
	s_mov_b64 s[0:1], s[64:65]
	s_branch .LBB15_698
.LBB15_691:
	s_mov_b64 s[10:11], -1
	s_mov_b64 s[8:9], 0
	s_mov_b64 s[0:1], s[64:65]
.LBB15_692:
	s_and_b64 vcc, exec, s[10:11]
	s_cbranch_vccz .LBB15_697
; %bb.693:
	s_cmp_eq_u32 s15, 44
	s_mov_b64 s[0:1], -1
	s_cbranch_scc0 .LBB15_697
; %bb.694:
	v_cvt_f32_ubyte0_e32 v4, v2
	v_lshrrev_b32_e32 v3, 23, v4
	s_movk_i32 s0, 0xff
	v_cmp_ne_u32_e32 vcc, s0, v3
	v_mov_b32_e32 v5, 0xff
	s_and_saveexec_b64 s[8:9], vcc
; %bb.695:
	s_mov_b32 s0, 0x3fffff
	v_and_b32_e32 v5, 0x400000, v4
	v_and_or_b32 v4, v4, s0, v3
	v_cmp_ne_u32_e32 vcc, 0, v5
	v_cmp_ne_u32_e64 s[0:1], 0, v4
	s_and_b64 s[0:1], vcc, s[0:1]
	v_cndmask_b32_e64 v4, 0, 1, s[0:1]
	v_add_u32_e32 v5, v3, v4
; %bb.696:
	s_or_b64 exec, exec, s[8:9]
	s_mov_b64 s[8:9], -1
	s_mov_b64 s[0:1], 0
	global_store_byte v[0:1], v5, off
.LBB15_697:
	s_mov_b64 s[10:11], 0
.LBB15_698:
	s_and_b64 vcc, exec, s[10:11]
	s_cbranch_vccz .LBB15_701
; %bb.699:
	s_cmp_eq_u32 s15, 29
	s_mov_b64 s[0:1], -1
	s_cbranch_scc0 .LBB15_701
; %bb.700:
	v_and_b32_e32 v3, 0xff, v2
	v_mov_b32_e32 v4, 0
	global_store_dwordx2 v[0:1], v[3:4], off
	s_mov_b64 s[8:9], -1
	s_mov_b64 s[0:1], 0
.LBB15_701:
	s_mov_b64 s[10:11], 0
.LBB15_702:
	s_and_b64 vcc, exec, s[10:11]
	s_cbranch_vccz .LBB15_718
; %bb.703:
	s_cmp_lt_i32 s15, 27
	s_mov_b64 s[8:9], -1
	s_cbranch_scc1 .LBB15_709
; %bb.704:
	s_cmp_gt_i32 s15, 27
	s_cbranch_scc0 .LBB15_706
; %bb.705:
	v_and_b32_e32 v3, 0xff, v2
	s_mov_b64 s[8:9], 0
	global_store_dword v[0:1], v3, off
.LBB15_706:
	s_andn2_b64 vcc, exec, s[8:9]
	s_cbranch_vccnz .LBB15_708
; %bb.707:
	v_and_b32_e32 v3, 0xff, v2
	global_store_short v[0:1], v3, off
.LBB15_708:
	s_mov_b64 s[8:9], 0
.LBB15_709:
	s_andn2_b64 vcc, exec, s[8:9]
	s_cbranch_vccnz .LBB15_717
; %bb.710:
	v_cvt_f32_ubyte0_e32 v4, v2
	s_mov_b32 s8, 0x43800000
	v_cmp_gt_u32_e32 vcc, s8, v4
	v_mov_b32_e32 v5, 0x80
	s_and_saveexec_b64 s[8:9], vcc
	s_cbranch_execz .LBB15_716
; %bb.711:
	s_mov_b32 s10, 0x3bffffff
	v_cmp_lt_u32_e32 vcc, s10, v4
	s_mov_b64 s[10:11], 0
                                        ; implicit-def: $vgpr3
	s_and_saveexec_b64 s[12:13], vcc
	s_xor_b64 s[12:13], exec, s[12:13]
	s_cbranch_execz .LBB15_833
; %bb.712:
	v_bfe_u32 v3, v4, 20, 1
	s_mov_b32 s16, 0x487ffff
	v_add3_u32 v3, v4, v3, s16
	s_mov_b64 s[10:11], exec
	v_lshrrev_b32_e32 v3, 20, v3
                                        ; implicit-def: $vgpr4
	s_andn2_saveexec_b64 s[12:13], s[12:13]
	s_cbranch_execnz .LBB15_834
.LBB15_713:
	s_or_b64 exec, exec, s[12:13]
	v_mov_b32_e32 v5, 0
	s_and_saveexec_b64 s[12:13], s[10:11]
.LBB15_714:
	v_mov_b32_e32 v5, v3
.LBB15_715:
	s_or_b64 exec, exec, s[12:13]
.LBB15_716:
	s_or_b64 exec, exec, s[8:9]
	global_store_byte v[0:1], v5, off
.LBB15_717:
	s_mov_b64 s[8:9], -1
.LBB15_718:
	s_mov_b64 s[10:11], 0
.LBB15_719:
	s_and_b64 vcc, exec, s[10:11]
	s_cbranch_vccz .LBB15_760
; %bb.720:
	s_cmp_gt_i32 s15, 22
	s_mov_b64 s[10:11], -1
	s_cbranch_scc0 .LBB15_752
; %bb.721:
	s_cmp_lt_i32 s15, 24
	s_mov_b64 s[8:9], -1
	s_cbranch_scc1 .LBB15_741
; %bb.722:
	s_cmp_gt_i32 s15, 24
	s_cbranch_scc0 .LBB15_730
; %bb.723:
	v_cvt_f32_ubyte0_e32 v4, v2
	s_mov_b32 s8, 0x47800000
	v_cmp_gt_u32_e32 vcc, s8, v4
	v_mov_b32_e32 v5, 0x80
	s_and_saveexec_b64 s[8:9], vcc
	s_cbranch_execz .LBB15_729
; %bb.724:
	s_mov_b32 s10, 0x37ffffff
	v_cmp_lt_u32_e32 vcc, s10, v4
	s_mov_b64 s[10:11], 0
                                        ; implicit-def: $vgpr3
	s_and_saveexec_b64 s[12:13], vcc
	s_xor_b64 s[12:13], exec, s[12:13]
	s_cbranch_execz .LBB15_836
; %bb.725:
	v_bfe_u32 v3, v4, 21, 1
	s_mov_b32 s16, 0x88fffff
	v_add3_u32 v3, v4, v3, s16
	s_mov_b64 s[10:11], exec
	v_lshrrev_b32_e32 v3, 21, v3
                                        ; implicit-def: $vgpr4
	s_andn2_saveexec_b64 s[12:13], s[12:13]
	s_cbranch_execnz .LBB15_837
.LBB15_726:
	s_or_b64 exec, exec, s[12:13]
	v_mov_b32_e32 v5, 0
	s_and_saveexec_b64 s[12:13], s[10:11]
.LBB15_727:
	v_mov_b32_e32 v5, v3
.LBB15_728:
	s_or_b64 exec, exec, s[12:13]
.LBB15_729:
	s_or_b64 exec, exec, s[8:9]
	s_mov_b64 s[8:9], 0
	global_store_byte v[0:1], v5, off
.LBB15_730:
	s_and_b64 vcc, exec, s[8:9]
	s_cbranch_vccz .LBB15_740
; %bb.731:
	v_cvt_f32_ubyte0_e32 v3, v2
	s_mov_b32 s8, 0x43f00000
	v_cmp_gt_u32_e32 vcc, s8, v3
                                        ; implicit-def: $vgpr4
	s_and_saveexec_b64 s[8:9], vcc
	s_xor_b64 s[8:9], exec, s[8:9]
	s_cbranch_execz .LBB15_737
; %bb.732:
	s_mov_b32 s10, 0x3c7fffff
	v_cmp_lt_u32_e32 vcc, s10, v3
                                        ; implicit-def: $vgpr4
	s_and_saveexec_b64 s[10:11], vcc
	s_xor_b64 s[10:11], exec, s[10:11]
; %bb.733:
	v_bfe_u32 v4, v3, 20, 1
	s_mov_b32 s12, 0x407ffff
	v_add3_u32 v3, v3, v4, s12
	v_lshrrev_b32_e32 v4, 20, v3
	v_and_b32_e32 v3, 0xff00000, v3
	s_mov_b32 s12, 0x7f00000
	v_mov_b32_e32 v5, 0x7e
	v_cmp_ne_u32_e32 vcc, s12, v3
	v_cndmask_b32_e32 v4, v5, v4, vcc
                                        ; implicit-def: $vgpr3
; %bb.734:
	s_andn2_saveexec_b64 s[10:11], s[10:11]
; %bb.735:
	v_add_f32_e32 v4, 0x46800000, v3
; %bb.736:
	s_or_b64 exec, exec, s[10:11]
                                        ; implicit-def: $vgpr3
.LBB15_737:
	s_andn2_saveexec_b64 s[8:9], s[8:9]
; %bb.738:
	s_mov_b32 s10, 0x7f800000
	v_mov_b32_e32 v4, 0x7e
	v_mov_b32_e32 v5, 0x7f
	v_cmp_lt_u32_e32 vcc, s10, v3
	v_cndmask_b32_e32 v4, v4, v5, vcc
; %bb.739:
	s_or_b64 exec, exec, s[8:9]
	global_store_byte v[0:1], v4, off
.LBB15_740:
	s_mov_b64 s[8:9], 0
.LBB15_741:
	s_andn2_b64 vcc, exec, s[8:9]
	s_cbranch_vccnz .LBB15_751
; %bb.742:
	v_cvt_f32_ubyte0_e32 v3, v2
	s_mov_b32 s8, 0x47800000
	v_cmp_gt_u32_e32 vcc, s8, v3
                                        ; implicit-def: $vgpr4
	s_and_saveexec_b64 s[8:9], vcc
	s_xor_b64 s[8:9], exec, s[8:9]
	s_cbranch_execz .LBB15_748
; %bb.743:
	s_mov_b32 s10, 0x387fffff
	v_cmp_lt_u32_e32 vcc, s10, v3
                                        ; implicit-def: $vgpr4
	s_and_saveexec_b64 s[10:11], vcc
	s_xor_b64 s[10:11], exec, s[10:11]
; %bb.744:
	v_bfe_u32 v4, v3, 21, 1
	s_mov_b32 s12, 0x80fffff
	v_add3_u32 v3, v3, v4, s12
	v_lshrrev_b32_e32 v4, 21, v3
                                        ; implicit-def: $vgpr3
; %bb.745:
	s_andn2_saveexec_b64 s[10:11], s[10:11]
; %bb.746:
	v_add_f32_e32 v4, 0x43000000, v3
; %bb.747:
	s_or_b64 exec, exec, s[10:11]
                                        ; implicit-def: $vgpr3
.LBB15_748:
	s_andn2_saveexec_b64 s[8:9], s[8:9]
; %bb.749:
	s_mov_b32 s10, 0x7f800000
	v_mov_b32_e32 v4, 0x7c
	v_mov_b32_e32 v5, 0x7f
	v_cmp_lt_u32_e32 vcc, s10, v3
	v_cndmask_b32_e32 v4, v4, v5, vcc
; %bb.750:
	s_or_b64 exec, exec, s[8:9]
	global_store_byte v[0:1], v4, off
.LBB15_751:
	s_mov_b64 s[10:11], 0
	s_mov_b64 s[8:9], -1
.LBB15_752:
	s_andn2_b64 vcc, exec, s[10:11]
	s_cbranch_vccnz .LBB15_760
; %bb.753:
	s_cmp_gt_i32 s15, 14
	s_mov_b64 s[10:11], -1
	s_cbranch_scc0 .LBB15_757
; %bb.754:
	s_cmp_eq_u32 s15, 15
	s_mov_b64 s[0:1], -1
	s_cbranch_scc0 .LBB15_756
; %bb.755:
	v_cvt_f32_ubyte0_e32 v3, v2
	v_bfe_u32 v4, v3, 16, 1
	s_movk_i32 s0, 0x7fff
	v_add3_u32 v3, v3, v4, s0
	global_store_short_d16_hi v[0:1], v3, off
	s_mov_b64 s[8:9], -1
	s_mov_b64 s[0:1], 0
.LBB15_756:
	s_mov_b64 s[10:11], 0
.LBB15_757:
	s_and_b64 vcc, exec, s[10:11]
	s_cbranch_vccz .LBB15_760
; %bb.758:
	s_cmp_eq_u32 s15, 11
	s_mov_b64 s[0:1], -1
	s_cbranch_scc0 .LBB15_760
; %bb.759:
	v_mov_b32_e32 v3, 0
	v_cmp_ne_u16_sdwa s[0:1], v2, v3 src0_sel:BYTE_0 src1_sel:DWORD
	v_cndmask_b32_e64 v3, 0, 1, s[0:1]
	s_mov_b64 s[8:9], -1
	s_mov_b64 s[0:1], 0
	global_store_byte v[0:1], v3, off
.LBB15_760:
	s_mov_b64 s[10:11], 0
.LBB15_761:
	s_and_b64 vcc, exec, s[10:11]
	s_cbranch_vccz .LBB15_800
; %bb.762:
	s_and_b32 s10, 0xffff, s14
	s_cmp_lt_i32 s10, 5
	s_mov_b64 s[8:9], -1
	s_cbranch_scc1 .LBB15_783
; %bb.763:
	s_cmp_lt_i32 s10, 8
	s_cbranch_scc1 .LBB15_773
; %bb.764:
	s_cmp_lt_i32 s10, 9
	s_cbranch_scc1 .LBB15_770
; %bb.765:
	s_cmp_gt_i32 s10, 9
	s_cbranch_scc0 .LBB15_767
; %bb.766:
	s_mov_b32 s8, 0xffff
	v_and_b32_sdwa v3, s8, v2 dst_sel:DWORD dst_unused:UNUSED_PAD src0_sel:DWORD src1_sel:BYTE_0
	v_cvt_f64_u32_e32 v[3:4], v3
	v_mov_b32_e32 v5, 0
	v_mov_b32_e32 v6, v5
	s_mov_b64 s[8:9], 0
	global_store_dwordx4 v[0:1], v[3:6], off
.LBB15_767:
	s_andn2_b64 vcc, exec, s[8:9]
	s_cbranch_vccnz .LBB15_769
; %bb.768:
	v_cvt_f32_ubyte0_e32 v3, v2
	v_mov_b32_e32 v4, 0
	global_store_dwordx2 v[0:1], v[3:4], off
.LBB15_769:
	s_mov_b64 s[8:9], 0
.LBB15_770:
	s_andn2_b64 vcc, exec, s[8:9]
	s_cbranch_vccnz .LBB15_772
; %bb.771:
	v_cvt_f16_u16_sdwa v3, v2 dst_sel:DWORD dst_unused:UNUSED_PAD src0_sel:BYTE_0
	global_store_dword v[0:1], v3, off
.LBB15_772:
	s_mov_b64 s[8:9], 0
.LBB15_773:
	s_andn2_b64 vcc, exec, s[8:9]
	s_cbranch_vccnz .LBB15_782
; %bb.774:
	s_cmp_lt_i32 s10, 6
	s_mov_b64 s[8:9], -1
	s_cbranch_scc1 .LBB15_780
; %bb.775:
	s_cmp_gt_i32 s10, 6
	s_cbranch_scc0 .LBB15_777
; %bb.776:
	s_mov_b32 s8, 0xffff
	v_and_b32_sdwa v3, s8, v2 dst_sel:DWORD dst_unused:UNUSED_PAD src0_sel:DWORD src1_sel:BYTE_0
	v_cvt_f64_u32_e32 v[3:4], v3
	s_mov_b64 s[8:9], 0
	global_store_dwordx2 v[0:1], v[3:4], off
.LBB15_777:
	s_andn2_b64 vcc, exec, s[8:9]
	s_cbranch_vccnz .LBB15_779
; %bb.778:
	v_cvt_f32_ubyte0_e32 v3, v2
	global_store_dword v[0:1], v3, off
.LBB15_779:
	s_mov_b64 s[8:9], 0
.LBB15_780:
	s_andn2_b64 vcc, exec, s[8:9]
	s_cbranch_vccnz .LBB15_782
; %bb.781:
	v_cvt_f16_u16_sdwa v3, v2 dst_sel:DWORD dst_unused:UNUSED_PAD src0_sel:BYTE_0
	global_store_short v[0:1], v3, off
.LBB15_782:
	s_mov_b64 s[8:9], 0
.LBB15_783:
	s_andn2_b64 vcc, exec, s[8:9]
	s_cbranch_vccnz .LBB15_799
; %bb.784:
	s_cmp_lt_i32 s10, 2
	s_mov_b64 s[8:9], -1
	s_cbranch_scc1 .LBB15_794
; %bb.785:
	s_cmp_lt_i32 s10, 3
	s_cbranch_scc1 .LBB15_791
; %bb.786:
	s_cmp_gt_i32 s10, 3
	s_cbranch_scc0 .LBB15_788
; %bb.787:
	v_and_b32_e32 v3, 0xff, v2
	v_mov_b32_e32 v4, 0
	s_mov_b64 s[8:9], 0
	global_store_dwordx2 v[0:1], v[3:4], off
.LBB15_788:
	s_andn2_b64 vcc, exec, s[8:9]
	s_cbranch_vccnz .LBB15_790
; %bb.789:
	v_and_b32_e32 v3, 0xff, v2
	global_store_dword v[0:1], v3, off
.LBB15_790:
	s_mov_b64 s[8:9], 0
.LBB15_791:
	s_andn2_b64 vcc, exec, s[8:9]
	s_cbranch_vccnz .LBB15_793
; %bb.792:
	v_and_b32_e32 v3, 0xff, v2
	global_store_short v[0:1], v3, off
.LBB15_793:
	s_mov_b64 s[8:9], 0
.LBB15_794:
	s_andn2_b64 vcc, exec, s[8:9]
	s_cbranch_vccnz .LBB15_799
; %bb.795:
	s_cmp_gt_i32 s10, 0
	s_mov_b64 s[8:9], -1
	s_cbranch_scc0 .LBB15_797
; %bb.796:
	s_mov_b64 s[8:9], 0
	global_store_byte v[0:1], v2, off
.LBB15_797:
	s_andn2_b64 vcc, exec, s[8:9]
	s_cbranch_vccnz .LBB15_799
; %bb.798:
	global_store_byte v[0:1], v2, off
.LBB15_799:
	s_mov_b64 s[8:9], -1
.LBB15_800:
	s_andn2_b64 vcc, exec, s[8:9]
	s_cbranch_vccnz .LBB15_802
; %bb.801:
	v_add_u32_e32 v11, 0x80, v11
	s_mov_b64 s[8:9], -1
	s_branch .LBB15_804
.LBB15_802:
	s_mov_b64 s[8:9], 0
.LBB15_803:
                                        ; implicit-def: $vgpr11
.LBB15_804:
	s_andn2_b64 s[10:11], s[64:65], exec
	s_and_b64 s[0:1], s[0:1], exec
	s_or_b64 s[72:73], s[10:11], s[0:1]
	s_andn2_b64 s[0:1], s[62:63], exec
	s_and_b64 s[2:3], s[2:3], exec
	s_or_b64 s[70:71], s[0:1], s[2:3]
	s_orn2_b64 s[2:3], s[8:9], exec
.LBB15_805:
	s_or_b64 exec, exec, s[68:69]
	s_mov_b64 s[0:1], 0
	s_mov_b64 s[8:9], 0
	;; [unrolled: 1-line block ×3, first 2 shown]
                                        ; implicit-def: $sgpr14
                                        ; implicit-def: $vgpr1_vgpr2
                                        ; implicit-def: $vgpr0
                                        ; implicit-def: $vgpr3
	s_and_saveexec_b64 s[68:69], s[2:3]
	s_cbranch_execz .LBB15_900
; %bb.806:
	v_cmp_gt_i32_e32 vcc, s74, v11
	s_mov_b64 s[2:3], 0
	s_mov_b64 s[12:13], s[70:71]
                                        ; implicit-def: $sgpr14
                                        ; implicit-def: $vgpr1_vgpr2
                                        ; implicit-def: $vgpr0
                                        ; implicit-def: $vgpr3
	s_and_saveexec_b64 s[74:75], vcc
	s_cbranch_execz .LBB15_899
; %bb.807:
	s_andn2_b64 vcc, exec, s[40:41]
	s_cbranch_vccnz .LBB15_812
; %bb.808:
	s_andn2_b64 vcc, exec, s[54:55]
	s_cbranch_vccnz .LBB15_813
; %bb.809:
	s_add_i32 s79, s79, 1
	s_cmp_eq_u32 s76, 2
	s_cbranch_scc1 .LBB15_814
; %bb.810:
	s_and_b32 s45, s79, 28
	v_mov_b32_e32 v2, 0
	s_mov_b32 s80, 0
	s_mov_b64 s[54:55], s[34:35]
	v_mov_b32_e32 v0, 0
	v_mov_b32_e32 v1, v11
.LBB15_811:                             ; =>This Inner Loop Header: Depth=1
	s_load_dwordx8 s[16:23], s[54:55], 0x4
	s_load_dwordx4 s[0:3], s[54:55], 0x24
	s_load_dwordx8 s[8:15], s[52:53], 0x0
	s_add_u32 s54, s54, 48
	s_addc_u32 s55, s55, 0
	s_waitcnt vmcnt(0) lgkmcnt(0)
	v_mul_hi_u32 v3, s17, v1
	s_add_i32 s80, s80, 4
	s_add_u32 s52, s52, 32
	s_addc_u32 s53, s53, 0
	v_add_u32_e32 v3, v1, v3
	v_lshrrev_b32_e32 v3, s18, v3
	v_mul_lo_u32 v4, v3, s16
	v_mul_hi_u32 v5, s20, v3
	s_cmp_eq_u32 s45, s80
	v_sub_u32_e32 v1, v1, v4
	v_add_u32_e32 v4, v3, v5
	v_mul_lo_u32 v5, v1, s8
	v_mul_lo_u32 v6, v1, s9
	v_lshrrev_b32_e32 v1, s21, v4
	v_mul_lo_u32 v4, v1, s19
	v_mul_hi_u32 v7, s23, v1
	v_sub_u32_e32 v3, v3, v4
	v_add_u32_e32 v4, v1, v7
	v_lshrrev_b32_e32 v4, s0, v4
	v_mul_hi_u32 v8, s2, v4
	v_mul_lo_u32 v9, v4, s22
	v_mul_lo_u32 v7, v3, s10
	;; [unrolled: 1-line block ×3, first 2 shown]
	v_sub_u32_e32 v9, v1, v9
	v_add_u32_e32 v1, v4, v8
	v_lshrrev_b32_e32 v1, s3, v1
	v_mul_lo_u32 v8, v1, s1
	v_mul_lo_u32 v10, v9, s12
	;; [unrolled: 1-line block ×3, first 2 shown]
	v_add3_u32 v0, v5, v0, v7
	v_sub_u32_e32 v4, v4, v8
	v_mul_lo_u32 v8, v4, s14
	v_mul_lo_u32 v4, v4, s15
	v_add3_u32 v2, v6, v2, v3
	v_add3_u32 v0, v10, v0, v8
	;; [unrolled: 1-line block ×3, first 2 shown]
	s_cbranch_scc0 .LBB15_811
	s_branch .LBB15_815
.LBB15_812:
	s_mov_b64 s[0:1], -1
                                        ; implicit-def: $vgpr0
                                        ; implicit-def: $vgpr2
	s_branch .LBB15_819
.LBB15_813:
	v_mov_b32_e32 v0, 0
	v_mov_b32_e32 v2, 0
	s_branch .LBB15_818
.LBB15_814:
	s_mov_b32 s45, 0
	v_mov_b32_e32 v0, 0
	v_mov_b32_e32 v2, 0
	;; [unrolled: 1-line block ×3, first 2 shown]
.LBB15_815:
	s_and_b32 s8, s79, 3
	s_cmp_eq_u32 s8, 0
	s_cbranch_scc1 .LBB15_818
; %bb.816:
	s_lshl_b32 s0, s45, 3
	s_add_u32 s0, s34, s0
	s_addc_u32 s1, s35, 0
	s_add_u32 s0, s0, 0xc4
	s_addc_u32 s1, s1, 0
	s_mul_i32 s2, s45, 12
	s_add_u32 s2, s34, s2
	s_addc_u32 s3, s35, 0
.LBB15_817:                             ; =>This Inner Loop Header: Depth=1
	s_load_dwordx2 s[10:11], s[2:3], 0x4
	s_load_dword s9, s[2:3], 0xc
	s_load_dwordx2 s[12:13], s[0:1], 0x0
	s_add_u32 s2, s2, 12
	s_addc_u32 s3, s3, 0
	s_waitcnt vmcnt(0) lgkmcnt(0)
	v_mul_hi_u32 v3, s11, v1
	s_add_u32 s0, s0, 8
	s_addc_u32 s1, s1, 0
	s_add_i32 s8, s8, -1
	v_add_u32_e32 v3, v1, v3
	v_lshrrev_b32_e32 v4, s9, v3
	v_mul_lo_u32 v3, v4, s10
	s_cmp_lg_u32 s8, 0
	v_sub_u32_e32 v3, v1, v3
	v_mad_u64_u32 v[0:1], s[10:11], v3, s12, v[0:1]
	v_mad_u64_u32 v[2:3], s[10:11], v3, s13, v[2:3]
	v_mov_b32_e32 v1, v4
	s_cbranch_scc1 .LBB15_817
.LBB15_818:
	s_mov_b64 s[0:1], 0
.LBB15_819:
	s_andn2_b64 vcc, exec, s[0:1]
	s_cbranch_vccnz .LBB15_822
; %bb.820:
	v_mul_hi_u32 v0, s29, v11
	s_andn2_b64 vcc, exec, s[50:51]
	v_add_u32_e32 v0, v11, v0
	v_lshrrev_b32_e32 v1, s30, v0
	v_mul_lo_u32 v0, v1, s28
	v_sub_u32_e32 v2, v11, v0
	v_mul_lo_u32 v0, v2, s36
	v_mul_lo_u32 v2, v2, s37
	s_cbranch_vccnz .LBB15_822
; %bb.821:
	s_waitcnt vmcnt(0)
	v_mul_hi_u32 v3, s48, v1
	v_add_u32_e32 v3, v1, v3
	v_lshrrev_b32_e32 v3, s49, v3
	v_mul_lo_u32 v3, v3, s31
	v_sub_u32_e32 v3, v1, v3
	v_mad_u64_u32 v[0:1], s[0:1], v3, s38, v[0:1]
	v_mad_u64_u32 v[2:3], s[0:1], v3, s39, v[2:3]
.LBB15_822:
	s_waitcnt vmcnt(0)
	v_mov_b32_e32 v3, s27
	s_and_b32 s14, s47, 0xff
	v_add_co_u32_e32 v1, vcc, s26, v2
	s_cmp_lt_i32 s14, 11
	v_addc_co_u32_e32 v2, vcc, 0, v3, vcc
	s_cbranch_scc1 .LBB15_829
; %bb.823:
	s_and_b32 s12, 0xffff, s14
	s_cmp_gt_i32 s12, 25
	s_mov_b64 s[2:3], 0
	s_cbranch_scc0 .LBB15_830
; %bb.824:
	s_cmp_gt_i32 s12, 28
	s_cbranch_scc0 .LBB15_831
; %bb.825:
	s_cmp_gt_i32 s12, 43
	;; [unrolled: 3-line block ×3, first 2 shown]
	s_cbranch_scc0 .LBB15_835
; %bb.827:
	s_cmp_eq_u32 s12, 46
	s_mov_b64 s[10:11], 0
	s_cbranch_scc0 .LBB15_838
; %bb.828:
	global_load_dword v3, v[1:2], off
	s_mov_b32 s0, 0x2f800000
	s_mov_b32 s1, 0xcf800000
	s_mov_b64 s[8:9], -1
	s_waitcnt vmcnt(0)
	v_lshlrev_b32_e32 v3, 16, v3
	v_trunc_f32_e32 v3, v3
	v_mul_f32_e64 v4, |v3|, s0
	v_floor_f32_e32 v4, v4
	v_fma_f32 v4, v4, s1, |v3|
	v_cvt_u32_f32_e32 v4, v4
	v_ashrrev_i32_e32 v3, 31, v3
	s_mov_b64 s[0:1], 0
	v_xor_b32_e32 v4, v4, v3
	v_sub_u32_e32 v3, v4, v3
	s_branch .LBB15_839
.LBB15_829:
	s_mov_b64 s[12:13], -1
	s_mov_b64 s[8:9], 0
	s_mov_b64 s[2:3], 0
	;; [unrolled: 1-line block ×3, first 2 shown]
                                        ; implicit-def: $vgpr3
	s_branch .LBB15_898
.LBB15_830:
	s_mov_b64 s[10:11], -1
	s_mov_b64 s[8:9], 0
	s_mov_b64 s[0:1], s[70:71]
                                        ; implicit-def: $vgpr3
	s_branch .LBB15_866
.LBB15_831:
	s_mov_b64 s[10:11], -1
	s_mov_b64 s[8:9], 0
	s_mov_b64 s[0:1], s[70:71]
                                        ; implicit-def: $vgpr3
	s_branch .LBB15_849
.LBB15_832:
	s_mov_b64 s[10:11], -1
	s_mov_b64 s[8:9], 0
	s_mov_b64 s[0:1], s[70:71]
                                        ; implicit-def: $vgpr3
	s_branch .LBB15_844
.LBB15_833:
	s_andn2_saveexec_b64 s[12:13], s[12:13]
	s_cbranch_execz .LBB15_713
.LBB15_834:
	v_add_f32_e32 v3, 0x46000000, v4
	v_and_b32_e32 v3, 0xff, v3
	v_cmp_ne_u32_e32 vcc, 0, v3
	s_andn2_b64 s[10:11], s[10:11], exec
	s_and_b64 s[16:17], vcc, exec
	s_or_b64 s[10:11], s[10:11], s[16:17]
	s_or_b64 exec, exec, s[12:13]
	v_mov_b32_e32 v5, 0
	s_and_saveexec_b64 s[12:13], s[10:11]
	s_cbranch_execnz .LBB15_714
	s_branch .LBB15_715
.LBB15_835:
	s_mov_b64 s[10:11], -1
	s_mov_b64 s[8:9], 0
	s_mov_b64 s[0:1], s[70:71]
                                        ; implicit-def: $vgpr3
	s_branch .LBB15_839
.LBB15_836:
	s_andn2_saveexec_b64 s[12:13], s[12:13]
	s_cbranch_execz .LBB15_726
.LBB15_837:
	v_add_f32_e32 v3, 0x42800000, v4
	v_and_b32_e32 v3, 0xff, v3
	v_cmp_ne_u32_e32 vcc, 0, v3
	s_andn2_b64 s[10:11], s[10:11], exec
	s_and_b64 s[16:17], vcc, exec
	s_or_b64 s[10:11], s[10:11], s[16:17]
	s_or_b64 exec, exec, s[12:13]
	v_mov_b32_e32 v5, 0
	s_and_saveexec_b64 s[12:13], s[10:11]
	s_cbranch_execnz .LBB15_727
	s_branch .LBB15_728
.LBB15_838:
	s_mov_b64 s[0:1], -1
                                        ; implicit-def: $vgpr3
	s_mov_b64 s[8:9], 0
.LBB15_839:
	s_and_b64 vcc, exec, s[10:11]
	s_cbranch_vccz .LBB15_843
; %bb.840:
	s_cmp_eq_u32 s12, 44
	s_cbranch_scc0 .LBB15_842
; %bb.841:
	global_load_ubyte v3, v[1:2], off
	s_mov_b32 s0, 0x2f800000
	s_mov_b32 s1, 0xcf800000
	s_mov_b64 s[8:9], -1
	s_waitcnt vmcnt(0)
	v_lshlrev_b32_e32 v4, 23, v3
	v_trunc_f32_e32 v4, v4
	v_mul_f32_e64 v5, |v4|, s0
	v_floor_f32_e32 v5, v5
	v_fma_f32 v5, v5, s1, |v4|
	v_cvt_u32_f32_e32 v5, v5
	v_ashrrev_i32_e32 v4, 31, v4
	v_cmp_ne_u32_e32 vcc, 0, v3
	s_mov_b64 s[0:1], 0
	v_xor_b32_e32 v5, v5, v4
	v_sub_u32_e32 v4, v5, v4
	v_cndmask_b32_e32 v3, 0, v4, vcc
	s_branch .LBB15_843
.LBB15_842:
	s_mov_b64 s[0:1], -1
                                        ; implicit-def: $vgpr3
.LBB15_843:
	s_mov_b64 s[10:11], 0
.LBB15_844:
	s_and_b64 vcc, exec, s[10:11]
	s_cbranch_vccz .LBB15_848
; %bb.845:
	s_cmp_eq_u32 s12, 29
	s_cbranch_scc0 .LBB15_847
; %bb.846:
	global_load_dwordx2 v[3:4], v[1:2], off
	s_mov_b64 s[0:1], 0
	s_mov_b64 s[8:9], -1
	s_branch .LBB15_848
.LBB15_847:
	s_mov_b64 s[0:1], -1
                                        ; implicit-def: $vgpr3
.LBB15_848:
	s_mov_b64 s[10:11], 0
.LBB15_849:
	s_and_b64 vcc, exec, s[10:11]
	s_cbranch_vccz .LBB15_865
; %bb.850:
	s_cmp_lt_i32 s12, 27
	s_cbranch_scc1 .LBB15_853
; %bb.851:
	s_cmp_gt_i32 s12, 27
	s_cbranch_scc0 .LBB15_854
; %bb.852:
	global_load_dword v3, v[1:2], off
	s_mov_b64 s[8:9], 0
	s_branch .LBB15_855
.LBB15_853:
	s_mov_b64 s[8:9], -1
                                        ; implicit-def: $vgpr3
	s_branch .LBB15_858
.LBB15_854:
	s_mov_b64 s[8:9], -1
                                        ; implicit-def: $vgpr3
.LBB15_855:
	s_andn2_b64 vcc, exec, s[8:9]
	s_cbranch_vccnz .LBB15_857
; %bb.856:
	global_load_ushort v3, v[1:2], off
.LBB15_857:
	s_mov_b64 s[8:9], 0
.LBB15_858:
	s_andn2_b64 vcc, exec, s[8:9]
	s_cbranch_vccnz .LBB15_864
; %bb.859:
	global_load_ubyte v4, v[1:2], off
	s_movk_i32 s8, 0x7f
	s_mov_b64 s[10:11], 0
	s_waitcnt vmcnt(0)
	v_cmp_lt_i16_e32 vcc, s8, v4
	s_and_saveexec_b64 s[8:9], vcc
	s_xor_b64 s[8:9], exec, s[8:9]
	s_cbranch_execz .LBB15_876
; %bb.860:
	s_movk_i32 s10, 0x80
	v_cmp_ne_u16_e32 vcc, s10, v4
	s_and_b64 s[10:11], vcc, exec
	s_andn2_saveexec_b64 s[8:9], s[8:9]
	s_cbranch_execnz .LBB15_877
.LBB15_861:
	s_or_b64 exec, exec, s[8:9]
	v_mov_b32_e32 v3, 0
	s_and_saveexec_b64 s[8:9], s[10:11]
	s_cbranch_execz .LBB15_863
.LBB15_862:
	v_lshlrev_b32_e32 v3, 24, v4
	v_and_b32_e32 v4, 0xffff, v4
	v_and_b32_e32 v5, 7, v4
	v_ffbh_u32_e32 v7, v5
	v_min_u32_e32 v7, 32, v7
	v_subrev_u32_e32 v8, 28, v7
	v_bfe_u32 v6, v4, 3, 4
	v_lshlrev_b32_e32 v4, v8, v4
	v_sub_u32_e32 v7, 29, v7
	v_and_b32_e32 v4, 7, v4
	v_cmp_eq_u32_e32 vcc, 0, v6
	v_cndmask_b32_e32 v6, v6, v7, vcc
	v_cndmask_b32_e32 v4, v5, v4, vcc
	v_mov_b32_e32 v5, 0x3b800000
	v_lshlrev_b32_e32 v4, 20, v4
	v_and_b32_e32 v3, 0x80000000, v3
	v_lshl_add_u32 v5, v6, 23, v5
	v_or3_b32 v3, v3, v5, v4
	v_trunc_f32_e32 v3, v3
	s_mov_b32 s10, 0x2f800000
	v_mul_f32_e64 v4, |v3|, s10
	v_floor_f32_e32 v4, v4
	s_mov_b32 s10, 0xcf800000
	v_fma_f32 v4, v4, s10, |v3|
	v_cvt_u32_f32_e32 v4, v4
	v_ashrrev_i32_e32 v3, 31, v3
	v_xor_b32_e32 v4, v4, v3
	v_sub_u32_e32 v3, v4, v3
.LBB15_863:
	s_or_b64 exec, exec, s[8:9]
.LBB15_864:
	s_mov_b64 s[8:9], -1
.LBB15_865:
	s_mov_b64 s[10:11], 0
.LBB15_866:
	s_and_b64 vcc, exec, s[10:11]
	s_cbranch_vccz .LBB15_897
; %bb.867:
	s_cmp_gt_i32 s12, 22
	s_cbranch_scc0 .LBB15_875
; %bb.868:
	s_cmp_lt_i32 s12, 24
	s_cbranch_scc1 .LBB15_878
; %bb.869:
	s_cmp_gt_i32 s12, 24
	s_cbranch_scc0 .LBB15_879
; %bb.870:
	global_load_ubyte v4, v[1:2], off
	s_movk_i32 s2, 0x7f
	s_mov_b64 s[8:9], 0
	s_waitcnt vmcnt(0)
	v_cmp_lt_i16_e32 vcc, s2, v4
	s_and_saveexec_b64 s[2:3], vcc
	s_xor_b64 s[2:3], exec, s[2:3]
	s_cbranch_execz .LBB15_891
; %bb.871:
	s_movk_i32 s8, 0x80
	v_cmp_ne_u16_e32 vcc, s8, v4
	s_and_b64 s[8:9], vcc, exec
	s_andn2_saveexec_b64 s[2:3], s[2:3]
	s_cbranch_execnz .LBB15_892
.LBB15_872:
	s_or_b64 exec, exec, s[2:3]
	v_mov_b32_e32 v3, 0
	s_and_saveexec_b64 s[2:3], s[8:9]
	s_cbranch_execz .LBB15_874
.LBB15_873:
	v_lshlrev_b32_e32 v3, 24, v4
	v_and_b32_e32 v4, 0xffff, v4
	v_and_b32_e32 v5, 3, v4
	v_ffbh_u32_e32 v7, v5
	v_min_u32_e32 v7, 32, v7
	v_subrev_u32_e32 v8, 29, v7
	v_bfe_u32 v6, v4, 2, 5
	v_lshlrev_b32_e32 v4, v8, v4
	v_sub_u32_e32 v7, 30, v7
	v_and_b32_e32 v4, 3, v4
	v_cmp_eq_u32_e32 vcc, 0, v6
	v_cndmask_b32_e32 v6, v6, v7, vcc
	v_cndmask_b32_e32 v4, v5, v4, vcc
	v_mov_b32_e32 v5, 0x37800000
	v_lshlrev_b32_e32 v4, 21, v4
	v_and_b32_e32 v3, 0x80000000, v3
	v_lshl_add_u32 v5, v6, 23, v5
	v_or3_b32 v3, v3, v5, v4
	v_trunc_f32_e32 v3, v3
	s_mov_b32 s8, 0x2f800000
	v_mul_f32_e64 v4, |v3|, s8
	v_floor_f32_e32 v4, v4
	s_mov_b32 s8, 0xcf800000
	v_fma_f32 v4, v4, s8, |v3|
	v_cvt_u32_f32_e32 v4, v4
	v_ashrrev_i32_e32 v3, 31, v3
	v_xor_b32_e32 v4, v4, v3
	v_sub_u32_e32 v3, v4, v3
.LBB15_874:
	s_or_b64 exec, exec, s[2:3]
	s_mov_b64 s[2:3], 0
	s_branch .LBB15_880
.LBB15_875:
	s_mov_b64 s[2:3], -1
                                        ; implicit-def: $vgpr3
	s_branch .LBB15_886
.LBB15_876:
	s_andn2_saveexec_b64 s[8:9], s[8:9]
	s_cbranch_execz .LBB15_861
.LBB15_877:
	v_cmp_ne_u16_e32 vcc, 0, v4
	s_andn2_b64 s[10:11], s[10:11], exec
	s_and_b64 s[16:17], vcc, exec
	s_or_b64 s[10:11], s[10:11], s[16:17]
	s_or_b64 exec, exec, s[8:9]
	v_mov_b32_e32 v3, 0
	s_and_saveexec_b64 s[8:9], s[10:11]
	s_cbranch_execnz .LBB15_862
	s_branch .LBB15_863
.LBB15_878:
	s_mov_b64 s[2:3], -1
                                        ; implicit-def: $vgpr3
	s_branch .LBB15_883
.LBB15_879:
	s_mov_b64 s[2:3], -1
                                        ; implicit-def: $vgpr3
.LBB15_880:
	s_and_b64 vcc, exec, s[2:3]
	s_cbranch_vccz .LBB15_882
; %bb.881:
	global_load_ubyte v3, v[1:2], off
	s_mov_b32 s2, 0x7f800000
	s_brev_b32 s3, 1
	s_mov_b32 s8, 0x2f800000
	s_waitcnt vmcnt(0)
	v_lshlrev_b32_e32 v3, 24, v3
	v_and_b32_e32 v4, 0x7f000000, v3
	v_ffbh_u32_e32 v5, v4
	v_min_u32_e32 v5, 32, v5
	v_sub_u32_e64 v5, v5, 4 clamp
	v_lshlrev_b32_e32 v7, v5, v4
	v_lshlrev_b32_e32 v5, 23, v5
	v_lshrrev_b32_e32 v7, 4, v7
	v_add_u32_e32 v6, 0x1000000, v4
	v_sub_u32_e32 v5, v7, v5
	v_ashrrev_i32_e32 v6, 8, v6
	v_add_u32_e32 v5, 0x3c000000, v5
	v_and_or_b32 v5, v6, s2, v5
	v_cmp_ne_u32_e32 vcc, 0, v4
	v_cndmask_b32_e32 v4, 0, v5, vcc
	v_and_or_b32 v3, v3, s3, v4
	v_trunc_f32_e32 v3, v3
	v_mul_f32_e64 v4, |v3|, s8
	v_floor_f32_e32 v4, v4
	s_mov_b32 s2, 0xcf800000
	v_fma_f32 v4, v4, s2, |v3|
	v_cvt_u32_f32_e32 v4, v4
	v_ashrrev_i32_e32 v3, 31, v3
	v_xor_b32_e32 v4, v4, v3
	v_sub_u32_e32 v3, v4, v3
.LBB15_882:
	s_mov_b64 s[2:3], 0
.LBB15_883:
	s_andn2_b64 vcc, exec, s[2:3]
	s_cbranch_vccnz .LBB15_885
; %bb.884:
	global_load_ubyte v3, v[1:2], off
	s_movk_i32 s2, 0x7f00
	s_brev_b32 s3, 16
	s_brev_b32 s8, 1
	s_mov_b32 s9, 0x2f800000
	s_waitcnt vmcnt(0)
	v_lshlrev_b16_e32 v4, 8, v3
	v_lshlrev_b32_e32 v3, 25, v3
	v_lshrrev_b32_e32 v5, 4, v3
	v_and_or_b32 v6, v4, s2, 0.5
	v_or_b32_e32 v5, 0x70000000, v5
	v_add_f32_e32 v6, -0.5, v6
	v_mul_f32_e32 v5, 0x7800000, v5
	v_cmp_gt_u32_e32 vcc, s3, v3
	v_bfe_i32 v4, v4, 0, 16
	v_cndmask_b32_e32 v3, v5, v6, vcc
	v_and_or_b32 v3, v4, s8, v3
	v_trunc_f32_e32 v3, v3
	v_mul_f32_e64 v4, |v3|, s9
	v_floor_f32_e32 v4, v4
	s_mov_b32 s2, 0xcf800000
	v_fma_f32 v4, v4, s2, |v3|
	v_cvt_u32_f32_e32 v4, v4
	v_ashrrev_i32_e32 v3, 31, v3
	v_xor_b32_e32 v4, v4, v3
	v_sub_u32_e32 v3, v4, v3
.LBB15_885:
	s_mov_b64 s[2:3], 0
	s_mov_b64 s[8:9], -1
.LBB15_886:
	s_andn2_b64 vcc, exec, s[2:3]
	s_mov_b64 s[2:3], 0
	s_cbranch_vccnz .LBB15_897
; %bb.887:
	s_cmp_gt_i32 s12, 14
	s_cbranch_scc0 .LBB15_890
; %bb.888:
	s_cmp_eq_u32 s12, 15
	s_cbranch_scc0 .LBB15_893
; %bb.889:
	global_load_ushort v3, v[1:2], off
	s_mov_b32 s0, 0x2f800000
	s_mov_b32 s1, 0xcf800000
	s_mov_b64 s[8:9], -1
	s_waitcnt vmcnt(0)
	v_lshlrev_b32_e32 v3, 16, v3
	v_trunc_f32_e32 v3, v3
	v_mul_f32_e64 v4, |v3|, s0
	v_floor_f32_e32 v4, v4
	v_fma_f32 v4, v4, s1, |v3|
	v_cvt_u32_f32_e32 v4, v4
	v_ashrrev_i32_e32 v3, 31, v3
	s_mov_b64 s[0:1], 0
	v_xor_b32_e32 v4, v4, v3
	v_sub_u32_e32 v3, v4, v3
	s_branch .LBB15_894
.LBB15_890:
	s_mov_b64 s[10:11], -1
                                        ; implicit-def: $vgpr3
	s_branch .LBB15_895
.LBB15_891:
	s_andn2_saveexec_b64 s[2:3], s[2:3]
	s_cbranch_execz .LBB15_872
.LBB15_892:
	v_cmp_ne_u16_e32 vcc, 0, v4
	s_andn2_b64 s[8:9], s[8:9], exec
	s_and_b64 s[10:11], vcc, exec
	s_or_b64 s[8:9], s[8:9], s[10:11]
	s_or_b64 exec, exec, s[2:3]
	v_mov_b32_e32 v3, 0
	s_and_saveexec_b64 s[2:3], s[8:9]
	s_cbranch_execnz .LBB15_873
	s_branch .LBB15_874
.LBB15_893:
	s_mov_b64 s[0:1], -1
                                        ; implicit-def: $vgpr3
.LBB15_894:
	s_mov_b64 s[10:11], 0
.LBB15_895:
	s_and_b64 vcc, exec, s[10:11]
	s_cbranch_vccz .LBB15_897
; %bb.896:
	s_cmp_lg_u32 s12, 11
	s_cselect_b64 s[10:11], -1, 0
	s_andn2_b64 s[0:1], s[0:1], exec
	s_and_b64 s[10:11], s[10:11], exec
	s_mov_b64 s[2:3], -1
	s_or_b64 s[0:1], s[0:1], s[10:11]
.LBB15_897:
	s_mov_b64 s[12:13], 0
.LBB15_898:
	s_and_b64 s[10:11], s[8:9], exec
	s_and_b64 s[8:9], s[12:13], exec
	s_andn2_b64 s[12:13], s[70:71], exec
	s_and_b64 s[0:1], s[0:1], exec
	s_and_b64 s[2:3], s[2:3], exec
	s_or_b64 s[12:13], s[12:13], s[0:1]
.LBB15_899:
	s_or_b64 exec, exec, s[74:75]
	s_and_b64 s[0:1], s[2:3], exec
	s_andn2_b64 s[2:3], s[70:71], exec
	s_and_b64 s[12:13], s[12:13], exec
	s_and_b64 s[10:11], s[10:11], exec
	;; [unrolled: 1-line block ×3, first 2 shown]
	s_or_b64 s[70:71], s[2:3], s[12:13]
.LBB15_900:
	s_or_b64 exec, exec, s[68:69]
	s_andn2_b64 s[2:3], s[64:65], exec
	s_and_b64 s[12:13], s[72:73], exec
	s_or_b64 s[64:65], s[2:3], s[12:13]
	s_and_b64 s[2:3], s[0:1], exec
	s_andn2_b64 s[0:1], s[62:63], exec
	s_and_b64 s[12:13], s[70:71], exec
	s_and_b64 s[10:11], s[10:11], exec
	;; [unrolled: 1-line block ×3, first 2 shown]
	s_or_b64 s[62:63], s[0:1], s[12:13]
.LBB15_901:
	s_or_b64 exec, exec, s[66:67]
	s_andn2_b64 s[0:1], s[56:57], exec
	s_and_b64 s[12:13], s[64:65], exec
	s_or_b64 s[56:57], s[0:1], s[12:13]
	s_and_b64 s[0:1], s[10:11], exec
	s_and_b64 s[10:11], s[8:9], exec
	;; [unrolled: 1-line block ×3, first 2 shown]
	s_andn2_b64 s[2:3], s[58:59], exec
	s_and_b64 s[8:9], s[62:63], exec
	s_or_b64 s[58:59], s[2:3], s[8:9]
	s_or_b64 exec, exec, s[60:61]
	s_mov_b64 s[2:3], 0
	s_and_saveexec_b64 s[8:9], s[58:59]
	s_cbranch_execz .LBB15_270
.LBB15_902:
	s_mov_b64 s[2:3], exec
	s_andn2_b64 s[64:65], s[64:65], exec
	s_trap 2
	s_or_b64 exec, exec, s[8:9]
	s_and_saveexec_b64 s[8:9], s[64:65]
	s_xor_b64 s[8:9], exec, s[8:9]
	s_cbranch_execnz .LBB15_271
.LBB15_903:
	s_or_b64 exec, exec, s[8:9]
	s_and_saveexec_b64 s[8:9], s[10:11]
	s_cbranch_execz .LBB15_949
.LBB15_904:
	s_sext_i32_i16 s10, s14
	s_cmp_lt_i32 s10, 5
	s_cbranch_scc1 .LBB15_909
; %bb.905:
	s_cmp_lt_i32 s10, 8
	s_cbranch_scc1 .LBB15_910
; %bb.906:
	;; [unrolled: 3-line block ×3, first 2 shown]
	s_cmp_gt_i32 s10, 9
	s_cbranch_scc0 .LBB15_912
; %bb.908:
	global_load_dwordx2 v[3:4], v[1:2], off
	s_movk_i32 s10, 0xffe0
	s_waitcnt vmcnt(0)
	v_trunc_f64_e32 v[3:4], v[3:4]
	v_ldexp_f64 v[5:6], v[3:4], s10
	s_mov_b32 s10, 0
	s_mov_b32 s11, 0xc1f00000
	v_floor_f64_e32 v[5:6], v[5:6]
	v_fma_f64 v[3:4], v[5:6], s[10:11], v[3:4]
	s_mov_b64 s[10:11], 0
	v_cvt_u32_f64_e32 v3, v[3:4]
	s_branch .LBB15_913
.LBB15_909:
                                        ; implicit-def: $vgpr3
	s_branch .LBB15_930
.LBB15_910:
                                        ; implicit-def: $vgpr3
	s_branch .LBB15_919
.LBB15_911:
	s_mov_b64 s[10:11], -1
                                        ; implicit-def: $vgpr3
	s_branch .LBB15_916
.LBB15_912:
	s_mov_b64 s[10:11], -1
                                        ; implicit-def: $vgpr3
.LBB15_913:
	s_andn2_b64 vcc, exec, s[10:11]
	s_cbranch_vccnz .LBB15_915
; %bb.914:
	global_load_dword v3, v[1:2], off
	s_mov_b32 s10, 0x2f800000
	s_waitcnt vmcnt(0)
	v_trunc_f32_e32 v3, v3
	v_mul_f32_e64 v4, |v3|, s10
	v_floor_f32_e32 v4, v4
	s_mov_b32 s10, 0xcf800000
	v_fma_f32 v4, v4, s10, |v3|
	v_cvt_u32_f32_e32 v4, v4
	v_ashrrev_i32_e32 v3, 31, v3
	v_xor_b32_e32 v4, v4, v3
	v_sub_u32_e32 v3, v4, v3
.LBB15_915:
	s_mov_b64 s[10:11], 0
.LBB15_916:
	s_andn2_b64 vcc, exec, s[10:11]
	s_cbranch_vccnz .LBB15_918
; %bb.917:
	global_load_dword v3, v[1:2], off
	s_waitcnt vmcnt(0)
	v_cvt_f32_f16_e32 v3, v3
	v_cvt_i32_f32_e32 v3, v3
.LBB15_918:
	s_cbranch_execnz .LBB15_929
.LBB15_919:
	s_sext_i32_i16 s10, s14
	s_cmp_lt_i32 s10, 6
	s_cbranch_scc1 .LBB15_922
; %bb.920:
	s_cmp_gt_i32 s10, 6
	s_cbranch_scc0 .LBB15_923
; %bb.921:
	global_load_dwordx2 v[3:4], v[1:2], off
	s_movk_i32 s10, 0xffe0
	s_waitcnt vmcnt(0)
	v_trunc_f64_e32 v[3:4], v[3:4]
	v_ldexp_f64 v[5:6], v[3:4], s10
	s_mov_b32 s10, 0
	s_mov_b32 s11, 0xc1f00000
	v_floor_f64_e32 v[5:6], v[5:6]
	v_fma_f64 v[3:4], v[5:6], s[10:11], v[3:4]
	s_mov_b64 s[10:11], 0
	v_cvt_u32_f64_e32 v3, v[3:4]
	s_branch .LBB15_924
.LBB15_922:
	s_mov_b64 s[10:11], -1
                                        ; implicit-def: $vgpr3
	s_branch .LBB15_927
.LBB15_923:
	s_mov_b64 s[10:11], -1
                                        ; implicit-def: $vgpr3
.LBB15_924:
	s_andn2_b64 vcc, exec, s[10:11]
	s_cbranch_vccnz .LBB15_926
; %bb.925:
	global_load_dword v3, v[1:2], off
	s_mov_b32 s10, 0x2f800000
	s_waitcnt vmcnt(0)
	v_trunc_f32_e32 v3, v3
	v_mul_f32_e64 v4, |v3|, s10
	v_floor_f32_e32 v4, v4
	s_mov_b32 s10, 0xcf800000
	v_fma_f32 v4, v4, s10, |v3|
	v_cvt_u32_f32_e32 v4, v4
	v_ashrrev_i32_e32 v3, 31, v3
	v_xor_b32_e32 v4, v4, v3
	v_sub_u32_e32 v3, v4, v3
.LBB15_926:
	s_mov_b64 s[10:11], 0
.LBB15_927:
	s_andn2_b64 vcc, exec, s[10:11]
	s_cbranch_vccnz .LBB15_929
; %bb.928:
	global_load_ushort v3, v[1:2], off
	s_waitcnt vmcnt(0)
	v_cvt_f32_f16_e32 v3, v3
	v_cvt_i32_f32_e32 v3, v3
.LBB15_929:
	s_cbranch_execnz .LBB15_948
.LBB15_930:
	s_sext_i32_i16 s10, s14
	s_cmp_lt_i32 s10, 2
	s_cbranch_scc1 .LBB15_934
; %bb.931:
	s_cmp_lt_i32 s10, 3
	s_cbranch_scc1 .LBB15_935
; %bb.932:
	s_cmp_gt_i32 s10, 3
	s_cbranch_scc0 .LBB15_936
; %bb.933:
	global_load_dwordx2 v[3:4], v[1:2], off
	s_mov_b64 s[10:11], 0
	s_branch .LBB15_937
.LBB15_934:
                                        ; implicit-def: $vgpr3
	s_branch .LBB15_943
.LBB15_935:
	s_mov_b64 s[10:11], -1
                                        ; implicit-def: $vgpr3
	s_branch .LBB15_940
.LBB15_936:
	s_mov_b64 s[10:11], -1
                                        ; implicit-def: $vgpr3
.LBB15_937:
	s_andn2_b64 vcc, exec, s[10:11]
	s_cbranch_vccnz .LBB15_939
; %bb.938:
	global_load_dword v3, v[1:2], off
.LBB15_939:
	s_mov_b64 s[10:11], 0
.LBB15_940:
	s_andn2_b64 vcc, exec, s[10:11]
	s_cbranch_vccnz .LBB15_942
; %bb.941:
	global_load_ushort v3, v[1:2], off
.LBB15_942:
	s_cbranch_execnz .LBB15_948
.LBB15_943:
	s_sext_i32_i16 s10, s14
	s_cmp_gt_i32 s10, 0
	s_cbranch_scc0 .LBB15_945
; %bb.944:
	global_load_ubyte v3, v[1:2], off
	s_mov_b64 s[10:11], 0
	s_branch .LBB15_946
.LBB15_945:
	s_mov_b64 s[10:11], -1
                                        ; implicit-def: $vgpr3
.LBB15_946:
	s_andn2_b64 vcc, exec, s[10:11]
	s_cbranch_vccnz .LBB15_948
; %bb.947:
	global_load_ubyte v3, v[1:2], off
.LBB15_948:
	s_or_b64 s[0:1], s[0:1], exec
.LBB15_949:
	s_or_b64 exec, exec, s[8:9]
	s_mov_b64 s[12:13], 0
	s_mov_b64 s[10:11], 0
                                        ; implicit-def: $sgpr18
                                        ; implicit-def: $vgpr1_vgpr2
                                        ; implicit-def: $vgpr4
	s_and_saveexec_b64 s[8:9], s[0:1]
	s_cbranch_execz .LBB15_1024
; %bb.950:
	s_and_b32 s0, s46, 0xff
	v_mov_b32_e32 v1, s77
	v_mov_b32_e32 v2, s78
	s_waitcnt vmcnt(0)
	v_cmp_gt_u16_sdwa vcc, v3, s0 src0_sel:BYTE_0 src1_sel:DWORD
	v_cndmask_b32_e32 v4, v1, v2, vcc
	v_mov_b32_e32 v2, s25
	s_and_b32 s18, s44, 0xff
	v_add_co_u32_e32 v1, vcc, s24, v0
	s_cmp_lt_i32 s18, 11
	v_addc_co_u32_e32 v2, vcc, 0, v2, vcc
	s_cbranch_scc1 .LBB15_1027
; %bb.951:
	s_and_b32 s19, 0xffff, s18
	s_mov_b64 s[12:13], -1
	s_cmp_gt_i32 s19, 25
	s_mov_b64 s[0:1], s[56:57]
	s_cbranch_scc0 .LBB15_984
; %bb.952:
	s_mov_b64 s[10:11], -1
	s_cmp_gt_i32 s19, 28
	s_mov_b64 s[0:1], s[56:57]
	s_cbranch_scc0 .LBB15_968
; %bb.953:
	s_cmp_gt_i32 s19, 43
	s_mov_b64 s[0:1], s[56:57]
	s_cbranch_scc0 .LBB15_964
; %bb.954:
	;; [unrolled: 4-line block ×3, first 2 shown]
	s_cmp_eq_u32 s19, 46
	s_mov_b64 s[0:1], -1
	s_cbranch_scc0 .LBB15_957
; %bb.956:
	v_cvt_f32_ubyte0_e32 v0, v4
	v_bfe_u32 v3, v0, 16, 1
	s_movk_i32 s0, 0x7fff
	v_add3_u32 v0, v0, v3, s0
	v_lshrrev_b32_e32 v0, 16, v0
	global_store_dword v[1:2], v0, off
	s_mov_b64 s[0:1], 0
.LBB15_957:
	s_mov_b64 s[10:11], 0
.LBB15_958:
	s_and_b64 vcc, exec, s[10:11]
	s_cbranch_vccz .LBB15_963
; %bb.959:
	s_cmp_eq_u32 s19, 44
	s_mov_b64 s[0:1], -1
	s_cbranch_scc0 .LBB15_963
; %bb.960:
	v_cvt_f32_ubyte0_e32 v3, v4
	v_lshrrev_b32_e32 v0, 23, v3
	s_movk_i32 s0, 0xff
	v_cmp_ne_u32_e32 vcc, s0, v0
	v_mov_b32_e32 v5, 0xff
	s_and_saveexec_b64 s[10:11], vcc
; %bb.961:
	s_mov_b32 s0, 0x3fffff
	v_and_b32_e32 v5, 0x400000, v3
	v_and_or_b32 v3, v3, s0, v0
	v_cmp_ne_u32_e32 vcc, 0, v5
	v_cmp_ne_u32_e64 s[0:1], 0, v3
	s_and_b64 s[0:1], vcc, s[0:1]
	v_cndmask_b32_e64 v3, 0, 1, s[0:1]
	v_add_u32_e32 v5, v0, v3
; %bb.962:
	s_or_b64 exec, exec, s[10:11]
	s_mov_b64 s[0:1], 0
	global_store_byte v[1:2], v5, off
.LBB15_963:
	s_mov_b64 s[10:11], 0
.LBB15_964:
	s_and_b64 vcc, exec, s[10:11]
	s_cbranch_vccz .LBB15_967
; %bb.965:
	s_cmp_eq_u32 s19, 29
	s_mov_b64 s[0:1], -1
	s_cbranch_scc0 .LBB15_967
; %bb.966:
	v_and_b32_e32 v5, 0xff, v4
	v_mov_b32_e32 v6, 0
	global_store_dwordx2 v[1:2], v[5:6], off
	s_mov_b64 s[0:1], 0
.LBB15_967:
	s_mov_b64 s[10:11], 0
.LBB15_968:
	s_and_b64 vcc, exec, s[10:11]
	s_cbranch_vccz .LBB15_983
; %bb.969:
	s_cmp_lt_i32 s19, 27
	s_mov_b64 s[10:11], -1
	s_cbranch_scc1 .LBB15_975
; %bb.970:
	s_cmp_gt_i32 s19, 27
	s_cbranch_scc0 .LBB15_972
; %bb.971:
	v_and_b32_e32 v0, 0xff, v4
	s_mov_b64 s[10:11], 0
	global_store_dword v[1:2], v0, off
.LBB15_972:
	s_andn2_b64 vcc, exec, s[10:11]
	s_cbranch_vccnz .LBB15_974
; %bb.973:
	v_and_b32_e32 v0, 0xff, v4
	global_store_short v[1:2], v0, off
.LBB15_974:
	s_mov_b64 s[10:11], 0
.LBB15_975:
	s_andn2_b64 vcc, exec, s[10:11]
	s_cbranch_vccnz .LBB15_983
; %bb.976:
	v_cvt_f32_ubyte0_e32 v3, v4
	s_mov_b32 s10, 0x43800000
	v_cmp_gt_u32_e32 vcc, s10, v3
	v_mov_b32_e32 v5, 0x80
	s_and_saveexec_b64 s[10:11], vcc
	s_cbranch_execz .LBB15_982
; %bb.977:
	s_mov_b32 s12, 0x3bffffff
	v_cmp_lt_u32_e32 vcc, s12, v3
	s_mov_b64 s[12:13], 0
                                        ; implicit-def: $vgpr0
	s_and_saveexec_b64 s[14:15], vcc
	s_xor_b64 s[14:15], exec, s[14:15]
	s_cbranch_execz .LBB15_1140
; %bb.978:
	v_bfe_u32 v0, v3, 20, 1
	s_mov_b32 s16, 0x487ffff
	v_add3_u32 v0, v3, v0, s16
	s_mov_b64 s[12:13], exec
	v_lshrrev_b32_e32 v0, 20, v0
                                        ; implicit-def: $vgpr3
	s_andn2_saveexec_b64 s[14:15], s[14:15]
	s_cbranch_execnz .LBB15_1141
.LBB15_979:
	s_or_b64 exec, exec, s[14:15]
	v_mov_b32_e32 v5, 0
	s_and_saveexec_b64 s[14:15], s[12:13]
.LBB15_980:
	v_mov_b32_e32 v5, v0
.LBB15_981:
	s_or_b64 exec, exec, s[14:15]
.LBB15_982:
	s_or_b64 exec, exec, s[10:11]
	global_store_byte v[1:2], v5, off
.LBB15_983:
	s_mov_b64 s[12:13], 0
.LBB15_984:
	s_mov_b64 s[10:11], 0
	s_and_b64 vcc, exec, s[12:13]
	s_cbranch_vccz .LBB15_1028
; %bb.985:
	s_cmp_gt_i32 s19, 22
	s_mov_b64 s[12:13], -1
	s_cbranch_scc0 .LBB15_1017
; %bb.986:
	s_cmp_lt_i32 s19, 24
	s_cbranch_scc1 .LBB15_1006
; %bb.987:
	s_cmp_gt_i32 s19, 24
	s_cbranch_scc0 .LBB15_995
; %bb.988:
	v_cvt_f32_ubyte0_e32 v3, v4
	s_mov_b32 s12, 0x47800000
	v_cmp_gt_u32_e32 vcc, s12, v3
	v_mov_b32_e32 v5, 0x80
	s_and_saveexec_b64 s[12:13], vcc
	s_cbranch_execz .LBB15_994
; %bb.989:
	s_mov_b32 s14, 0x37ffffff
	v_cmp_lt_u32_e32 vcc, s14, v3
	s_mov_b64 s[14:15], 0
                                        ; implicit-def: $vgpr0
	s_and_saveexec_b64 s[16:17], vcc
	s_xor_b64 s[16:17], exec, s[16:17]
	s_cbranch_execz .LBB15_1260
; %bb.990:
	v_bfe_u32 v0, v3, 21, 1
	s_mov_b32 s20, 0x88fffff
	v_add3_u32 v0, v3, v0, s20
	s_mov_b64 s[14:15], exec
	v_lshrrev_b32_e32 v0, 21, v0
                                        ; implicit-def: $vgpr3
	s_andn2_saveexec_b64 s[16:17], s[16:17]
	s_cbranch_execnz .LBB15_1261
.LBB15_991:
	s_or_b64 exec, exec, s[16:17]
	v_mov_b32_e32 v5, 0
	s_and_saveexec_b64 s[16:17], s[14:15]
.LBB15_992:
	v_mov_b32_e32 v5, v0
.LBB15_993:
	s_or_b64 exec, exec, s[16:17]
.LBB15_994:
	s_or_b64 exec, exec, s[12:13]
	s_mov_b64 s[12:13], 0
	global_store_byte v[1:2], v5, off
.LBB15_995:
	s_and_b64 vcc, exec, s[12:13]
	s_cbranch_vccz .LBB15_1005
; %bb.996:
	v_cvt_f32_ubyte0_e32 v0, v4
	s_mov_b32 s12, 0x43f00000
	v_cmp_gt_u32_e32 vcc, s12, v0
                                        ; implicit-def: $vgpr3
	s_and_saveexec_b64 s[12:13], vcc
	s_xor_b64 s[12:13], exec, s[12:13]
	s_cbranch_execz .LBB15_1002
; %bb.997:
	s_mov_b32 s14, 0x3c7fffff
	v_cmp_lt_u32_e32 vcc, s14, v0
                                        ; implicit-def: $vgpr3
	s_and_saveexec_b64 s[14:15], vcc
	s_xor_b64 s[14:15], exec, s[14:15]
; %bb.998:
	v_bfe_u32 v3, v0, 20, 1
	s_mov_b32 s16, 0x407ffff
	v_add3_u32 v0, v0, v3, s16
	v_lshrrev_b32_e32 v3, 20, v0
	v_and_b32_e32 v0, 0xff00000, v0
	s_mov_b32 s16, 0x7f00000
	v_mov_b32_e32 v5, 0x7e
	v_cmp_ne_u32_e32 vcc, s16, v0
	v_cndmask_b32_e32 v3, v5, v3, vcc
                                        ; implicit-def: $vgpr0
; %bb.999:
	s_andn2_saveexec_b64 s[14:15], s[14:15]
; %bb.1000:
	v_add_f32_e32 v3, 0x46800000, v0
; %bb.1001:
	s_or_b64 exec, exec, s[14:15]
                                        ; implicit-def: $vgpr0
.LBB15_1002:
	s_andn2_saveexec_b64 s[12:13], s[12:13]
; %bb.1003:
	s_mov_b32 s14, 0x7f800000
	v_mov_b32_e32 v3, 0x7e
	v_mov_b32_e32 v5, 0x7f
	v_cmp_lt_u32_e32 vcc, s14, v0
	v_cndmask_b32_e32 v3, v3, v5, vcc
; %bb.1004:
	s_or_b64 exec, exec, s[12:13]
	global_store_byte v[1:2], v3, off
.LBB15_1005:
	s_mov_b64 s[12:13], 0
.LBB15_1006:
	s_andn2_b64 vcc, exec, s[12:13]
	s_cbranch_vccnz .LBB15_1016
; %bb.1007:
	v_cvt_f32_ubyte0_e32 v0, v4
	s_mov_b32 s12, 0x47800000
	v_cmp_gt_u32_e32 vcc, s12, v0
                                        ; implicit-def: $vgpr3
	s_and_saveexec_b64 s[12:13], vcc
	s_xor_b64 s[12:13], exec, s[12:13]
	s_cbranch_execz .LBB15_1013
; %bb.1008:
	s_mov_b32 s14, 0x387fffff
	v_cmp_lt_u32_e32 vcc, s14, v0
                                        ; implicit-def: $vgpr3
	s_and_saveexec_b64 s[14:15], vcc
	s_xor_b64 s[14:15], exec, s[14:15]
; %bb.1009:
	v_bfe_u32 v3, v0, 21, 1
	s_mov_b32 s16, 0x80fffff
	v_add3_u32 v0, v0, v3, s16
	v_lshrrev_b32_e32 v3, 21, v0
                                        ; implicit-def: $vgpr0
; %bb.1010:
	s_andn2_saveexec_b64 s[14:15], s[14:15]
; %bb.1011:
	v_add_f32_e32 v3, 0x43000000, v0
; %bb.1012:
	s_or_b64 exec, exec, s[14:15]
                                        ; implicit-def: $vgpr0
.LBB15_1013:
	s_andn2_saveexec_b64 s[12:13], s[12:13]
; %bb.1014:
	s_mov_b32 s14, 0x7f800000
	v_mov_b32_e32 v3, 0x7c
	v_mov_b32_e32 v5, 0x7f
	v_cmp_lt_u32_e32 vcc, s14, v0
	v_cndmask_b32_e32 v3, v3, v5, vcc
; %bb.1015:
	s_or_b64 exec, exec, s[12:13]
	global_store_byte v[1:2], v3, off
.LBB15_1016:
	s_mov_b64 s[12:13], 0
.LBB15_1017:
	s_andn2_b64 vcc, exec, s[12:13]
	s_mov_b64 s[12:13], 0
	s_cbranch_vccnz .LBB15_1029
; %bb.1018:
	s_cmp_gt_i32 s19, 14
	s_mov_b64 s[14:15], -1
	s_cbranch_scc0 .LBB15_1022
; %bb.1019:
	s_cmp_eq_u32 s19, 15
	s_mov_b64 s[0:1], -1
	s_cbranch_scc0 .LBB15_1021
; %bb.1020:
	v_cvt_f32_ubyte0_e32 v0, v4
	v_bfe_u32 v3, v0, 16, 1
	s_movk_i32 s0, 0x7fff
	v_add3_u32 v0, v0, v3, s0
	global_store_short_d16_hi v[1:2], v0, off
	s_mov_b64 s[0:1], 0
.LBB15_1021:
	s_mov_b64 s[14:15], 0
.LBB15_1022:
	s_and_b64 vcc, exec, s[14:15]
	s_cbranch_vccz .LBB15_1029
; %bb.1023:
	s_cmp_lg_u32 s19, 11
	s_cselect_b64 s[14:15], -1, 0
	s_andn2_b64 s[0:1], s[0:1], exec
	s_and_b64 s[14:15], s[14:15], exec
	s_mov_b64 s[12:13], -1
	s_or_b64 s[0:1], s[0:1], s[14:15]
	s_branch .LBB15_1029
.LBB15_1024:
	s_or_b64 exec, exec, s[8:9]
	s_and_saveexec_b64 s[0:1], s[56:57]
	s_cbranch_execnz .LBB15_1030
.LBB15_1025:
	s_or_b64 exec, exec, s[0:1]
	s_and_saveexec_b64 s[0:1], s[12:13]
	s_xor_b64 s[0:1], exec, s[0:1]
	s_cbranch_execz .LBB15_1031
.LBB15_1026:
	v_mov_b32_e32 v0, 0
	s_waitcnt vmcnt(0)
	v_cmp_ne_u16_sdwa s[8:9], v4, v0 src0_sel:BYTE_0 src1_sel:DWORD
	v_cndmask_b32_e64 v0, 0, 1, s[8:9]
	global_store_byte v[1:2], v0, off
	s_or_b64 exec, exec, s[0:1]
	s_and_saveexec_b64 s[0:1], s[10:11]
	s_xor_b64 s[0:1], exec, s[0:1]
	s_cbranch_execz .LBB15_1069
	s_branch .LBB15_1032
.LBB15_1027:
	s_mov_b64 s[10:11], -1
	s_mov_b64 s[0:1], s[56:57]
	s_branch .LBB15_1029
.LBB15_1028:
	s_mov_b64 s[12:13], 0
.LBB15_1029:
	s_andn2_b64 s[14:15], s[56:57], exec
	s_and_b64 s[0:1], s[0:1], exec
	s_and_b64 s[10:11], s[10:11], exec
	s_and_b64 s[12:13], s[12:13], exec
	s_or_b64 s[56:57], s[14:15], s[0:1]
	s_or_b64 exec, exec, s[8:9]
	s_and_saveexec_b64 s[0:1], s[56:57]
	s_cbranch_execz .LBB15_1025
.LBB15_1030:
	s_or_b64 s[2:3], s[2:3], exec
	s_andn2_b64 s[12:13], s[12:13], exec
	s_trap 2
	s_or_b64 exec, exec, s[0:1]
	s_and_saveexec_b64 s[0:1], s[12:13]
	s_xor_b64 s[0:1], exec, s[0:1]
	s_cbranch_execnz .LBB15_1026
.LBB15_1031:
	s_or_b64 exec, exec, s[0:1]
	s_and_saveexec_b64 s[0:1], s[10:11]
	s_xor_b64 s[0:1], exec, s[0:1]
	s_cbranch_execz .LBB15_1069
.LBB15_1032:
	s_sext_i32_i16 s10, s18
	s_cmp_lt_i32 s10, 5
	s_mov_b64 s[8:9], -1
	s_cbranch_scc1 .LBB15_1053
; %bb.1033:
	s_cmp_lt_i32 s10, 8
	s_cbranch_scc1 .LBB15_1043
; %bb.1034:
	s_cmp_lt_i32 s10, 9
	s_cbranch_scc1 .LBB15_1040
; %bb.1035:
	s_cmp_gt_i32 s10, 9
	s_cbranch_scc0 .LBB15_1037
; %bb.1036:
	s_mov_b32 s8, 0xffff
	s_waitcnt vmcnt(0)
	v_and_b32_sdwa v0, s8, v4 dst_sel:DWORD dst_unused:UNUSED_PAD src0_sel:DWORD src1_sel:BYTE_0
	v_cvt_f64_u32_e32 v[5:6], v0
	v_mov_b32_e32 v7, 0
	v_mov_b32_e32 v8, v7
	s_mov_b64 s[8:9], 0
	global_store_dwordx4 v[1:2], v[5:8], off
.LBB15_1037:
	s_andn2_b64 vcc, exec, s[8:9]
	s_cbranch_vccnz .LBB15_1039
; %bb.1038:
	s_waitcnt vmcnt(0)
	v_cvt_f32_ubyte0_e32 v5, v4
	v_mov_b32_e32 v6, 0
	global_store_dwordx2 v[1:2], v[5:6], off
.LBB15_1039:
	s_mov_b64 s[8:9], 0
.LBB15_1040:
	s_andn2_b64 vcc, exec, s[8:9]
	s_cbranch_vccnz .LBB15_1042
; %bb.1041:
	s_waitcnt vmcnt(0)
	v_cvt_f16_u16_sdwa v0, v4 dst_sel:DWORD dst_unused:UNUSED_PAD src0_sel:BYTE_0
	global_store_dword v[1:2], v0, off
.LBB15_1042:
	s_mov_b64 s[8:9], 0
.LBB15_1043:
	s_andn2_b64 vcc, exec, s[8:9]
	s_cbranch_vccnz .LBB15_1052
; %bb.1044:
	s_sext_i32_i16 s10, s18
	s_cmp_lt_i32 s10, 6
	s_mov_b64 s[8:9], -1
	s_cbranch_scc1 .LBB15_1050
; %bb.1045:
	s_cmp_gt_i32 s10, 6
	s_cbranch_scc0 .LBB15_1047
; %bb.1046:
	s_mov_b32 s8, 0xffff
	s_waitcnt vmcnt(0)
	v_and_b32_sdwa v0, s8, v4 dst_sel:DWORD dst_unused:UNUSED_PAD src0_sel:DWORD src1_sel:BYTE_0
	v_cvt_f64_u32_e32 v[5:6], v0
	s_mov_b64 s[8:9], 0
	global_store_dwordx2 v[1:2], v[5:6], off
.LBB15_1047:
	s_andn2_b64 vcc, exec, s[8:9]
	s_cbranch_vccnz .LBB15_1049
; %bb.1048:
	s_waitcnt vmcnt(0)
	v_cvt_f32_ubyte0_e32 v0, v4
	global_store_dword v[1:2], v0, off
.LBB15_1049:
	s_mov_b64 s[8:9], 0
.LBB15_1050:
	s_andn2_b64 vcc, exec, s[8:9]
	s_cbranch_vccnz .LBB15_1052
; %bb.1051:
	s_waitcnt vmcnt(0)
	v_cvt_f16_u16_sdwa v0, v4 dst_sel:DWORD dst_unused:UNUSED_PAD src0_sel:BYTE_0
	global_store_short v[1:2], v0, off
.LBB15_1052:
	s_mov_b64 s[8:9], 0
.LBB15_1053:
	s_andn2_b64 vcc, exec, s[8:9]
	s_cbranch_vccnz .LBB15_1069
; %bb.1054:
	s_sext_i32_i16 s10, s18
	s_cmp_lt_i32 s10, 2
	s_mov_b64 s[8:9], -1
	s_cbranch_scc1 .LBB15_1064
; %bb.1055:
	s_cmp_lt_i32 s10, 3
	s_cbranch_scc1 .LBB15_1061
; %bb.1056:
	s_cmp_gt_i32 s10, 3
	s_cbranch_scc0 .LBB15_1058
; %bb.1057:
	s_waitcnt vmcnt(0)
	v_and_b32_e32 v5, 0xff, v4
	v_mov_b32_e32 v6, 0
	s_mov_b64 s[8:9], 0
	global_store_dwordx2 v[1:2], v[5:6], off
.LBB15_1058:
	s_andn2_b64 vcc, exec, s[8:9]
	s_cbranch_vccnz .LBB15_1060
; %bb.1059:
	s_waitcnt vmcnt(0)
	v_and_b32_e32 v0, 0xff, v4
	global_store_dword v[1:2], v0, off
.LBB15_1060:
	s_mov_b64 s[8:9], 0
.LBB15_1061:
	s_andn2_b64 vcc, exec, s[8:9]
	s_cbranch_vccnz .LBB15_1063
; %bb.1062:
	s_waitcnt vmcnt(0)
	v_and_b32_e32 v0, 0xff, v4
	global_store_short v[1:2], v0, off
.LBB15_1063:
	s_mov_b64 s[8:9], 0
.LBB15_1064:
	s_andn2_b64 vcc, exec, s[8:9]
	s_cbranch_vccnz .LBB15_1069
; %bb.1065:
	s_sext_i32_i16 s8, s18
	s_cmp_gt_i32 s8, 0
	s_mov_b64 s[8:9], -1
	s_cbranch_scc0 .LBB15_1067
; %bb.1066:
	s_mov_b64 s[8:9], 0
	s_waitcnt vmcnt(0)
	global_store_byte v[1:2], v4, off
.LBB15_1067:
	s_andn2_b64 vcc, exec, s[8:9]
	s_cbranch_vccnz .LBB15_1069
; %bb.1068:
	s_waitcnt vmcnt(0)
	global_store_byte v[1:2], v4, off
.LBB15_1069:
	s_or_b64 exec, exec, s[0:1]
	s_and_b64 s[28:29], s[2:3], exec
                                        ; implicit-def: $vgpr13
                                        ; implicit-def: $vgpr11
.LBB15_1070:
	s_or_saveexec_b64 s[30:31], s[42:43]
	s_mov_b64 s[0:1], 0
                                        ; implicit-def: $vgpr0_vgpr1
                                        ; implicit-def: $sgpr14
                                        ; implicit-def: $vgpr2
	s_xor_b64 exec, exec, s[30:31]
	s_cbranch_execz .LBB15_2057
; %bb.1071:
	v_cndmask_b32_e64 v0, 0, 1, s[40:41]
	v_cmp_ne_u32_e64 s[0:1], 1, v0
	s_andn2_b64 vcc, exec, s[40:41]
	s_cbranch_vccnz .LBB15_1077
; %bb.1072:
	s_cmp_lg_u32 s33, 0
	s_mov_b32 s36, 0
	s_cbranch_scc0 .LBB15_1078
; %bb.1073:
	s_min_u32 s37, s76, 15
	s_add_i32 s37, s37, 1
	s_cmp_eq_u32 s76, 2
	s_cbranch_scc1 .LBB15_1079
; %bb.1074:
	s_and_b32 s36, s37, 28
	s_add_u32 s2, s34, 0xc4
	s_addc_u32 s3, s35, 0
	v_mov_b32_e32 v8, 0
	s_mov_b32 s38, 0
	s_mov_b64 s[6:7], s[34:35]
	v_mov_b32_e32 v6, 0
	v_mov_b32_e32 v0, v11
.LBB15_1075:                            ; =>This Inner Loop Header: Depth=1
	s_load_dwordx8 s[16:23], s[6:7], 0x4
	s_load_dwordx4 s[24:27], s[6:7], 0x24
	s_load_dwordx8 s[8:15], s[2:3], 0x0
	s_add_u32 s6, s6, 48
	s_addc_u32 s7, s7, 0
	s_waitcnt lgkmcnt(0)
	v_mul_hi_u32 v1, s17, v0
	s_add_i32 s38, s38, 4
	s_add_u32 s2, s2, 32
	s_addc_u32 s3, s3, 0
	v_add_u32_e32 v1, v0, v1
	v_lshrrev_b32_e32 v1, s18, v1
	v_mul_lo_u32 v2, v1, s16
	s_waitcnt vmcnt(0)
	v_mul_hi_u32 v3, s20, v1
	s_cmp_lg_u32 s36, s38
	v_sub_u32_e32 v0, v0, v2
	v_add_u32_e32 v2, v1, v3
	v_mul_lo_u32 v3, v0, s8
	v_mul_lo_u32 v4, v0, s9
	v_lshrrev_b32_e32 v0, s21, v2
	v_mul_lo_u32 v2, v0, s19
	v_mul_hi_u32 v5, s23, v0
	v_sub_u32_e32 v1, v1, v2
	v_add_u32_e32 v2, v0, v5
	v_lshrrev_b32_e32 v2, s24, v2
	v_mul_hi_u32 v7, s26, v2
	v_mul_lo_u32 v9, v2, s22
	v_mul_lo_u32 v5, v1, s10
	;; [unrolled: 1-line block ×3, first 2 shown]
	v_sub_u32_e32 v9, v0, v9
	v_add_u32_e32 v0, v2, v7
	v_lshrrev_b32_e32 v0, s27, v0
	v_mul_lo_u32 v7, v0, s25
	v_mul_lo_u32 v10, v9, s12
	;; [unrolled: 1-line block ×3, first 2 shown]
	v_add3_u32 v3, v3, v6, v5
	v_sub_u32_e32 v2, v2, v7
	v_mul_lo_u32 v7, v2, s14
	v_mul_lo_u32 v2, v2, s15
	v_add3_u32 v1, v4, v8, v1
	v_add3_u32 v6, v10, v3, v7
	;; [unrolled: 1-line block ×3, first 2 shown]
	s_cbranch_scc1 .LBB15_1075
; %bb.1076:
	s_and_b32 s8, s37, 3
	s_cmp_eq_u32 s8, 0
	s_cbranch_scc0 .LBB15_1080
	s_branch .LBB15_1082
.LBB15_1077:
                                        ; implicit-def: $vgpr6
                                        ; implicit-def: $vgpr8
	s_branch .LBB15_1083
.LBB15_1078:
	v_mov_b32_e32 v6, 0
	v_mov_b32_e32 v8, 0
	s_branch .LBB15_1082
.LBB15_1079:
	v_mov_b32_e32 v6, 0
	v_mov_b32_e32 v8, 0
	;; [unrolled: 1-line block ×3, first 2 shown]
	s_and_b32 s8, s37, 3
	s_cmp_eq_u32 s8, 0
	s_cbranch_scc1 .LBB15_1082
.LBB15_1080:
	s_lshl_b32 s2, s36, 3
	s_add_u32 s2, s34, s2
	s_addc_u32 s3, s35, 0
	s_add_u32 s2, s2, 0xc4
	s_addc_u32 s3, s3, 0
	s_mul_i32 s6, s36, 12
	s_add_u32 s6, s34, s6
	s_addc_u32 s7, s35, 0
.LBB15_1081:                            ; =>This Inner Loop Header: Depth=1
	s_load_dwordx2 s[10:11], s[6:7], 0x4
	s_load_dword s9, s[6:7], 0xc
	s_load_dwordx2 s[12:13], s[2:3], 0x0
	s_add_u32 s6, s6, 12
	s_addc_u32 s7, s7, 0
	s_waitcnt lgkmcnt(0)
	v_mul_hi_u32 v1, s11, v0
	s_add_u32 s2, s2, 8
	s_addc_u32 s3, s3, 0
	s_add_i32 s8, s8, -1
	v_add_u32_e32 v1, v0, v1
	v_lshrrev_b32_e32 v1, s9, v1
	v_mul_lo_u32 v2, v1, s10
	s_cmp_lg_u32 s8, 0
	v_sub_u32_e32 v0, v0, v2
	v_mad_u64_u32 v[6:7], s[10:11], v0, s12, v[6:7]
	v_mad_u64_u32 v[8:9], s[10:11], v0, s13, v[8:9]
	v_mov_b32_e32 v0, v1
	s_cbranch_scc1 .LBB15_1081
.LBB15_1082:
	s_cbranch_execnz .LBB15_1085
.LBB15_1083:
	s_load_dwordx4 s[8:11], s[34:35], 0x4
	s_load_dwordx2 s[2:3], s[34:35], 0xc4
	s_cmp_lt_u32 s33, 2
	s_waitcnt lgkmcnt(0)
	v_mul_hi_u32 v0, s9, v11
	v_add_u32_e32 v0, v11, v0
	v_lshrrev_b32_e32 v0, s10, v0
	v_mul_lo_u32 v1, v0, s8
	v_sub_u32_e32 v1, v11, v1
	v_mul_lo_u32 v6, v1, s2
	v_mul_lo_u32 v8, v1, s3
	s_cbranch_scc1 .LBB15_1085
; %bb.1084:
	s_load_dwordx4 s[8:11], s[34:35], 0x10
	s_load_dwordx2 s[2:3], s[34:35], 0xcc
	s_waitcnt lgkmcnt(0)
	v_mul_hi_u32 v1, s9, v0
	v_add_u32_e32 v1, v0, v1
	v_lshrrev_b32_e32 v1, s10, v1
	v_mul_lo_u32 v1, v1, s8
	v_sub_u32_e32 v0, v0, v1
	v_mad_u64_u32 v[6:7], s[6:7], v0, s2, v[6:7]
	v_mad_u64_u32 v[8:9], s[2:3], v0, s3, v[8:9]
.LBB15_1085:
	s_and_b64 vcc, exec, s[0:1]
	v_add_u32_e32 v0, 0x80, v11
	s_cbranch_vccnz .LBB15_1091
; %bb.1086:
	s_cmp_lg_u32 s33, 0
	s_mov_b32 s36, 0
	s_cbranch_scc0 .LBB15_1092
; %bb.1087:
	s_min_u32 s37, s76, 15
	s_add_i32 s37, s37, 1
	s_cmp_eq_u32 s76, 2
	s_cbranch_scc1 .LBB15_1093
; %bb.1088:
	s_and_b32 s36, s37, 28
	s_add_u32 s2, s34, 0xc4
	s_addc_u32 s3, s35, 0
	v_mov_b32_e32 v9, 0
	s_mov_b32 s38, 0
	s_mov_b64 s[6:7], s[34:35]
	s_waitcnt vmcnt(0)
	v_mov_b32_e32 v4, 0
	v_mov_b32_e32 v1, v0
.LBB15_1089:                            ; =>This Inner Loop Header: Depth=1
	s_load_dwordx8 s[16:23], s[6:7], 0x4
	s_load_dwordx4 s[24:27], s[6:7], 0x24
	s_load_dwordx8 s[8:15], s[2:3], 0x0
	s_add_u32 s6, s6, 48
	s_addc_u32 s7, s7, 0
	s_waitcnt lgkmcnt(0)
	v_mul_hi_u32 v2, s17, v1
	s_add_i32 s38, s38, 4
	s_add_u32 s2, s2, 32
	s_addc_u32 s3, s3, 0
	v_add_u32_e32 v2, v1, v2
	v_lshrrev_b32_e32 v2, s18, v2
	v_mul_lo_u32 v3, v2, s16
	v_mul_hi_u32 v5, s20, v2
	s_cmp_lg_u32 s36, s38
	v_sub_u32_e32 v1, v1, v3
	v_add_u32_e32 v3, v2, v5
	v_mul_lo_u32 v5, v1, s8
	v_mul_lo_u32 v7, v1, s9
	v_lshrrev_b32_e32 v1, s21, v3
	v_mul_lo_u32 v3, v1, s19
	v_mul_hi_u32 v10, s23, v1
	v_sub_u32_e32 v2, v2, v3
	v_add_u32_e32 v3, v1, v10
	v_lshrrev_b32_e32 v3, s24, v3
	v_mul_hi_u32 v12, s26, v3
	v_mul_lo_u32 v14, v3, s22
	v_mul_lo_u32 v10, v2, s10
	;; [unrolled: 1-line block ×3, first 2 shown]
	v_sub_u32_e32 v14, v1, v14
	v_add_u32_e32 v1, v3, v12
	v_lshrrev_b32_e32 v1, s27, v1
	v_mul_lo_u32 v12, v1, s25
	v_mul_lo_u32 v15, v14, s12
	;; [unrolled: 1-line block ×3, first 2 shown]
	v_add3_u32 v4, v5, v4, v10
	v_sub_u32_e32 v3, v3, v12
	v_mul_lo_u32 v12, v3, s14
	v_mul_lo_u32 v3, v3, s15
	v_add3_u32 v2, v7, v9, v2
	v_add3_u32 v4, v15, v4, v12
	;; [unrolled: 1-line block ×3, first 2 shown]
	s_cbranch_scc1 .LBB15_1089
; %bb.1090:
	s_and_b32 s8, s37, 3
	s_cmp_eq_u32 s8, 0
	s_cbranch_scc0 .LBB15_1094
	s_branch .LBB15_1096
.LBB15_1091:
                                        ; implicit-def: $vgpr4
                                        ; implicit-def: $vgpr9
	s_branch .LBB15_1097
.LBB15_1092:
	s_waitcnt vmcnt(0)
	v_mov_b32_e32 v4, 0
	v_mov_b32_e32 v9, 0
	s_branch .LBB15_1096
.LBB15_1093:
	s_waitcnt vmcnt(0)
	v_mov_b32_e32 v4, 0
	v_mov_b32_e32 v9, 0
	;; [unrolled: 1-line block ×3, first 2 shown]
	s_and_b32 s8, s37, 3
	s_cmp_eq_u32 s8, 0
	s_cbranch_scc1 .LBB15_1096
.LBB15_1094:
	s_lshl_b32 s2, s36, 3
	s_add_u32 s2, s34, s2
	s_addc_u32 s3, s35, 0
	s_add_u32 s2, s2, 0xc4
	s_addc_u32 s3, s3, 0
	s_mul_i32 s6, s36, 12
	s_add_u32 s6, s34, s6
	s_addc_u32 s7, s35, 0
.LBB15_1095:                            ; =>This Inner Loop Header: Depth=1
	s_load_dwordx2 s[10:11], s[6:7], 0x4
	s_load_dword s9, s[6:7], 0xc
	s_load_dwordx2 s[12:13], s[2:3], 0x0
	s_add_u32 s6, s6, 12
	s_addc_u32 s7, s7, 0
	s_waitcnt lgkmcnt(0)
	v_mul_hi_u32 v2, s11, v1
	s_add_u32 s2, s2, 8
	s_addc_u32 s3, s3, 0
	s_add_i32 s8, s8, -1
	v_add_u32_e32 v2, v1, v2
	v_lshrrev_b32_e32 v2, s9, v2
	v_mul_lo_u32 v3, v2, s10
	s_cmp_lg_u32 s8, 0
	v_sub_u32_e32 v1, v1, v3
	v_mad_u64_u32 v[4:5], s[10:11], v1, s12, v[4:5]
	v_mad_u64_u32 v[9:10], s[10:11], v1, s13, v[9:10]
	v_mov_b32_e32 v1, v2
	s_cbranch_scc1 .LBB15_1095
.LBB15_1096:
	s_cbranch_execnz .LBB15_1099
.LBB15_1097:
	s_load_dwordx4 s[8:11], s[34:35], 0x4
	s_load_dwordx2 s[2:3], s[34:35], 0xc4
	s_cmp_lt_u32 s33, 2
	s_waitcnt lgkmcnt(0)
	v_mul_hi_u32 v1, s9, v0
	v_add_u32_e32 v1, v0, v1
	v_lshrrev_b32_e32 v1, s10, v1
	v_mul_lo_u32 v2, v1, s8
	v_sub_u32_e32 v0, v0, v2
	s_waitcnt vmcnt(0)
	v_mul_lo_u32 v4, v0, s2
	v_mul_lo_u32 v9, v0, s3
	s_cbranch_scc1 .LBB15_1099
; %bb.1098:
	s_load_dwordx4 s[8:11], s[34:35], 0x10
	s_load_dwordx2 s[2:3], s[34:35], 0xcc
	s_waitcnt lgkmcnt(0)
	v_mul_hi_u32 v0, s9, v1
	v_add_u32_e32 v0, v1, v0
	v_lshrrev_b32_e32 v0, s10, v0
	v_mul_lo_u32 v0, v0, s8
	v_sub_u32_e32 v0, v1, v0
	v_mad_u64_u32 v[4:5], s[6:7], v0, s2, v[4:5]
	v_mad_u64_u32 v[9:10], s[2:3], v0, s3, v[9:10]
.LBB15_1099:
	s_and_b64 vcc, exec, s[0:1]
	v_add_u32_e32 v0, 0x100, v11
	s_cbranch_vccnz .LBB15_1105
; %bb.1100:
	s_cmp_lg_u32 s33, 0
	s_mov_b32 s36, 0
	s_cbranch_scc0 .LBB15_1106
; %bb.1101:
	s_min_u32 s37, s76, 15
	s_add_i32 s37, s37, 1
	s_cmp_eq_u32 s76, 2
	s_cbranch_scc1 .LBB15_1107
; %bb.1102:
	s_and_b32 s36, s37, 28
	s_add_u32 s2, s34, 0xc4
	s_addc_u32 s3, s35, 0
	v_mov_b32_e32 v10, 0
	s_mov_b32 s38, 0
	s_mov_b64 s[6:7], s[34:35]
	v_mov_b32_e32 v2, 0
	v_mov_b32_e32 v1, v0
.LBB15_1103:                            ; =>This Inner Loop Header: Depth=1
	s_load_dwordx8 s[16:23], s[6:7], 0x4
	s_load_dwordx4 s[24:27], s[6:7], 0x24
	s_load_dwordx8 s[8:15], s[2:3], 0x0
	s_add_u32 s6, s6, 48
	s_addc_u32 s7, s7, 0
	s_waitcnt vmcnt(0) lgkmcnt(0)
	v_mul_hi_u32 v3, s17, v1
	s_add_i32 s38, s38, 4
	s_add_u32 s2, s2, 32
	s_addc_u32 s3, s3, 0
	v_add_u32_e32 v3, v1, v3
	v_lshrrev_b32_e32 v3, s18, v3
	v_mul_lo_u32 v5, v3, s16
	v_mul_hi_u32 v7, s20, v3
	s_cmp_lg_u32 s36, s38
	v_sub_u32_e32 v1, v1, v5
	v_add_u32_e32 v5, v3, v7
	v_mul_lo_u32 v7, v1, s8
	v_mul_lo_u32 v11, v1, s9
	v_lshrrev_b32_e32 v1, s21, v5
	v_mul_lo_u32 v5, v1, s19
	v_mul_hi_u32 v12, s23, v1
	v_sub_u32_e32 v3, v3, v5
	v_add_u32_e32 v5, v1, v12
	v_lshrrev_b32_e32 v5, s24, v5
	v_mul_hi_u32 v14, s26, v5
	v_mul_lo_u32 v15, v5, s22
	v_mul_lo_u32 v12, v3, s10
	;; [unrolled: 1-line block ×3, first 2 shown]
	v_sub_u32_e32 v15, v1, v15
	v_add_u32_e32 v1, v5, v14
	v_lshrrev_b32_e32 v1, s27, v1
	v_mul_lo_u32 v14, v1, s25
	v_mul_lo_u32 v16, v15, s12
	;; [unrolled: 1-line block ×3, first 2 shown]
	v_add3_u32 v2, v7, v2, v12
	v_sub_u32_e32 v5, v5, v14
	v_mul_lo_u32 v14, v5, s14
	v_mul_lo_u32 v5, v5, s15
	v_add3_u32 v3, v11, v10, v3
	v_add3_u32 v2, v16, v2, v14
	;; [unrolled: 1-line block ×3, first 2 shown]
	s_cbranch_scc1 .LBB15_1103
; %bb.1104:
	s_and_b32 s8, s37, 3
	s_cmp_eq_u32 s8, 0
	s_cbranch_scc0 .LBB15_1108
	s_branch .LBB15_1110
.LBB15_1105:
                                        ; implicit-def: $vgpr2
                                        ; implicit-def: $vgpr10
	s_branch .LBB15_1111
.LBB15_1106:
	v_mov_b32_e32 v2, 0
	v_mov_b32_e32 v10, 0
	s_branch .LBB15_1110
.LBB15_1107:
	v_mov_b32_e32 v2, 0
	v_mov_b32_e32 v10, 0
	;; [unrolled: 1-line block ×3, first 2 shown]
	s_and_b32 s8, s37, 3
	s_cmp_eq_u32 s8, 0
	s_cbranch_scc1 .LBB15_1110
.LBB15_1108:
	s_lshl_b32 s2, s36, 3
	s_add_u32 s2, s34, s2
	s_addc_u32 s3, s35, 0
	s_add_u32 s2, s2, 0xc4
	s_addc_u32 s3, s3, 0
	s_mul_i32 s6, s36, 12
	s_add_u32 s6, s34, s6
	s_addc_u32 s7, s35, 0
.LBB15_1109:                            ; =>This Inner Loop Header: Depth=1
	s_load_dwordx2 s[10:11], s[6:7], 0x4
	s_load_dword s9, s[6:7], 0xc
	s_load_dwordx2 s[12:13], s[2:3], 0x0
	s_add_u32 s6, s6, 12
	s_addc_u32 s7, s7, 0
	s_waitcnt vmcnt(0) lgkmcnt(0)
	v_mul_hi_u32 v3, s11, v1
	s_add_u32 s2, s2, 8
	s_addc_u32 s3, s3, 0
	s_add_i32 s8, s8, -1
	v_add_u32_e32 v3, v1, v3
	v_lshrrev_b32_e32 v5, s9, v3
	v_mul_lo_u32 v3, v5, s10
	s_cmp_lg_u32 s8, 0
	v_sub_u32_e32 v1, v1, v3
	v_mad_u64_u32 v[2:3], s[10:11], v1, s12, v[2:3]
	v_mad_u64_u32 v[10:11], s[10:11], v1, s13, v[10:11]
	v_mov_b32_e32 v1, v5
	s_cbranch_scc1 .LBB15_1109
.LBB15_1110:
	s_cbranch_execnz .LBB15_1113
.LBB15_1111:
	s_load_dwordx4 s[8:11], s[34:35], 0x4
	s_load_dwordx2 s[2:3], s[34:35], 0xc4
	s_cmp_lt_u32 s33, 2
	s_waitcnt lgkmcnt(0)
	v_mul_hi_u32 v1, s9, v0
	v_add_u32_e32 v1, v0, v1
	v_lshrrev_b32_e32 v1, s10, v1
	v_mul_lo_u32 v2, v1, s8
	v_sub_u32_e32 v0, v0, v2
	v_mul_lo_u32 v2, v0, s2
	v_mul_lo_u32 v10, v0, s3
	s_cbranch_scc1 .LBB15_1113
; %bb.1112:
	s_load_dwordx4 s[8:11], s[34:35], 0x10
	s_load_dwordx2 s[2:3], s[34:35], 0xcc
	s_waitcnt lgkmcnt(0)
	v_mul_hi_u32 v0, s9, v1
	v_add_u32_e32 v0, v1, v0
	v_lshrrev_b32_e32 v0, s10, v0
	v_mul_lo_u32 v0, v0, s8
	v_sub_u32_e32 v0, v1, v0
	s_waitcnt vmcnt(0)
	v_mad_u64_u32 v[2:3], s[6:7], v0, s2, v[2:3]
	v_mad_u64_u32 v[10:11], s[2:3], v0, s3, v[10:11]
.LBB15_1113:
	s_and_b64 vcc, exec, s[0:1]
	s_cbranch_vccnz .LBB15_1119
; %bb.1114:
	s_cmp_lg_u32 s33, 0
	s_mov_b32 s26, 0
	s_cbranch_scc0 .LBB15_1120
; %bb.1115:
	s_min_u32 s27, s76, 15
	s_add_i32 s27, s27, 1
	s_cmp_eq_u32 s76, 2
	s_cbranch_scc1 .LBB15_1121
; %bb.1116:
	s_and_b32 s26, s27, 28
	s_add_u32 s6, s34, 0xc4
	s_addc_u32 s7, s35, 0
	v_mov_b32_e32 v11, 0
	s_mov_b32 s36, 0
	s_mov_b64 s[24:25], s[34:35]
	v_mov_b32_e32 v0, 0
	v_mov_b32_e32 v1, v13
.LBB15_1117:                            ; =>This Inner Loop Header: Depth=1
	s_load_dwordx8 s[16:23], s[24:25], 0x4
	s_load_dwordx4 s[0:3], s[24:25], 0x24
	s_load_dwordx8 s[8:15], s[6:7], 0x0
	s_add_u32 s24, s24, 48
	s_addc_u32 s25, s25, 0
	s_waitcnt vmcnt(0) lgkmcnt(0)
	v_mul_hi_u32 v3, s17, v1
	s_add_i32 s36, s36, 4
	s_add_u32 s6, s6, 32
	s_addc_u32 s7, s7, 0
	v_add_u32_e32 v3, v1, v3
	v_lshrrev_b32_e32 v3, s18, v3
	v_mul_lo_u32 v5, v3, s16
	v_mul_hi_u32 v7, s20, v3
	s_cmp_lg_u32 s26, s36
	v_sub_u32_e32 v1, v1, v5
	v_add_u32_e32 v5, v3, v7
	v_mul_lo_u32 v7, v1, s8
	v_mul_lo_u32 v12, v1, s9
	v_lshrrev_b32_e32 v1, s21, v5
	v_mul_lo_u32 v5, v1, s19
	v_mul_hi_u32 v14, s23, v1
	v_sub_u32_e32 v3, v3, v5
	v_add_u32_e32 v5, v1, v14
	v_lshrrev_b32_e32 v5, s0, v5
	v_mul_hi_u32 v15, s2, v5
	v_mul_lo_u32 v16, v5, s22
	v_mul_lo_u32 v14, v3, s10
	v_mul_lo_u32 v3, v3, s11
	v_sub_u32_e32 v16, v1, v16
	v_add_u32_e32 v1, v5, v15
	v_lshrrev_b32_e32 v1, s3, v1
	v_mul_lo_u32 v15, v1, s1
	v_mul_lo_u32 v17, v16, s12
	;; [unrolled: 1-line block ×3, first 2 shown]
	v_add3_u32 v0, v7, v0, v14
	v_sub_u32_e32 v5, v5, v15
	v_mul_lo_u32 v15, v5, s14
	v_mul_lo_u32 v5, v5, s15
	v_add3_u32 v3, v12, v11, v3
	v_add3_u32 v0, v17, v0, v15
	;; [unrolled: 1-line block ×3, first 2 shown]
	s_cbranch_scc1 .LBB15_1117
; %bb.1118:
	s_and_b32 s6, s27, 3
	s_cmp_eq_u32 s6, 0
	s_cbranch_scc0 .LBB15_1122
	s_branch .LBB15_1124
.LBB15_1119:
                                        ; implicit-def: $vgpr0
                                        ; implicit-def: $vgpr11
	s_branch .LBB15_1125
.LBB15_1120:
	v_mov_b32_e32 v0, 0
	v_mov_b32_e32 v11, 0
	s_branch .LBB15_1124
.LBB15_1121:
	v_mov_b32_e32 v0, 0
	v_mov_b32_e32 v11, 0
	;; [unrolled: 1-line block ×3, first 2 shown]
	s_and_b32 s6, s27, 3
	s_cmp_eq_u32 s6, 0
	s_cbranch_scc1 .LBB15_1124
.LBB15_1122:
	s_lshl_b32 s0, s26, 3
	s_add_u32 s0, s34, s0
	s_addc_u32 s1, s35, 0
	s_add_u32 s0, s0, 0xc4
	s_addc_u32 s1, s1, 0
	s_mul_i32 s2, s26, 12
	s_add_u32 s2, s34, s2
	s_addc_u32 s3, s35, 0
.LBB15_1123:                            ; =>This Inner Loop Header: Depth=1
	s_load_dwordx2 s[8:9], s[2:3], 0x4
	s_load_dword s7, s[2:3], 0xc
	s_load_dwordx2 s[10:11], s[0:1], 0x0
	s_add_u32 s2, s2, 12
	s_addc_u32 s3, s3, 0
	s_waitcnt vmcnt(0) lgkmcnt(0)
	v_mul_hi_u32 v3, s9, v1
	s_add_u32 s0, s0, 8
	s_addc_u32 s1, s1, 0
	s_add_i32 s6, s6, -1
	v_add_u32_e32 v3, v1, v3
	v_lshrrev_b32_e32 v3, s7, v3
	v_mul_lo_u32 v5, v3, s8
	s_cmp_lg_u32 s6, 0
	v_sub_u32_e32 v5, v1, v5
	v_mad_u64_u32 v[0:1], s[8:9], v5, s10, v[0:1]
	v_mad_u64_u32 v[11:12], s[8:9], v5, s11, v[11:12]
	v_mov_b32_e32 v1, v3
	s_cbranch_scc1 .LBB15_1123
.LBB15_1124:
	s_cbranch_execnz .LBB15_1127
.LBB15_1125:
	s_load_dwordx4 s[0:3], s[34:35], 0x4
	s_load_dwordx2 s[6:7], s[34:35], 0xc4
	s_cmp_lt_u32 s33, 2
	s_waitcnt lgkmcnt(0)
	v_mul_hi_u32 v0, s1, v13
	v_add_u32_e32 v0, v13, v0
	v_lshrrev_b32_e32 v1, s2, v0
	v_mul_lo_u32 v0, v1, s0
	s_waitcnt vmcnt(0)
	v_sub_u32_e32 v3, v13, v0
	v_mul_lo_u32 v0, v3, s6
	v_mul_lo_u32 v11, v3, s7
	s_cbranch_scc1 .LBB15_1127
; %bb.1126:
	s_load_dwordx4 s[0:3], s[34:35], 0x10
	s_load_dwordx2 s[6:7], s[34:35], 0xcc
	s_waitcnt lgkmcnt(0)
	v_mul_hi_u32 v3, s1, v1
	v_add_u32_e32 v3, v1, v3
	v_lshrrev_b32_e32 v3, s2, v3
	v_mul_lo_u32 v3, v3, s0
	v_sub_u32_e32 v3, v1, v3
	v_mad_u64_u32 v[0:1], s[0:1], v3, s6, v[0:1]
	v_mad_u64_u32 v[11:12], s[0:1], v3, s7, v[11:12]
.LBB15_1127:
	s_load_dword s0, s[34:35], 0x15c
	s_load_dwordx4 s[8:11], s[34:35], 0x148
	s_waitcnt lgkmcnt(0)
	s_and_b32 s14, s0, 0xff
	v_mov_b32_e32 v1, s11
	v_add_co_u32_e32 v12, vcc, s10, v8
	s_cmp_lt_i32 s14, 11
	v_addc_co_u32_e32 v13, vcc, 0, v1, vcc
	s_cbranch_scc1 .LBB15_1134
; %bb.1128:
	s_and_b32 s15, 0xffff, s14
	s_cmp_gt_i32 s15, 25
	s_mov_b64 s[6:7], 0
	s_cbranch_scc0 .LBB15_1136
; %bb.1129:
	s_cmp_gt_i32 s15, 28
	s_cbranch_scc0 .LBB15_1137
; %bb.1130:
	s_cmp_gt_i32 s15, 43
	;; [unrolled: 3-line block ×3, first 2 shown]
	s_cbranch_scc0 .LBB15_1139
; %bb.1132:
	s_cmp_eq_u32 s15, 46
	s_mov_b64 s[2:3], 0
	s_cbranch_scc0 .LBB15_1142
; %bb.1133:
	global_load_dword v1, v[12:13], off
	s_mov_b32 s0, 0x2f800000
	s_mov_b32 s1, 0xcf800000
	s_mov_b64 s[12:13], -1
	s_waitcnt vmcnt(0)
	v_lshlrev_b32_e32 v1, 16, v1
	v_trunc_f32_e32 v1, v1
	v_mul_f32_e64 v3, |v1|, s0
	v_floor_f32_e32 v3, v3
	v_fma_f32 v3, v3, s1, |v1|
	v_cvt_u32_f32_e32 v3, v3
	v_ashrrev_i32_e32 v1, 31, v1
	s_mov_b64 s[0:1], 0
	v_xor_b32_e32 v3, v3, v1
	v_sub_u32_e32 v7, v3, v1
	s_branch .LBB15_1143
.LBB15_1134:
	s_mov_b64 s[12:13], 0
                                        ; implicit-def: $vgpr7
	s_mov_b64 s[2:3], s[28:29]
	s_cbranch_execnz .LBB15_1201
.LBB15_1135:
	s_andn2_b64 vcc, exec, s[12:13]
	s_cbranch_vccz .LBB15_1246
	s_branch .LBB15_2055
.LBB15_1136:
	s_mov_b64 s[12:13], 0
	s_mov_b64 s[0:1], 0
                                        ; implicit-def: $vgpr7
	s_cbranch_execnz .LBB15_1168
	s_branch .LBB15_1197
.LBB15_1137:
	s_mov_b64 s[12:13], 0
	s_mov_b64 s[0:1], 0
                                        ; implicit-def: $vgpr7
	s_cbranch_execz .LBB15_1167
	s_branch .LBB15_1152
.LBB15_1138:
	s_mov_b64 s[12:13], 0
	s_mov_b64 s[0:1], 0
                                        ; implicit-def: $vgpr7
	s_cbranch_execnz .LBB15_1148
	s_branch .LBB15_1151
.LBB15_1139:
	s_mov_b64 s[2:3], -1
	s_mov_b64 s[12:13], 0
	s_mov_b64 s[0:1], 0
                                        ; implicit-def: $vgpr7
	s_branch .LBB15_1143
.LBB15_1140:
	s_andn2_saveexec_b64 s[14:15], s[14:15]
	s_cbranch_execz .LBB15_979
.LBB15_1141:
	v_add_f32_e32 v0, 0x46000000, v3
	v_and_b32_e32 v0, 0xff, v0
	v_cmp_ne_u32_e32 vcc, 0, v0
	s_andn2_b64 s[12:13], s[12:13], exec
	s_and_b64 s[16:17], vcc, exec
	s_or_b64 s[12:13], s[12:13], s[16:17]
	s_or_b64 exec, exec, s[14:15]
	v_mov_b32_e32 v5, 0
	s_and_saveexec_b64 s[14:15], s[12:13]
	s_cbranch_execnz .LBB15_980
	s_branch .LBB15_981
.LBB15_1142:
	s_mov_b64 s[0:1], -1
                                        ; implicit-def: $vgpr7
	s_mov_b64 s[12:13], 0
.LBB15_1143:
	s_and_b64 vcc, exec, s[2:3]
	s_cbranch_vccz .LBB15_1146
; %bb.1144:
	s_cmp_eq_u32 s15, 44
	s_cbranch_scc0 .LBB15_1147
; %bb.1145:
	global_load_ubyte v1, v[12:13], off
	s_mov_b32 s0, 0x2f800000
	s_mov_b32 s1, 0xcf800000
	s_mov_b64 s[12:13], -1
	s_waitcnt vmcnt(0)
	v_lshlrev_b32_e32 v3, 23, v1
	v_trunc_f32_e32 v3, v3
	v_mul_f32_e64 v5, |v3|, s0
	v_floor_f32_e32 v5, v5
	v_fma_f32 v5, v5, s1, |v3|
	v_cvt_u32_f32_e32 v5, v5
	v_ashrrev_i32_e32 v3, 31, v3
	v_cmp_ne_u32_e32 vcc, 0, v1
	s_mov_b64 s[0:1], 0
	v_xor_b32_e32 v5, v5, v3
	v_sub_u32_e32 v3, v5, v3
	v_cndmask_b32_e32 v7, 0, v3, vcc
.LBB15_1146:
	s_branch .LBB15_1151
.LBB15_1147:
	s_mov_b64 s[0:1], -1
                                        ; implicit-def: $vgpr7
	s_branch .LBB15_1151
.LBB15_1148:
	s_cmp_eq_u32 s15, 29
	s_cbranch_scc0 .LBB15_1150
; %bb.1149:
	global_load_dwordx2 v[7:8], v[12:13], off
	s_mov_b64 s[0:1], 0
	s_mov_b64 s[12:13], -1
	s_branch .LBB15_1151
.LBB15_1150:
	s_mov_b64 s[0:1], -1
                                        ; implicit-def: $vgpr7
.LBB15_1151:
	s_branch .LBB15_1167
.LBB15_1152:
	s_cmp_lt_i32 s15, 27
	s_cbranch_scc1 .LBB15_1155
; %bb.1153:
	s_cmp_gt_i32 s15, 27
	s_cbranch_scc0 .LBB15_1156
; %bb.1154:
	global_load_dword v7, v[12:13], off
	s_mov_b64 s[2:3], 0
	s_branch .LBB15_1157
.LBB15_1155:
	s_mov_b64 s[2:3], -1
                                        ; implicit-def: $vgpr7
	s_branch .LBB15_1160
.LBB15_1156:
	s_mov_b64 s[2:3], -1
                                        ; implicit-def: $vgpr7
.LBB15_1157:
	s_andn2_b64 vcc, exec, s[2:3]
	s_cbranch_vccnz .LBB15_1159
; %bb.1158:
	global_load_ushort v7, v[12:13], off
.LBB15_1159:
	s_mov_b64 s[2:3], 0
.LBB15_1160:
	s_andn2_b64 vcc, exec, s[2:3]
	s_cbranch_vccnz .LBB15_1166
; %bb.1161:
	global_load_ubyte v1, v[12:13], off
	s_movk_i32 s2, 0x7f
	s_mov_b64 s[12:13], 0
	s_waitcnt vmcnt(0)
	v_cmp_lt_i16_e32 vcc, s2, v1
	s_and_saveexec_b64 s[2:3], vcc
	s_xor_b64 s[2:3], exec, s[2:3]
	s_cbranch_execz .LBB15_1177
; %bb.1162:
	s_movk_i32 s12, 0x80
	v_cmp_ne_u16_e32 vcc, s12, v1
	s_and_b64 s[12:13], vcc, exec
	s_andn2_saveexec_b64 s[2:3], s[2:3]
	s_cbranch_execnz .LBB15_1178
.LBB15_1163:
	s_or_b64 exec, exec, s[2:3]
	v_mov_b32_e32 v7, 0
	s_and_saveexec_b64 s[2:3], s[12:13]
	s_cbranch_execz .LBB15_1165
.LBB15_1164:
	v_lshlrev_b32_e32 v3, 24, v1
	v_and_b32_e32 v1, 0xffff, v1
	v_and_b32_e32 v5, 7, v1
	v_ffbh_u32_e32 v8, v5
	v_min_u32_e32 v8, 32, v8
	v_subrev_u32_e32 v14, 28, v8
	v_bfe_u32 v7, v1, 3, 4
	v_lshlrev_b32_e32 v1, v14, v1
	v_sub_u32_e32 v8, 29, v8
	v_and_b32_e32 v1, 7, v1
	v_cmp_eq_u32_e32 vcc, 0, v7
	v_cndmask_b32_e32 v7, v7, v8, vcc
	v_cndmask_b32_e32 v1, v5, v1, vcc
	v_mov_b32_e32 v5, 0x3b800000
	v_lshlrev_b32_e32 v1, 20, v1
	v_and_b32_e32 v3, 0x80000000, v3
	v_lshl_add_u32 v5, v7, 23, v5
	v_or3_b32 v1, v3, v5, v1
	v_trunc_f32_e32 v1, v1
	s_mov_b32 s12, 0x2f800000
	v_mul_f32_e64 v3, |v1|, s12
	v_floor_f32_e32 v3, v3
	s_mov_b32 s12, 0xcf800000
	v_fma_f32 v3, v3, s12, |v1|
	v_cvt_u32_f32_e32 v3, v3
	v_ashrrev_i32_e32 v1, 31, v1
	v_xor_b32_e32 v3, v3, v1
	v_sub_u32_e32 v7, v3, v1
.LBB15_1165:
	s_or_b64 exec, exec, s[2:3]
.LBB15_1166:
	s_mov_b64 s[12:13], -1
.LBB15_1167:
	s_branch .LBB15_1197
.LBB15_1168:
	s_cmp_gt_i32 s15, 22
	s_cbranch_scc0 .LBB15_1176
; %bb.1169:
	s_cmp_lt_i32 s15, 24
	s_cbranch_scc1 .LBB15_1179
; %bb.1170:
	s_cmp_gt_i32 s15, 24
	s_cbranch_scc0 .LBB15_1180
; %bb.1171:
	global_load_ubyte v1, v[12:13], off
	s_movk_i32 s2, 0x7f
	s_waitcnt vmcnt(0)
	v_cmp_lt_i16_e32 vcc, s2, v1
	s_and_saveexec_b64 s[2:3], vcc
	s_xor_b64 s[2:3], exec, s[2:3]
	s_cbranch_execz .LBB15_1191
; %bb.1172:
	s_movk_i32 s6, 0x80
	v_cmp_ne_u16_e32 vcc, s6, v1
	s_and_b64 s[6:7], vcc, exec
	s_andn2_saveexec_b64 s[2:3], s[2:3]
	s_cbranch_execnz .LBB15_1192
.LBB15_1173:
	s_or_b64 exec, exec, s[2:3]
	v_mov_b32_e32 v7, 0
	s_and_saveexec_b64 s[2:3], s[6:7]
	s_cbranch_execz .LBB15_1175
.LBB15_1174:
	v_lshlrev_b32_e32 v3, 24, v1
	v_and_b32_e32 v1, 0xffff, v1
	v_and_b32_e32 v5, 3, v1
	v_ffbh_u32_e32 v8, v5
	v_min_u32_e32 v8, 32, v8
	v_subrev_u32_e32 v14, 29, v8
	v_bfe_u32 v7, v1, 2, 5
	v_lshlrev_b32_e32 v1, v14, v1
	v_sub_u32_e32 v8, 30, v8
	v_and_b32_e32 v1, 3, v1
	v_cmp_eq_u32_e32 vcc, 0, v7
	v_cndmask_b32_e32 v7, v7, v8, vcc
	v_cndmask_b32_e32 v1, v5, v1, vcc
	v_mov_b32_e32 v5, 0x37800000
	v_lshlrev_b32_e32 v1, 21, v1
	v_and_b32_e32 v3, 0x80000000, v3
	v_lshl_add_u32 v5, v7, 23, v5
	v_or3_b32 v1, v3, v5, v1
	v_trunc_f32_e32 v1, v1
	s_mov_b32 s6, 0x2f800000
	v_mul_f32_e64 v3, |v1|, s6
	v_floor_f32_e32 v3, v3
	s_mov_b32 s6, 0xcf800000
	v_fma_f32 v3, v3, s6, |v1|
	v_cvt_u32_f32_e32 v3, v3
	v_ashrrev_i32_e32 v1, 31, v1
	v_xor_b32_e32 v3, v3, v1
	v_sub_u32_e32 v7, v3, v1
.LBB15_1175:
	s_or_b64 exec, exec, s[2:3]
	s_mov_b64 s[2:3], 0
	s_branch .LBB15_1181
.LBB15_1176:
                                        ; implicit-def: $vgpr7
	s_mov_b64 s[6:7], 0
	s_branch .LBB15_1187
.LBB15_1177:
	s_andn2_saveexec_b64 s[2:3], s[2:3]
	s_cbranch_execz .LBB15_1163
.LBB15_1178:
	v_cmp_ne_u16_e32 vcc, 0, v1
	s_andn2_b64 s[12:13], s[12:13], exec
	s_and_b64 s[16:17], vcc, exec
	s_or_b64 s[12:13], s[12:13], s[16:17]
	s_or_b64 exec, exec, s[2:3]
	v_mov_b32_e32 v7, 0
	s_and_saveexec_b64 s[2:3], s[12:13]
	s_cbranch_execnz .LBB15_1164
	s_branch .LBB15_1165
.LBB15_1179:
	s_mov_b64 s[2:3], -1
                                        ; implicit-def: $vgpr7
	s_branch .LBB15_1184
.LBB15_1180:
	s_mov_b64 s[2:3], -1
                                        ; implicit-def: $vgpr7
.LBB15_1181:
	s_and_b64 vcc, exec, s[2:3]
	s_cbranch_vccz .LBB15_1183
; %bb.1182:
	global_load_ubyte v1, v[12:13], off
	s_mov_b32 s2, 0x7f800000
	s_brev_b32 s3, 1
	s_mov_b32 s6, 0x2f800000
	s_waitcnt vmcnt(0)
	v_lshlrev_b32_e32 v1, 24, v1
	v_and_b32_e32 v3, 0x7f000000, v1
	v_ffbh_u32_e32 v5, v3
	v_min_u32_e32 v5, 32, v5
	v_sub_u32_e64 v5, v5, 4 clamp
	v_lshlrev_b32_e32 v8, v5, v3
	v_lshlrev_b32_e32 v5, 23, v5
	v_lshrrev_b32_e32 v8, 4, v8
	v_add_u32_e32 v7, 0x1000000, v3
	v_sub_u32_e32 v5, v8, v5
	v_ashrrev_i32_e32 v7, 8, v7
	v_add_u32_e32 v5, 0x3c000000, v5
	v_and_or_b32 v5, v7, s2, v5
	v_cmp_ne_u32_e32 vcc, 0, v3
	v_cndmask_b32_e32 v3, 0, v5, vcc
	v_and_or_b32 v1, v1, s3, v3
	v_trunc_f32_e32 v1, v1
	v_mul_f32_e64 v3, |v1|, s6
	v_floor_f32_e32 v3, v3
	s_mov_b32 s2, 0xcf800000
	v_fma_f32 v3, v3, s2, |v1|
	v_cvt_u32_f32_e32 v3, v3
	v_ashrrev_i32_e32 v1, 31, v1
	v_xor_b32_e32 v3, v3, v1
	v_sub_u32_e32 v7, v3, v1
.LBB15_1183:
	s_mov_b64 s[2:3], 0
.LBB15_1184:
	s_andn2_b64 vcc, exec, s[2:3]
	s_cbranch_vccnz .LBB15_1186
; %bb.1185:
	global_load_ubyte v1, v[12:13], off
	s_movk_i32 s2, 0x7f00
	s_brev_b32 s3, 16
	s_brev_b32 s6, 1
	s_mov_b32 s7, 0x2f800000
	s_waitcnt vmcnt(0)
	v_lshlrev_b16_e32 v3, 8, v1
	v_lshlrev_b32_e32 v1, 25, v1
	v_lshrrev_b32_e32 v5, 4, v1
	v_and_or_b32 v7, v3, s2, 0.5
	v_or_b32_e32 v5, 0x70000000, v5
	v_add_f32_e32 v7, -0.5, v7
	v_mul_f32_e32 v5, 0x7800000, v5
	v_cmp_gt_u32_e32 vcc, s3, v1
	v_bfe_i32 v3, v3, 0, 16
	v_cndmask_b32_e32 v1, v5, v7, vcc
	v_and_or_b32 v1, v3, s6, v1
	v_trunc_f32_e32 v1, v1
	v_mul_f32_e64 v3, |v1|, s7
	v_floor_f32_e32 v3, v3
	s_mov_b32 s2, 0xcf800000
	v_fma_f32 v3, v3, s2, |v1|
	v_cvt_u32_f32_e32 v3, v3
	v_ashrrev_i32_e32 v1, 31, v1
	v_xor_b32_e32 v3, v3, v1
	v_sub_u32_e32 v7, v3, v1
.LBB15_1186:
	s_mov_b64 s[12:13], -1
	s_mov_b64 s[6:7], 0
	s_cbranch_execnz .LBB15_1197
.LBB15_1187:
	s_cmp_gt_i32 s15, 14
	s_cbranch_scc0 .LBB15_1190
; %bb.1188:
	s_cmp_eq_u32 s15, 15
	s_cbranch_scc0 .LBB15_1193
; %bb.1189:
	global_load_ushort v1, v[12:13], off
	s_mov_b32 s0, 0x2f800000
	s_mov_b32 s1, 0xcf800000
	s_mov_b64 s[12:13], -1
	s_waitcnt vmcnt(0)
	v_lshlrev_b32_e32 v1, 16, v1
	v_trunc_f32_e32 v1, v1
	v_mul_f32_e64 v3, |v1|, s0
	v_floor_f32_e32 v3, v3
	v_fma_f32 v3, v3, s1, |v1|
	v_cvt_u32_f32_e32 v3, v3
	v_ashrrev_i32_e32 v1, 31, v1
	s_mov_b64 s[0:1], 0
	v_xor_b32_e32 v3, v3, v1
	v_sub_u32_e32 v7, v3, v1
	s_branch .LBB15_1194
.LBB15_1190:
	s_mov_b64 s[2:3], -1
                                        ; implicit-def: $vgpr7
	s_branch .LBB15_1195
.LBB15_1191:
	s_andn2_saveexec_b64 s[2:3], s[2:3]
	s_cbranch_execz .LBB15_1173
.LBB15_1192:
	v_cmp_ne_u16_e32 vcc, 0, v1
	s_andn2_b64 s[6:7], s[6:7], exec
	s_and_b64 s[12:13], vcc, exec
	s_or_b64 s[6:7], s[6:7], s[12:13]
	s_or_b64 exec, exec, s[2:3]
	v_mov_b32_e32 v7, 0
	s_and_saveexec_b64 s[2:3], s[6:7]
	s_cbranch_execnz .LBB15_1174
	s_branch .LBB15_1175
.LBB15_1193:
	s_mov_b64 s[0:1], -1
                                        ; implicit-def: $vgpr7
.LBB15_1194:
	s_mov_b64 s[2:3], 0
.LBB15_1195:
	s_and_b64 vcc, exec, s[2:3]
	s_cbranch_vccz .LBB15_1197
; %bb.1196:
	s_cmp_lg_u32 s15, 11
	s_mov_b64 s[6:7], -1
	s_cselect_b64 s[0:1], -1, 0
.LBB15_1197:
	s_and_b64 vcc, exec, s[0:1]
	s_mov_b64 s[2:3], s[28:29]
	s_cbranch_vccnz .LBB15_1258
; %bb.1198:
	s_andn2_b64 vcc, exec, s[6:7]
	s_cbranch_vccnz .LBB15_1200
.LBB15_1199:
	global_load_ubyte v1, v[12:13], off
	s_mov_b64 s[12:13], -1
	s_waitcnt vmcnt(0)
	v_cmp_ne_u16_e32 vcc, 0, v1
	v_cndmask_b32_e64 v7, 0, 1, vcc
.LBB15_1200:
	s_branch .LBB15_1135
.LBB15_1201:
	s_and_b32 s6, 0xffff, s14
	s_cmp_lt_i32 s6, 5
	s_cbranch_scc1 .LBB15_1206
; %bb.1202:
	s_cmp_lt_i32 s6, 8
	s_cbranch_scc1 .LBB15_1207
; %bb.1203:
	s_cmp_lt_i32 s6, 9
	s_cbranch_scc1 .LBB15_1208
; %bb.1204:
	s_cmp_gt_i32 s6, 9
	s_cbranch_scc0 .LBB15_1209
; %bb.1205:
	global_load_dwordx2 v[7:8], v[12:13], off
	s_movk_i32 s0, 0xffe0
	s_waitcnt vmcnt(0)
	v_trunc_f64_e32 v[7:8], v[7:8]
	v_ldexp_f64 v[14:15], v[7:8], s0
	s_mov_b32 s0, 0
	s_mov_b32 s1, 0xc1f00000
	v_floor_f64_e32 v[14:15], v[14:15]
	v_fma_f64 v[7:8], v[14:15], s[0:1], v[7:8]
	s_mov_b64 s[0:1], 0
	v_cvt_u32_f64_e32 v7, v[7:8]
	s_branch .LBB15_1210
.LBB15_1206:
                                        ; implicit-def: $vgpr7
	s_branch .LBB15_1227
.LBB15_1207:
                                        ; implicit-def: $vgpr7
	s_branch .LBB15_1216
.LBB15_1208:
	s_mov_b64 s[0:1], -1
                                        ; implicit-def: $vgpr7
	s_branch .LBB15_1213
.LBB15_1209:
	s_mov_b64 s[0:1], -1
                                        ; implicit-def: $vgpr7
.LBB15_1210:
	s_andn2_b64 vcc, exec, s[0:1]
	s_cbranch_vccnz .LBB15_1212
; %bb.1211:
	global_load_dword v1, v[12:13], off
	s_mov_b32 s0, 0x2f800000
	s_waitcnt vmcnt(0)
	v_trunc_f32_e32 v1, v1
	v_mul_f32_e64 v3, |v1|, s0
	v_floor_f32_e32 v3, v3
	s_mov_b32 s0, 0xcf800000
	v_fma_f32 v3, v3, s0, |v1|
	v_cvt_u32_f32_e32 v3, v3
	v_ashrrev_i32_e32 v1, 31, v1
	v_xor_b32_e32 v3, v3, v1
	v_sub_u32_e32 v7, v3, v1
.LBB15_1212:
	s_mov_b64 s[0:1], 0
.LBB15_1213:
	s_andn2_b64 vcc, exec, s[0:1]
	s_cbranch_vccnz .LBB15_1215
; %bb.1214:
	global_load_dword v1, v[12:13], off
	s_waitcnt vmcnt(0)
	v_cvt_f32_f16_e32 v1, v1
	v_cvt_i32_f32_e32 v7, v1
.LBB15_1215:
	s_cbranch_execnz .LBB15_1226
.LBB15_1216:
	s_cmp_lt_i32 s6, 6
	s_cbranch_scc1 .LBB15_1219
; %bb.1217:
	s_cmp_gt_i32 s6, 6
	s_cbranch_scc0 .LBB15_1220
; %bb.1218:
	global_load_dwordx2 v[7:8], v[12:13], off
	s_movk_i32 s0, 0xffe0
	s_waitcnt vmcnt(0)
	v_trunc_f64_e32 v[7:8], v[7:8]
	v_ldexp_f64 v[14:15], v[7:8], s0
	s_mov_b32 s0, 0
	s_mov_b32 s1, 0xc1f00000
	v_floor_f64_e32 v[14:15], v[14:15]
	v_fma_f64 v[7:8], v[14:15], s[0:1], v[7:8]
	s_mov_b64 s[0:1], 0
	v_cvt_u32_f64_e32 v7, v[7:8]
	s_branch .LBB15_1221
.LBB15_1219:
	s_mov_b64 s[0:1], -1
                                        ; implicit-def: $vgpr7
	s_branch .LBB15_1224
.LBB15_1220:
	s_mov_b64 s[0:1], -1
                                        ; implicit-def: $vgpr7
.LBB15_1221:
	s_andn2_b64 vcc, exec, s[0:1]
	s_cbranch_vccnz .LBB15_1223
; %bb.1222:
	global_load_dword v1, v[12:13], off
	s_mov_b32 s0, 0x2f800000
	s_waitcnt vmcnt(0)
	v_trunc_f32_e32 v1, v1
	v_mul_f32_e64 v3, |v1|, s0
	v_floor_f32_e32 v3, v3
	s_mov_b32 s0, 0xcf800000
	v_fma_f32 v3, v3, s0, |v1|
	v_cvt_u32_f32_e32 v3, v3
	v_ashrrev_i32_e32 v1, 31, v1
	v_xor_b32_e32 v3, v3, v1
	v_sub_u32_e32 v7, v3, v1
.LBB15_1223:
	s_mov_b64 s[0:1], 0
.LBB15_1224:
	s_andn2_b64 vcc, exec, s[0:1]
	s_cbranch_vccnz .LBB15_1226
; %bb.1225:
	global_load_ushort v1, v[12:13], off
	s_waitcnt vmcnt(0)
	v_cvt_f32_f16_e32 v1, v1
	v_cvt_i32_f32_e32 v7, v1
.LBB15_1226:
	s_cbranch_execnz .LBB15_1245
.LBB15_1227:
	s_cmp_lt_i32 s6, 2
	s_cbranch_scc1 .LBB15_1231
; %bb.1228:
	s_cmp_lt_i32 s6, 3
	s_cbranch_scc1 .LBB15_1232
; %bb.1229:
	s_cmp_gt_i32 s6, 3
	s_cbranch_scc0 .LBB15_1233
; %bb.1230:
	global_load_dwordx2 v[7:8], v[12:13], off
	s_mov_b64 s[0:1], 0
	s_branch .LBB15_1234
.LBB15_1231:
                                        ; implicit-def: $vgpr7
	s_branch .LBB15_1240
.LBB15_1232:
	s_mov_b64 s[0:1], -1
                                        ; implicit-def: $vgpr7
	s_branch .LBB15_1237
.LBB15_1233:
	s_mov_b64 s[0:1], -1
                                        ; implicit-def: $vgpr7
.LBB15_1234:
	s_andn2_b64 vcc, exec, s[0:1]
	s_cbranch_vccnz .LBB15_1236
; %bb.1235:
	global_load_dword v7, v[12:13], off
.LBB15_1236:
	s_mov_b64 s[0:1], 0
.LBB15_1237:
	s_andn2_b64 vcc, exec, s[0:1]
	s_cbranch_vccnz .LBB15_1239
; %bb.1238:
	global_load_ushort v7, v[12:13], off
.LBB15_1239:
	s_cbranch_execnz .LBB15_1245
.LBB15_1240:
	s_cmp_gt_i32 s6, 0
	s_cbranch_scc0 .LBB15_1242
; %bb.1241:
	global_load_ubyte v7, v[12:13], off
	s_mov_b64 s[0:1], 0
	s_branch .LBB15_1243
.LBB15_1242:
	s_mov_b64 s[0:1], -1
                                        ; implicit-def: $vgpr7
.LBB15_1243:
	s_andn2_b64 vcc, exec, s[0:1]
	s_cbranch_vccnz .LBB15_1245
; %bb.1244:
	global_load_ubyte v7, v[12:13], off
.LBB15_1245:
.LBB15_1246:
	v_mov_b32_e32 v1, s11
	s_and_b32 s16, 0xffff, s14
	v_add_co_u32_e32 v12, vcc, s10, v9
	s_cmp_lt_i32 s16, 11
	v_addc_co_u32_e32 v13, vcc, 0, v1, vcc
	s_cbranch_scc1 .LBB15_1253
; %bb.1247:
	s_cmp_gt_i32 s16, 25
	s_mov_b64 s[6:7], 0
	s_cbranch_scc0 .LBB15_1255
; %bb.1248:
	s_cmp_gt_i32 s16, 28
	s_cbranch_scc0 .LBB15_1256
; %bb.1249:
	s_cmp_gt_i32 s16, 43
	;; [unrolled: 3-line block ×3, first 2 shown]
	s_cbranch_scc0 .LBB15_1259
; %bb.1251:
	s_cmp_eq_u32 s16, 46
	s_mov_b64 s[14:15], 0
	s_cbranch_scc0 .LBB15_1262
; %bb.1252:
	global_load_dword v1, v[12:13], off
	s_mov_b32 s0, 0x2f800000
	s_mov_b32 s1, 0xcf800000
	s_mov_b64 s[12:13], -1
	s_waitcnt vmcnt(0)
	v_lshlrev_b32_e32 v1, 16, v1
	v_trunc_f32_e32 v1, v1
	v_mul_f32_e64 v3, |v1|, s0
	v_floor_f32_e32 v3, v3
	v_fma_f32 v3, v3, s1, |v1|
	v_cvt_u32_f32_e32 v3, v3
	v_ashrrev_i32_e32 v1, 31, v1
	s_mov_b64 s[0:1], 0
	v_xor_b32_e32 v3, v3, v1
	v_sub_u32_e32 v8, v3, v1
	s_branch .LBB15_1263
.LBB15_1253:
	s_mov_b64 s[12:13], 0
                                        ; implicit-def: $vgpr8
	s_cbranch_execnz .LBB15_1324
.LBB15_1254:
	s_andn2_b64 vcc, exec, s[12:13]
	s_cbranch_vccnz .LBB15_2055
	s_branch .LBB15_1371
.LBB15_1255:
	s_mov_b64 s[12:13], 0
	s_mov_b64 s[0:1], 0
                                        ; implicit-def: $vgpr8
	s_cbranch_execnz .LBB15_1290
	s_branch .LBB15_1320
.LBB15_1256:
	s_mov_b64 s[14:15], -1
	s_mov_b64 s[12:13], 0
	s_mov_b64 s[0:1], 0
                                        ; implicit-def: $vgpr8
	s_branch .LBB15_1273
.LBB15_1257:
	s_mov_b64 s[14:15], -1
	s_mov_b64 s[12:13], 0
	s_mov_b64 s[0:1], 0
                                        ; implicit-def: $vgpr8
	s_branch .LBB15_1268
.LBB15_1258:
	s_or_b64 s[2:3], s[28:29], exec
	s_trap 2
	s_cbranch_execz .LBB15_1199
	s_branch .LBB15_1200
.LBB15_1259:
	s_mov_b64 s[14:15], -1
	s_mov_b64 s[12:13], 0
	s_mov_b64 s[0:1], 0
                                        ; implicit-def: $vgpr8
	s_branch .LBB15_1263
.LBB15_1260:
	s_andn2_saveexec_b64 s[16:17], s[16:17]
	s_cbranch_execz .LBB15_991
.LBB15_1261:
	v_add_f32_e32 v0, 0x42800000, v3
	v_and_b32_e32 v0, 0xff, v0
	v_cmp_ne_u32_e32 vcc, 0, v0
	s_andn2_b64 s[14:15], s[14:15], exec
	s_and_b64 s[20:21], vcc, exec
	s_or_b64 s[14:15], s[14:15], s[20:21]
	s_or_b64 exec, exec, s[16:17]
	v_mov_b32_e32 v5, 0
	s_and_saveexec_b64 s[16:17], s[14:15]
	s_cbranch_execnz .LBB15_992
	s_branch .LBB15_993
.LBB15_1262:
	s_mov_b64 s[0:1], -1
                                        ; implicit-def: $vgpr8
	s_mov_b64 s[12:13], 0
.LBB15_1263:
	s_and_b64 vcc, exec, s[14:15]
	s_cbranch_vccz .LBB15_1267
; %bb.1264:
	s_cmp_eq_u32 s16, 44
	s_cbranch_scc0 .LBB15_1266
; %bb.1265:
	global_load_ubyte v1, v[12:13], off
	s_mov_b32 s0, 0x2f800000
	s_mov_b32 s1, 0xcf800000
	s_mov_b64 s[12:13], -1
	s_waitcnt vmcnt(0)
	v_lshlrev_b32_e32 v3, 23, v1
	v_trunc_f32_e32 v3, v3
	v_mul_f32_e64 v5, |v3|, s0
	v_floor_f32_e32 v5, v5
	v_fma_f32 v5, v5, s1, |v3|
	v_cvt_u32_f32_e32 v5, v5
	v_ashrrev_i32_e32 v3, 31, v3
	v_cmp_ne_u32_e32 vcc, 0, v1
	s_mov_b64 s[0:1], 0
	v_xor_b32_e32 v5, v5, v3
	v_sub_u32_e32 v3, v5, v3
	v_cndmask_b32_e32 v8, 0, v3, vcc
	s_branch .LBB15_1267
.LBB15_1266:
	s_mov_b64 s[0:1], -1
                                        ; implicit-def: $vgpr8
.LBB15_1267:
	s_mov_b64 s[14:15], 0
.LBB15_1268:
	s_and_b64 vcc, exec, s[14:15]
	s_cbranch_vccz .LBB15_1272
; %bb.1269:
	s_cmp_eq_u32 s16, 29
	s_cbranch_scc0 .LBB15_1271
; %bb.1270:
	global_load_dwordx2 v[8:9], v[12:13], off
	s_mov_b64 s[0:1], 0
	s_mov_b64 s[12:13], -1
	s_branch .LBB15_1272
.LBB15_1271:
	s_mov_b64 s[0:1], -1
                                        ; implicit-def: $vgpr8
.LBB15_1272:
	s_mov_b64 s[14:15], 0
.LBB15_1273:
	s_and_b64 vcc, exec, s[14:15]
	s_cbranch_vccz .LBB15_1289
; %bb.1274:
	s_cmp_lt_i32 s16, 27
	s_cbranch_scc1 .LBB15_1277
; %bb.1275:
	s_cmp_gt_i32 s16, 27
	s_cbranch_scc0 .LBB15_1278
; %bb.1276:
	global_load_dword v8, v[12:13], off
	s_mov_b64 s[12:13], 0
	s_branch .LBB15_1279
.LBB15_1277:
	s_mov_b64 s[12:13], -1
                                        ; implicit-def: $vgpr8
	s_branch .LBB15_1282
.LBB15_1278:
	s_mov_b64 s[12:13], -1
                                        ; implicit-def: $vgpr8
.LBB15_1279:
	s_andn2_b64 vcc, exec, s[12:13]
	s_cbranch_vccnz .LBB15_1281
; %bb.1280:
	global_load_ushort v8, v[12:13], off
.LBB15_1281:
	s_mov_b64 s[12:13], 0
.LBB15_1282:
	s_andn2_b64 vcc, exec, s[12:13]
	s_cbranch_vccnz .LBB15_1288
; %bb.1283:
	global_load_ubyte v1, v[12:13], off
	s_movk_i32 s12, 0x7f
	s_mov_b64 s[14:15], 0
	s_waitcnt vmcnt(0)
	v_cmp_lt_i16_e32 vcc, s12, v1
	s_and_saveexec_b64 s[12:13], vcc
	s_xor_b64 s[12:13], exec, s[12:13]
	s_cbranch_execz .LBB15_1299
; %bb.1284:
	s_movk_i32 s14, 0x80
	v_cmp_ne_u16_e32 vcc, s14, v1
	s_and_b64 s[14:15], vcc, exec
	s_andn2_saveexec_b64 s[12:13], s[12:13]
	s_cbranch_execnz .LBB15_1300
.LBB15_1285:
	s_or_b64 exec, exec, s[12:13]
	v_mov_b32_e32 v8, 0
	s_and_saveexec_b64 s[12:13], s[14:15]
	s_cbranch_execz .LBB15_1287
.LBB15_1286:
	v_lshlrev_b32_e32 v3, 24, v1
	v_and_b32_e32 v1, 0xffff, v1
	v_and_b32_e32 v5, 7, v1
	v_ffbh_u32_e32 v9, v5
	v_min_u32_e32 v9, 32, v9
	v_subrev_u32_e32 v14, 28, v9
	v_bfe_u32 v8, v1, 3, 4
	v_lshlrev_b32_e32 v1, v14, v1
	v_sub_u32_e32 v9, 29, v9
	v_and_b32_e32 v1, 7, v1
	v_cmp_eq_u32_e32 vcc, 0, v8
	v_cndmask_b32_e32 v8, v8, v9, vcc
	v_cndmask_b32_e32 v1, v5, v1, vcc
	v_mov_b32_e32 v5, 0x3b800000
	v_lshlrev_b32_e32 v1, 20, v1
	v_and_b32_e32 v3, 0x80000000, v3
	v_lshl_add_u32 v5, v8, 23, v5
	v_or3_b32 v1, v3, v5, v1
	v_trunc_f32_e32 v1, v1
	s_mov_b32 s14, 0x2f800000
	v_mul_f32_e64 v3, |v1|, s14
	v_floor_f32_e32 v3, v3
	s_mov_b32 s14, 0xcf800000
	v_fma_f32 v3, v3, s14, |v1|
	v_cvt_u32_f32_e32 v3, v3
	v_ashrrev_i32_e32 v1, 31, v1
	v_xor_b32_e32 v3, v3, v1
	v_sub_u32_e32 v8, v3, v1
.LBB15_1287:
	s_or_b64 exec, exec, s[12:13]
.LBB15_1288:
	s_mov_b64 s[12:13], -1
.LBB15_1289:
	s_branch .LBB15_1320
.LBB15_1290:
	s_cmp_gt_i32 s16, 22
	s_cbranch_scc0 .LBB15_1298
; %bb.1291:
	s_cmp_lt_i32 s16, 24
	s_cbranch_scc1 .LBB15_1301
; %bb.1292:
	s_cmp_gt_i32 s16, 24
	s_cbranch_scc0 .LBB15_1302
; %bb.1293:
	global_load_ubyte v1, v[12:13], off
	s_movk_i32 s6, 0x7f
	s_mov_b64 s[12:13], 0
	s_waitcnt vmcnt(0)
	v_cmp_lt_i16_e32 vcc, s6, v1
	s_and_saveexec_b64 s[6:7], vcc
	s_xor_b64 s[6:7], exec, s[6:7]
	s_cbranch_execz .LBB15_1314
; %bb.1294:
	s_movk_i32 s12, 0x80
	v_cmp_ne_u16_e32 vcc, s12, v1
	s_and_b64 s[12:13], vcc, exec
	s_andn2_saveexec_b64 s[6:7], s[6:7]
	s_cbranch_execnz .LBB15_1315
.LBB15_1295:
	s_or_b64 exec, exec, s[6:7]
	v_mov_b32_e32 v8, 0
	s_and_saveexec_b64 s[6:7], s[12:13]
	s_cbranch_execz .LBB15_1297
.LBB15_1296:
	v_lshlrev_b32_e32 v3, 24, v1
	v_and_b32_e32 v1, 0xffff, v1
	v_and_b32_e32 v5, 3, v1
	v_ffbh_u32_e32 v9, v5
	v_min_u32_e32 v9, 32, v9
	v_subrev_u32_e32 v14, 29, v9
	v_bfe_u32 v8, v1, 2, 5
	v_lshlrev_b32_e32 v1, v14, v1
	v_sub_u32_e32 v9, 30, v9
	v_and_b32_e32 v1, 3, v1
	v_cmp_eq_u32_e32 vcc, 0, v8
	v_cndmask_b32_e32 v8, v8, v9, vcc
	v_cndmask_b32_e32 v1, v5, v1, vcc
	v_mov_b32_e32 v5, 0x37800000
	v_lshlrev_b32_e32 v1, 21, v1
	v_and_b32_e32 v3, 0x80000000, v3
	v_lshl_add_u32 v5, v8, 23, v5
	v_or3_b32 v1, v3, v5, v1
	v_trunc_f32_e32 v1, v1
	s_mov_b32 s12, 0x2f800000
	v_mul_f32_e64 v3, |v1|, s12
	v_floor_f32_e32 v3, v3
	s_mov_b32 s12, 0xcf800000
	v_fma_f32 v3, v3, s12, |v1|
	v_cvt_u32_f32_e32 v3, v3
	v_ashrrev_i32_e32 v1, 31, v1
	v_xor_b32_e32 v3, v3, v1
	v_sub_u32_e32 v8, v3, v1
.LBB15_1297:
	s_or_b64 exec, exec, s[6:7]
	s_mov_b64 s[6:7], 0
	s_branch .LBB15_1303
.LBB15_1298:
	s_mov_b64 s[6:7], -1
                                        ; implicit-def: $vgpr8
	s_branch .LBB15_1309
.LBB15_1299:
	s_andn2_saveexec_b64 s[12:13], s[12:13]
	s_cbranch_execz .LBB15_1285
.LBB15_1300:
	v_cmp_ne_u16_e32 vcc, 0, v1
	s_andn2_b64 s[14:15], s[14:15], exec
	s_and_b64 s[18:19], vcc, exec
	s_or_b64 s[14:15], s[14:15], s[18:19]
	s_or_b64 exec, exec, s[12:13]
	v_mov_b32_e32 v8, 0
	s_and_saveexec_b64 s[12:13], s[14:15]
	s_cbranch_execnz .LBB15_1286
	s_branch .LBB15_1287
.LBB15_1301:
	s_mov_b64 s[6:7], -1
                                        ; implicit-def: $vgpr8
	s_branch .LBB15_1306
.LBB15_1302:
	s_mov_b64 s[6:7], -1
                                        ; implicit-def: $vgpr8
.LBB15_1303:
	s_and_b64 vcc, exec, s[6:7]
	s_cbranch_vccz .LBB15_1305
; %bb.1304:
	global_load_ubyte v1, v[12:13], off
	s_mov_b32 s6, 0x7f800000
	s_brev_b32 s7, 1
	s_mov_b32 s12, 0x2f800000
	s_waitcnt vmcnt(0)
	v_lshlrev_b32_e32 v1, 24, v1
	v_and_b32_e32 v3, 0x7f000000, v1
	v_ffbh_u32_e32 v5, v3
	v_min_u32_e32 v5, 32, v5
	v_sub_u32_e64 v5, v5, 4 clamp
	v_lshlrev_b32_e32 v9, v5, v3
	v_lshlrev_b32_e32 v5, 23, v5
	v_lshrrev_b32_e32 v9, 4, v9
	v_add_u32_e32 v8, 0x1000000, v3
	v_sub_u32_e32 v5, v9, v5
	v_ashrrev_i32_e32 v8, 8, v8
	v_add_u32_e32 v5, 0x3c000000, v5
	v_and_or_b32 v5, v8, s6, v5
	v_cmp_ne_u32_e32 vcc, 0, v3
	v_cndmask_b32_e32 v3, 0, v5, vcc
	v_and_or_b32 v1, v1, s7, v3
	v_trunc_f32_e32 v1, v1
	v_mul_f32_e64 v3, |v1|, s12
	v_floor_f32_e32 v3, v3
	s_mov_b32 s6, 0xcf800000
	v_fma_f32 v3, v3, s6, |v1|
	v_cvt_u32_f32_e32 v3, v3
	v_ashrrev_i32_e32 v1, 31, v1
	v_xor_b32_e32 v3, v3, v1
	v_sub_u32_e32 v8, v3, v1
.LBB15_1305:
	s_mov_b64 s[6:7], 0
.LBB15_1306:
	s_andn2_b64 vcc, exec, s[6:7]
	s_cbranch_vccnz .LBB15_1308
; %bb.1307:
	global_load_ubyte v1, v[12:13], off
	s_movk_i32 s6, 0x7f00
	s_brev_b32 s7, 16
	s_brev_b32 s12, 1
	s_mov_b32 s13, 0x2f800000
	s_waitcnt vmcnt(0)
	v_lshlrev_b16_e32 v3, 8, v1
	v_lshlrev_b32_e32 v1, 25, v1
	v_lshrrev_b32_e32 v5, 4, v1
	v_and_or_b32 v8, v3, s6, 0.5
	v_or_b32_e32 v5, 0x70000000, v5
	v_add_f32_e32 v8, -0.5, v8
	v_mul_f32_e32 v5, 0x7800000, v5
	v_cmp_gt_u32_e32 vcc, s7, v1
	v_bfe_i32 v3, v3, 0, 16
	v_cndmask_b32_e32 v1, v5, v8, vcc
	v_and_or_b32 v1, v3, s12, v1
	v_trunc_f32_e32 v1, v1
	v_mul_f32_e64 v3, |v1|, s13
	v_floor_f32_e32 v3, v3
	s_mov_b32 s6, 0xcf800000
	v_fma_f32 v3, v3, s6, |v1|
	v_cvt_u32_f32_e32 v3, v3
	v_ashrrev_i32_e32 v1, 31, v1
	v_xor_b32_e32 v3, v3, v1
	v_sub_u32_e32 v8, v3, v1
.LBB15_1308:
	s_mov_b64 s[6:7], 0
	s_mov_b64 s[12:13], -1
.LBB15_1309:
	s_andn2_b64 vcc, exec, s[6:7]
	s_mov_b64 s[6:7], 0
	s_cbranch_vccnz .LBB15_1320
; %bb.1310:
	s_cmp_gt_i32 s16, 14
	s_cbranch_scc0 .LBB15_1313
; %bb.1311:
	s_cmp_eq_u32 s16, 15
	s_cbranch_scc0 .LBB15_1316
; %bb.1312:
	global_load_ushort v1, v[12:13], off
	s_mov_b32 s0, 0x2f800000
	s_mov_b32 s1, 0xcf800000
	s_mov_b64 s[12:13], -1
	s_waitcnt vmcnt(0)
	v_lshlrev_b32_e32 v1, 16, v1
	v_trunc_f32_e32 v1, v1
	v_mul_f32_e64 v3, |v1|, s0
	v_floor_f32_e32 v3, v3
	v_fma_f32 v3, v3, s1, |v1|
	v_cvt_u32_f32_e32 v3, v3
	v_ashrrev_i32_e32 v1, 31, v1
	s_mov_b64 s[0:1], 0
	v_xor_b32_e32 v3, v3, v1
	v_sub_u32_e32 v8, v3, v1
	s_branch .LBB15_1317
.LBB15_1313:
	s_mov_b64 s[14:15], -1
                                        ; implicit-def: $vgpr8
	s_branch .LBB15_1318
.LBB15_1314:
	s_andn2_saveexec_b64 s[6:7], s[6:7]
	s_cbranch_execz .LBB15_1295
.LBB15_1315:
	v_cmp_ne_u16_e32 vcc, 0, v1
	s_andn2_b64 s[12:13], s[12:13], exec
	s_and_b64 s[14:15], vcc, exec
	s_or_b64 s[12:13], s[12:13], s[14:15]
	s_or_b64 exec, exec, s[6:7]
	v_mov_b32_e32 v8, 0
	s_and_saveexec_b64 s[6:7], s[12:13]
	s_cbranch_execnz .LBB15_1296
	s_branch .LBB15_1297
.LBB15_1316:
	s_mov_b64 s[0:1], -1
                                        ; implicit-def: $vgpr8
.LBB15_1317:
	s_mov_b64 s[14:15], 0
.LBB15_1318:
	s_and_b64 vcc, exec, s[14:15]
	s_cbranch_vccz .LBB15_1320
; %bb.1319:
	s_cmp_lg_u32 s16, 11
	s_mov_b64 s[6:7], -1
	s_cselect_b64 s[0:1], -1, 0
.LBB15_1320:
	s_and_b64 vcc, exec, s[0:1]
	s_cbranch_vccnz .LBB15_1383
; %bb.1321:
	s_andn2_b64 vcc, exec, s[6:7]
	s_cbranch_vccnz .LBB15_1323
.LBB15_1322:
	global_load_ubyte v1, v[12:13], off
	s_mov_b64 s[12:13], -1
	s_waitcnt vmcnt(0)
	v_cmp_ne_u16_e32 vcc, 0, v1
	v_cndmask_b32_e64 v8, 0, 1, vcc
.LBB15_1323:
	s_branch .LBB15_1254
.LBB15_1324:
	s_cmp_lt_i32 s16, 5
	s_cbranch_scc1 .LBB15_1329
; %bb.1325:
	s_cmp_lt_i32 s16, 8
	s_cbranch_scc1 .LBB15_1330
; %bb.1326:
	;; [unrolled: 3-line block ×3, first 2 shown]
	s_cmp_gt_i32 s16, 9
	s_cbranch_scc0 .LBB15_1332
; %bb.1328:
	global_load_dwordx2 v[8:9], v[12:13], off
	s_movk_i32 s0, 0xffe0
	s_waitcnt vmcnt(0)
	v_trunc_f64_e32 v[8:9], v[8:9]
	v_ldexp_f64 v[14:15], v[8:9], s0
	s_mov_b32 s0, 0
	s_mov_b32 s1, 0xc1f00000
	v_floor_f64_e32 v[14:15], v[14:15]
	v_fma_f64 v[8:9], v[14:15], s[0:1], v[8:9]
	s_mov_b64 s[0:1], 0
	v_cvt_u32_f64_e32 v8, v[8:9]
	s_branch .LBB15_1333
.LBB15_1329:
                                        ; implicit-def: $vgpr8
	s_branch .LBB15_1351
.LBB15_1330:
	s_mov_b64 s[0:1], -1
                                        ; implicit-def: $vgpr8
	s_branch .LBB15_1339
.LBB15_1331:
	s_mov_b64 s[0:1], -1
                                        ; implicit-def: $vgpr8
	s_branch .LBB15_1336
.LBB15_1332:
	s_mov_b64 s[0:1], -1
                                        ; implicit-def: $vgpr8
.LBB15_1333:
	s_andn2_b64 vcc, exec, s[0:1]
	s_cbranch_vccnz .LBB15_1335
; %bb.1334:
	global_load_dword v1, v[12:13], off
	s_mov_b32 s0, 0x2f800000
	s_waitcnt vmcnt(0)
	v_trunc_f32_e32 v1, v1
	v_mul_f32_e64 v3, |v1|, s0
	v_floor_f32_e32 v3, v3
	s_mov_b32 s0, 0xcf800000
	v_fma_f32 v3, v3, s0, |v1|
	v_cvt_u32_f32_e32 v3, v3
	v_ashrrev_i32_e32 v1, 31, v1
	v_xor_b32_e32 v3, v3, v1
	v_sub_u32_e32 v8, v3, v1
.LBB15_1335:
	s_mov_b64 s[0:1], 0
.LBB15_1336:
	s_andn2_b64 vcc, exec, s[0:1]
	s_cbranch_vccnz .LBB15_1338
; %bb.1337:
	global_load_dword v1, v[12:13], off
	s_waitcnt vmcnt(0)
	v_cvt_f32_f16_e32 v1, v1
	v_cvt_i32_f32_e32 v8, v1
.LBB15_1338:
	s_mov_b64 s[0:1], 0
.LBB15_1339:
	s_andn2_b64 vcc, exec, s[0:1]
	s_cbranch_vccnz .LBB15_1350
; %bb.1340:
	s_cmp_lt_i32 s16, 6
	s_cbranch_scc1 .LBB15_1343
; %bb.1341:
	s_cmp_gt_i32 s16, 6
	s_cbranch_scc0 .LBB15_1344
; %bb.1342:
	global_load_dwordx2 v[8:9], v[12:13], off
	s_movk_i32 s0, 0xffe0
	s_waitcnt vmcnt(0)
	v_trunc_f64_e32 v[8:9], v[8:9]
	v_ldexp_f64 v[14:15], v[8:9], s0
	s_mov_b32 s0, 0
	s_mov_b32 s1, 0xc1f00000
	v_floor_f64_e32 v[14:15], v[14:15]
	v_fma_f64 v[8:9], v[14:15], s[0:1], v[8:9]
	s_mov_b64 s[0:1], 0
	v_cvt_u32_f64_e32 v8, v[8:9]
	s_branch .LBB15_1345
.LBB15_1343:
	s_mov_b64 s[0:1], -1
                                        ; implicit-def: $vgpr8
	s_branch .LBB15_1348
.LBB15_1344:
	s_mov_b64 s[0:1], -1
                                        ; implicit-def: $vgpr8
.LBB15_1345:
	s_andn2_b64 vcc, exec, s[0:1]
	s_cbranch_vccnz .LBB15_1347
; %bb.1346:
	global_load_dword v1, v[12:13], off
	s_mov_b32 s0, 0x2f800000
	s_waitcnt vmcnt(0)
	v_trunc_f32_e32 v1, v1
	v_mul_f32_e64 v3, |v1|, s0
	v_floor_f32_e32 v3, v3
	s_mov_b32 s0, 0xcf800000
	v_fma_f32 v3, v3, s0, |v1|
	v_cvt_u32_f32_e32 v3, v3
	v_ashrrev_i32_e32 v1, 31, v1
	v_xor_b32_e32 v3, v3, v1
	v_sub_u32_e32 v8, v3, v1
.LBB15_1347:
	s_mov_b64 s[0:1], 0
.LBB15_1348:
	s_andn2_b64 vcc, exec, s[0:1]
	s_cbranch_vccnz .LBB15_1350
; %bb.1349:
	global_load_ushort v1, v[12:13], off
	s_waitcnt vmcnt(0)
	v_cvt_f32_f16_e32 v1, v1
	v_cvt_i32_f32_e32 v8, v1
.LBB15_1350:
	s_cbranch_execnz .LBB15_1370
.LBB15_1351:
	s_cmp_lt_i32 s16, 2
	s_cbranch_scc1 .LBB15_1355
; %bb.1352:
	s_cmp_lt_i32 s16, 3
	s_cbranch_scc1 .LBB15_1356
; %bb.1353:
	s_cmp_gt_i32 s16, 3
	s_cbranch_scc0 .LBB15_1357
; %bb.1354:
	global_load_dwordx2 v[8:9], v[12:13], off
	s_mov_b64 s[0:1], 0
	s_branch .LBB15_1358
.LBB15_1355:
	s_mov_b64 s[0:1], -1
                                        ; implicit-def: $vgpr8
	s_branch .LBB15_1364
.LBB15_1356:
	s_mov_b64 s[0:1], -1
                                        ; implicit-def: $vgpr8
	s_branch .LBB15_1361
.LBB15_1357:
	s_mov_b64 s[0:1], -1
                                        ; implicit-def: $vgpr8
.LBB15_1358:
	s_andn2_b64 vcc, exec, s[0:1]
	s_cbranch_vccnz .LBB15_1360
; %bb.1359:
	global_load_dword v8, v[12:13], off
.LBB15_1360:
	s_mov_b64 s[0:1], 0
.LBB15_1361:
	s_andn2_b64 vcc, exec, s[0:1]
	s_cbranch_vccnz .LBB15_1363
; %bb.1362:
	global_load_ushort v8, v[12:13], off
.LBB15_1363:
	s_mov_b64 s[0:1], 0
.LBB15_1364:
	s_andn2_b64 vcc, exec, s[0:1]
	s_cbranch_vccnz .LBB15_1370
; %bb.1365:
	s_cmp_gt_i32 s16, 0
	s_cbranch_scc0 .LBB15_1367
; %bb.1366:
	global_load_ubyte v8, v[12:13], off
	s_mov_b64 s[0:1], 0
	s_branch .LBB15_1368
.LBB15_1367:
	s_mov_b64 s[0:1], -1
                                        ; implicit-def: $vgpr8
.LBB15_1368:
	s_andn2_b64 vcc, exec, s[0:1]
	s_cbranch_vccnz .LBB15_1370
; %bb.1369:
	global_load_ubyte v8, v[12:13], off
.LBB15_1370:
.LBB15_1371:
	v_mov_b32_e32 v1, s11
	v_add_co_u32_e32 v12, vcc, s10, v10
	s_cmp_lt_i32 s16, 11
	v_addc_co_u32_e32 v13, vcc, 0, v1, vcc
	s_cbranch_scc1 .LBB15_1378
; %bb.1372:
	s_cmp_gt_i32 s16, 25
	s_mov_b64 s[6:7], 0
	s_cbranch_scc0 .LBB15_1380
; %bb.1373:
	s_cmp_gt_i32 s16, 28
	s_cbranch_scc0 .LBB15_1381
; %bb.1374:
	s_cmp_gt_i32 s16, 43
	;; [unrolled: 3-line block ×3, first 2 shown]
	s_cbranch_scc0 .LBB15_1384
; %bb.1376:
	s_cmp_eq_u32 s16, 46
	s_mov_b64 s[14:15], 0
	s_cbranch_scc0 .LBB15_1385
; %bb.1377:
	global_load_dword v1, v[12:13], off
	s_mov_b32 s0, 0x2f800000
	s_mov_b32 s1, 0xcf800000
	s_mov_b64 s[12:13], -1
	s_waitcnt vmcnt(0)
	v_lshlrev_b32_e32 v1, 16, v1
	v_trunc_f32_e32 v1, v1
	v_mul_f32_e64 v3, |v1|, s0
	v_floor_f32_e32 v3, v3
	v_fma_f32 v3, v3, s1, |v1|
	v_cvt_u32_f32_e32 v3, v3
	v_ashrrev_i32_e32 v1, 31, v1
	s_mov_b64 s[0:1], 0
	v_xor_b32_e32 v3, v3, v1
	v_sub_u32_e32 v9, v3, v1
	s_branch .LBB15_1386
.LBB15_1378:
	s_mov_b64 s[12:13], 0
                                        ; implicit-def: $vgpr9
	s_cbranch_execnz .LBB15_1448
.LBB15_1379:
	s_andn2_b64 vcc, exec, s[12:13]
	s_cbranch_vccnz .LBB15_2055
	s_branch .LBB15_1496
.LBB15_1380:
	s_mov_b64 s[14:15], -1
	s_mov_b64 s[12:13], 0
	s_mov_b64 s[0:1], 0
                                        ; implicit-def: $vgpr9
	s_branch .LBB15_1413
.LBB15_1381:
	s_mov_b64 s[14:15], -1
	s_mov_b64 s[12:13], 0
	s_mov_b64 s[0:1], 0
                                        ; implicit-def: $vgpr9
	s_branch .LBB15_1396
.LBB15_1382:
	s_mov_b64 s[14:15], -1
	s_mov_b64 s[12:13], 0
	s_mov_b64 s[0:1], 0
                                        ; implicit-def: $vgpr9
	s_branch .LBB15_1391
.LBB15_1383:
	s_trap 2
	s_or_b64 s[2:3], s[2:3], exec
	s_cbranch_execz .LBB15_1322
	s_branch .LBB15_1323
.LBB15_1384:
	s_mov_b64 s[14:15], -1
	s_mov_b64 s[12:13], 0
	s_mov_b64 s[0:1], 0
                                        ; implicit-def: $vgpr9
	s_branch .LBB15_1386
.LBB15_1385:
	s_mov_b64 s[0:1], -1
                                        ; implicit-def: $vgpr9
	s_mov_b64 s[12:13], 0
.LBB15_1386:
	s_and_b64 vcc, exec, s[14:15]
	s_cbranch_vccz .LBB15_1390
; %bb.1387:
	s_cmp_eq_u32 s16, 44
	s_cbranch_scc0 .LBB15_1389
; %bb.1388:
	global_load_ubyte v1, v[12:13], off
	s_mov_b32 s0, 0x2f800000
	s_mov_b32 s1, 0xcf800000
	s_mov_b64 s[12:13], -1
	s_waitcnt vmcnt(0)
	v_lshlrev_b32_e32 v3, 23, v1
	v_trunc_f32_e32 v3, v3
	v_mul_f32_e64 v5, |v3|, s0
	v_floor_f32_e32 v5, v5
	v_fma_f32 v5, v5, s1, |v3|
	v_cvt_u32_f32_e32 v5, v5
	v_ashrrev_i32_e32 v3, 31, v3
	v_cmp_ne_u32_e32 vcc, 0, v1
	s_mov_b64 s[0:1], 0
	v_xor_b32_e32 v5, v5, v3
	v_sub_u32_e32 v3, v5, v3
	v_cndmask_b32_e32 v9, 0, v3, vcc
	s_branch .LBB15_1390
.LBB15_1389:
	s_mov_b64 s[0:1], -1
                                        ; implicit-def: $vgpr9
.LBB15_1390:
	s_mov_b64 s[14:15], 0
.LBB15_1391:
	s_and_b64 vcc, exec, s[14:15]
	s_cbranch_vccz .LBB15_1395
; %bb.1392:
	s_cmp_eq_u32 s16, 29
	s_cbranch_scc0 .LBB15_1394
; %bb.1393:
	global_load_dwordx2 v[9:10], v[12:13], off
	s_mov_b64 s[0:1], 0
	s_mov_b64 s[12:13], -1
	s_branch .LBB15_1395
.LBB15_1394:
	s_mov_b64 s[0:1], -1
                                        ; implicit-def: $vgpr9
.LBB15_1395:
	s_mov_b64 s[14:15], 0
.LBB15_1396:
	s_and_b64 vcc, exec, s[14:15]
	s_cbranch_vccz .LBB15_1412
; %bb.1397:
	s_cmp_lt_i32 s16, 27
	s_cbranch_scc1 .LBB15_1400
; %bb.1398:
	s_cmp_gt_i32 s16, 27
	s_cbranch_scc0 .LBB15_1401
; %bb.1399:
	global_load_dword v9, v[12:13], off
	s_mov_b64 s[12:13], 0
	s_branch .LBB15_1402
.LBB15_1400:
	s_mov_b64 s[12:13], -1
                                        ; implicit-def: $vgpr9
	s_branch .LBB15_1405
.LBB15_1401:
	s_mov_b64 s[12:13], -1
                                        ; implicit-def: $vgpr9
.LBB15_1402:
	s_andn2_b64 vcc, exec, s[12:13]
	s_cbranch_vccnz .LBB15_1404
; %bb.1403:
	global_load_ushort v9, v[12:13], off
.LBB15_1404:
	s_mov_b64 s[12:13], 0
.LBB15_1405:
	s_andn2_b64 vcc, exec, s[12:13]
	s_cbranch_vccnz .LBB15_1411
; %bb.1406:
	global_load_ubyte v1, v[12:13], off
	s_movk_i32 s12, 0x7f
	s_mov_b64 s[14:15], 0
	s_waitcnt vmcnt(0)
	v_cmp_lt_i16_e32 vcc, s12, v1
	s_and_saveexec_b64 s[12:13], vcc
	s_xor_b64 s[12:13], exec, s[12:13]
	s_cbranch_execz .LBB15_1423
; %bb.1407:
	s_movk_i32 s14, 0x80
	v_cmp_ne_u16_e32 vcc, s14, v1
	s_and_b64 s[14:15], vcc, exec
	s_andn2_saveexec_b64 s[12:13], s[12:13]
	s_cbranch_execnz .LBB15_1424
.LBB15_1408:
	s_or_b64 exec, exec, s[12:13]
	v_mov_b32_e32 v9, 0
	s_and_saveexec_b64 s[12:13], s[14:15]
	s_cbranch_execz .LBB15_1410
.LBB15_1409:
	v_lshlrev_b32_e32 v3, 24, v1
	v_and_b32_e32 v1, 0xffff, v1
	v_and_b32_e32 v5, 7, v1
	v_ffbh_u32_e32 v10, v5
	v_min_u32_e32 v10, 32, v10
	v_subrev_u32_e32 v14, 28, v10
	v_bfe_u32 v9, v1, 3, 4
	v_lshlrev_b32_e32 v1, v14, v1
	v_sub_u32_e32 v10, 29, v10
	v_and_b32_e32 v1, 7, v1
	v_cmp_eq_u32_e32 vcc, 0, v9
	v_cndmask_b32_e32 v9, v9, v10, vcc
	v_cndmask_b32_e32 v1, v5, v1, vcc
	v_mov_b32_e32 v5, 0x3b800000
	v_lshlrev_b32_e32 v1, 20, v1
	v_and_b32_e32 v3, 0x80000000, v3
	v_lshl_add_u32 v5, v9, 23, v5
	v_or3_b32 v1, v3, v5, v1
	v_trunc_f32_e32 v1, v1
	s_mov_b32 s14, 0x2f800000
	v_mul_f32_e64 v3, |v1|, s14
	v_floor_f32_e32 v3, v3
	s_mov_b32 s14, 0xcf800000
	v_fma_f32 v3, v3, s14, |v1|
	v_cvt_u32_f32_e32 v3, v3
	v_ashrrev_i32_e32 v1, 31, v1
	v_xor_b32_e32 v3, v3, v1
	v_sub_u32_e32 v9, v3, v1
.LBB15_1410:
	s_or_b64 exec, exec, s[12:13]
.LBB15_1411:
	s_mov_b64 s[12:13], -1
.LBB15_1412:
	s_mov_b64 s[14:15], 0
.LBB15_1413:
	s_and_b64 vcc, exec, s[14:15]
	s_cbranch_vccz .LBB15_1444
; %bb.1414:
	s_cmp_gt_i32 s16, 22
	s_cbranch_scc0 .LBB15_1422
; %bb.1415:
	s_cmp_lt_i32 s16, 24
	s_cbranch_scc1 .LBB15_1425
; %bb.1416:
	s_cmp_gt_i32 s16, 24
	s_cbranch_scc0 .LBB15_1426
; %bb.1417:
	global_load_ubyte v1, v[12:13], off
	s_movk_i32 s6, 0x7f
	s_mov_b64 s[12:13], 0
	s_waitcnt vmcnt(0)
	v_cmp_lt_i16_e32 vcc, s6, v1
	s_and_saveexec_b64 s[6:7], vcc
	s_xor_b64 s[6:7], exec, s[6:7]
	s_cbranch_execz .LBB15_1438
; %bb.1418:
	s_movk_i32 s12, 0x80
	v_cmp_ne_u16_e32 vcc, s12, v1
	s_and_b64 s[12:13], vcc, exec
	s_andn2_saveexec_b64 s[6:7], s[6:7]
	s_cbranch_execnz .LBB15_1439
.LBB15_1419:
	s_or_b64 exec, exec, s[6:7]
	v_mov_b32_e32 v9, 0
	s_and_saveexec_b64 s[6:7], s[12:13]
	s_cbranch_execz .LBB15_1421
.LBB15_1420:
	v_lshlrev_b32_e32 v3, 24, v1
	v_and_b32_e32 v1, 0xffff, v1
	v_and_b32_e32 v5, 3, v1
	v_ffbh_u32_e32 v10, v5
	v_min_u32_e32 v10, 32, v10
	v_subrev_u32_e32 v14, 29, v10
	v_bfe_u32 v9, v1, 2, 5
	v_lshlrev_b32_e32 v1, v14, v1
	v_sub_u32_e32 v10, 30, v10
	v_and_b32_e32 v1, 3, v1
	v_cmp_eq_u32_e32 vcc, 0, v9
	v_cndmask_b32_e32 v9, v9, v10, vcc
	v_cndmask_b32_e32 v1, v5, v1, vcc
	v_mov_b32_e32 v5, 0x37800000
	v_lshlrev_b32_e32 v1, 21, v1
	v_and_b32_e32 v3, 0x80000000, v3
	v_lshl_add_u32 v5, v9, 23, v5
	v_or3_b32 v1, v3, v5, v1
	v_trunc_f32_e32 v1, v1
	s_mov_b32 s12, 0x2f800000
	v_mul_f32_e64 v3, |v1|, s12
	v_floor_f32_e32 v3, v3
	s_mov_b32 s12, 0xcf800000
	v_fma_f32 v3, v3, s12, |v1|
	v_cvt_u32_f32_e32 v3, v3
	v_ashrrev_i32_e32 v1, 31, v1
	v_xor_b32_e32 v3, v3, v1
	v_sub_u32_e32 v9, v3, v1
.LBB15_1421:
	s_or_b64 exec, exec, s[6:7]
	s_mov_b64 s[6:7], 0
	s_branch .LBB15_1427
.LBB15_1422:
	s_mov_b64 s[6:7], -1
                                        ; implicit-def: $vgpr9
	s_branch .LBB15_1433
.LBB15_1423:
	s_andn2_saveexec_b64 s[12:13], s[12:13]
	s_cbranch_execz .LBB15_1408
.LBB15_1424:
	v_cmp_ne_u16_e32 vcc, 0, v1
	s_andn2_b64 s[14:15], s[14:15], exec
	s_and_b64 s[18:19], vcc, exec
	s_or_b64 s[14:15], s[14:15], s[18:19]
	s_or_b64 exec, exec, s[12:13]
	v_mov_b32_e32 v9, 0
	s_and_saveexec_b64 s[12:13], s[14:15]
	s_cbranch_execnz .LBB15_1409
	s_branch .LBB15_1410
.LBB15_1425:
	s_mov_b64 s[6:7], -1
                                        ; implicit-def: $vgpr9
	s_branch .LBB15_1430
.LBB15_1426:
	s_mov_b64 s[6:7], -1
                                        ; implicit-def: $vgpr9
.LBB15_1427:
	s_and_b64 vcc, exec, s[6:7]
	s_cbranch_vccz .LBB15_1429
; %bb.1428:
	global_load_ubyte v1, v[12:13], off
	s_mov_b32 s6, 0x7f800000
	s_brev_b32 s7, 1
	s_mov_b32 s12, 0x2f800000
	s_waitcnt vmcnt(0)
	v_lshlrev_b32_e32 v1, 24, v1
	v_and_b32_e32 v3, 0x7f000000, v1
	v_ffbh_u32_e32 v5, v3
	v_min_u32_e32 v5, 32, v5
	v_sub_u32_e64 v5, v5, 4 clamp
	v_lshlrev_b32_e32 v10, v5, v3
	v_lshlrev_b32_e32 v5, 23, v5
	v_lshrrev_b32_e32 v10, 4, v10
	v_add_u32_e32 v9, 0x1000000, v3
	v_sub_u32_e32 v5, v10, v5
	v_ashrrev_i32_e32 v9, 8, v9
	v_add_u32_e32 v5, 0x3c000000, v5
	v_and_or_b32 v5, v9, s6, v5
	v_cmp_ne_u32_e32 vcc, 0, v3
	v_cndmask_b32_e32 v3, 0, v5, vcc
	v_and_or_b32 v1, v1, s7, v3
	v_trunc_f32_e32 v1, v1
	v_mul_f32_e64 v3, |v1|, s12
	v_floor_f32_e32 v3, v3
	s_mov_b32 s6, 0xcf800000
	v_fma_f32 v3, v3, s6, |v1|
	v_cvt_u32_f32_e32 v3, v3
	v_ashrrev_i32_e32 v1, 31, v1
	v_xor_b32_e32 v3, v3, v1
	v_sub_u32_e32 v9, v3, v1
.LBB15_1429:
	s_mov_b64 s[6:7], 0
.LBB15_1430:
	s_andn2_b64 vcc, exec, s[6:7]
	s_cbranch_vccnz .LBB15_1432
; %bb.1431:
	global_load_ubyte v1, v[12:13], off
	s_movk_i32 s6, 0x7f00
	s_brev_b32 s7, 16
	s_brev_b32 s12, 1
	s_mov_b32 s13, 0x2f800000
	s_waitcnt vmcnt(0)
	v_lshlrev_b16_e32 v3, 8, v1
	v_lshlrev_b32_e32 v1, 25, v1
	v_lshrrev_b32_e32 v5, 4, v1
	v_and_or_b32 v9, v3, s6, 0.5
	v_or_b32_e32 v5, 0x70000000, v5
	v_add_f32_e32 v9, -0.5, v9
	v_mul_f32_e32 v5, 0x7800000, v5
	v_cmp_gt_u32_e32 vcc, s7, v1
	v_bfe_i32 v3, v3, 0, 16
	v_cndmask_b32_e32 v1, v5, v9, vcc
	v_and_or_b32 v1, v3, s12, v1
	v_trunc_f32_e32 v1, v1
	v_mul_f32_e64 v3, |v1|, s13
	v_floor_f32_e32 v3, v3
	s_mov_b32 s6, 0xcf800000
	v_fma_f32 v3, v3, s6, |v1|
	v_cvt_u32_f32_e32 v3, v3
	v_ashrrev_i32_e32 v1, 31, v1
	v_xor_b32_e32 v3, v3, v1
	v_sub_u32_e32 v9, v3, v1
.LBB15_1432:
	s_mov_b64 s[6:7], 0
	s_mov_b64 s[12:13], -1
.LBB15_1433:
	s_andn2_b64 vcc, exec, s[6:7]
	s_mov_b64 s[6:7], 0
	s_cbranch_vccnz .LBB15_1444
; %bb.1434:
	s_cmp_gt_i32 s16, 14
	s_cbranch_scc0 .LBB15_1437
; %bb.1435:
	s_cmp_eq_u32 s16, 15
	s_cbranch_scc0 .LBB15_1440
; %bb.1436:
	global_load_ushort v1, v[12:13], off
	s_mov_b32 s0, 0x2f800000
	s_mov_b32 s1, 0xcf800000
	s_mov_b64 s[12:13], -1
	s_waitcnt vmcnt(0)
	v_lshlrev_b32_e32 v1, 16, v1
	v_trunc_f32_e32 v1, v1
	v_mul_f32_e64 v3, |v1|, s0
	v_floor_f32_e32 v3, v3
	v_fma_f32 v3, v3, s1, |v1|
	v_cvt_u32_f32_e32 v3, v3
	v_ashrrev_i32_e32 v1, 31, v1
	s_mov_b64 s[0:1], 0
	v_xor_b32_e32 v3, v3, v1
	v_sub_u32_e32 v9, v3, v1
	s_branch .LBB15_1441
.LBB15_1437:
	s_mov_b64 s[14:15], -1
                                        ; implicit-def: $vgpr9
	s_branch .LBB15_1442
.LBB15_1438:
	s_andn2_saveexec_b64 s[6:7], s[6:7]
	s_cbranch_execz .LBB15_1419
.LBB15_1439:
	v_cmp_ne_u16_e32 vcc, 0, v1
	s_andn2_b64 s[12:13], s[12:13], exec
	s_and_b64 s[14:15], vcc, exec
	s_or_b64 s[12:13], s[12:13], s[14:15]
	s_or_b64 exec, exec, s[6:7]
	v_mov_b32_e32 v9, 0
	s_and_saveexec_b64 s[6:7], s[12:13]
	s_cbranch_execnz .LBB15_1420
	s_branch .LBB15_1421
.LBB15_1440:
	s_mov_b64 s[0:1], -1
                                        ; implicit-def: $vgpr9
.LBB15_1441:
	s_mov_b64 s[14:15], 0
.LBB15_1442:
	s_and_b64 vcc, exec, s[14:15]
	s_cbranch_vccz .LBB15_1444
; %bb.1443:
	s_cmp_lg_u32 s16, 11
	s_mov_b64 s[6:7], -1
	s_cselect_b64 s[0:1], -1, 0
.LBB15_1444:
	s_and_b64 vcc, exec, s[0:1]
	s_cbranch_vccnz .LBB15_1507
; %bb.1445:
	s_andn2_b64 vcc, exec, s[6:7]
	s_cbranch_vccnz .LBB15_1447
.LBB15_1446:
	global_load_ubyte v1, v[12:13], off
	s_mov_b64 s[12:13], -1
	s_waitcnt vmcnt(0)
	v_cmp_ne_u16_e32 vcc, 0, v1
	v_cndmask_b32_e64 v9, 0, 1, vcc
.LBB15_1447:
	s_branch .LBB15_1379
.LBB15_1448:
	s_cmp_lt_i32 s16, 5
	s_cbranch_scc1 .LBB15_1453
; %bb.1449:
	s_cmp_lt_i32 s16, 8
	s_cbranch_scc1 .LBB15_1454
; %bb.1450:
	;; [unrolled: 3-line block ×3, first 2 shown]
	s_cmp_gt_i32 s16, 9
	s_cbranch_scc0 .LBB15_1456
; %bb.1452:
	global_load_dwordx2 v[9:10], v[12:13], off
	s_movk_i32 s0, 0xffe0
	s_waitcnt vmcnt(0)
	v_trunc_f64_e32 v[9:10], v[9:10]
	v_ldexp_f64 v[14:15], v[9:10], s0
	s_mov_b32 s0, 0
	s_mov_b32 s1, 0xc1f00000
	v_floor_f64_e32 v[14:15], v[14:15]
	v_fma_f64 v[9:10], v[14:15], s[0:1], v[9:10]
	s_mov_b64 s[0:1], 0
	v_cvt_u32_f64_e32 v9, v[9:10]
	s_branch .LBB15_1457
.LBB15_1453:
	s_mov_b64 s[0:1], -1
                                        ; implicit-def: $vgpr9
	s_branch .LBB15_1475
.LBB15_1454:
	s_mov_b64 s[0:1], -1
                                        ; implicit-def: $vgpr9
	s_branch .LBB15_1463
.LBB15_1455:
	s_mov_b64 s[0:1], -1
                                        ; implicit-def: $vgpr9
	s_branch .LBB15_1460
.LBB15_1456:
	s_mov_b64 s[0:1], -1
                                        ; implicit-def: $vgpr9
.LBB15_1457:
	s_andn2_b64 vcc, exec, s[0:1]
	s_cbranch_vccnz .LBB15_1459
; %bb.1458:
	global_load_dword v1, v[12:13], off
	s_mov_b32 s0, 0x2f800000
	s_waitcnt vmcnt(0)
	v_trunc_f32_e32 v1, v1
	v_mul_f32_e64 v3, |v1|, s0
	v_floor_f32_e32 v3, v3
	s_mov_b32 s0, 0xcf800000
	v_fma_f32 v3, v3, s0, |v1|
	v_cvt_u32_f32_e32 v3, v3
	v_ashrrev_i32_e32 v1, 31, v1
	v_xor_b32_e32 v3, v3, v1
	v_sub_u32_e32 v9, v3, v1
.LBB15_1459:
	s_mov_b64 s[0:1], 0
.LBB15_1460:
	s_andn2_b64 vcc, exec, s[0:1]
	s_cbranch_vccnz .LBB15_1462
; %bb.1461:
	global_load_dword v1, v[12:13], off
	s_waitcnt vmcnt(0)
	v_cvt_f32_f16_e32 v1, v1
	v_cvt_i32_f32_e32 v9, v1
.LBB15_1462:
	s_mov_b64 s[0:1], 0
.LBB15_1463:
	s_andn2_b64 vcc, exec, s[0:1]
	s_cbranch_vccnz .LBB15_1474
; %bb.1464:
	s_cmp_lt_i32 s16, 6
	s_cbranch_scc1 .LBB15_1467
; %bb.1465:
	s_cmp_gt_i32 s16, 6
	s_cbranch_scc0 .LBB15_1468
; %bb.1466:
	global_load_dwordx2 v[9:10], v[12:13], off
	s_movk_i32 s0, 0xffe0
	s_waitcnt vmcnt(0)
	v_trunc_f64_e32 v[9:10], v[9:10]
	v_ldexp_f64 v[14:15], v[9:10], s0
	s_mov_b32 s0, 0
	s_mov_b32 s1, 0xc1f00000
	v_floor_f64_e32 v[14:15], v[14:15]
	v_fma_f64 v[9:10], v[14:15], s[0:1], v[9:10]
	s_mov_b64 s[0:1], 0
	v_cvt_u32_f64_e32 v9, v[9:10]
	s_branch .LBB15_1469
.LBB15_1467:
	s_mov_b64 s[0:1], -1
                                        ; implicit-def: $vgpr9
	s_branch .LBB15_1472
.LBB15_1468:
	s_mov_b64 s[0:1], -1
                                        ; implicit-def: $vgpr9
.LBB15_1469:
	s_andn2_b64 vcc, exec, s[0:1]
	s_cbranch_vccnz .LBB15_1471
; %bb.1470:
	global_load_dword v1, v[12:13], off
	s_mov_b32 s0, 0x2f800000
	s_waitcnt vmcnt(0)
	v_trunc_f32_e32 v1, v1
	v_mul_f32_e64 v3, |v1|, s0
	v_floor_f32_e32 v3, v3
	s_mov_b32 s0, 0xcf800000
	v_fma_f32 v3, v3, s0, |v1|
	v_cvt_u32_f32_e32 v3, v3
	v_ashrrev_i32_e32 v1, 31, v1
	v_xor_b32_e32 v3, v3, v1
	v_sub_u32_e32 v9, v3, v1
.LBB15_1471:
	s_mov_b64 s[0:1], 0
.LBB15_1472:
	s_andn2_b64 vcc, exec, s[0:1]
	s_cbranch_vccnz .LBB15_1474
; %bb.1473:
	global_load_ushort v1, v[12:13], off
	s_waitcnt vmcnt(0)
	v_cvt_f32_f16_e32 v1, v1
	v_cvt_i32_f32_e32 v9, v1
.LBB15_1474:
	s_mov_b64 s[0:1], 0
.LBB15_1475:
	s_andn2_b64 vcc, exec, s[0:1]
	s_cbranch_vccnz .LBB15_1495
; %bb.1476:
	s_cmp_lt_i32 s16, 2
	s_cbranch_scc1 .LBB15_1480
; %bb.1477:
	s_cmp_lt_i32 s16, 3
	s_cbranch_scc1 .LBB15_1481
; %bb.1478:
	s_cmp_gt_i32 s16, 3
	s_cbranch_scc0 .LBB15_1482
; %bb.1479:
	global_load_dwordx2 v[9:10], v[12:13], off
	s_mov_b64 s[0:1], 0
	s_branch .LBB15_1483
.LBB15_1480:
	s_mov_b64 s[0:1], -1
                                        ; implicit-def: $vgpr9
	s_branch .LBB15_1489
.LBB15_1481:
	s_mov_b64 s[0:1], -1
                                        ; implicit-def: $vgpr9
	s_branch .LBB15_1486
.LBB15_1482:
	s_mov_b64 s[0:1], -1
                                        ; implicit-def: $vgpr9
.LBB15_1483:
	s_andn2_b64 vcc, exec, s[0:1]
	s_cbranch_vccnz .LBB15_1485
; %bb.1484:
	global_load_dword v9, v[12:13], off
.LBB15_1485:
	s_mov_b64 s[0:1], 0
.LBB15_1486:
	s_andn2_b64 vcc, exec, s[0:1]
	s_cbranch_vccnz .LBB15_1488
; %bb.1487:
	global_load_ushort v9, v[12:13], off
.LBB15_1488:
	s_mov_b64 s[0:1], 0
.LBB15_1489:
	s_andn2_b64 vcc, exec, s[0:1]
	s_cbranch_vccnz .LBB15_1495
; %bb.1490:
	s_cmp_gt_i32 s16, 0
	s_cbranch_scc0 .LBB15_1492
; %bb.1491:
	global_load_ubyte v9, v[12:13], off
	s_mov_b64 s[0:1], 0
	s_branch .LBB15_1493
.LBB15_1492:
	s_mov_b64 s[0:1], -1
                                        ; implicit-def: $vgpr9
.LBB15_1493:
	s_andn2_b64 vcc, exec, s[0:1]
	s_cbranch_vccnz .LBB15_1495
; %bb.1494:
	global_load_ubyte v9, v[12:13], off
.LBB15_1495:
.LBB15_1496:
	v_mov_b32_e32 v1, s11
	v_add_co_u32_e32 v12, vcc, s10, v11
	s_cmp_lt_i32 s16, 11
	v_addc_co_u32_e32 v13, vcc, 0, v1, vcc
	s_cbranch_scc1 .LBB15_1503
; %bb.1497:
	s_cmp_gt_i32 s16, 25
	s_mov_b64 s[6:7], 0
	s_cbranch_scc0 .LBB15_1504
; %bb.1498:
	s_cmp_gt_i32 s16, 28
	s_cbranch_scc0 .LBB15_1505
; %bb.1499:
	s_cmp_gt_i32 s16, 43
	;; [unrolled: 3-line block ×3, first 2 shown]
	s_cbranch_scc0 .LBB15_1508
; %bb.1501:
	s_cmp_eq_u32 s16, 46
	s_mov_b64 s[12:13], 0
	s_cbranch_scc0 .LBB15_1509
; %bb.1502:
	global_load_dword v1, v[12:13], off
	s_mov_b32 s0, 0x2f800000
	s_mov_b32 s1, 0xcf800000
	s_mov_b64 s[10:11], -1
	s_waitcnt vmcnt(0)
	v_lshlrev_b32_e32 v1, 16, v1
	v_trunc_f32_e32 v1, v1
	v_mul_f32_e64 v3, |v1|, s0
	v_floor_f32_e32 v3, v3
	v_fma_f32 v3, v3, s1, |v1|
	v_cvt_u32_f32_e32 v3, v3
	v_ashrrev_i32_e32 v1, 31, v1
	s_mov_b64 s[0:1], 0
	v_xor_b32_e32 v3, v3, v1
	v_sub_u32_e32 v10, v3, v1
	s_branch .LBB15_1510
.LBB15_1503:
	s_mov_b64 s[0:1], -1
	s_mov_b64 s[10:11], 0
                                        ; implicit-def: $vgpr10
	s_branch .LBB15_1572
.LBB15_1504:
	s_mov_b64 s[12:13], -1
	s_mov_b64 s[10:11], 0
	s_mov_b64 s[0:1], 0
                                        ; implicit-def: $vgpr10
	s_branch .LBB15_1537
.LBB15_1505:
	s_mov_b64 s[12:13], -1
	s_mov_b64 s[10:11], 0
	s_mov_b64 s[0:1], 0
                                        ; implicit-def: $vgpr10
	s_branch .LBB15_1520
.LBB15_1506:
	s_mov_b64 s[12:13], -1
	s_mov_b64 s[10:11], 0
	s_mov_b64 s[0:1], 0
                                        ; implicit-def: $vgpr10
	s_branch .LBB15_1515
.LBB15_1507:
	s_trap 2
	s_or_b64 s[2:3], s[2:3], exec
	s_cbranch_execz .LBB15_1446
	s_branch .LBB15_1447
.LBB15_1508:
	s_mov_b64 s[12:13], -1
	s_mov_b64 s[10:11], 0
	s_mov_b64 s[0:1], 0
                                        ; implicit-def: $vgpr10
	s_branch .LBB15_1510
.LBB15_1509:
	s_mov_b64 s[0:1], -1
                                        ; implicit-def: $vgpr10
	s_mov_b64 s[10:11], 0
.LBB15_1510:
	s_and_b64 vcc, exec, s[12:13]
	s_cbranch_vccz .LBB15_1514
; %bb.1511:
	s_cmp_eq_u32 s16, 44
	s_cbranch_scc0 .LBB15_1513
; %bb.1512:
	global_load_ubyte v1, v[12:13], off
	s_mov_b32 s0, 0x2f800000
	s_mov_b32 s1, 0xcf800000
	s_mov_b64 s[10:11], -1
	s_waitcnt vmcnt(0)
	v_lshlrev_b32_e32 v3, 23, v1
	v_trunc_f32_e32 v3, v3
	v_mul_f32_e64 v5, |v3|, s0
	v_floor_f32_e32 v5, v5
	v_fma_f32 v5, v5, s1, |v3|
	v_cvt_u32_f32_e32 v5, v5
	v_ashrrev_i32_e32 v3, 31, v3
	v_cmp_ne_u32_e32 vcc, 0, v1
	s_mov_b64 s[0:1], 0
	v_xor_b32_e32 v5, v5, v3
	v_sub_u32_e32 v3, v5, v3
	v_cndmask_b32_e32 v10, 0, v3, vcc
	s_branch .LBB15_1514
.LBB15_1513:
	s_mov_b64 s[0:1], -1
                                        ; implicit-def: $vgpr10
.LBB15_1514:
	s_mov_b64 s[12:13], 0
.LBB15_1515:
	s_and_b64 vcc, exec, s[12:13]
	s_cbranch_vccz .LBB15_1519
; %bb.1516:
	s_cmp_eq_u32 s16, 29
	s_cbranch_scc0 .LBB15_1518
; %bb.1517:
	global_load_dwordx2 v[10:11], v[12:13], off
	s_mov_b64 s[0:1], 0
	s_mov_b64 s[10:11], -1
	s_branch .LBB15_1519
.LBB15_1518:
	s_mov_b64 s[0:1], -1
                                        ; implicit-def: $vgpr10
.LBB15_1519:
	s_mov_b64 s[12:13], 0
.LBB15_1520:
	s_and_b64 vcc, exec, s[12:13]
	s_cbranch_vccz .LBB15_1536
; %bb.1521:
	s_cmp_lt_i32 s16, 27
	s_cbranch_scc1 .LBB15_1524
; %bb.1522:
	s_cmp_gt_i32 s16, 27
	s_cbranch_scc0 .LBB15_1525
; %bb.1523:
	global_load_dword v10, v[12:13], off
	s_mov_b64 s[10:11], 0
	s_branch .LBB15_1526
.LBB15_1524:
	s_mov_b64 s[10:11], -1
                                        ; implicit-def: $vgpr10
	s_branch .LBB15_1529
.LBB15_1525:
	s_mov_b64 s[10:11], -1
                                        ; implicit-def: $vgpr10
.LBB15_1526:
	s_andn2_b64 vcc, exec, s[10:11]
	s_cbranch_vccnz .LBB15_1528
; %bb.1527:
	global_load_ushort v10, v[12:13], off
.LBB15_1528:
	s_mov_b64 s[10:11], 0
.LBB15_1529:
	s_andn2_b64 vcc, exec, s[10:11]
	s_cbranch_vccnz .LBB15_1535
; %bb.1530:
	global_load_ubyte v1, v[12:13], off
	s_movk_i32 s10, 0x7f
	s_mov_b64 s[12:13], 0
	s_waitcnt vmcnt(0)
	v_cmp_lt_i16_e32 vcc, s10, v1
	s_and_saveexec_b64 s[10:11], vcc
	s_xor_b64 s[10:11], exec, s[10:11]
	s_cbranch_execz .LBB15_1547
; %bb.1531:
	s_movk_i32 s12, 0x80
	v_cmp_ne_u16_e32 vcc, s12, v1
	s_and_b64 s[12:13], vcc, exec
	s_andn2_saveexec_b64 s[10:11], s[10:11]
	s_cbranch_execnz .LBB15_1548
.LBB15_1532:
	s_or_b64 exec, exec, s[10:11]
	v_mov_b32_e32 v10, 0
	s_and_saveexec_b64 s[10:11], s[12:13]
	s_cbranch_execz .LBB15_1534
.LBB15_1533:
	v_lshlrev_b32_e32 v3, 24, v1
	v_and_b32_e32 v1, 0xffff, v1
	v_and_b32_e32 v5, 7, v1
	v_ffbh_u32_e32 v11, v5
	v_min_u32_e32 v11, 32, v11
	v_subrev_u32_e32 v14, 28, v11
	v_bfe_u32 v10, v1, 3, 4
	v_lshlrev_b32_e32 v1, v14, v1
	v_sub_u32_e32 v11, 29, v11
	v_and_b32_e32 v1, 7, v1
	v_cmp_eq_u32_e32 vcc, 0, v10
	v_cndmask_b32_e32 v10, v10, v11, vcc
	v_cndmask_b32_e32 v1, v5, v1, vcc
	v_mov_b32_e32 v5, 0x3b800000
	v_lshlrev_b32_e32 v1, 20, v1
	v_and_b32_e32 v3, 0x80000000, v3
	v_lshl_add_u32 v5, v10, 23, v5
	v_or3_b32 v1, v3, v5, v1
	v_trunc_f32_e32 v1, v1
	s_mov_b32 s12, 0x2f800000
	v_mul_f32_e64 v3, |v1|, s12
	v_floor_f32_e32 v3, v3
	s_mov_b32 s12, 0xcf800000
	v_fma_f32 v3, v3, s12, |v1|
	v_cvt_u32_f32_e32 v3, v3
	v_ashrrev_i32_e32 v1, 31, v1
	v_xor_b32_e32 v3, v3, v1
	v_sub_u32_e32 v10, v3, v1
.LBB15_1534:
	s_or_b64 exec, exec, s[10:11]
.LBB15_1535:
	s_mov_b64 s[10:11], -1
.LBB15_1536:
	s_mov_b64 s[12:13], 0
.LBB15_1537:
	s_and_b64 vcc, exec, s[12:13]
	s_cbranch_vccz .LBB15_1568
; %bb.1538:
	s_cmp_gt_i32 s16, 22
	s_cbranch_scc0 .LBB15_1546
; %bb.1539:
	s_cmp_lt_i32 s16, 24
	s_cbranch_scc1 .LBB15_1549
; %bb.1540:
	s_cmp_gt_i32 s16, 24
	s_cbranch_scc0 .LBB15_1550
; %bb.1541:
	global_load_ubyte v1, v[12:13], off
	s_movk_i32 s6, 0x7f
	s_mov_b64 s[10:11], 0
	s_waitcnt vmcnt(0)
	v_cmp_lt_i16_e32 vcc, s6, v1
	s_and_saveexec_b64 s[6:7], vcc
	s_xor_b64 s[6:7], exec, s[6:7]
	s_cbranch_execz .LBB15_1562
; %bb.1542:
	s_movk_i32 s10, 0x80
	v_cmp_ne_u16_e32 vcc, s10, v1
	s_and_b64 s[10:11], vcc, exec
	s_andn2_saveexec_b64 s[6:7], s[6:7]
	s_cbranch_execnz .LBB15_1563
.LBB15_1543:
	s_or_b64 exec, exec, s[6:7]
	v_mov_b32_e32 v10, 0
	s_and_saveexec_b64 s[6:7], s[10:11]
	s_cbranch_execz .LBB15_1545
.LBB15_1544:
	v_lshlrev_b32_e32 v3, 24, v1
	v_and_b32_e32 v1, 0xffff, v1
	v_and_b32_e32 v5, 3, v1
	v_ffbh_u32_e32 v11, v5
	v_min_u32_e32 v11, 32, v11
	v_subrev_u32_e32 v14, 29, v11
	v_bfe_u32 v10, v1, 2, 5
	v_lshlrev_b32_e32 v1, v14, v1
	v_sub_u32_e32 v11, 30, v11
	v_and_b32_e32 v1, 3, v1
	v_cmp_eq_u32_e32 vcc, 0, v10
	v_cndmask_b32_e32 v10, v10, v11, vcc
	v_cndmask_b32_e32 v1, v5, v1, vcc
	v_mov_b32_e32 v5, 0x37800000
	v_lshlrev_b32_e32 v1, 21, v1
	v_and_b32_e32 v3, 0x80000000, v3
	v_lshl_add_u32 v5, v10, 23, v5
	v_or3_b32 v1, v3, v5, v1
	v_trunc_f32_e32 v1, v1
	s_mov_b32 s10, 0x2f800000
	v_mul_f32_e64 v3, |v1|, s10
	v_floor_f32_e32 v3, v3
	s_mov_b32 s10, 0xcf800000
	v_fma_f32 v3, v3, s10, |v1|
	v_cvt_u32_f32_e32 v3, v3
	v_ashrrev_i32_e32 v1, 31, v1
	v_xor_b32_e32 v3, v3, v1
	v_sub_u32_e32 v10, v3, v1
.LBB15_1545:
	s_or_b64 exec, exec, s[6:7]
	s_mov_b64 s[6:7], 0
	s_branch .LBB15_1551
.LBB15_1546:
	s_mov_b64 s[6:7], -1
                                        ; implicit-def: $vgpr10
	s_branch .LBB15_1557
.LBB15_1547:
	s_andn2_saveexec_b64 s[10:11], s[10:11]
	s_cbranch_execz .LBB15_1532
.LBB15_1548:
	v_cmp_ne_u16_e32 vcc, 0, v1
	s_andn2_b64 s[12:13], s[12:13], exec
	s_and_b64 s[14:15], vcc, exec
	s_or_b64 s[12:13], s[12:13], s[14:15]
	s_or_b64 exec, exec, s[10:11]
	v_mov_b32_e32 v10, 0
	s_and_saveexec_b64 s[10:11], s[12:13]
	s_cbranch_execnz .LBB15_1533
	s_branch .LBB15_1534
.LBB15_1549:
	s_mov_b64 s[6:7], -1
                                        ; implicit-def: $vgpr10
	s_branch .LBB15_1554
.LBB15_1550:
	s_mov_b64 s[6:7], -1
                                        ; implicit-def: $vgpr10
.LBB15_1551:
	s_and_b64 vcc, exec, s[6:7]
	s_cbranch_vccz .LBB15_1553
; %bb.1552:
	global_load_ubyte v1, v[12:13], off
	s_mov_b32 s6, 0x7f800000
	s_brev_b32 s7, 1
	s_mov_b32 s10, 0x2f800000
	s_waitcnt vmcnt(0)
	v_lshlrev_b32_e32 v1, 24, v1
	v_and_b32_e32 v3, 0x7f000000, v1
	v_ffbh_u32_e32 v5, v3
	v_min_u32_e32 v5, 32, v5
	v_sub_u32_e64 v5, v5, 4 clamp
	v_lshlrev_b32_e32 v11, v5, v3
	v_lshlrev_b32_e32 v5, 23, v5
	v_lshrrev_b32_e32 v11, 4, v11
	v_add_u32_e32 v10, 0x1000000, v3
	v_sub_u32_e32 v5, v11, v5
	v_ashrrev_i32_e32 v10, 8, v10
	v_add_u32_e32 v5, 0x3c000000, v5
	v_and_or_b32 v5, v10, s6, v5
	v_cmp_ne_u32_e32 vcc, 0, v3
	v_cndmask_b32_e32 v3, 0, v5, vcc
	v_and_or_b32 v1, v1, s7, v3
	v_trunc_f32_e32 v1, v1
	v_mul_f32_e64 v3, |v1|, s10
	v_floor_f32_e32 v3, v3
	s_mov_b32 s6, 0xcf800000
	v_fma_f32 v3, v3, s6, |v1|
	v_cvt_u32_f32_e32 v3, v3
	v_ashrrev_i32_e32 v1, 31, v1
	v_xor_b32_e32 v3, v3, v1
	v_sub_u32_e32 v10, v3, v1
.LBB15_1553:
	s_mov_b64 s[6:7], 0
.LBB15_1554:
	s_andn2_b64 vcc, exec, s[6:7]
	s_cbranch_vccnz .LBB15_1556
; %bb.1555:
	global_load_ubyte v1, v[12:13], off
	s_movk_i32 s6, 0x7f00
	s_brev_b32 s7, 16
	s_brev_b32 s10, 1
	s_mov_b32 s11, 0x2f800000
	s_waitcnt vmcnt(0)
	v_lshlrev_b16_e32 v3, 8, v1
	v_lshlrev_b32_e32 v1, 25, v1
	v_lshrrev_b32_e32 v5, 4, v1
	v_and_or_b32 v10, v3, s6, 0.5
	v_or_b32_e32 v5, 0x70000000, v5
	v_add_f32_e32 v10, -0.5, v10
	v_mul_f32_e32 v5, 0x7800000, v5
	v_cmp_gt_u32_e32 vcc, s7, v1
	v_bfe_i32 v3, v3, 0, 16
	v_cndmask_b32_e32 v1, v5, v10, vcc
	v_and_or_b32 v1, v3, s10, v1
	v_trunc_f32_e32 v1, v1
	v_mul_f32_e64 v3, |v1|, s11
	v_floor_f32_e32 v3, v3
	s_mov_b32 s6, 0xcf800000
	v_fma_f32 v3, v3, s6, |v1|
	v_cvt_u32_f32_e32 v3, v3
	v_ashrrev_i32_e32 v1, 31, v1
	v_xor_b32_e32 v3, v3, v1
	v_sub_u32_e32 v10, v3, v1
.LBB15_1556:
	s_mov_b64 s[6:7], 0
	s_mov_b64 s[10:11], -1
.LBB15_1557:
	s_andn2_b64 vcc, exec, s[6:7]
	s_mov_b64 s[6:7], 0
	s_cbranch_vccnz .LBB15_1568
; %bb.1558:
	s_cmp_gt_i32 s16, 14
	s_cbranch_scc0 .LBB15_1561
; %bb.1559:
	s_cmp_eq_u32 s16, 15
	s_cbranch_scc0 .LBB15_1564
; %bb.1560:
	global_load_ushort v1, v[12:13], off
	s_mov_b32 s0, 0x2f800000
	s_mov_b32 s1, 0xcf800000
	s_mov_b64 s[10:11], -1
	s_waitcnt vmcnt(0)
	v_lshlrev_b32_e32 v1, 16, v1
	v_trunc_f32_e32 v1, v1
	v_mul_f32_e64 v3, |v1|, s0
	v_floor_f32_e32 v3, v3
	v_fma_f32 v3, v3, s1, |v1|
	v_cvt_u32_f32_e32 v3, v3
	v_ashrrev_i32_e32 v1, 31, v1
	s_mov_b64 s[0:1], 0
	v_xor_b32_e32 v3, v3, v1
	v_sub_u32_e32 v10, v3, v1
	s_branch .LBB15_1565
.LBB15_1561:
	s_mov_b64 s[12:13], -1
                                        ; implicit-def: $vgpr10
	s_branch .LBB15_1566
.LBB15_1562:
	s_andn2_saveexec_b64 s[6:7], s[6:7]
	s_cbranch_execz .LBB15_1543
.LBB15_1563:
	v_cmp_ne_u16_e32 vcc, 0, v1
	s_andn2_b64 s[10:11], s[10:11], exec
	s_and_b64 s[12:13], vcc, exec
	s_or_b64 s[10:11], s[10:11], s[12:13]
	s_or_b64 exec, exec, s[6:7]
	v_mov_b32_e32 v10, 0
	s_and_saveexec_b64 s[6:7], s[10:11]
	s_cbranch_execnz .LBB15_1544
	s_branch .LBB15_1545
.LBB15_1564:
	s_mov_b64 s[0:1], -1
                                        ; implicit-def: $vgpr10
.LBB15_1565:
	s_mov_b64 s[12:13], 0
.LBB15_1566:
	s_and_b64 vcc, exec, s[12:13]
	s_cbranch_vccz .LBB15_1568
; %bb.1567:
	s_cmp_lg_u32 s16, 11
	s_mov_b64 s[6:7], -1
	s_cselect_b64 s[0:1], -1, 0
.LBB15_1568:
	s_and_b64 vcc, exec, s[0:1]
	s_cbranch_vccnz .LBB15_2101
; %bb.1569:
	s_andn2_b64 vcc, exec, s[6:7]
	s_cbranch_vccnz .LBB15_1571
.LBB15_1570:
	global_load_ubyte v1, v[12:13], off
	s_mov_b64 s[10:11], -1
	s_waitcnt vmcnt(0)
	v_cmp_ne_u16_e32 vcc, 0, v1
	v_cndmask_b32_e64 v10, 0, 1, vcc
.LBB15_1571:
	s_mov_b64 s[0:1], 0
.LBB15_1572:
	s_and_b64 vcc, exec, s[0:1]
	s_cbranch_vccz .LBB15_1621
; %bb.1573:
	s_cmp_lt_i32 s16, 5
	s_cbranch_scc1 .LBB15_1578
; %bb.1574:
	s_cmp_lt_i32 s16, 8
	s_cbranch_scc1 .LBB15_1579
; %bb.1575:
	s_cmp_lt_i32 s16, 9
	s_cbranch_scc1 .LBB15_1580
; %bb.1576:
	s_cmp_gt_i32 s16, 9
	s_cbranch_scc0 .LBB15_1581
; %bb.1577:
	global_load_dwordx2 v[10:11], v[12:13], off
	s_movk_i32 s0, 0xffe0
	s_waitcnt vmcnt(0)
	v_trunc_f64_e32 v[10:11], v[10:11]
	v_ldexp_f64 v[14:15], v[10:11], s0
	s_mov_b32 s0, 0
	s_mov_b32 s1, 0xc1f00000
	v_floor_f64_e32 v[14:15], v[14:15]
	v_fma_f64 v[10:11], v[14:15], s[0:1], v[10:11]
	s_mov_b64 s[0:1], 0
	v_cvt_u32_f64_e32 v10, v[10:11]
	s_branch .LBB15_1582
.LBB15_1578:
	s_mov_b64 s[0:1], -1
                                        ; implicit-def: $vgpr10
	s_branch .LBB15_1600
.LBB15_1579:
	s_mov_b64 s[0:1], -1
                                        ; implicit-def: $vgpr10
	s_branch .LBB15_1588
.LBB15_1580:
	s_mov_b64 s[0:1], -1
                                        ; implicit-def: $vgpr10
	s_branch .LBB15_1585
.LBB15_1581:
	s_mov_b64 s[0:1], -1
                                        ; implicit-def: $vgpr10
.LBB15_1582:
	s_andn2_b64 vcc, exec, s[0:1]
	s_cbranch_vccnz .LBB15_1584
; %bb.1583:
	global_load_dword v1, v[12:13], off
	s_mov_b32 s0, 0x2f800000
	s_waitcnt vmcnt(0)
	v_trunc_f32_e32 v1, v1
	v_mul_f32_e64 v3, |v1|, s0
	v_floor_f32_e32 v3, v3
	s_mov_b32 s0, 0xcf800000
	v_fma_f32 v3, v3, s0, |v1|
	v_cvt_u32_f32_e32 v3, v3
	v_ashrrev_i32_e32 v1, 31, v1
	v_xor_b32_e32 v3, v3, v1
	v_sub_u32_e32 v10, v3, v1
.LBB15_1584:
	s_mov_b64 s[0:1], 0
.LBB15_1585:
	s_andn2_b64 vcc, exec, s[0:1]
	s_cbranch_vccnz .LBB15_1587
; %bb.1586:
	global_load_dword v1, v[12:13], off
	s_waitcnt vmcnt(0)
	v_cvt_f32_f16_e32 v1, v1
	v_cvt_i32_f32_e32 v10, v1
.LBB15_1587:
	s_mov_b64 s[0:1], 0
.LBB15_1588:
	s_andn2_b64 vcc, exec, s[0:1]
	s_cbranch_vccnz .LBB15_1599
; %bb.1589:
	s_cmp_lt_i32 s16, 6
	s_cbranch_scc1 .LBB15_1592
; %bb.1590:
	s_cmp_gt_i32 s16, 6
	s_cbranch_scc0 .LBB15_1593
; %bb.1591:
	global_load_dwordx2 v[10:11], v[12:13], off
	s_movk_i32 s0, 0xffe0
	s_waitcnt vmcnt(0)
	v_trunc_f64_e32 v[10:11], v[10:11]
	v_ldexp_f64 v[14:15], v[10:11], s0
	s_mov_b32 s0, 0
	s_mov_b32 s1, 0xc1f00000
	v_floor_f64_e32 v[14:15], v[14:15]
	v_fma_f64 v[10:11], v[14:15], s[0:1], v[10:11]
	s_mov_b64 s[0:1], 0
	v_cvt_u32_f64_e32 v10, v[10:11]
	s_branch .LBB15_1594
.LBB15_1592:
	s_mov_b64 s[0:1], -1
                                        ; implicit-def: $vgpr10
	s_branch .LBB15_1597
.LBB15_1593:
	s_mov_b64 s[0:1], -1
                                        ; implicit-def: $vgpr10
.LBB15_1594:
	s_andn2_b64 vcc, exec, s[0:1]
	s_cbranch_vccnz .LBB15_1596
; %bb.1595:
	global_load_dword v1, v[12:13], off
	s_mov_b32 s0, 0x2f800000
	s_waitcnt vmcnt(0)
	v_trunc_f32_e32 v1, v1
	v_mul_f32_e64 v3, |v1|, s0
	v_floor_f32_e32 v3, v3
	s_mov_b32 s0, 0xcf800000
	v_fma_f32 v3, v3, s0, |v1|
	v_cvt_u32_f32_e32 v3, v3
	v_ashrrev_i32_e32 v1, 31, v1
	v_xor_b32_e32 v3, v3, v1
	v_sub_u32_e32 v10, v3, v1
.LBB15_1596:
	s_mov_b64 s[0:1], 0
.LBB15_1597:
	s_andn2_b64 vcc, exec, s[0:1]
	s_cbranch_vccnz .LBB15_1599
; %bb.1598:
	global_load_ushort v1, v[12:13], off
	s_waitcnt vmcnt(0)
	v_cvt_f32_f16_e32 v1, v1
	v_cvt_i32_f32_e32 v10, v1
.LBB15_1599:
	s_mov_b64 s[0:1], 0
.LBB15_1600:
	s_andn2_b64 vcc, exec, s[0:1]
	s_cbranch_vccnz .LBB15_1620
; %bb.1601:
	s_cmp_lt_i32 s16, 2
	s_cbranch_scc1 .LBB15_1605
; %bb.1602:
	s_cmp_lt_i32 s16, 3
	s_cbranch_scc1 .LBB15_1606
; %bb.1603:
	s_cmp_gt_i32 s16, 3
	s_cbranch_scc0 .LBB15_1607
; %bb.1604:
	global_load_dwordx2 v[10:11], v[12:13], off
	s_mov_b64 s[0:1], 0
	s_branch .LBB15_1608
.LBB15_1605:
	s_mov_b64 s[0:1], -1
                                        ; implicit-def: $vgpr10
	s_branch .LBB15_1614
.LBB15_1606:
	s_mov_b64 s[0:1], -1
                                        ; implicit-def: $vgpr10
	s_branch .LBB15_1611
.LBB15_1607:
	s_mov_b64 s[0:1], -1
                                        ; implicit-def: $vgpr10
.LBB15_1608:
	s_andn2_b64 vcc, exec, s[0:1]
	s_cbranch_vccnz .LBB15_1610
; %bb.1609:
	global_load_dword v10, v[12:13], off
.LBB15_1610:
	s_mov_b64 s[0:1], 0
.LBB15_1611:
	s_andn2_b64 vcc, exec, s[0:1]
	s_cbranch_vccnz .LBB15_1613
; %bb.1612:
	global_load_ushort v10, v[12:13], off
.LBB15_1613:
	s_mov_b64 s[0:1], 0
.LBB15_1614:
	s_andn2_b64 vcc, exec, s[0:1]
	s_cbranch_vccnz .LBB15_1620
; %bb.1615:
	s_cmp_gt_i32 s16, 0
	s_cbranch_scc0 .LBB15_1617
; %bb.1616:
	global_load_ubyte v10, v[12:13], off
	s_mov_b64 s[0:1], 0
	s_branch .LBB15_1618
.LBB15_1617:
	s_mov_b64 s[0:1], -1
                                        ; implicit-def: $vgpr10
.LBB15_1618:
	s_andn2_b64 vcc, exec, s[0:1]
	s_cbranch_vccnz .LBB15_1620
; %bb.1619:
	global_load_ubyte v10, v[12:13], off
.LBB15_1620:
	s_mov_b64 s[10:11], -1
.LBB15_1621:
	s_andn2_b64 vcc, exec, s[10:11]
	s_cbranch_vccnz .LBB15_2055
; %bb.1622:
	s_load_dword s0, s[34:35], 0x158
	s_load_dword s1, s[4:5], 0x160
	s_waitcnt lgkmcnt(0)
	s_lshr_b32 s15, s0, 16
	s_lshr_b32 s17, s0, 8
	s_and_b32 s16, s0, 0xff
	v_mov_b32_e32 v1, s17
	s_waitcnt vmcnt(0)
	v_mov_b32_e32 v3, s15
	v_cmp_gt_u16_sdwa vcc, v7, s16 src0_sel:BYTE_0 src1_sel:DWORD
	s_lshr_b32 s14, s1, 24
	v_cndmask_b32_e32 v1, v1, v3, vcc
	v_mov_b32_e32 v3, s9
	v_add_co_u32_e32 v5, vcc, s8, v6
	s_cmp_lt_i32 s14, 11
	v_addc_co_u32_e32 v6, vcc, 0, v3, vcc
	s_cbranch_scc1 .LBB15_1700
; %bb.1623:
	s_and_b32 s18, 0xffff, s14
	s_mov_b64 s[10:11], -1
	s_mov_b64 s[4:5], 0
	s_cmp_gt_i32 s18, 25
	s_mov_b64 s[6:7], 0
	s_mov_b64 s[0:1], 0
	s_cbranch_scc0 .LBB15_1656
; %bb.1624:
	s_cmp_gt_i32 s18, 28
	s_cbranch_scc0 .LBB15_1639
; %bb.1625:
	s_cmp_gt_i32 s18, 43
	;; [unrolled: 3-line block ×3, first 2 shown]
	s_cbranch_scc0 .LBB15_1629
; %bb.1627:
	s_mov_b64 s[0:1], -1
	s_mov_b64 s[10:11], 0
	s_cmp_eq_u32 s18, 46
	s_cbranch_scc0 .LBB15_1629
; %bb.1628:
	v_cvt_f32_ubyte0_e32 v3, v1
	v_bfe_u32 v7, v3, 16, 1
	s_movk_i32 s0, 0x7fff
	v_add3_u32 v3, v3, v7, s0
	v_lshrrev_b32_e32 v3, 16, v3
	global_store_dword v[5:6], v3, off
	s_mov_b64 s[0:1], 0
	s_mov_b64 s[6:7], -1
.LBB15_1629:
	s_and_b64 vcc, exec, s[10:11]
	s_cbranch_vccz .LBB15_1634
; %bb.1630:
	s_cmp_eq_u32 s18, 44
	s_mov_b64 s[0:1], -1
	s_cbranch_scc0 .LBB15_1634
; %bb.1631:
	v_cvt_f32_ubyte0_e32 v7, v1
	v_lshrrev_b32_e32 v3, 23, v7
	s_movk_i32 s0, 0xff
	v_cmp_ne_u32_e32 vcc, s0, v3
	v_mov_b32_e32 v11, 0xff
	s_and_saveexec_b64 s[6:7], vcc
; %bb.1632:
	s_mov_b32 s0, 0x3fffff
	v_and_b32_e32 v11, 0x400000, v7
	v_and_or_b32 v7, v7, s0, v3
	v_cmp_ne_u32_e32 vcc, 0, v11
	v_cmp_ne_u32_e64 s[0:1], 0, v7
	s_and_b64 s[0:1], vcc, s[0:1]
	v_cndmask_b32_e64 v7, 0, 1, s[0:1]
	v_add_u32_e32 v11, v3, v7
; %bb.1633:
	s_or_b64 exec, exec, s[6:7]
	s_mov_b64 s[0:1], 0
	s_mov_b64 s[6:7], -1
	global_store_byte v[5:6], v11, off
.LBB15_1634:
	s_mov_b64 s[10:11], 0
.LBB15_1635:
	s_and_b64 vcc, exec, s[10:11]
	s_cbranch_vccz .LBB15_1638
; %bb.1636:
	s_cmp_eq_u32 s18, 29
	s_mov_b64 s[0:1], -1
	s_cbranch_scc0 .LBB15_1638
; %bb.1637:
	v_and_b32_e32 v11, 0xff, v1
	v_mov_b32_e32 v12, 0
	global_store_dwordx2 v[5:6], v[11:12], off
	s_mov_b64 s[0:1], 0
	s_mov_b64 s[6:7], -1
.LBB15_1638:
	s_mov_b64 s[10:11], 0
.LBB15_1639:
	s_and_b64 vcc, exec, s[10:11]
	s_cbranch_vccz .LBB15_1655
; %bb.1640:
	s_cmp_lt_i32 s18, 27
	s_mov_b64 s[6:7], -1
	s_cbranch_scc1 .LBB15_1646
; %bb.1641:
	s_cmp_gt_i32 s18, 27
	s_cbranch_scc0 .LBB15_1643
; %bb.1642:
	v_and_b32_e32 v3, 0xff, v1
	s_mov_b64 s[6:7], 0
	global_store_dword v[5:6], v3, off
.LBB15_1643:
	s_andn2_b64 vcc, exec, s[6:7]
	s_cbranch_vccnz .LBB15_1645
; %bb.1644:
	v_and_b32_e32 v3, 0xff, v1
	global_store_short v[5:6], v3, off
.LBB15_1645:
	s_mov_b64 s[6:7], 0
.LBB15_1646:
	s_andn2_b64 vcc, exec, s[6:7]
	s_cbranch_vccnz .LBB15_1654
; %bb.1647:
	v_cvt_f32_ubyte0_e32 v7, v1
	s_mov_b32 s6, 0x43800000
	v_cmp_gt_u32_e32 vcc, s6, v7
	v_mov_b32_e32 v11, 0x80
	s_and_saveexec_b64 s[6:7], vcc
	s_cbranch_execz .LBB15_1653
; %bb.1648:
	s_mov_b32 s10, 0x3bffffff
	v_cmp_lt_u32_e32 vcc, s10, v7
	s_mov_b64 s[10:11], 0
                                        ; implicit-def: $vgpr3
	s_and_saveexec_b64 s[12:13], vcc
	s_xor_b64 s[12:13], exec, s[12:13]
	s_cbranch_execz .LBB15_2102
; %bb.1649:
	v_bfe_u32 v3, v7, 20, 1
	s_mov_b32 s19, 0x487ffff
	v_add3_u32 v3, v7, v3, s19
	s_mov_b64 s[10:11], exec
	v_lshrrev_b32_e32 v3, 20, v3
                                        ; implicit-def: $vgpr7
	s_andn2_saveexec_b64 s[12:13], s[12:13]
	s_cbranch_execnz .LBB15_2103
.LBB15_1650:
	s_or_b64 exec, exec, s[12:13]
	v_mov_b32_e32 v11, 0
	s_and_saveexec_b64 s[12:13], s[10:11]
.LBB15_1651:
	v_mov_b32_e32 v11, v3
.LBB15_1652:
	s_or_b64 exec, exec, s[12:13]
.LBB15_1653:
	s_or_b64 exec, exec, s[6:7]
	global_store_byte v[5:6], v11, off
.LBB15_1654:
	s_mov_b64 s[6:7], -1
.LBB15_1655:
	s_mov_b64 s[10:11], 0
.LBB15_1656:
	s_and_b64 vcc, exec, s[10:11]
	s_cbranch_vccz .LBB15_1696
; %bb.1657:
	s_cmp_gt_i32 s18, 22
	s_mov_b64 s[4:5], -1
	s_cbranch_scc0 .LBB15_1689
; %bb.1658:
	s_cmp_lt_i32 s18, 24
	s_cbranch_scc1 .LBB15_1678
; %bb.1659:
	s_cmp_gt_i32 s18, 24
	s_cbranch_scc0 .LBB15_1667
; %bb.1660:
	v_cvt_f32_ubyte0_e32 v7, v1
	s_mov_b32 s4, 0x47800000
	v_cmp_gt_u32_e32 vcc, s4, v7
	v_mov_b32_e32 v11, 0x80
	s_and_saveexec_b64 s[4:5], vcc
	s_cbranch_execz .LBB15_1666
; %bb.1661:
	s_mov_b32 s6, 0x37ffffff
	v_cmp_lt_u32_e32 vcc, s6, v7
	s_mov_b64 s[6:7], 0
                                        ; implicit-def: $vgpr3
	s_and_saveexec_b64 s[10:11], vcc
	s_xor_b64 s[10:11], exec, s[10:11]
	s_cbranch_execz .LBB15_2105
; %bb.1662:
	v_bfe_u32 v3, v7, 21, 1
	s_mov_b32 s12, 0x88fffff
	v_add3_u32 v3, v7, v3, s12
	s_mov_b64 s[6:7], exec
	v_lshrrev_b32_e32 v3, 21, v3
                                        ; implicit-def: $vgpr7
	s_andn2_saveexec_b64 s[10:11], s[10:11]
	s_cbranch_execnz .LBB15_2106
.LBB15_1663:
	s_or_b64 exec, exec, s[10:11]
	v_mov_b32_e32 v11, 0
	s_and_saveexec_b64 s[10:11], s[6:7]
.LBB15_1664:
	v_mov_b32_e32 v11, v3
.LBB15_1665:
	s_or_b64 exec, exec, s[10:11]
.LBB15_1666:
	s_or_b64 exec, exec, s[4:5]
	s_mov_b64 s[4:5], 0
	global_store_byte v[5:6], v11, off
.LBB15_1667:
	s_and_b64 vcc, exec, s[4:5]
	s_cbranch_vccz .LBB15_1677
; %bb.1668:
	v_cvt_f32_ubyte0_e32 v3, v1
	s_mov_b32 s4, 0x43f00000
	v_cmp_gt_u32_e32 vcc, s4, v3
                                        ; implicit-def: $vgpr7
	s_and_saveexec_b64 s[4:5], vcc
	s_xor_b64 s[4:5], exec, s[4:5]
	s_cbranch_execz .LBB15_1674
; %bb.1669:
	s_mov_b32 s6, 0x3c7fffff
	v_cmp_lt_u32_e32 vcc, s6, v3
                                        ; implicit-def: $vgpr7
	s_and_saveexec_b64 s[6:7], vcc
	s_xor_b64 s[6:7], exec, s[6:7]
; %bb.1670:
	v_bfe_u32 v7, v3, 20, 1
	s_mov_b32 s10, 0x407ffff
	v_add3_u32 v3, v3, v7, s10
	v_lshrrev_b32_e32 v7, 20, v3
	v_and_b32_e32 v3, 0xff00000, v3
	s_mov_b32 s10, 0x7f00000
	v_mov_b32_e32 v11, 0x7e
	v_cmp_ne_u32_e32 vcc, s10, v3
	v_cndmask_b32_e32 v7, v11, v7, vcc
                                        ; implicit-def: $vgpr3
; %bb.1671:
	s_andn2_saveexec_b64 s[6:7], s[6:7]
; %bb.1672:
	v_add_f32_e32 v7, 0x46800000, v3
; %bb.1673:
	s_or_b64 exec, exec, s[6:7]
                                        ; implicit-def: $vgpr3
.LBB15_1674:
	s_andn2_saveexec_b64 s[4:5], s[4:5]
; %bb.1675:
	s_mov_b32 s6, 0x7f800000
	v_mov_b32_e32 v7, 0x7e
	v_mov_b32_e32 v11, 0x7f
	v_cmp_lt_u32_e32 vcc, s6, v3
	v_cndmask_b32_e32 v7, v7, v11, vcc
; %bb.1676:
	s_or_b64 exec, exec, s[4:5]
	global_store_byte v[5:6], v7, off
.LBB15_1677:
	s_mov_b64 s[4:5], 0
.LBB15_1678:
	s_andn2_b64 vcc, exec, s[4:5]
	s_cbranch_vccnz .LBB15_1688
; %bb.1679:
	v_cvt_f32_ubyte0_e32 v3, v1
	s_mov_b32 s4, 0x47800000
	v_cmp_gt_u32_e32 vcc, s4, v3
                                        ; implicit-def: $vgpr7
	s_and_saveexec_b64 s[4:5], vcc
	s_xor_b64 s[4:5], exec, s[4:5]
	s_cbranch_execz .LBB15_1685
; %bb.1680:
	s_mov_b32 s6, 0x387fffff
	v_cmp_lt_u32_e32 vcc, s6, v3
                                        ; implicit-def: $vgpr7
	s_and_saveexec_b64 s[6:7], vcc
	s_xor_b64 s[6:7], exec, s[6:7]
; %bb.1681:
	v_bfe_u32 v7, v3, 21, 1
	s_mov_b32 s10, 0x80fffff
	v_add3_u32 v3, v3, v7, s10
	v_lshrrev_b32_e32 v7, 21, v3
                                        ; implicit-def: $vgpr3
; %bb.1682:
	s_andn2_saveexec_b64 s[6:7], s[6:7]
; %bb.1683:
	v_add_f32_e32 v7, 0x43000000, v3
; %bb.1684:
	s_or_b64 exec, exec, s[6:7]
                                        ; implicit-def: $vgpr3
.LBB15_1685:
	s_andn2_saveexec_b64 s[4:5], s[4:5]
; %bb.1686:
	s_mov_b32 s6, 0x7f800000
	v_mov_b32_e32 v7, 0x7c
	v_mov_b32_e32 v11, 0x7f
	v_cmp_lt_u32_e32 vcc, s6, v3
	v_cndmask_b32_e32 v7, v7, v11, vcc
; %bb.1687:
	s_or_b64 exec, exec, s[4:5]
	global_store_byte v[5:6], v7, off
.LBB15_1688:
	s_mov_b64 s[4:5], 0
	s_mov_b64 s[6:7], -1
.LBB15_1689:
	s_andn2_b64 vcc, exec, s[4:5]
	s_mov_b64 s[4:5], 0
	s_cbranch_vccnz .LBB15_1696
; %bb.1690:
	s_cmp_gt_i32 s18, 14
	s_mov_b64 s[10:11], -1
	s_cbranch_scc0 .LBB15_1694
; %bb.1691:
	s_cmp_eq_u32 s18, 15
	s_mov_b64 s[0:1], -1
	s_cbranch_scc0 .LBB15_1693
; %bb.1692:
	v_cvt_f32_ubyte0_e32 v3, v1
	v_bfe_u32 v7, v3, 16, 1
	s_movk_i32 s0, 0x7fff
	v_add3_u32 v3, v3, v7, s0
	global_store_short_d16_hi v[5:6], v3, off
	s_mov_b64 s[0:1], 0
	s_mov_b64 s[6:7], -1
.LBB15_1693:
	s_mov_b64 s[10:11], 0
.LBB15_1694:
	s_and_b64 vcc, exec, s[10:11]
	s_cbranch_vccz .LBB15_1696
; %bb.1695:
	s_cmp_lg_u32 s18, 11
	s_mov_b64 s[4:5], -1
	s_cselect_b64 s[0:1], -1, 0
.LBB15_1696:
	s_and_b64 vcc, exec, s[0:1]
	s_cbranch_vccnz .LBB15_2104
; %bb.1697:
	s_andn2_b64 vcc, exec, s[4:5]
	s_cbranch_vccnz .LBB15_1699
.LBB15_1698:
	v_mov_b32_e32 v3, 0
	v_cmp_ne_u16_sdwa s[0:1], v1, v3 src0_sel:BYTE_0 src1_sel:DWORD
	v_cndmask_b32_e64 v3, 0, 1, s[0:1]
	s_mov_b64 s[6:7], -1
	global_store_byte v[5:6], v3, off
.LBB15_1699:
	s_mov_b64 s[0:1], 0
	s_branch .LBB15_1701
.LBB15_1700:
	s_mov_b64 s[0:1], -1
	s_mov_b64 s[6:7], 0
.LBB15_1701:
	s_and_b64 vcc, exec, s[0:1]
	s_cbranch_vccz .LBB15_1740
; %bb.1702:
	s_and_b32 s4, 0xffff, s14
	s_cmp_lt_i32 s4, 5
	s_mov_b64 s[0:1], -1
	s_cbranch_scc1 .LBB15_1723
; %bb.1703:
	s_cmp_lt_i32 s4, 8
	s_cbranch_scc1 .LBB15_1713
; %bb.1704:
	s_cmp_lt_i32 s4, 9
	s_cbranch_scc1 .LBB15_1710
; %bb.1705:
	s_cmp_gt_i32 s4, 9
	s_cbranch_scc0 .LBB15_1707
; %bb.1706:
	s_mov_b32 s0, 0xffff
	v_and_b32_sdwa v3, s0, v1 dst_sel:DWORD dst_unused:UNUSED_PAD src0_sel:DWORD src1_sel:BYTE_0
	v_cvt_f64_u32_e32 v[11:12], v3
	v_mov_b32_e32 v13, 0
	v_mov_b32_e32 v14, v13
	s_mov_b64 s[0:1], 0
	global_store_dwordx4 v[5:6], v[11:14], off
.LBB15_1707:
	s_andn2_b64 vcc, exec, s[0:1]
	s_cbranch_vccnz .LBB15_1709
; %bb.1708:
	v_cvt_f32_ubyte0_e32 v11, v1
	v_mov_b32_e32 v12, 0
	global_store_dwordx2 v[5:6], v[11:12], off
.LBB15_1709:
	s_mov_b64 s[0:1], 0
.LBB15_1710:
	s_andn2_b64 vcc, exec, s[0:1]
	s_cbranch_vccnz .LBB15_1712
; %bb.1711:
	v_cvt_f16_u16_sdwa v3, v1 dst_sel:DWORD dst_unused:UNUSED_PAD src0_sel:BYTE_0
	global_store_dword v[5:6], v3, off
.LBB15_1712:
	s_mov_b64 s[0:1], 0
.LBB15_1713:
	s_andn2_b64 vcc, exec, s[0:1]
	s_cbranch_vccnz .LBB15_1722
; %bb.1714:
	s_cmp_lt_i32 s4, 6
	s_mov_b64 s[0:1], -1
	s_cbranch_scc1 .LBB15_1720
; %bb.1715:
	s_cmp_gt_i32 s4, 6
	s_cbranch_scc0 .LBB15_1717
; %bb.1716:
	s_mov_b32 s0, 0xffff
	v_and_b32_sdwa v3, s0, v1 dst_sel:DWORD dst_unused:UNUSED_PAD src0_sel:DWORD src1_sel:BYTE_0
	v_cvt_f64_u32_e32 v[11:12], v3
	s_mov_b64 s[0:1], 0
	global_store_dwordx2 v[5:6], v[11:12], off
.LBB15_1717:
	s_andn2_b64 vcc, exec, s[0:1]
	s_cbranch_vccnz .LBB15_1719
; %bb.1718:
	v_cvt_f32_ubyte0_e32 v3, v1
	global_store_dword v[5:6], v3, off
.LBB15_1719:
	s_mov_b64 s[0:1], 0
.LBB15_1720:
	s_andn2_b64 vcc, exec, s[0:1]
	s_cbranch_vccnz .LBB15_1722
; %bb.1721:
	v_cvt_f16_u16_sdwa v3, v1 dst_sel:DWORD dst_unused:UNUSED_PAD src0_sel:BYTE_0
	global_store_short v[5:6], v3, off
.LBB15_1722:
	s_mov_b64 s[0:1], 0
.LBB15_1723:
	s_andn2_b64 vcc, exec, s[0:1]
	s_cbranch_vccnz .LBB15_1739
; %bb.1724:
	s_cmp_lt_i32 s4, 2
	s_mov_b64 s[0:1], -1
	s_cbranch_scc1 .LBB15_1734
; %bb.1725:
	s_cmp_lt_i32 s4, 3
	s_cbranch_scc1 .LBB15_1731
; %bb.1726:
	s_cmp_gt_i32 s4, 3
	s_cbranch_scc0 .LBB15_1728
; %bb.1727:
	v_and_b32_e32 v11, 0xff, v1
	v_mov_b32_e32 v12, 0
	global_store_dwordx2 v[5:6], v[11:12], off
	s_mov_b64 s[0:1], 0
.LBB15_1728:
	s_andn2_b64 vcc, exec, s[0:1]
	s_cbranch_vccnz .LBB15_1730
; %bb.1729:
	v_and_b32_e32 v3, 0xff, v1
	global_store_dword v[5:6], v3, off
.LBB15_1730:
	s_mov_b64 s[0:1], 0
.LBB15_1731:
	s_andn2_b64 vcc, exec, s[0:1]
	s_cbranch_vccnz .LBB15_1733
; %bb.1732:
	v_and_b32_e32 v3, 0xff, v1
	global_store_short v[5:6], v3, off
.LBB15_1733:
	s_mov_b64 s[0:1], 0
.LBB15_1734:
	s_andn2_b64 vcc, exec, s[0:1]
	s_cbranch_vccnz .LBB15_1739
; %bb.1735:
	s_cmp_gt_i32 s4, 0
	s_mov_b64 s[0:1], -1
	s_cbranch_scc0 .LBB15_1737
; %bb.1736:
	global_store_byte v[5:6], v1, off
	s_mov_b64 s[0:1], 0
.LBB15_1737:
	s_andn2_b64 vcc, exec, s[0:1]
	s_cbranch_vccnz .LBB15_1739
; %bb.1738:
	global_store_byte v[5:6], v1, off
.LBB15_1739:
	s_mov_b64 s[6:7], -1
.LBB15_1740:
	s_andn2_b64 vcc, exec, s[6:7]
	s_cbranch_vccnz .LBB15_2055
; %bb.1741:
	v_mov_b32_e32 v1, s17
	v_mov_b32_e32 v3, s15
	v_cmp_gt_u16_sdwa vcc, v8, s16 src0_sel:BYTE_0 src1_sel:DWORD
	v_cndmask_b32_e32 v1, v1, v3, vcc
	v_mov_b32_e32 v5, s9
	s_and_b32 s18, 0xffff, s14
	v_add_co_u32_e32 v3, vcc, s8, v4
	s_cmp_lt_i32 s18, 11
	v_addc_co_u32_e32 v4, vcc, 0, v5, vcc
	s_cbranch_scc1 .LBB15_1819
; %bb.1742:
	s_mov_b64 s[10:11], -1
	s_mov_b64 s[4:5], 0
	s_cmp_gt_i32 s18, 25
	s_mov_b64 s[6:7], 0
	s_mov_b64 s[0:1], 0
	s_cbranch_scc0 .LBB15_1775
; %bb.1743:
	s_cmp_gt_i32 s18, 28
	s_cbranch_scc0 .LBB15_1758
; %bb.1744:
	s_cmp_gt_i32 s18, 43
	;; [unrolled: 3-line block ×3, first 2 shown]
	s_cbranch_scc0 .LBB15_1748
; %bb.1746:
	s_mov_b64 s[0:1], -1
	s_mov_b64 s[10:11], 0
	s_cmp_eq_u32 s18, 46
	s_cbranch_scc0 .LBB15_1748
; %bb.1747:
	v_cvt_f32_ubyte0_e32 v5, v1
	v_bfe_u32 v6, v5, 16, 1
	s_movk_i32 s0, 0x7fff
	v_add3_u32 v5, v5, v6, s0
	v_lshrrev_b32_e32 v5, 16, v5
	global_store_dword v[3:4], v5, off
	s_mov_b64 s[0:1], 0
	s_mov_b64 s[6:7], -1
.LBB15_1748:
	s_and_b64 vcc, exec, s[10:11]
	s_cbranch_vccz .LBB15_1753
; %bb.1749:
	s_cmp_eq_u32 s18, 44
	s_mov_b64 s[0:1], -1
	s_cbranch_scc0 .LBB15_1753
; %bb.1750:
	v_cvt_f32_ubyte0_e32 v6, v1
	v_lshrrev_b32_e32 v5, 23, v6
	s_movk_i32 s0, 0xff
	v_cmp_ne_u32_e32 vcc, s0, v5
	v_mov_b32_e32 v7, 0xff
	s_and_saveexec_b64 s[6:7], vcc
; %bb.1751:
	s_mov_b32 s0, 0x3fffff
	v_and_b32_e32 v7, 0x400000, v6
	v_and_or_b32 v6, v6, s0, v5
	v_cmp_ne_u32_e32 vcc, 0, v7
	v_cmp_ne_u32_e64 s[0:1], 0, v6
	s_and_b64 s[0:1], vcc, s[0:1]
	v_cndmask_b32_e64 v6, 0, 1, s[0:1]
	v_add_u32_e32 v7, v5, v6
; %bb.1752:
	s_or_b64 exec, exec, s[6:7]
	s_mov_b64 s[0:1], 0
	s_mov_b64 s[6:7], -1
	global_store_byte v[3:4], v7, off
.LBB15_1753:
	s_mov_b64 s[10:11], 0
.LBB15_1754:
	s_and_b64 vcc, exec, s[10:11]
	s_cbranch_vccz .LBB15_1757
; %bb.1755:
	s_cmp_eq_u32 s18, 29
	s_mov_b64 s[0:1], -1
	s_cbranch_scc0 .LBB15_1757
; %bb.1756:
	v_and_b32_e32 v5, 0xff, v1
	v_mov_b32_e32 v6, 0
	global_store_dwordx2 v[3:4], v[5:6], off
	s_mov_b64 s[0:1], 0
	s_mov_b64 s[6:7], -1
.LBB15_1757:
	s_mov_b64 s[10:11], 0
.LBB15_1758:
	s_and_b64 vcc, exec, s[10:11]
	s_cbranch_vccz .LBB15_1774
; %bb.1759:
	s_cmp_lt_i32 s18, 27
	s_mov_b64 s[6:7], -1
	s_cbranch_scc1 .LBB15_1765
; %bb.1760:
	s_cmp_gt_i32 s18, 27
	s_cbranch_scc0 .LBB15_1762
; %bb.1761:
	v_and_b32_e32 v5, 0xff, v1
	s_mov_b64 s[6:7], 0
	global_store_dword v[3:4], v5, off
.LBB15_1762:
	s_andn2_b64 vcc, exec, s[6:7]
	s_cbranch_vccnz .LBB15_1764
; %bb.1763:
	v_and_b32_e32 v5, 0xff, v1
	global_store_short v[3:4], v5, off
.LBB15_1764:
	s_mov_b64 s[6:7], 0
.LBB15_1765:
	s_andn2_b64 vcc, exec, s[6:7]
	s_cbranch_vccnz .LBB15_1773
; %bb.1766:
	v_cvt_f32_ubyte0_e32 v6, v1
	s_mov_b32 s6, 0x43800000
	v_cmp_gt_u32_e32 vcc, s6, v6
	v_mov_b32_e32 v7, 0x80
	s_and_saveexec_b64 s[6:7], vcc
	s_cbranch_execz .LBB15_1772
; %bb.1767:
	s_mov_b32 s10, 0x3bffffff
	v_cmp_lt_u32_e32 vcc, s10, v6
	s_mov_b64 s[10:11], 0
                                        ; implicit-def: $vgpr5
	s_and_saveexec_b64 s[12:13], vcc
	s_xor_b64 s[12:13], exec, s[12:13]
	s_cbranch_execz .LBB15_2107
; %bb.1768:
	v_bfe_u32 v5, v6, 20, 1
	s_mov_b32 s19, 0x487ffff
	v_add3_u32 v5, v6, v5, s19
	s_mov_b64 s[10:11], exec
	v_lshrrev_b32_e32 v5, 20, v5
                                        ; implicit-def: $vgpr6
	s_andn2_saveexec_b64 s[12:13], s[12:13]
	s_cbranch_execnz .LBB15_2108
.LBB15_1769:
	s_or_b64 exec, exec, s[12:13]
	v_mov_b32_e32 v7, 0
	s_and_saveexec_b64 s[12:13], s[10:11]
.LBB15_1770:
	v_mov_b32_e32 v7, v5
.LBB15_1771:
	s_or_b64 exec, exec, s[12:13]
.LBB15_1772:
	s_or_b64 exec, exec, s[6:7]
	global_store_byte v[3:4], v7, off
.LBB15_1773:
	s_mov_b64 s[6:7], -1
.LBB15_1774:
	s_mov_b64 s[10:11], 0
.LBB15_1775:
	s_and_b64 vcc, exec, s[10:11]
	s_cbranch_vccz .LBB15_1815
; %bb.1776:
	s_cmp_gt_i32 s18, 22
	s_mov_b64 s[4:5], -1
	s_cbranch_scc0 .LBB15_1808
; %bb.1777:
	s_cmp_lt_i32 s18, 24
	s_cbranch_scc1 .LBB15_1797
; %bb.1778:
	s_cmp_gt_i32 s18, 24
	s_cbranch_scc0 .LBB15_1786
; %bb.1779:
	v_cvt_f32_ubyte0_e32 v6, v1
	s_mov_b32 s4, 0x47800000
	v_cmp_gt_u32_e32 vcc, s4, v6
	v_mov_b32_e32 v7, 0x80
	s_and_saveexec_b64 s[4:5], vcc
	s_cbranch_execz .LBB15_1785
; %bb.1780:
	s_mov_b32 s6, 0x37ffffff
	v_cmp_lt_u32_e32 vcc, s6, v6
	s_mov_b64 s[6:7], 0
                                        ; implicit-def: $vgpr5
	s_and_saveexec_b64 s[10:11], vcc
	s_xor_b64 s[10:11], exec, s[10:11]
	s_cbranch_execz .LBB15_2110
; %bb.1781:
	v_bfe_u32 v5, v6, 21, 1
	s_mov_b32 s12, 0x88fffff
	v_add3_u32 v5, v6, v5, s12
	s_mov_b64 s[6:7], exec
	v_lshrrev_b32_e32 v5, 21, v5
                                        ; implicit-def: $vgpr6
	s_andn2_saveexec_b64 s[10:11], s[10:11]
	s_cbranch_execnz .LBB15_2111
.LBB15_1782:
	s_or_b64 exec, exec, s[10:11]
	v_mov_b32_e32 v7, 0
	s_and_saveexec_b64 s[10:11], s[6:7]
.LBB15_1783:
	v_mov_b32_e32 v7, v5
.LBB15_1784:
	s_or_b64 exec, exec, s[10:11]
.LBB15_1785:
	s_or_b64 exec, exec, s[4:5]
	s_mov_b64 s[4:5], 0
	global_store_byte v[3:4], v7, off
.LBB15_1786:
	s_and_b64 vcc, exec, s[4:5]
	s_cbranch_vccz .LBB15_1796
; %bb.1787:
	v_cvt_f32_ubyte0_e32 v5, v1
	s_mov_b32 s4, 0x43f00000
	v_cmp_gt_u32_e32 vcc, s4, v5
                                        ; implicit-def: $vgpr6
	s_and_saveexec_b64 s[4:5], vcc
	s_xor_b64 s[4:5], exec, s[4:5]
	s_cbranch_execz .LBB15_1793
; %bb.1788:
	s_mov_b32 s6, 0x3c7fffff
	v_cmp_lt_u32_e32 vcc, s6, v5
                                        ; implicit-def: $vgpr6
	s_and_saveexec_b64 s[6:7], vcc
	s_xor_b64 s[6:7], exec, s[6:7]
; %bb.1789:
	v_bfe_u32 v6, v5, 20, 1
	s_mov_b32 s10, 0x407ffff
	v_add3_u32 v5, v5, v6, s10
	v_lshrrev_b32_e32 v6, 20, v5
	v_and_b32_e32 v5, 0xff00000, v5
	s_mov_b32 s10, 0x7f00000
	v_mov_b32_e32 v7, 0x7e
	v_cmp_ne_u32_e32 vcc, s10, v5
	v_cndmask_b32_e32 v6, v7, v6, vcc
                                        ; implicit-def: $vgpr5
; %bb.1790:
	s_andn2_saveexec_b64 s[6:7], s[6:7]
; %bb.1791:
	v_add_f32_e32 v6, 0x46800000, v5
; %bb.1792:
	s_or_b64 exec, exec, s[6:7]
                                        ; implicit-def: $vgpr5
.LBB15_1793:
	s_andn2_saveexec_b64 s[4:5], s[4:5]
; %bb.1794:
	s_mov_b32 s6, 0x7f800000
	v_mov_b32_e32 v6, 0x7e
	v_mov_b32_e32 v7, 0x7f
	v_cmp_lt_u32_e32 vcc, s6, v5
	v_cndmask_b32_e32 v6, v6, v7, vcc
; %bb.1795:
	s_or_b64 exec, exec, s[4:5]
	global_store_byte v[3:4], v6, off
.LBB15_1796:
	s_mov_b64 s[4:5], 0
.LBB15_1797:
	s_andn2_b64 vcc, exec, s[4:5]
	s_cbranch_vccnz .LBB15_1807
; %bb.1798:
	v_cvt_f32_ubyte0_e32 v5, v1
	s_mov_b32 s4, 0x47800000
	v_cmp_gt_u32_e32 vcc, s4, v5
                                        ; implicit-def: $vgpr6
	s_and_saveexec_b64 s[4:5], vcc
	s_xor_b64 s[4:5], exec, s[4:5]
	s_cbranch_execz .LBB15_1804
; %bb.1799:
	s_mov_b32 s6, 0x387fffff
	v_cmp_lt_u32_e32 vcc, s6, v5
                                        ; implicit-def: $vgpr6
	s_and_saveexec_b64 s[6:7], vcc
	s_xor_b64 s[6:7], exec, s[6:7]
; %bb.1800:
	v_bfe_u32 v6, v5, 21, 1
	s_mov_b32 s10, 0x80fffff
	v_add3_u32 v5, v5, v6, s10
	v_lshrrev_b32_e32 v6, 21, v5
                                        ; implicit-def: $vgpr5
; %bb.1801:
	s_andn2_saveexec_b64 s[6:7], s[6:7]
; %bb.1802:
	v_add_f32_e32 v6, 0x43000000, v5
; %bb.1803:
	s_or_b64 exec, exec, s[6:7]
                                        ; implicit-def: $vgpr5
.LBB15_1804:
	s_andn2_saveexec_b64 s[4:5], s[4:5]
; %bb.1805:
	s_mov_b32 s6, 0x7f800000
	v_mov_b32_e32 v6, 0x7c
	v_mov_b32_e32 v7, 0x7f
	v_cmp_lt_u32_e32 vcc, s6, v5
	v_cndmask_b32_e32 v6, v6, v7, vcc
; %bb.1806:
	s_or_b64 exec, exec, s[4:5]
	global_store_byte v[3:4], v6, off
.LBB15_1807:
	s_mov_b64 s[4:5], 0
	s_mov_b64 s[6:7], -1
.LBB15_1808:
	s_andn2_b64 vcc, exec, s[4:5]
	s_mov_b64 s[4:5], 0
	s_cbranch_vccnz .LBB15_1815
; %bb.1809:
	s_cmp_gt_i32 s18, 14
	s_mov_b64 s[10:11], -1
	s_cbranch_scc0 .LBB15_1813
; %bb.1810:
	s_cmp_eq_u32 s18, 15
	s_mov_b64 s[0:1], -1
	s_cbranch_scc0 .LBB15_1812
; %bb.1811:
	v_cvt_f32_ubyte0_e32 v5, v1
	v_bfe_u32 v6, v5, 16, 1
	s_movk_i32 s0, 0x7fff
	v_add3_u32 v5, v5, v6, s0
	global_store_short_d16_hi v[3:4], v5, off
	s_mov_b64 s[0:1], 0
	s_mov_b64 s[6:7], -1
.LBB15_1812:
	s_mov_b64 s[10:11], 0
.LBB15_1813:
	s_and_b64 vcc, exec, s[10:11]
	s_cbranch_vccz .LBB15_1815
; %bb.1814:
	s_cmp_lg_u32 s18, 11
	s_mov_b64 s[4:5], -1
	s_cselect_b64 s[0:1], -1, 0
.LBB15_1815:
	s_and_b64 vcc, exec, s[0:1]
	s_cbranch_vccnz .LBB15_2109
; %bb.1816:
	s_andn2_b64 vcc, exec, s[4:5]
	s_cbranch_vccnz .LBB15_1818
.LBB15_1817:
	v_mov_b32_e32 v5, 0
	v_cmp_ne_u16_sdwa s[0:1], v1, v5 src0_sel:BYTE_0 src1_sel:DWORD
	v_cndmask_b32_e64 v5, 0, 1, s[0:1]
	s_mov_b64 s[6:7], -1
	global_store_byte v[3:4], v5, off
.LBB15_1818:
	s_mov_b64 s[0:1], 0
	s_branch .LBB15_1820
.LBB15_1819:
	s_mov_b64 s[0:1], -1
	s_mov_b64 s[6:7], 0
.LBB15_1820:
	s_and_b64 vcc, exec, s[0:1]
	s_cbranch_vccz .LBB15_1859
; %bb.1821:
	s_cmp_lt_i32 s18, 5
	s_mov_b64 s[0:1], -1
	s_cbranch_scc1 .LBB15_1842
; %bb.1822:
	s_cmp_lt_i32 s18, 8
	s_cbranch_scc1 .LBB15_1832
; %bb.1823:
	s_cmp_lt_i32 s18, 9
	s_cbranch_scc1 .LBB15_1829
; %bb.1824:
	s_cmp_gt_i32 s18, 9
	s_cbranch_scc0 .LBB15_1826
; %bb.1825:
	s_mov_b32 s0, 0xffff
	v_and_b32_sdwa v5, s0, v1 dst_sel:DWORD dst_unused:UNUSED_PAD src0_sel:DWORD src1_sel:BYTE_0
	v_cvt_f64_u32_e32 v[5:6], v5
	v_mov_b32_e32 v7, 0
	v_mov_b32_e32 v8, v7
	s_mov_b64 s[0:1], 0
	global_store_dwordx4 v[3:4], v[5:8], off
.LBB15_1826:
	s_andn2_b64 vcc, exec, s[0:1]
	s_cbranch_vccnz .LBB15_1828
; %bb.1827:
	v_cvt_f32_ubyte0_e32 v5, v1
	v_mov_b32_e32 v6, 0
	global_store_dwordx2 v[3:4], v[5:6], off
.LBB15_1828:
	s_mov_b64 s[0:1], 0
.LBB15_1829:
	s_andn2_b64 vcc, exec, s[0:1]
	s_cbranch_vccnz .LBB15_1831
; %bb.1830:
	v_cvt_f16_u16_sdwa v5, v1 dst_sel:DWORD dst_unused:UNUSED_PAD src0_sel:BYTE_0
	global_store_dword v[3:4], v5, off
.LBB15_1831:
	s_mov_b64 s[0:1], 0
.LBB15_1832:
	s_andn2_b64 vcc, exec, s[0:1]
	s_cbranch_vccnz .LBB15_1841
; %bb.1833:
	s_cmp_lt_i32 s18, 6
	s_mov_b64 s[0:1], -1
	s_cbranch_scc1 .LBB15_1839
; %bb.1834:
	s_cmp_gt_i32 s18, 6
	s_cbranch_scc0 .LBB15_1836
; %bb.1835:
	s_mov_b32 s0, 0xffff
	v_and_b32_sdwa v5, s0, v1 dst_sel:DWORD dst_unused:UNUSED_PAD src0_sel:DWORD src1_sel:BYTE_0
	v_cvt_f64_u32_e32 v[5:6], v5
	s_mov_b64 s[0:1], 0
	global_store_dwordx2 v[3:4], v[5:6], off
.LBB15_1836:
	s_andn2_b64 vcc, exec, s[0:1]
	s_cbranch_vccnz .LBB15_1838
; %bb.1837:
	v_cvt_f32_ubyte0_e32 v5, v1
	global_store_dword v[3:4], v5, off
.LBB15_1838:
	s_mov_b64 s[0:1], 0
.LBB15_1839:
	s_andn2_b64 vcc, exec, s[0:1]
	s_cbranch_vccnz .LBB15_1841
; %bb.1840:
	v_cvt_f16_u16_sdwa v5, v1 dst_sel:DWORD dst_unused:UNUSED_PAD src0_sel:BYTE_0
	global_store_short v[3:4], v5, off
.LBB15_1841:
	s_mov_b64 s[0:1], 0
.LBB15_1842:
	s_andn2_b64 vcc, exec, s[0:1]
	s_cbranch_vccnz .LBB15_1858
; %bb.1843:
	s_cmp_lt_i32 s18, 2
	s_mov_b64 s[0:1], -1
	s_cbranch_scc1 .LBB15_1853
; %bb.1844:
	s_cmp_lt_i32 s18, 3
	s_cbranch_scc1 .LBB15_1850
; %bb.1845:
	s_cmp_gt_i32 s18, 3
	s_cbranch_scc0 .LBB15_1847
; %bb.1846:
	v_and_b32_e32 v5, 0xff, v1
	v_mov_b32_e32 v6, 0
	global_store_dwordx2 v[3:4], v[5:6], off
	s_mov_b64 s[0:1], 0
.LBB15_1847:
	s_andn2_b64 vcc, exec, s[0:1]
	s_cbranch_vccnz .LBB15_1849
; %bb.1848:
	v_and_b32_e32 v5, 0xff, v1
	global_store_dword v[3:4], v5, off
.LBB15_1849:
	s_mov_b64 s[0:1], 0
.LBB15_1850:
	s_andn2_b64 vcc, exec, s[0:1]
	s_cbranch_vccnz .LBB15_1852
; %bb.1851:
	v_and_b32_e32 v5, 0xff, v1
	global_store_short v[3:4], v5, off
.LBB15_1852:
	s_mov_b64 s[0:1], 0
.LBB15_1853:
	s_andn2_b64 vcc, exec, s[0:1]
	s_cbranch_vccnz .LBB15_1858
; %bb.1854:
	s_cmp_gt_i32 s18, 0
	s_mov_b64 s[0:1], -1
	s_cbranch_scc0 .LBB15_1856
; %bb.1855:
	global_store_byte v[3:4], v1, off
	s_mov_b64 s[0:1], 0
.LBB15_1856:
	s_andn2_b64 vcc, exec, s[0:1]
	s_cbranch_vccnz .LBB15_1858
; %bb.1857:
	global_store_byte v[3:4], v1, off
.LBB15_1858:
	s_mov_b64 s[6:7], -1
.LBB15_1859:
	s_andn2_b64 vcc, exec, s[6:7]
	s_cbranch_vccnz .LBB15_2055
; %bb.1860:
	v_mov_b32_e32 v1, s17
	v_mov_b32_e32 v3, s15
	v_cmp_gt_u16_sdwa vcc, v9, s16 src0_sel:BYTE_0 src1_sel:DWORD
	v_cndmask_b32_e32 v3, v1, v3, vcc
	v_mov_b32_e32 v4, s9
	v_add_co_u32_e32 v1, vcc, s8, v2
	s_cmp_lt_i32 s18, 11
	v_addc_co_u32_e32 v2, vcc, 0, v4, vcc
	s_cbranch_scc1 .LBB15_1938
; %bb.1861:
	s_mov_b64 s[10:11], -1
	s_mov_b64 s[4:5], 0
	s_cmp_gt_i32 s18, 25
	s_mov_b64 s[6:7], 0
	s_mov_b64 s[0:1], 0
	s_cbranch_scc0 .LBB15_1894
; %bb.1862:
	s_cmp_gt_i32 s18, 28
	s_cbranch_scc0 .LBB15_1877
; %bb.1863:
	s_cmp_gt_i32 s18, 43
	;; [unrolled: 3-line block ×3, first 2 shown]
	s_cbranch_scc0 .LBB15_1867
; %bb.1865:
	s_mov_b64 s[0:1], -1
	s_mov_b64 s[10:11], 0
	s_cmp_eq_u32 s18, 46
	s_cbranch_scc0 .LBB15_1867
; %bb.1866:
	v_cvt_f32_ubyte0_e32 v4, v3
	v_bfe_u32 v5, v4, 16, 1
	s_movk_i32 s0, 0x7fff
	v_add3_u32 v4, v4, v5, s0
	v_lshrrev_b32_e32 v4, 16, v4
	global_store_dword v[1:2], v4, off
	s_mov_b64 s[0:1], 0
	s_mov_b64 s[6:7], -1
.LBB15_1867:
	s_and_b64 vcc, exec, s[10:11]
	s_cbranch_vccz .LBB15_1872
; %bb.1868:
	s_cmp_eq_u32 s18, 44
	s_mov_b64 s[0:1], -1
	s_cbranch_scc0 .LBB15_1872
; %bb.1869:
	v_cvt_f32_ubyte0_e32 v5, v3
	v_lshrrev_b32_e32 v4, 23, v5
	s_movk_i32 s0, 0xff
	v_cmp_ne_u32_e32 vcc, s0, v4
	v_mov_b32_e32 v6, 0xff
	s_and_saveexec_b64 s[6:7], vcc
; %bb.1870:
	s_mov_b32 s0, 0x3fffff
	v_and_b32_e32 v6, 0x400000, v5
	v_and_or_b32 v5, v5, s0, v4
	v_cmp_ne_u32_e32 vcc, 0, v6
	v_cmp_ne_u32_e64 s[0:1], 0, v5
	s_and_b64 s[0:1], vcc, s[0:1]
	v_cndmask_b32_e64 v5, 0, 1, s[0:1]
	v_add_u32_e32 v6, v4, v5
; %bb.1871:
	s_or_b64 exec, exec, s[6:7]
	s_mov_b64 s[0:1], 0
	s_mov_b64 s[6:7], -1
	global_store_byte v[1:2], v6, off
.LBB15_1872:
	s_mov_b64 s[10:11], 0
.LBB15_1873:
	s_and_b64 vcc, exec, s[10:11]
	s_cbranch_vccz .LBB15_1876
; %bb.1874:
	s_cmp_eq_u32 s18, 29
	s_mov_b64 s[0:1], -1
	s_cbranch_scc0 .LBB15_1876
; %bb.1875:
	v_and_b32_e32 v4, 0xff, v3
	v_mov_b32_e32 v5, 0
	global_store_dwordx2 v[1:2], v[4:5], off
	s_mov_b64 s[0:1], 0
	s_mov_b64 s[6:7], -1
.LBB15_1876:
	s_mov_b64 s[10:11], 0
.LBB15_1877:
	s_and_b64 vcc, exec, s[10:11]
	s_cbranch_vccz .LBB15_1893
; %bb.1878:
	s_cmp_lt_i32 s18, 27
	s_mov_b64 s[6:7], -1
	s_cbranch_scc1 .LBB15_1884
; %bb.1879:
	s_cmp_gt_i32 s18, 27
	s_cbranch_scc0 .LBB15_1881
; %bb.1880:
	v_and_b32_e32 v4, 0xff, v3
	s_mov_b64 s[6:7], 0
	global_store_dword v[1:2], v4, off
.LBB15_1881:
	s_andn2_b64 vcc, exec, s[6:7]
	s_cbranch_vccnz .LBB15_1883
; %bb.1882:
	v_and_b32_e32 v4, 0xff, v3
	global_store_short v[1:2], v4, off
.LBB15_1883:
	s_mov_b64 s[6:7], 0
.LBB15_1884:
	s_andn2_b64 vcc, exec, s[6:7]
	s_cbranch_vccnz .LBB15_1892
; %bb.1885:
	v_cvt_f32_ubyte0_e32 v5, v3
	s_mov_b32 s6, 0x43800000
	v_cmp_gt_u32_e32 vcc, s6, v5
	v_mov_b32_e32 v6, 0x80
	s_and_saveexec_b64 s[6:7], vcc
	s_cbranch_execz .LBB15_1891
; %bb.1886:
	s_mov_b32 s10, 0x3bffffff
	v_cmp_lt_u32_e32 vcc, s10, v5
	s_mov_b64 s[10:11], 0
                                        ; implicit-def: $vgpr4
	s_and_saveexec_b64 s[12:13], vcc
	s_xor_b64 s[12:13], exec, s[12:13]
	s_cbranch_execz .LBB15_2112
; %bb.1887:
	v_bfe_u32 v4, v5, 20, 1
	s_mov_b32 s19, 0x487ffff
	v_add3_u32 v4, v5, v4, s19
	s_mov_b64 s[10:11], exec
	v_lshrrev_b32_e32 v4, 20, v4
                                        ; implicit-def: $vgpr5
	s_andn2_saveexec_b64 s[12:13], s[12:13]
	s_cbranch_execnz .LBB15_2113
.LBB15_1888:
	s_or_b64 exec, exec, s[12:13]
	v_mov_b32_e32 v6, 0
	s_and_saveexec_b64 s[12:13], s[10:11]
.LBB15_1889:
	v_mov_b32_e32 v6, v4
.LBB15_1890:
	s_or_b64 exec, exec, s[12:13]
.LBB15_1891:
	s_or_b64 exec, exec, s[6:7]
	global_store_byte v[1:2], v6, off
.LBB15_1892:
	s_mov_b64 s[6:7], -1
.LBB15_1893:
	s_mov_b64 s[10:11], 0
.LBB15_1894:
	s_and_b64 vcc, exec, s[10:11]
	s_cbranch_vccz .LBB15_1934
; %bb.1895:
	s_cmp_gt_i32 s18, 22
	s_mov_b64 s[4:5], -1
	s_cbranch_scc0 .LBB15_1927
; %bb.1896:
	s_cmp_lt_i32 s18, 24
	s_cbranch_scc1 .LBB15_1916
; %bb.1897:
	s_cmp_gt_i32 s18, 24
	s_cbranch_scc0 .LBB15_1905
; %bb.1898:
	v_cvt_f32_ubyte0_e32 v5, v3
	s_mov_b32 s4, 0x47800000
	v_cmp_gt_u32_e32 vcc, s4, v5
	v_mov_b32_e32 v6, 0x80
	s_and_saveexec_b64 s[4:5], vcc
	s_cbranch_execz .LBB15_1904
; %bb.1899:
	s_mov_b32 s6, 0x37ffffff
	v_cmp_lt_u32_e32 vcc, s6, v5
	s_mov_b64 s[6:7], 0
                                        ; implicit-def: $vgpr4
	s_and_saveexec_b64 s[10:11], vcc
	s_xor_b64 s[10:11], exec, s[10:11]
	s_cbranch_execz .LBB15_2115
; %bb.1900:
	v_bfe_u32 v4, v5, 21, 1
	s_mov_b32 s12, 0x88fffff
	v_add3_u32 v4, v5, v4, s12
	s_mov_b64 s[6:7], exec
	v_lshrrev_b32_e32 v4, 21, v4
                                        ; implicit-def: $vgpr5
	s_andn2_saveexec_b64 s[10:11], s[10:11]
	s_cbranch_execnz .LBB15_2116
.LBB15_1901:
	s_or_b64 exec, exec, s[10:11]
	v_mov_b32_e32 v6, 0
	s_and_saveexec_b64 s[10:11], s[6:7]
.LBB15_1902:
	v_mov_b32_e32 v6, v4
.LBB15_1903:
	s_or_b64 exec, exec, s[10:11]
.LBB15_1904:
	s_or_b64 exec, exec, s[4:5]
	s_mov_b64 s[4:5], 0
	global_store_byte v[1:2], v6, off
.LBB15_1905:
	s_and_b64 vcc, exec, s[4:5]
	s_cbranch_vccz .LBB15_1915
; %bb.1906:
	v_cvt_f32_ubyte0_e32 v4, v3
	s_mov_b32 s4, 0x43f00000
	v_cmp_gt_u32_e32 vcc, s4, v4
                                        ; implicit-def: $vgpr5
	s_and_saveexec_b64 s[4:5], vcc
	s_xor_b64 s[4:5], exec, s[4:5]
	s_cbranch_execz .LBB15_1912
; %bb.1907:
	s_mov_b32 s6, 0x3c7fffff
	v_cmp_lt_u32_e32 vcc, s6, v4
                                        ; implicit-def: $vgpr5
	s_and_saveexec_b64 s[6:7], vcc
	s_xor_b64 s[6:7], exec, s[6:7]
; %bb.1908:
	v_bfe_u32 v5, v4, 20, 1
	s_mov_b32 s10, 0x407ffff
	v_add3_u32 v4, v4, v5, s10
	v_lshrrev_b32_e32 v5, 20, v4
	v_and_b32_e32 v4, 0xff00000, v4
	s_mov_b32 s10, 0x7f00000
	v_mov_b32_e32 v6, 0x7e
	v_cmp_ne_u32_e32 vcc, s10, v4
	v_cndmask_b32_e32 v5, v6, v5, vcc
                                        ; implicit-def: $vgpr4
; %bb.1909:
	s_andn2_saveexec_b64 s[6:7], s[6:7]
; %bb.1910:
	v_add_f32_e32 v5, 0x46800000, v4
; %bb.1911:
	s_or_b64 exec, exec, s[6:7]
                                        ; implicit-def: $vgpr4
.LBB15_1912:
	s_andn2_saveexec_b64 s[4:5], s[4:5]
; %bb.1913:
	s_mov_b32 s6, 0x7f800000
	v_mov_b32_e32 v5, 0x7e
	v_mov_b32_e32 v6, 0x7f
	v_cmp_lt_u32_e32 vcc, s6, v4
	v_cndmask_b32_e32 v5, v5, v6, vcc
; %bb.1914:
	s_or_b64 exec, exec, s[4:5]
	global_store_byte v[1:2], v5, off
.LBB15_1915:
	s_mov_b64 s[4:5], 0
.LBB15_1916:
	s_andn2_b64 vcc, exec, s[4:5]
	s_cbranch_vccnz .LBB15_1926
; %bb.1917:
	v_cvt_f32_ubyte0_e32 v4, v3
	s_mov_b32 s4, 0x47800000
	v_cmp_gt_u32_e32 vcc, s4, v4
                                        ; implicit-def: $vgpr5
	s_and_saveexec_b64 s[4:5], vcc
	s_xor_b64 s[4:5], exec, s[4:5]
	s_cbranch_execz .LBB15_1923
; %bb.1918:
	s_mov_b32 s6, 0x387fffff
	v_cmp_lt_u32_e32 vcc, s6, v4
                                        ; implicit-def: $vgpr5
	s_and_saveexec_b64 s[6:7], vcc
	s_xor_b64 s[6:7], exec, s[6:7]
; %bb.1919:
	v_bfe_u32 v5, v4, 21, 1
	s_mov_b32 s10, 0x80fffff
	v_add3_u32 v4, v4, v5, s10
	v_lshrrev_b32_e32 v5, 21, v4
                                        ; implicit-def: $vgpr4
; %bb.1920:
	s_andn2_saveexec_b64 s[6:7], s[6:7]
; %bb.1921:
	v_add_f32_e32 v5, 0x43000000, v4
; %bb.1922:
	s_or_b64 exec, exec, s[6:7]
                                        ; implicit-def: $vgpr4
.LBB15_1923:
	s_andn2_saveexec_b64 s[4:5], s[4:5]
; %bb.1924:
	s_mov_b32 s6, 0x7f800000
	v_mov_b32_e32 v5, 0x7c
	v_mov_b32_e32 v6, 0x7f
	v_cmp_lt_u32_e32 vcc, s6, v4
	v_cndmask_b32_e32 v5, v5, v6, vcc
; %bb.1925:
	s_or_b64 exec, exec, s[4:5]
	global_store_byte v[1:2], v5, off
.LBB15_1926:
	s_mov_b64 s[4:5], 0
	s_mov_b64 s[6:7], -1
.LBB15_1927:
	s_andn2_b64 vcc, exec, s[4:5]
	s_mov_b64 s[4:5], 0
	s_cbranch_vccnz .LBB15_1934
; %bb.1928:
	s_cmp_gt_i32 s18, 14
	s_mov_b64 s[10:11], -1
	s_cbranch_scc0 .LBB15_1932
; %bb.1929:
	s_cmp_eq_u32 s18, 15
	s_mov_b64 s[0:1], -1
	s_cbranch_scc0 .LBB15_1931
; %bb.1930:
	v_cvt_f32_ubyte0_e32 v4, v3
	v_bfe_u32 v5, v4, 16, 1
	s_movk_i32 s0, 0x7fff
	v_add3_u32 v4, v4, v5, s0
	global_store_short_d16_hi v[1:2], v4, off
	s_mov_b64 s[0:1], 0
	s_mov_b64 s[6:7], -1
.LBB15_1931:
	s_mov_b64 s[10:11], 0
.LBB15_1932:
	s_and_b64 vcc, exec, s[10:11]
	s_cbranch_vccz .LBB15_1934
; %bb.1933:
	s_cmp_lg_u32 s18, 11
	s_mov_b64 s[4:5], -1
	s_cselect_b64 s[0:1], -1, 0
.LBB15_1934:
	s_and_b64 vcc, exec, s[0:1]
	s_cbranch_vccnz .LBB15_2114
; %bb.1935:
	s_andn2_b64 vcc, exec, s[4:5]
	s_cbranch_vccnz .LBB15_1937
.LBB15_1936:
	v_mov_b32_e32 v4, 0
	v_cmp_ne_u16_sdwa s[0:1], v3, v4 src0_sel:BYTE_0 src1_sel:DWORD
	v_cndmask_b32_e64 v4, 0, 1, s[0:1]
	s_mov_b64 s[6:7], -1
	global_store_byte v[1:2], v4, off
.LBB15_1937:
	s_mov_b64 s[0:1], 0
	s_branch .LBB15_1939
.LBB15_1938:
	s_mov_b64 s[0:1], -1
	s_mov_b64 s[6:7], 0
.LBB15_1939:
	s_and_b64 vcc, exec, s[0:1]
	s_cbranch_vccz .LBB15_1978
; %bb.1940:
	s_cmp_lt_i32 s18, 5
	s_mov_b64 s[0:1], -1
	s_cbranch_scc1 .LBB15_1961
; %bb.1941:
	s_cmp_lt_i32 s18, 8
	s_cbranch_scc1 .LBB15_1951
; %bb.1942:
	s_cmp_lt_i32 s18, 9
	s_cbranch_scc1 .LBB15_1948
; %bb.1943:
	s_cmp_gt_i32 s18, 9
	s_cbranch_scc0 .LBB15_1945
; %bb.1944:
	s_mov_b32 s0, 0xffff
	v_and_b32_sdwa v4, s0, v3 dst_sel:DWORD dst_unused:UNUSED_PAD src0_sel:DWORD src1_sel:BYTE_0
	v_cvt_f64_u32_e32 v[4:5], v4
	v_mov_b32_e32 v6, 0
	v_mov_b32_e32 v7, v6
	s_mov_b64 s[0:1], 0
	global_store_dwordx4 v[1:2], v[4:7], off
.LBB15_1945:
	s_andn2_b64 vcc, exec, s[0:1]
	s_cbranch_vccnz .LBB15_1947
; %bb.1946:
	v_cvt_f32_ubyte0_e32 v4, v3
	v_mov_b32_e32 v5, 0
	global_store_dwordx2 v[1:2], v[4:5], off
.LBB15_1947:
	s_mov_b64 s[0:1], 0
.LBB15_1948:
	s_andn2_b64 vcc, exec, s[0:1]
	s_cbranch_vccnz .LBB15_1950
; %bb.1949:
	v_cvt_f16_u16_sdwa v4, v3 dst_sel:DWORD dst_unused:UNUSED_PAD src0_sel:BYTE_0
	global_store_dword v[1:2], v4, off
.LBB15_1950:
	s_mov_b64 s[0:1], 0
.LBB15_1951:
	s_andn2_b64 vcc, exec, s[0:1]
	s_cbranch_vccnz .LBB15_1960
; %bb.1952:
	s_cmp_lt_i32 s18, 6
	s_mov_b64 s[0:1], -1
	s_cbranch_scc1 .LBB15_1958
; %bb.1953:
	s_cmp_gt_i32 s18, 6
	s_cbranch_scc0 .LBB15_1955
; %bb.1954:
	s_mov_b32 s0, 0xffff
	v_and_b32_sdwa v4, s0, v3 dst_sel:DWORD dst_unused:UNUSED_PAD src0_sel:DWORD src1_sel:BYTE_0
	v_cvt_f64_u32_e32 v[4:5], v4
	s_mov_b64 s[0:1], 0
	global_store_dwordx2 v[1:2], v[4:5], off
.LBB15_1955:
	s_andn2_b64 vcc, exec, s[0:1]
	s_cbranch_vccnz .LBB15_1957
; %bb.1956:
	v_cvt_f32_ubyte0_e32 v4, v3
	global_store_dword v[1:2], v4, off
.LBB15_1957:
	s_mov_b64 s[0:1], 0
.LBB15_1958:
	s_andn2_b64 vcc, exec, s[0:1]
	s_cbranch_vccnz .LBB15_1960
; %bb.1959:
	v_cvt_f16_u16_sdwa v4, v3 dst_sel:DWORD dst_unused:UNUSED_PAD src0_sel:BYTE_0
	global_store_short v[1:2], v4, off
.LBB15_1960:
	s_mov_b64 s[0:1], 0
.LBB15_1961:
	s_andn2_b64 vcc, exec, s[0:1]
	s_cbranch_vccnz .LBB15_1977
; %bb.1962:
	s_cmp_lt_i32 s18, 2
	s_mov_b64 s[0:1], -1
	s_cbranch_scc1 .LBB15_1972
; %bb.1963:
	s_cmp_lt_i32 s18, 3
	s_cbranch_scc1 .LBB15_1969
; %bb.1964:
	s_cmp_gt_i32 s18, 3
	s_cbranch_scc0 .LBB15_1966
; %bb.1965:
	v_and_b32_e32 v4, 0xff, v3
	v_mov_b32_e32 v5, 0
	global_store_dwordx2 v[1:2], v[4:5], off
	s_mov_b64 s[0:1], 0
.LBB15_1966:
	s_andn2_b64 vcc, exec, s[0:1]
	s_cbranch_vccnz .LBB15_1968
; %bb.1967:
	v_and_b32_e32 v4, 0xff, v3
	global_store_dword v[1:2], v4, off
.LBB15_1968:
	s_mov_b64 s[0:1], 0
.LBB15_1969:
	s_andn2_b64 vcc, exec, s[0:1]
	s_cbranch_vccnz .LBB15_1971
; %bb.1970:
	v_and_b32_e32 v4, 0xff, v3
	global_store_short v[1:2], v4, off
.LBB15_1971:
	s_mov_b64 s[0:1], 0
.LBB15_1972:
	s_andn2_b64 vcc, exec, s[0:1]
	s_cbranch_vccnz .LBB15_1977
; %bb.1973:
	s_cmp_gt_i32 s18, 0
	s_mov_b64 s[0:1], -1
	s_cbranch_scc0 .LBB15_1975
; %bb.1974:
	global_store_byte v[1:2], v3, off
	s_mov_b64 s[0:1], 0
.LBB15_1975:
	s_andn2_b64 vcc, exec, s[0:1]
	s_cbranch_vccnz .LBB15_1977
; %bb.1976:
	global_store_byte v[1:2], v3, off
.LBB15_1977:
	s_mov_b64 s[6:7], -1
.LBB15_1978:
	s_andn2_b64 vcc, exec, s[6:7]
	s_cbranch_vccnz .LBB15_2055
; %bb.1979:
	v_mov_b32_e32 v1, s17
	v_mov_b32_e32 v2, s15
	v_cmp_gt_u16_sdwa vcc, v10, s16 src0_sel:BYTE_0 src1_sel:DWORD
	v_cndmask_b32_e32 v2, v1, v2, vcc
	v_mov_b32_e32 v1, s9
	v_add_co_u32_e32 v0, vcc, s8, v0
	s_cmp_lt_i32 s18, 11
	v_addc_co_u32_e32 v1, vcc, 0, v1, vcc
	s_cbranch_scc1 .LBB15_2100
; %bb.1980:
	s_mov_b64 s[6:7], -1
	s_mov_b64 s[4:5], 0
	s_cmp_gt_i32 s18, 25
	s_mov_b64 s[0:1], 0
	s_cbranch_scc0 .LBB15_2013
; %bb.1981:
	s_cmp_gt_i32 s18, 28
	s_cbranch_scc0 .LBB15_1997
; %bb.1982:
	s_cmp_gt_i32 s18, 43
	;; [unrolled: 3-line block ×3, first 2 shown]
	s_cbranch_scc0 .LBB15_1987
; %bb.1984:
	s_cmp_eq_u32 s18, 46
	s_mov_b64 s[0:1], -1
	s_cbranch_scc0 .LBB15_1986
; %bb.1985:
	v_cvt_f32_ubyte0_e32 v3, v2
	v_bfe_u32 v4, v3, 16, 1
	s_movk_i32 s0, 0x7fff
	v_add3_u32 v3, v3, v4, s0
	v_lshrrev_b32_e32 v3, 16, v3
	global_store_dword v[0:1], v3, off
	s_mov_b64 s[0:1], 0
.LBB15_1986:
	s_mov_b64 s[6:7], 0
.LBB15_1987:
	s_and_b64 vcc, exec, s[6:7]
	s_cbranch_vccz .LBB15_1992
; %bb.1988:
	s_cmp_eq_u32 s18, 44
	s_mov_b64 s[0:1], -1
	s_cbranch_scc0 .LBB15_1992
; %bb.1989:
	v_cvt_f32_ubyte0_e32 v4, v2
	v_lshrrev_b32_e32 v3, 23, v4
	s_movk_i32 s0, 0xff
	v_cmp_ne_u32_e32 vcc, s0, v3
	v_mov_b32_e32 v5, 0xff
	s_and_saveexec_b64 s[6:7], vcc
; %bb.1990:
	s_mov_b32 s0, 0x3fffff
	v_and_b32_e32 v5, 0x400000, v4
	v_and_or_b32 v4, v4, s0, v3
	v_cmp_ne_u32_e32 vcc, 0, v5
	v_cmp_ne_u32_e64 s[0:1], 0, v4
	s_and_b64 s[0:1], vcc, s[0:1]
	v_cndmask_b32_e64 v4, 0, 1, s[0:1]
	v_add_u32_e32 v5, v3, v4
; %bb.1991:
	s_or_b64 exec, exec, s[6:7]
	s_mov_b64 s[0:1], 0
	global_store_byte v[0:1], v5, off
.LBB15_1992:
	s_mov_b64 s[6:7], 0
.LBB15_1993:
	s_and_b64 vcc, exec, s[6:7]
	s_cbranch_vccz .LBB15_1996
; %bb.1994:
	s_cmp_eq_u32 s18, 29
	s_mov_b64 s[0:1], -1
	s_cbranch_scc0 .LBB15_1996
; %bb.1995:
	v_and_b32_e32 v3, 0xff, v2
	v_mov_b32_e32 v4, 0
	global_store_dwordx2 v[0:1], v[3:4], off
	s_mov_b64 s[0:1], 0
.LBB15_1996:
	s_mov_b64 s[6:7], 0
.LBB15_1997:
	s_and_b64 vcc, exec, s[6:7]
	s_cbranch_vccz .LBB15_2012
; %bb.1998:
	s_cmp_lt_i32 s18, 27
	s_mov_b64 s[6:7], -1
	s_cbranch_scc1 .LBB15_2004
; %bb.1999:
	s_cmp_gt_i32 s18, 27
	s_cbranch_scc0 .LBB15_2001
; %bb.2000:
	v_and_b32_e32 v3, 0xff, v2
	global_store_dword v[0:1], v3, off
	s_mov_b64 s[6:7], 0
.LBB15_2001:
	s_andn2_b64 vcc, exec, s[6:7]
	s_cbranch_vccnz .LBB15_2003
; %bb.2002:
	v_and_b32_e32 v3, 0xff, v2
	global_store_short v[0:1], v3, off
.LBB15_2003:
	s_mov_b64 s[6:7], 0
.LBB15_2004:
	s_andn2_b64 vcc, exec, s[6:7]
	s_cbranch_vccnz .LBB15_2012
; %bb.2005:
	v_cvt_f32_ubyte0_e32 v4, v2
	s_mov_b32 s6, 0x43800000
	v_cmp_gt_u32_e32 vcc, s6, v4
	v_mov_b32_e32 v5, 0x80
	s_and_saveexec_b64 s[6:7], vcc
	s_cbranch_execz .LBB15_2011
; %bb.2006:
	s_mov_b32 s8, 0x3bffffff
	v_cmp_lt_u32_e32 vcc, s8, v4
	s_mov_b64 s[8:9], 0
                                        ; implicit-def: $vgpr3
	s_and_saveexec_b64 s[10:11], vcc
	s_xor_b64 s[10:11], exec, s[10:11]
	s_cbranch_execz .LBB15_2117
; %bb.2007:
	v_bfe_u32 v3, v4, 20, 1
	s_mov_b32 s12, 0x487ffff
	v_add3_u32 v3, v4, v3, s12
	s_mov_b64 s[8:9], exec
	v_lshrrev_b32_e32 v3, 20, v3
                                        ; implicit-def: $vgpr4
	s_andn2_saveexec_b64 s[10:11], s[10:11]
	s_cbranch_execnz .LBB15_2118
.LBB15_2008:
	s_or_b64 exec, exec, s[10:11]
	v_mov_b32_e32 v5, 0
	s_and_saveexec_b64 s[10:11], s[8:9]
.LBB15_2009:
	v_mov_b32_e32 v5, v3
.LBB15_2010:
	s_or_b64 exec, exec, s[10:11]
.LBB15_2011:
	s_or_b64 exec, exec, s[6:7]
	global_store_byte v[0:1], v5, off
.LBB15_2012:
	s_mov_b64 s[6:7], 0
.LBB15_2013:
	s_and_b64 vcc, exec, s[6:7]
	s_cbranch_vccz .LBB15_2053
; %bb.2014:
	s_cmp_gt_i32 s18, 22
	s_mov_b64 s[4:5], -1
	s_cbranch_scc0 .LBB15_2046
; %bb.2015:
	s_cmp_lt_i32 s18, 24
	s_cbranch_scc1 .LBB15_2035
; %bb.2016:
	s_cmp_gt_i32 s18, 24
	s_cbranch_scc0 .LBB15_2024
; %bb.2017:
	v_cvt_f32_ubyte0_e32 v4, v2
	s_mov_b32 s4, 0x47800000
	v_cmp_gt_u32_e32 vcc, s4, v4
	v_mov_b32_e32 v5, 0x80
	s_and_saveexec_b64 s[4:5], vcc
	s_cbranch_execz .LBB15_2023
; %bb.2018:
	s_mov_b32 s6, 0x37ffffff
	v_cmp_lt_u32_e32 vcc, s6, v4
	s_mov_b64 s[6:7], 0
                                        ; implicit-def: $vgpr3
	s_and_saveexec_b64 s[8:9], vcc
	s_xor_b64 s[8:9], exec, s[8:9]
	s_cbranch_execz .LBB15_2120
; %bb.2019:
	v_bfe_u32 v3, v4, 21, 1
	s_mov_b32 s10, 0x88fffff
	v_add3_u32 v3, v4, v3, s10
	s_mov_b64 s[6:7], exec
	v_lshrrev_b32_e32 v3, 21, v3
                                        ; implicit-def: $vgpr4
	s_andn2_saveexec_b64 s[8:9], s[8:9]
	s_cbranch_execnz .LBB15_2121
.LBB15_2020:
	s_or_b64 exec, exec, s[8:9]
	v_mov_b32_e32 v5, 0
	s_and_saveexec_b64 s[8:9], s[6:7]
.LBB15_2021:
	v_mov_b32_e32 v5, v3
.LBB15_2022:
	s_or_b64 exec, exec, s[8:9]
.LBB15_2023:
	s_or_b64 exec, exec, s[4:5]
	s_mov_b64 s[4:5], 0
	global_store_byte v[0:1], v5, off
.LBB15_2024:
	s_and_b64 vcc, exec, s[4:5]
	s_cbranch_vccz .LBB15_2034
; %bb.2025:
	v_cvt_f32_ubyte0_e32 v3, v2
	s_mov_b32 s4, 0x43f00000
	v_cmp_gt_u32_e32 vcc, s4, v3
                                        ; implicit-def: $vgpr4
	s_and_saveexec_b64 s[4:5], vcc
	s_xor_b64 s[4:5], exec, s[4:5]
	s_cbranch_execz .LBB15_2031
; %bb.2026:
	s_mov_b32 s6, 0x3c7fffff
	v_cmp_lt_u32_e32 vcc, s6, v3
                                        ; implicit-def: $vgpr4
	s_and_saveexec_b64 s[6:7], vcc
	s_xor_b64 s[6:7], exec, s[6:7]
; %bb.2027:
	v_bfe_u32 v4, v3, 20, 1
	s_mov_b32 s8, 0x407ffff
	v_add3_u32 v3, v3, v4, s8
	v_lshrrev_b32_e32 v4, 20, v3
	v_and_b32_e32 v3, 0xff00000, v3
	s_mov_b32 s8, 0x7f00000
	v_mov_b32_e32 v5, 0x7e
	v_cmp_ne_u32_e32 vcc, s8, v3
	v_cndmask_b32_e32 v4, v5, v4, vcc
                                        ; implicit-def: $vgpr3
; %bb.2028:
	s_andn2_saveexec_b64 s[6:7], s[6:7]
; %bb.2029:
	v_add_f32_e32 v4, 0x46800000, v3
; %bb.2030:
	s_or_b64 exec, exec, s[6:7]
                                        ; implicit-def: $vgpr3
.LBB15_2031:
	s_andn2_saveexec_b64 s[4:5], s[4:5]
; %bb.2032:
	s_mov_b32 s6, 0x7f800000
	v_mov_b32_e32 v4, 0x7e
	v_mov_b32_e32 v5, 0x7f
	v_cmp_lt_u32_e32 vcc, s6, v3
	v_cndmask_b32_e32 v4, v4, v5, vcc
; %bb.2033:
	s_or_b64 exec, exec, s[4:5]
	global_store_byte v[0:1], v4, off
.LBB15_2034:
	s_mov_b64 s[4:5], 0
.LBB15_2035:
	s_andn2_b64 vcc, exec, s[4:5]
	s_cbranch_vccnz .LBB15_2045
; %bb.2036:
	v_cvt_f32_ubyte0_e32 v3, v2
	s_mov_b32 s4, 0x47800000
	v_cmp_gt_u32_e32 vcc, s4, v3
                                        ; implicit-def: $vgpr4
	s_and_saveexec_b64 s[4:5], vcc
	s_xor_b64 s[4:5], exec, s[4:5]
	s_cbranch_execz .LBB15_2042
; %bb.2037:
	s_mov_b32 s6, 0x387fffff
	v_cmp_lt_u32_e32 vcc, s6, v3
                                        ; implicit-def: $vgpr4
	s_and_saveexec_b64 s[6:7], vcc
	s_xor_b64 s[6:7], exec, s[6:7]
; %bb.2038:
	v_bfe_u32 v4, v3, 21, 1
	s_mov_b32 s8, 0x80fffff
	v_add3_u32 v3, v3, v4, s8
	v_lshrrev_b32_e32 v4, 21, v3
                                        ; implicit-def: $vgpr3
; %bb.2039:
	s_andn2_saveexec_b64 s[6:7], s[6:7]
; %bb.2040:
	v_add_f32_e32 v4, 0x43000000, v3
; %bb.2041:
	s_or_b64 exec, exec, s[6:7]
                                        ; implicit-def: $vgpr3
.LBB15_2042:
	s_andn2_saveexec_b64 s[4:5], s[4:5]
; %bb.2043:
	s_mov_b32 s6, 0x7f800000
	v_mov_b32_e32 v4, 0x7c
	v_mov_b32_e32 v5, 0x7f
	v_cmp_lt_u32_e32 vcc, s6, v3
	v_cndmask_b32_e32 v4, v4, v5, vcc
; %bb.2044:
	s_or_b64 exec, exec, s[4:5]
	global_store_byte v[0:1], v4, off
.LBB15_2045:
	s_mov_b64 s[4:5], 0
.LBB15_2046:
	s_andn2_b64 vcc, exec, s[4:5]
	s_mov_b64 s[4:5], 0
	s_cbranch_vccnz .LBB15_2053
; %bb.2047:
	s_cmp_gt_i32 s18, 14
	s_mov_b64 s[6:7], -1
	s_cbranch_scc0 .LBB15_2051
; %bb.2048:
	s_cmp_eq_u32 s18, 15
	s_mov_b64 s[0:1], -1
	s_cbranch_scc0 .LBB15_2050
; %bb.2049:
	v_cvt_f32_ubyte0_e32 v3, v2
	v_bfe_u32 v4, v3, 16, 1
	s_movk_i32 s0, 0x7fff
	v_add3_u32 v3, v3, v4, s0
	global_store_short_d16_hi v[0:1], v3, off
	s_mov_b64 s[0:1], 0
.LBB15_2050:
	s_mov_b64 s[6:7], 0
.LBB15_2051:
	s_and_b64 vcc, exec, s[6:7]
	s_cbranch_vccz .LBB15_2053
; %bb.2052:
	s_cmp_lg_u32 s18, 11
	s_mov_b64 s[4:5], -1
	s_cselect_b64 s[0:1], -1, 0
.LBB15_2053:
	s_and_b64 vcc, exec, s[0:1]
	s_cbranch_vccnz .LBB15_2119
.LBB15_2054:
	s_mov_b64 s[0:1], 0
	s_branch .LBB15_2056
.LBB15_2055:
	s_mov_b64 s[0:1], 0
	s_mov_b64 s[4:5], 0
                                        ; implicit-def: $vgpr0_vgpr1
                                        ; implicit-def: $sgpr14
                                        ; implicit-def: $vgpr2
.LBB15_2056:
	s_and_b64 s[6:7], s[4:5], exec
	s_andn2_b64 s[4:5], s[28:29], exec
	s_and_b64 s[2:3], s[2:3], exec
	s_and_b64 s[0:1], s[0:1], exec
	s_or_b64 s[28:29], s[4:5], s[2:3]
.LBB15_2057:
	s_or_b64 exec, exec, s[30:31]
	s_and_saveexec_b64 s[2:3], s[28:29]
	s_cbranch_execz .LBB15_2060
; %bb.2058:
	; divergent unreachable
	s_or_b64 exec, exec, s[2:3]
	s_and_saveexec_b64 s[2:3], s[6:7]
	s_xor_b64 s[2:3], exec, s[2:3]
	s_cbranch_execnz .LBB15_2061
.LBB15_2059:
	s_or_b64 exec, exec, s[2:3]
	s_and_saveexec_b64 s[2:3], s[0:1]
	s_cbranch_execnz .LBB15_2062
	s_branch .LBB15_2099
.LBB15_2060:
	s_or_b64 exec, exec, s[2:3]
	s_and_saveexec_b64 s[2:3], s[6:7]
	s_xor_b64 s[2:3], exec, s[2:3]
	s_cbranch_execz .LBB15_2059
.LBB15_2061:
	s_waitcnt vmcnt(0)
	v_mov_b32_e32 v3, 0
	v_cmp_ne_u16_sdwa s[4:5], v2, v3 src0_sel:BYTE_0 src1_sel:DWORD
	v_cndmask_b32_e64 v3, 0, 1, s[4:5]
	global_store_byte v[0:1], v3, off
	s_or_b64 exec, exec, s[2:3]
	s_and_saveexec_b64 s[2:3], s[0:1]
	s_cbranch_execz .LBB15_2099
.LBB15_2062:
	s_sext_i32_i16 s2, s14
	s_cmp_lt_i32 s2, 5
	s_mov_b64 s[0:1], -1
	s_cbranch_scc1 .LBB15_2083
; %bb.2063:
	s_cmp_lt_i32 s2, 8
	s_cbranch_scc1 .LBB15_2073
; %bb.2064:
	s_cmp_lt_i32 s2, 9
	s_cbranch_scc1 .LBB15_2070
; %bb.2065:
	s_cmp_gt_i32 s2, 9
	s_cbranch_scc0 .LBB15_2067
; %bb.2066:
	s_mov_b32 s0, 0xffff
	s_waitcnt vmcnt(0)
	v_and_b32_sdwa v3, s0, v2 dst_sel:DWORD dst_unused:UNUSED_PAD src0_sel:DWORD src1_sel:BYTE_0
	v_cvt_f64_u32_e32 v[3:4], v3
	v_mov_b32_e32 v5, 0
	v_mov_b32_e32 v6, v5
	s_mov_b64 s[0:1], 0
	global_store_dwordx4 v[0:1], v[3:6], off
.LBB15_2067:
	s_andn2_b64 vcc, exec, s[0:1]
	s_cbranch_vccnz .LBB15_2069
; %bb.2068:
	s_waitcnt vmcnt(0)
	v_cvt_f32_ubyte0_e32 v3, v2
	v_mov_b32_e32 v4, 0
	global_store_dwordx2 v[0:1], v[3:4], off
.LBB15_2069:
	s_mov_b64 s[0:1], 0
.LBB15_2070:
	s_andn2_b64 vcc, exec, s[0:1]
	s_cbranch_vccnz .LBB15_2072
; %bb.2071:
	s_waitcnt vmcnt(0)
	v_cvt_f16_u16_sdwa v3, v2 dst_sel:DWORD dst_unused:UNUSED_PAD src0_sel:BYTE_0
	global_store_dword v[0:1], v3, off
.LBB15_2072:
	s_mov_b64 s[0:1], 0
.LBB15_2073:
	s_andn2_b64 vcc, exec, s[0:1]
	s_cbranch_vccnz .LBB15_2082
; %bb.2074:
	s_sext_i32_i16 s2, s14
	s_cmp_lt_i32 s2, 6
	s_mov_b64 s[0:1], -1
	s_cbranch_scc1 .LBB15_2080
; %bb.2075:
	s_cmp_gt_i32 s2, 6
	s_cbranch_scc0 .LBB15_2077
; %bb.2076:
	s_mov_b32 s0, 0xffff
	s_waitcnt vmcnt(0)
	v_and_b32_sdwa v3, s0, v2 dst_sel:DWORD dst_unused:UNUSED_PAD src0_sel:DWORD src1_sel:BYTE_0
	v_cvt_f64_u32_e32 v[3:4], v3
	s_mov_b64 s[0:1], 0
	global_store_dwordx2 v[0:1], v[3:4], off
.LBB15_2077:
	s_andn2_b64 vcc, exec, s[0:1]
	s_cbranch_vccnz .LBB15_2079
; %bb.2078:
	s_waitcnt vmcnt(0)
	v_cvt_f32_ubyte0_e32 v3, v2
	global_store_dword v[0:1], v3, off
.LBB15_2079:
	s_mov_b64 s[0:1], 0
.LBB15_2080:
	s_andn2_b64 vcc, exec, s[0:1]
	s_cbranch_vccnz .LBB15_2082
; %bb.2081:
	s_waitcnt vmcnt(0)
	v_cvt_f16_u16_sdwa v3, v2 dst_sel:DWORD dst_unused:UNUSED_PAD src0_sel:BYTE_0
	global_store_short v[0:1], v3, off
.LBB15_2082:
	s_mov_b64 s[0:1], 0
.LBB15_2083:
	s_andn2_b64 vcc, exec, s[0:1]
	s_cbranch_vccnz .LBB15_2099
; %bb.2084:
	s_sext_i32_i16 s2, s14
	s_cmp_lt_i32 s2, 2
	s_mov_b64 s[0:1], -1
	s_cbranch_scc1 .LBB15_2094
; %bb.2085:
	s_cmp_lt_i32 s2, 3
	s_cbranch_scc1 .LBB15_2091
; %bb.2086:
	s_cmp_gt_i32 s2, 3
	s_cbranch_scc0 .LBB15_2088
; %bb.2087:
	s_waitcnt vmcnt(0)
	v_and_b32_e32 v3, 0xff, v2
	v_mov_b32_e32 v4, 0
	global_store_dwordx2 v[0:1], v[3:4], off
	s_mov_b64 s[0:1], 0
.LBB15_2088:
	s_andn2_b64 vcc, exec, s[0:1]
	s_cbranch_vccnz .LBB15_2090
; %bb.2089:
	s_waitcnt vmcnt(0)
	v_and_b32_e32 v3, 0xff, v2
	global_store_dword v[0:1], v3, off
.LBB15_2090:
	s_mov_b64 s[0:1], 0
.LBB15_2091:
	s_andn2_b64 vcc, exec, s[0:1]
	s_cbranch_vccnz .LBB15_2093
; %bb.2092:
	s_waitcnt vmcnt(0)
	v_and_b32_e32 v3, 0xff, v2
	global_store_short v[0:1], v3, off
.LBB15_2093:
	s_mov_b64 s[0:1], 0
.LBB15_2094:
	s_andn2_b64 vcc, exec, s[0:1]
	s_cbranch_vccnz .LBB15_2099
; %bb.2095:
	s_sext_i32_i16 s0, s14
	s_cmp_gt_i32 s0, 0
	s_mov_b64 s[0:1], -1
	s_cbranch_scc0 .LBB15_2097
; %bb.2096:
	global_store_byte v[0:1], v2, off
	s_mov_b64 s[0:1], 0
.LBB15_2097:
	s_andn2_b64 vcc, exec, s[0:1]
	s_cbranch_vccnz .LBB15_2099
; %bb.2098:
	global_store_byte v[0:1], v2, off
	s_endpgm
.LBB15_2099:
	s_endpgm
.LBB15_2100:
	s_mov_b64 s[4:5], 0
	s_mov_b64 s[0:1], -1
	s_branch .LBB15_2056
.LBB15_2101:
	s_trap 2
	s_or_b64 s[2:3], s[2:3], exec
	s_cbranch_execz .LBB15_1570
	s_branch .LBB15_1571
.LBB15_2102:
	s_andn2_saveexec_b64 s[12:13], s[12:13]
	s_cbranch_execz .LBB15_1650
.LBB15_2103:
	v_add_f32_e32 v3, 0x46000000, v7
	v_and_b32_e32 v3, 0xff, v3
	v_cmp_ne_u32_e32 vcc, 0, v3
	s_andn2_b64 s[10:11], s[10:11], exec
	s_and_b64 s[20:21], vcc, exec
	s_or_b64 s[10:11], s[10:11], s[20:21]
	s_or_b64 exec, exec, s[12:13]
	v_mov_b32_e32 v11, 0
	s_and_saveexec_b64 s[12:13], s[10:11]
	s_cbranch_execnz .LBB15_1651
	s_branch .LBB15_1652
.LBB15_2104:
	s_trap 2
	s_or_b64 s[2:3], s[2:3], exec
	s_cbranch_execz .LBB15_1698
	s_branch .LBB15_1699
.LBB15_2105:
	s_andn2_saveexec_b64 s[10:11], s[10:11]
	s_cbranch_execz .LBB15_1663
.LBB15_2106:
	v_add_f32_e32 v3, 0x42800000, v7
	v_and_b32_e32 v3, 0xff, v3
	v_cmp_ne_u32_e32 vcc, 0, v3
	s_andn2_b64 s[6:7], s[6:7], exec
	s_and_b64 s[12:13], vcc, exec
	s_or_b64 s[6:7], s[6:7], s[12:13]
	s_or_b64 exec, exec, s[10:11]
	v_mov_b32_e32 v11, 0
	s_and_saveexec_b64 s[10:11], s[6:7]
	s_cbranch_execnz .LBB15_1664
	s_branch .LBB15_1665
.LBB15_2107:
	s_andn2_saveexec_b64 s[12:13], s[12:13]
	s_cbranch_execz .LBB15_1769
.LBB15_2108:
	v_add_f32_e32 v5, 0x46000000, v6
	v_and_b32_e32 v5, 0xff, v5
	v_cmp_ne_u32_e32 vcc, 0, v5
	s_andn2_b64 s[10:11], s[10:11], exec
	s_and_b64 s[20:21], vcc, exec
	s_or_b64 s[10:11], s[10:11], s[20:21]
	s_or_b64 exec, exec, s[12:13]
	v_mov_b32_e32 v7, 0
	s_and_saveexec_b64 s[12:13], s[10:11]
	s_cbranch_execnz .LBB15_1770
	s_branch .LBB15_1771
.LBB15_2109:
	s_trap 2
	s_or_b64 s[2:3], s[2:3], exec
	s_cbranch_execz .LBB15_1817
	s_branch .LBB15_1818
.LBB15_2110:
	s_andn2_saveexec_b64 s[10:11], s[10:11]
	s_cbranch_execz .LBB15_1782
.LBB15_2111:
	v_add_f32_e32 v5, 0x42800000, v6
	v_and_b32_e32 v5, 0xff, v5
	v_cmp_ne_u32_e32 vcc, 0, v5
	s_andn2_b64 s[6:7], s[6:7], exec
	s_and_b64 s[12:13], vcc, exec
	s_or_b64 s[6:7], s[6:7], s[12:13]
	s_or_b64 exec, exec, s[10:11]
	v_mov_b32_e32 v7, 0
	s_and_saveexec_b64 s[10:11], s[6:7]
	s_cbranch_execnz .LBB15_1783
	s_branch .LBB15_1784
.LBB15_2112:
	s_andn2_saveexec_b64 s[12:13], s[12:13]
	s_cbranch_execz .LBB15_1888
.LBB15_2113:
	v_add_f32_e32 v4, 0x46000000, v5
	v_and_b32_e32 v4, 0xff, v4
	v_cmp_ne_u32_e32 vcc, 0, v4
	s_andn2_b64 s[10:11], s[10:11], exec
	s_and_b64 s[20:21], vcc, exec
	s_or_b64 s[10:11], s[10:11], s[20:21]
	s_or_b64 exec, exec, s[12:13]
	v_mov_b32_e32 v6, 0
	s_and_saveexec_b64 s[12:13], s[10:11]
	s_cbranch_execnz .LBB15_1889
	s_branch .LBB15_1890
.LBB15_2114:
	s_trap 2
	s_or_b64 s[2:3], s[2:3], exec
	s_cbranch_execz .LBB15_1936
	s_branch .LBB15_1937
.LBB15_2115:
	s_andn2_saveexec_b64 s[10:11], s[10:11]
	s_cbranch_execz .LBB15_1901
.LBB15_2116:
	v_add_f32_e32 v4, 0x42800000, v5
	v_and_b32_e32 v4, 0xff, v4
	v_cmp_ne_u32_e32 vcc, 0, v4
	s_andn2_b64 s[6:7], s[6:7], exec
	s_and_b64 s[12:13], vcc, exec
	s_or_b64 s[6:7], s[6:7], s[12:13]
	s_or_b64 exec, exec, s[10:11]
	v_mov_b32_e32 v6, 0
	s_and_saveexec_b64 s[10:11], s[6:7]
	s_cbranch_execnz .LBB15_1902
	s_branch .LBB15_1903
.LBB15_2117:
	s_andn2_saveexec_b64 s[10:11], s[10:11]
	s_cbranch_execz .LBB15_2008
.LBB15_2118:
	v_add_f32_e32 v3, 0x46000000, v4
	v_and_b32_e32 v3, 0xff, v3
	v_cmp_ne_u32_e32 vcc, 0, v3
	s_andn2_b64 s[8:9], s[8:9], exec
	s_and_b64 s[12:13], vcc, exec
	s_or_b64 s[8:9], s[8:9], s[12:13]
	s_or_b64 exec, exec, s[10:11]
	v_mov_b32_e32 v5, 0
	s_and_saveexec_b64 s[10:11], s[8:9]
	s_cbranch_execnz .LBB15_2009
	s_branch .LBB15_2010
.LBB15_2119:
	s_mov_b64 s[4:5], 0
	s_or_b64 s[2:3], s[2:3], exec
	s_trap 2
	s_branch .LBB15_2054
.LBB15_2120:
	s_andn2_saveexec_b64 s[8:9], s[8:9]
	s_cbranch_execz .LBB15_2020
.LBB15_2121:
	v_add_f32_e32 v3, 0x42800000, v4
	v_and_b32_e32 v3, 0xff, v3
	v_cmp_ne_u32_e32 vcc, 0, v3
	s_andn2_b64 s[6:7], s[6:7], exec
	s_and_b64 s[10:11], vcc, exec
	s_or_b64 s[6:7], s[6:7], s[10:11]
	s_or_b64 exec, exec, s[8:9]
	v_mov_b32_e32 v5, 0
	s_and_saveexec_b64 s[8:9], s[6:7]
	s_cbranch_execnz .LBB15_2021
	s_branch .LBB15_2022
	.section	.rodata,"a",@progbits
	.p2align	6, 0x0
	.amdhsa_kernel _ZN2at6native32elementwise_kernel_manual_unrollILi128ELi4EZNS0_15gpu_kernel_implINS0_13BUnaryFunctorIhhhZNS0_12_GLOBAL__N_121threshold_kernel_implIhEEvRNS_18TensorIteratorBaseET_S8_EUlhhE_EEEEvS7_RKS8_EUlibE0_EEviT1_
		.amdhsa_group_segment_fixed_size 0
		.amdhsa_private_segment_fixed_size 0
		.amdhsa_kernarg_size 360
		.amdhsa_user_sgpr_count 6
		.amdhsa_user_sgpr_private_segment_buffer 1
		.amdhsa_user_sgpr_dispatch_ptr 0
		.amdhsa_user_sgpr_queue_ptr 0
		.amdhsa_user_sgpr_kernarg_segment_ptr 1
		.amdhsa_user_sgpr_dispatch_id 0
		.amdhsa_user_sgpr_flat_scratch_init 0
		.amdhsa_user_sgpr_private_segment_size 0
		.amdhsa_uses_dynamic_stack 0
		.amdhsa_system_sgpr_private_segment_wavefront_offset 0
		.amdhsa_system_sgpr_workgroup_id_x 1
		.amdhsa_system_sgpr_workgroup_id_y 0
		.amdhsa_system_sgpr_workgroup_id_z 0
		.amdhsa_system_sgpr_workgroup_info 0
		.amdhsa_system_vgpr_workitem_id 0
		.amdhsa_next_free_vgpr 18
		.amdhsa_next_free_sgpr 81
		.amdhsa_reserve_vcc 1
		.amdhsa_reserve_flat_scratch 0
		.amdhsa_float_round_mode_32 0
		.amdhsa_float_round_mode_16_64 0
		.amdhsa_float_denorm_mode_32 3
		.amdhsa_float_denorm_mode_16_64 3
		.amdhsa_dx10_clamp 1
		.amdhsa_ieee_mode 1
		.amdhsa_fp16_overflow 0
		.amdhsa_exception_fp_ieee_invalid_op 0
		.amdhsa_exception_fp_denorm_src 0
		.amdhsa_exception_fp_ieee_div_zero 0
		.amdhsa_exception_fp_ieee_overflow 0
		.amdhsa_exception_fp_ieee_underflow 0
		.amdhsa_exception_fp_ieee_inexact 0
		.amdhsa_exception_int_div_zero 0
	.end_amdhsa_kernel
	.section	.text._ZN2at6native32elementwise_kernel_manual_unrollILi128ELi4EZNS0_15gpu_kernel_implINS0_13BUnaryFunctorIhhhZNS0_12_GLOBAL__N_121threshold_kernel_implIhEEvRNS_18TensorIteratorBaseET_S8_EUlhhE_EEEEvS7_RKS8_EUlibE0_EEviT1_,"axG",@progbits,_ZN2at6native32elementwise_kernel_manual_unrollILi128ELi4EZNS0_15gpu_kernel_implINS0_13BUnaryFunctorIhhhZNS0_12_GLOBAL__N_121threshold_kernel_implIhEEvRNS_18TensorIteratorBaseET_S8_EUlhhE_EEEEvS7_RKS8_EUlibE0_EEviT1_,comdat
.Lfunc_end15:
	.size	_ZN2at6native32elementwise_kernel_manual_unrollILi128ELi4EZNS0_15gpu_kernel_implINS0_13BUnaryFunctorIhhhZNS0_12_GLOBAL__N_121threshold_kernel_implIhEEvRNS_18TensorIteratorBaseET_S8_EUlhhE_EEEEvS7_RKS8_EUlibE0_EEviT1_, .Lfunc_end15-_ZN2at6native32elementwise_kernel_manual_unrollILi128ELi4EZNS0_15gpu_kernel_implINS0_13BUnaryFunctorIhhhZNS0_12_GLOBAL__N_121threshold_kernel_implIhEEvRNS_18TensorIteratorBaseET_S8_EUlhhE_EEEEvS7_RKS8_EUlibE0_EEviT1_
                                        ; -- End function
	.set _ZN2at6native32elementwise_kernel_manual_unrollILi128ELi4EZNS0_15gpu_kernel_implINS0_13BUnaryFunctorIhhhZNS0_12_GLOBAL__N_121threshold_kernel_implIhEEvRNS_18TensorIteratorBaseET_S8_EUlhhE_EEEEvS7_RKS8_EUlibE0_EEviT1_.num_vgpr, 18
	.set _ZN2at6native32elementwise_kernel_manual_unrollILi128ELi4EZNS0_15gpu_kernel_implINS0_13BUnaryFunctorIhhhZNS0_12_GLOBAL__N_121threshold_kernel_implIhEEvRNS_18TensorIteratorBaseET_S8_EUlhhE_EEEEvS7_RKS8_EUlibE0_EEviT1_.num_agpr, 0
	.set _ZN2at6native32elementwise_kernel_manual_unrollILi128ELi4EZNS0_15gpu_kernel_implINS0_13BUnaryFunctorIhhhZNS0_12_GLOBAL__N_121threshold_kernel_implIhEEvRNS_18TensorIteratorBaseET_S8_EUlhhE_EEEEvS7_RKS8_EUlibE0_EEviT1_.numbered_sgpr, 81
	.set _ZN2at6native32elementwise_kernel_manual_unrollILi128ELi4EZNS0_15gpu_kernel_implINS0_13BUnaryFunctorIhhhZNS0_12_GLOBAL__N_121threshold_kernel_implIhEEvRNS_18TensorIteratorBaseET_S8_EUlhhE_EEEEvS7_RKS8_EUlibE0_EEviT1_.num_named_barrier, 0
	.set _ZN2at6native32elementwise_kernel_manual_unrollILi128ELi4EZNS0_15gpu_kernel_implINS0_13BUnaryFunctorIhhhZNS0_12_GLOBAL__N_121threshold_kernel_implIhEEvRNS_18TensorIteratorBaseET_S8_EUlhhE_EEEEvS7_RKS8_EUlibE0_EEviT1_.private_seg_size, 0
	.set _ZN2at6native32elementwise_kernel_manual_unrollILi128ELi4EZNS0_15gpu_kernel_implINS0_13BUnaryFunctorIhhhZNS0_12_GLOBAL__N_121threshold_kernel_implIhEEvRNS_18TensorIteratorBaseET_S8_EUlhhE_EEEEvS7_RKS8_EUlibE0_EEviT1_.uses_vcc, 1
	.set _ZN2at6native32elementwise_kernel_manual_unrollILi128ELi4EZNS0_15gpu_kernel_implINS0_13BUnaryFunctorIhhhZNS0_12_GLOBAL__N_121threshold_kernel_implIhEEvRNS_18TensorIteratorBaseET_S8_EUlhhE_EEEEvS7_RKS8_EUlibE0_EEviT1_.uses_flat_scratch, 0
	.set _ZN2at6native32elementwise_kernel_manual_unrollILi128ELi4EZNS0_15gpu_kernel_implINS0_13BUnaryFunctorIhhhZNS0_12_GLOBAL__N_121threshold_kernel_implIhEEvRNS_18TensorIteratorBaseET_S8_EUlhhE_EEEEvS7_RKS8_EUlibE0_EEviT1_.has_dyn_sized_stack, 0
	.set _ZN2at6native32elementwise_kernel_manual_unrollILi128ELi4EZNS0_15gpu_kernel_implINS0_13BUnaryFunctorIhhhZNS0_12_GLOBAL__N_121threshold_kernel_implIhEEvRNS_18TensorIteratorBaseET_S8_EUlhhE_EEEEvS7_RKS8_EUlibE0_EEviT1_.has_recursion, 0
	.set _ZN2at6native32elementwise_kernel_manual_unrollILi128ELi4EZNS0_15gpu_kernel_implINS0_13BUnaryFunctorIhhhZNS0_12_GLOBAL__N_121threshold_kernel_implIhEEvRNS_18TensorIteratorBaseET_S8_EUlhhE_EEEEvS7_RKS8_EUlibE0_EEviT1_.has_indirect_call, 0
	.section	.AMDGPU.csdata,"",@progbits
; Kernel info:
; codeLenInByte = 38808
; TotalNumSgprs: 85
; NumVgprs: 18
; ScratchSize: 0
; MemoryBound: 1
; FloatMode: 240
; IeeeMode: 1
; LDSByteSize: 0 bytes/workgroup (compile time only)
; SGPRBlocks: 10
; VGPRBlocks: 4
; NumSGPRsForWavesPerEU: 85
; NumVGPRsForWavesPerEU: 18
; Occupancy: 9
; WaveLimiterHint : 1
; COMPUTE_PGM_RSRC2:SCRATCH_EN: 0
; COMPUTE_PGM_RSRC2:USER_SGPR: 6
; COMPUTE_PGM_RSRC2:TRAP_HANDLER: 0
; COMPUTE_PGM_RSRC2:TGID_X_EN: 1
; COMPUTE_PGM_RSRC2:TGID_Y_EN: 0
; COMPUTE_PGM_RSRC2:TGID_Z_EN: 0
; COMPUTE_PGM_RSRC2:TIDIG_COMP_CNT: 0
	.section	.text._ZN2at6native29vectorized_elementwise_kernelILi16ENS0_13BinaryFunctorIhhhZNS0_12_GLOBAL__N_121threshold_kernel_implIhEEvRNS_18TensorIteratorBaseET_S7_EUlhhE_EESt5arrayIPcLm3EEEEviT0_T1_,"axG",@progbits,_ZN2at6native29vectorized_elementwise_kernelILi16ENS0_13BinaryFunctorIhhhZNS0_12_GLOBAL__N_121threshold_kernel_implIhEEvRNS_18TensorIteratorBaseET_S7_EUlhhE_EESt5arrayIPcLm3EEEEviT0_T1_,comdat
	.globl	_ZN2at6native29vectorized_elementwise_kernelILi16ENS0_13BinaryFunctorIhhhZNS0_12_GLOBAL__N_121threshold_kernel_implIhEEvRNS_18TensorIteratorBaseET_S7_EUlhhE_EESt5arrayIPcLm3EEEEviT0_T1_ ; -- Begin function _ZN2at6native29vectorized_elementwise_kernelILi16ENS0_13BinaryFunctorIhhhZNS0_12_GLOBAL__N_121threshold_kernel_implIhEEvRNS_18TensorIteratorBaseET_S7_EUlhhE_EESt5arrayIPcLm3EEEEviT0_T1_
	.p2align	8
	.type	_ZN2at6native29vectorized_elementwise_kernelILi16ENS0_13BinaryFunctorIhhhZNS0_12_GLOBAL__N_121threshold_kernel_implIhEEvRNS_18TensorIteratorBaseET_S7_EUlhhE_EESt5arrayIPcLm3EEEEviT0_T1_,@function
_ZN2at6native29vectorized_elementwise_kernelILi16ENS0_13BinaryFunctorIhhhZNS0_12_GLOBAL__N_121threshold_kernel_implIhEEvRNS_18TensorIteratorBaseET_S7_EUlhhE_EESt5arrayIPcLm3EEEEviT0_T1_: ; @_ZN2at6native29vectorized_elementwise_kernelILi16ENS0_13BinaryFunctorIhhhZNS0_12_GLOBAL__N_121threshold_kernel_implIhEEvRNS_18TensorIteratorBaseET_S7_EUlhhE_EESt5arrayIPcLm3EEEEviT0_T1_
; %bb.0:
	v_mov_b32_e32 v1, 0
	global_load_ushort v1, v1, s[4:5] offset:4
	s_load_dword s0, s[4:5], 0x0
	s_load_dwordx4 s[52:55], s[4:5], 0x8
	s_load_dwordx2 s[8:9], s[4:5], 0x18
	s_lshl_b32 s56, s6, 12
	s_waitcnt lgkmcnt(0)
	s_sub_i32 s33, s0, s56
	s_cmpk_gt_i32 s33, 0xfff
	s_mov_b64 s[0:1], -1
	s_waitcnt vmcnt(0)
	v_readfirstlane_b32 s36, v1
	s_cbranch_scc0 .LBB16_2
; %bb.1:
	s_and_b32 s0, 0xffff, s36
	s_lshr_b32 s2, s0, 8
	s_and_b32 s3, s36, 0xff
	s_ashr_i32 s4, s56, 31
	s_add_u32 s0, s54, s56
	s_addc_u32 s1, s55, s4
	v_lshlrev_b32_e32 v9, 4, v0
	global_load_dwordx4 v[1:4], v9, s[0:1]
	s_add_u32 s0, s8, s56
	s_addc_u32 s1, s9, s4
	global_load_dwordx4 v[5:8], v9, s[0:1]
	v_mov_b32_e32 v10, s2
	s_movk_i32 s5, 0xff
	s_add_u32 s0, s52, s56
	s_addc_u32 s1, s53, s4
	s_waitcnt vmcnt(1)
	v_cmp_gt_u16_sdwa vcc, v1, s3 src0_sel:BYTE_0 src1_sel:DWORD
	v_lshrrev_b32_e32 v11, 8, v1
	v_and_b32_sdwa v12, v1, s5 dst_sel:DWORD dst_unused:UNUSED_PAD src0_sel:WORD_1 src1_sel:DWORD
	s_waitcnt vmcnt(0)
	v_lshrrev_b32_e32 v19, 8, v5
	v_lshrrev_b32_e32 v20, 16, v5
	v_lshrrev_b32_e32 v21, 24, v5
	v_cndmask_b32_e32 v5, v10, v5, vcc
	v_cmp_gt_u16_sdwa vcc, v2, s3 src0_sel:BYTE_0 src1_sel:DWORD
	v_lshrrev_b32_e32 v22, 8, v6
	v_lshrrev_b32_e32 v23, 16, v6
	v_lshrrev_b32_e32 v24, 24, v6
	v_cndmask_b32_e32 v6, v10, v6, vcc
	v_cmp_gt_u16_sdwa vcc, v3, s3 src0_sel:BYTE_0 src1_sel:DWORD
	;; [unrolled: 5-line block ×4, first 2 shown]
	v_cndmask_b32_e32 v11, v10, v19, vcc
	v_cmp_lt_u16_e32 vcc, s3, v12
	v_lshrrev_b32_e32 v13, 8, v2
	v_cndmask_b32_e32 v12, v10, v20, vcc
	v_cmp_gt_u16_sdwa vcc, v1, s3 src0_sel:BYTE_3 src1_sel:DWORD
	v_and_b32_sdwa v14, v2, s5 dst_sel:DWORD dst_unused:UNUSED_PAD src0_sel:WORD_1 src1_sel:DWORD
	v_cndmask_b32_e32 v1, v10, v21, vcc
	v_cmp_gt_u16_sdwa vcc, v13, s3 src0_sel:BYTE_0 src1_sel:DWORD
	v_cndmask_b32_e32 v13, v10, v22, vcc
	v_cmp_lt_u16_e32 vcc, s3, v14
	v_lshrrev_b32_e32 v15, 8, v3
	v_cndmask_b32_e32 v14, v10, v23, vcc
	v_cmp_gt_u16_sdwa vcc, v2, s3 src0_sel:BYTE_3 src1_sel:DWORD
	v_and_b32_sdwa v16, v3, s5 dst_sel:DWORD dst_unused:UNUSED_PAD src0_sel:WORD_1 src1_sel:DWORD
	v_cndmask_b32_e32 v2, v10, v24, vcc
	v_cmp_gt_u16_sdwa vcc, v15, s3 src0_sel:BYTE_0 src1_sel:DWORD
	v_cndmask_b32_e32 v15, v10, v25, vcc
	v_cmp_lt_u16_e32 vcc, s3, v16
	v_lshrrev_b32_e32 v17, 8, v4
	v_cndmask_b32_e32 v16, v10, v26, vcc
	v_cmp_gt_u16_sdwa vcc, v3, s3 src0_sel:BYTE_3 src1_sel:DWORD
	v_and_b32_sdwa v18, v4, s5 dst_sel:DWORD dst_unused:UNUSED_PAD src0_sel:WORD_1 src1_sel:DWORD
	v_cndmask_b32_e32 v3, v10, v27, vcc
	v_cmp_gt_u16_sdwa vcc, v17, s3 src0_sel:BYTE_0 src1_sel:DWORD
	v_cndmask_b32_e32 v17, v10, v28, vcc
	v_cmp_lt_u16_e32 vcc, s3, v18
	v_cndmask_b32_e32 v18, v10, v29, vcc
	v_cmp_gt_u16_sdwa vcc, v4, s3 src0_sel:BYTE_3 src1_sel:DWORD
	v_cndmask_b32_e32 v4, v10, v30, vcc
	v_lshlrev_b16_e32 v10, 8, v17
	v_lshlrev_b16_e32 v4, 8, v4
	;; [unrolled: 1-line block ×8, first 2 shown]
	v_or_b32_sdwa v8, v8, v10 dst_sel:DWORD dst_unused:UNUSED_PAD src0_sel:BYTE_0 src1_sel:DWORD
	v_or_b32_sdwa v4, v18, v4 dst_sel:WORD_1 dst_unused:UNUSED_PAD src0_sel:BYTE_0 src1_sel:DWORD
	v_or_b32_sdwa v7, v7, v15 dst_sel:DWORD dst_unused:UNUSED_PAD src0_sel:BYTE_0 src1_sel:DWORD
	v_or_b32_sdwa v3, v16, v3 dst_sel:WORD_1 dst_unused:UNUSED_PAD src0_sel:BYTE_0 src1_sel:DWORD
	;; [unrolled: 2-line block ×4, first 2 shown]
	v_or_b32_sdwa v4, v8, v4 dst_sel:DWORD dst_unused:UNUSED_PAD src0_sel:WORD_0 src1_sel:DWORD
	v_or_b32_sdwa v3, v7, v3 dst_sel:DWORD dst_unused:UNUSED_PAD src0_sel:WORD_0 src1_sel:DWORD
	;; [unrolled: 1-line block ×4, first 2 shown]
	global_store_dwordx4 v9, v[1:4], s[0:1]
	s_mov_b64 s[0:1], 0
.LBB16_2:
	s_andn2_b64 vcc, exec, s[0:1]
	s_cbranch_vccnz .LBB16_54
; %bb.3:
	v_cmp_gt_i32_e32 vcc, s33, v0
	v_cmp_le_i32_e64 s[0:1], s33, v0
                                        ; implicit-def: $sgpr4
                                        ; implicit-def: $vgpr5
	s_and_saveexec_b64 s[2:3], s[0:1]
	s_xor_b64 s[0:1], exec, s[2:3]
; %bb.4:
	s_and_b32 s2, 0xffff, s36
	s_lshr_b32 s4, s2, 8
	v_or_b32_e32 v5, 0x100, v0
; %bb.5:
	s_or_saveexec_b64 s[2:3], s[0:1]
	v_mov_b32_e32 v37, 0
	v_mov_b32_e32 v7, s4
	v_or_b32_e32 v6, s56, v0
	v_mov_b32_e32 v34, 0
	v_mov_b32_e32 v36, 0
	;; [unrolled: 1-line block ×29, first 2 shown]
	s_xor_b64 exec, exec, s[2:3]
	s_cbranch_execz .LBB16_37
; %bb.6:
	global_load_ubyte v12, v6, s[54:55]
	global_load_ubyte v13, v6, s[8:9]
	s_and_b32 s0, 0xffff, s36
	s_lshr_b32 s37, s0, 8
	v_or_b32_e32 v5, 0x100, v0
	v_cmp_gt_u32_e64 s[0:1], s33, v5
	v_mov_b32_e32 v15, 0
	v_mov_b32_e32 v7, s37
	;; [unrolled: 1-line block ×29, first 2 shown]
	s_and_saveexec_b64 s[4:5], s[0:1]
	s_cbranch_execz .LBB16_36
; %bb.7:
	v_add_u32_e32 v3, s56, v0
	global_load_ubyte v16, v3, s[54:55] offset:256
	global_load_ubyte v15, v3, s[8:9] offset:256
	v_or_b32_e32 v1, 0x200, v0
	v_mov_b32_e32 v17, 0
	v_cmp_gt_u32_e64 s[0:1], s33, v1
	v_mov_b32_e32 v7, s37
	v_mov_b32_e32 v19, 0
	;; [unrolled: 1-line block ×26, first 2 shown]
	s_and_saveexec_b64 s[6:7], s[0:1]
	s_cbranch_execz .LBB16_35
; %bb.8:
	v_mov_b32_e32 v2, s55
	v_add_co_u32_e64 v1, s[0:1], s54, v3
	v_addc_co_u32_e64 v2, s[0:1], 0, v2, s[0:1]
	v_mov_b32_e32 v4, s9
	v_add_co_u32_e64 v3, s[0:1], s8, v3
	v_addc_co_u32_e64 v4, s[0:1], 0, v4, s[0:1]
	global_load_ubyte v19, v[1:2], off offset:512
	global_load_ubyte v17, v[3:4], off offset:512
	v_or_b32_e32 v7, 0x300, v0
	v_cmp_gt_u32_e64 s[0:1], s33, v7
	v_mov_b32_e32 v18, 0
	v_mov_b32_e32 v7, s37
	v_mov_b32_e32 v20, 0
	v_mov_b32_e32 v8, 0
	v_mov_b32_e32 v22, 0
	v_mov_b32_e32 v9, 0
	v_mov_b32_e32 v24, 0
	v_mov_b32_e32 v11, 0
	v_mov_b32_e32 v23, 0
	v_mov_b32_e32 v10, 0
	v_mov_b32_e32 v26, 0
	v_mov_b32_e32 v14, 0
	v_mov_b32_e32 v28, 0
	v_mov_b32_e32 v21, 0
	v_mov_b32_e32 v29, 0
	v_mov_b32_e32 v25, 0
	v_mov_b32_e32 v31, 0
	v_mov_b32_e32 v27, 0
	v_mov_b32_e32 v33, 0
	v_mov_b32_e32 v30, 0
	v_mov_b32_e32 v35, 0
	v_mov_b32_e32 v32, 0
	v_mov_b32_e32 v36, 0
	v_mov_b32_e32 v34, 0
	v_mov_b32_e32 v37, 0
	s_and_saveexec_b64 s[8:9], s[0:1]
	s_cbranch_execz .LBB16_34
; %bb.9:
	global_load_ubyte v20, v[1:2], off offset:768
	global_load_ubyte v18, v[3:4], off offset:768
	v_or_b32_e32 v7, 0x400, v0
	v_cmp_gt_u32_e64 s[0:1], s33, v7
	v_mov_b32_e32 v8, 0
	v_mov_b32_e32 v7, s37
	v_mov_b32_e32 v22, 0
	v_mov_b32_e32 v9, 0
	v_mov_b32_e32 v24, 0
	v_mov_b32_e32 v11, 0
	v_mov_b32_e32 v23, 0
	v_mov_b32_e32 v10, 0
	v_mov_b32_e32 v26, 0
	v_mov_b32_e32 v14, 0
	v_mov_b32_e32 v28, 0
	v_mov_b32_e32 v21, 0
	v_mov_b32_e32 v29, 0
	v_mov_b32_e32 v25, 0
	v_mov_b32_e32 v31, 0
	v_mov_b32_e32 v27, 0
	v_mov_b32_e32 v33, 0
	v_mov_b32_e32 v30, 0
	v_mov_b32_e32 v35, 0
	v_mov_b32_e32 v32, 0
	v_mov_b32_e32 v36, 0
	v_mov_b32_e32 v34, 0
	v_mov_b32_e32 v37, 0
	s_and_saveexec_b64 s[10:11], s[0:1]
	s_cbranch_execz .LBB16_33
; %bb.10:
	global_load_ubyte v22, v[1:2], off offset:1024
	global_load_ubyte v8, v[3:4], off offset:1024
	v_or_b32_e32 v7, 0x500, v0
	v_cmp_gt_u32_e64 s[0:1], s33, v7
	v_mov_b32_e32 v9, 0
	v_mov_b32_e32 v7, s37
	;; [unrolled: 1-line block ×21, first 2 shown]
	s_and_saveexec_b64 s[12:13], s[0:1]
	s_cbranch_execz .LBB16_32
; %bb.11:
	global_load_ubyte v24, v[1:2], off offset:1280
	global_load_ubyte v9, v[3:4], off offset:1280
	v_or_b32_e32 v7, 0x600, v0
	v_cmp_gt_u32_e64 s[0:1], s33, v7
	v_mov_b32_e32 v11, 0
	v_mov_b32_e32 v7, s37
	;; [unrolled: 1-line block ×19, first 2 shown]
	s_and_saveexec_b64 s[14:15], s[0:1]
	s_cbranch_execz .LBB16_31
; %bb.12:
	global_load_ubyte v23, v[1:2], off offset:1536
	global_load_ubyte v11, v[3:4], off offset:1536
	v_or_b32_e32 v7, 0x700, v0
	v_cmp_gt_u32_e64 s[0:1], s33, v7
	v_mov_b32_e32 v10, 0
	v_mov_b32_e32 v7, s37
	v_mov_b32_e32 v26, 0
	v_mov_b32_e32 v14, 0
	v_mov_b32_e32 v28, 0
	v_mov_b32_e32 v21, 0
	v_mov_b32_e32 v29, 0
	v_mov_b32_e32 v25, 0
	v_mov_b32_e32 v31, 0
	v_mov_b32_e32 v27, 0
	v_mov_b32_e32 v33, 0
	v_mov_b32_e32 v30, 0
	v_mov_b32_e32 v35, 0
	v_mov_b32_e32 v32, 0
	v_mov_b32_e32 v36, 0
	v_mov_b32_e32 v34, 0
	v_mov_b32_e32 v37, 0
	s_and_saveexec_b64 s[16:17], s[0:1]
	s_cbranch_execz .LBB16_30
; %bb.13:
	global_load_ubyte v26, v[1:2], off offset:1792
	global_load_ubyte v10, v[3:4], off offset:1792
	v_or_b32_e32 v7, 0x800, v0
	v_cmp_gt_u32_e64 s[0:1], s33, v7
	v_mov_b32_e32 v14, 0
	v_mov_b32_e32 v7, s37
	;; [unrolled: 1-line block ×15, first 2 shown]
	s_and_saveexec_b64 s[18:19], s[0:1]
	s_cbranch_execz .LBB16_29
; %bb.14:
	global_load_ubyte v28, v[1:2], off offset:2048
	global_load_ubyte v14, v[3:4], off offset:2048
	v_or_b32_e32 v7, 0x900, v0
	v_cmp_gt_u32_e64 s[0:1], s33, v7
	v_mov_b32_e32 v21, 0
	v_mov_b32_e32 v7, s37
	;; [unrolled: 1-line block ×13, first 2 shown]
	s_and_saveexec_b64 s[20:21], s[0:1]
	s_cbranch_execz .LBB16_28
; %bb.15:
	global_load_ubyte v29, v[1:2], off offset:2304
	global_load_ubyte v21, v[3:4], off offset:2304
	v_or_b32_e32 v7, 0xa00, v0
	v_cmp_gt_u32_e64 s[0:1], s33, v7
	v_mov_b32_e32 v25, 0
	v_mov_b32_e32 v7, s37
	v_mov_b32_e32 v31, 0
	v_mov_b32_e32 v27, 0
	v_mov_b32_e32 v33, 0
	v_mov_b32_e32 v30, 0
	v_mov_b32_e32 v35, 0
	v_mov_b32_e32 v32, 0
	v_mov_b32_e32 v36, 0
	v_mov_b32_e32 v34, 0
	v_mov_b32_e32 v37, 0
	s_and_saveexec_b64 s[22:23], s[0:1]
	s_cbranch_execz .LBB16_27
; %bb.16:
	global_load_ubyte v31, v[1:2], off offset:2560
	global_load_ubyte v25, v[3:4], off offset:2560
	v_or_b32_e32 v7, 0xb00, v0
	v_cmp_gt_u32_e64 s[0:1], s33, v7
	v_mov_b32_e32 v27, 0
	v_mov_b32_e32 v7, s37
	;; [unrolled: 1-line block ×9, first 2 shown]
	s_and_saveexec_b64 s[24:25], s[0:1]
	s_cbranch_execz .LBB16_26
; %bb.17:
	global_load_ubyte v33, v[1:2], off offset:2816
	global_load_ubyte v27, v[3:4], off offset:2816
	v_or_b32_e32 v7, 0xc00, v0
	v_cmp_gt_u32_e64 s[0:1], s33, v7
	v_mov_b32_e32 v30, 0
	v_mov_b32_e32 v7, s37
	v_mov_b32_e32 v35, 0
	v_mov_b32_e32 v32, 0
	v_mov_b32_e32 v36, 0
	v_mov_b32_e32 v34, 0
	v_mov_b32_e32 v37, 0
	s_and_saveexec_b64 s[26:27], s[0:1]
	s_cbranch_execz .LBB16_25
; %bb.18:
	global_load_ubyte v35, v[1:2], off offset:3072
	global_load_ubyte v30, v[3:4], off offset:3072
	v_or_b32_e32 v7, 0xd00, v0
	v_cmp_gt_u32_e64 s[0:1], s33, v7
	v_mov_b32_e32 v32, 0
	v_mov_b32_e32 v7, s37
	;; [unrolled: 1-line block ×5, first 2 shown]
	s_and_saveexec_b64 s[28:29], s[0:1]
	s_cbranch_execz .LBB16_24
; %bb.19:
	global_load_ubyte v36, v[1:2], off offset:3328
	global_load_ubyte v32, v[3:4], off offset:3328
	v_or_b32_e32 v7, 0xe00, v0
	v_cmp_gt_u32_e64 s[0:1], s33, v7
	v_mov_b32_e32 v34, 0
	v_mov_b32_e32 v7, s37
	;; [unrolled: 1-line block ×3, first 2 shown]
	s_and_saveexec_b64 s[30:31], s[0:1]
	s_cbranch_execz .LBB16_23
; %bb.20:
	global_load_ubyte v37, v[1:2], off offset:3584
	global_load_ubyte v34, v[3:4], off offset:3584
	v_or_b32_e32 v7, 0xf00, v0
	v_cmp_gt_u32_e64 s[0:1], s33, v7
	v_mov_b32_e32 v7, s37
	s_and_saveexec_b64 s[34:35], s[0:1]
	s_cbranch_execz .LBB16_22
; %bb.21:
	global_load_ubyte v7, v[1:2], off offset:3840
	global_load_ubyte v38, v[3:4], off offset:3840
	s_and_b32 s0, s36, 0xff
	v_mov_b32_e32 v1, s37
	s_waitcnt vmcnt(1)
	v_cmp_lt_u16_e64 s[0:1], s0, v7
	s_waitcnt vmcnt(0)
	v_cndmask_b32_e64 v7, v1, v38, s[0:1]
.LBB16_22:
	s_or_b64 exec, exec, s[34:35]
.LBB16_23:
	s_or_b64 exec, exec, s[30:31]
.LBB16_24:
	s_or_b64 exec, exec, s[28:29]
.LBB16_25:
	s_or_b64 exec, exec, s[26:27]
.LBB16_26:
	s_or_b64 exec, exec, s[24:25]
.LBB16_27:
	s_or_b64 exec, exec, s[22:23]
.LBB16_28:
	s_or_b64 exec, exec, s[20:21]
.LBB16_29:
	s_or_b64 exec, exec, s[18:19]
.LBB16_30:
	s_or_b64 exec, exec, s[16:17]
.LBB16_31:
	s_or_b64 exec, exec, s[14:15]
.LBB16_32:
	s_or_b64 exec, exec, s[12:13]
.LBB16_33:
	s_or_b64 exec, exec, s[10:11]
.LBB16_34:
	s_or_b64 exec, exec, s[8:9]
.LBB16_35:
	s_or_b64 exec, exec, s[6:7]
.LBB16_36:
	s_or_b64 exec, exec, s[4:5]
.LBB16_37:
	s_or_b64 exec, exec, s[2:3]
	s_and_saveexec_b64 s[0:1], vcc
	s_cbranch_execz .LBB16_54
; %bb.38:
	s_and_b32 s0, 0xffff, s36
	s_lshr_b32 s58, s0, 8
	s_and_b32 s22, s36, 0xff
	v_mov_b32_e32 v1, s58
	s_waitcnt vmcnt(1)
	v_cmp_gt_u16_sdwa s[0:1], v12, s22 src0_sel:BYTE_0 src1_sel:DWORD
	s_mov_b32 s54, 0xffff
	s_waitcnt vmcnt(0)
	v_cndmask_b32_e64 v2, v1, v13, s[0:1]
	v_and_b32_sdwa v2, s54, v2 dst_sel:DWORD dst_unused:UNUSED_PAD src0_sel:DWORD src1_sel:BYTE_0
	v_cndmask_b32_e32 v2, 0, v2, vcc
	v_cmp_gt_u16_sdwa vcc, v16, s22 src0_sel:BYTE_0 src1_sel:DWORD
	v_cndmask_b32_e32 v3, v1, v15, vcc
	v_lshlrev_b16_e32 v3, 8, v3
	v_or_b32_e32 v3, v2, v3
	v_and_b32_e32 v3, 0xffff, v3
	v_cmp_gt_i32_e64 s[50:51], s33, v5
	v_cmp_gt_u16_sdwa vcc, v19, s22 src0_sel:BYTE_0 src1_sel:DWORD
	v_cndmask_b32_e64 v2, v2, v3, s[50:51]
	v_cndmask_b32_e32 v4, v1, v17, vcc
	s_mov_b32 s57, 0xc0c0304
	v_or_b32_e32 v3, 0x200, v0
	v_perm_b32 v4, v4, v2, s57
	v_lshl_or_b32 v4, v4, 16, v2
	v_cmp_gt_i32_e64 s[18:19], s33, v3
	v_cmp_gt_u16_sdwa vcc, v20, s22 src0_sel:BYTE_0 src1_sel:DWORD
	s_movk_i32 s55, 0xff
	v_cndmask_b32_e64 v2, v2, v4, s[18:19]
	v_cndmask_b32_e32 v1, v1, v18, vcc
	v_and_b32_sdwa v3, v2, s55 dst_sel:DWORD dst_unused:UNUSED_PAD src0_sel:WORD_1 src1_sel:DWORD
	v_lshlrev_b16_e32 v1, 8, v1
	v_or_b32_e32 v4, 0x300, v0
	v_or_b32_sdwa v1, v3, v1 dst_sel:WORD_1 dst_unused:UNUSED_PAD src0_sel:DWORD src1_sel:DWORD
	v_and_or_b32 v1, v2, s54, v1
	v_cmp_gt_i32_e64 s[20:21], s33, v4
	v_cndmask_b32_e64 v12, v2, v1, s[20:21]
	v_or_b32_e32 v1, 0x500, v0
	v_cmp_gt_i32_e64 s[16:17], s33, v1
	v_or_b32_e32 v1, 0x600, v0
	v_cmp_gt_i32_e64 s[14:15], s33, v1
	;; [unrolled: 2-line block ×7, first 2 shown]
	v_or_b32_e32 v1, 0xe00, v0
	v_or_b32_e32 v4, 0x400, v0
	;; [unrolled: 1-line block ×4, first 2 shown]
	v_cmp_gt_i32_e64 s[2:3], s33, v1
	v_or_b32_e32 v1, 0xf00, v0
	v_cmp_gt_u16_sdwa s[48:49], v22, s22 src0_sel:BYTE_0 src1_sel:DWORD
	v_cmp_gt_i32_e64 s[46:47], s33, v4
	v_cmp_gt_u16_sdwa vcc, v24, s22 src0_sel:BYTE_0 src1_sel:DWORD
	v_cmp_gt_u16_sdwa s[44:45], v23, s22 src0_sel:BYTE_0 src1_sel:DWORD
	v_cmp_gt_u16_sdwa s[42:43], v26, s22 src0_sel:BYTE_0 src1_sel:DWORD
	v_cmp_gt_i32_e64 s[34:35], s33, v3
	v_cmp_gt_u16_sdwa s[38:39], v28, s22 src0_sel:BYTE_0 src1_sel:DWORD
	v_cmp_gt_u16_sdwa s[40:41], v29, s22 src0_sel:BYTE_0 src1_sel:DWORD
	;; [unrolled: 1-line block ×5, first 2 shown]
	v_cmp_gt_i32_e64 s[26:27], s33, v2
	v_cmp_gt_u16_sdwa s[28:29], v36, s22 src0_sel:BYTE_0 src1_sel:DWORD
	v_cmp_gt_u16_sdwa s[22:23], v37, s22 src0_sel:BYTE_0 src1_sel:DWORD
	v_cmp_gt_i32_e64 s[0:1], s33, v1
	global_store_byte v6, v12, s[52:53]
	s_and_b64 exec, exec, s[50:51]
	s_cbranch_execz .LBB16_54
; %bb.39:
	v_mov_b32_e32 v1, s58
	v_cndmask_b32_e64 v6, v1, v8, s[48:49]
	s_mov_b32 s48, 0x3020104
	v_perm_b32 v6, v6, 0, s48
	v_cndmask_b32_e64 v6, 0, v6, s[46:47]
	v_cndmask_b32_sdwa v8, v1, v9, vcc dst_sel:BYTE_1 dst_unused:UNUSED_PAD src0_sel:DWORD src1_sel:DWORD
	v_or_b32_sdwa v8, v6, v8 dst_sel:DWORD dst_unused:UNUSED_PAD src0_sel:BYTE_0 src1_sel:DWORD
	v_and_b32_e32 v8, 0xffff, v8
	s_mov_b32 s46, 0xffff0000
	v_and_or_b32 v8, v6, s46, v8
	v_cndmask_b32_e64 v6, v6, v8, s[16:17]
	v_cndmask_b32_e64 v8, v1, v11, s[44:45]
	s_mov_b32 s44, 0x7000504
	v_perm_b32 v8, v6, v8, s44
	v_cndmask_b32_e64 v6, v6, v8, s[14:15]
	v_cndmask_b32_e64 v9, v1, v10, s[42:43]
	v_and_b32_sdwa v8, v6, s55 dst_sel:DWORD dst_unused:UNUSED_PAD src0_sel:WORD_1 src1_sel:DWORD
	v_lshlrev_b16_e32 v9, 8, v9
	v_or_b32_sdwa v8, v8, v9 dst_sel:WORD_1 dst_unused:UNUSED_PAD src0_sel:DWORD src1_sel:DWORD
	v_and_or_b32 v8, v6, s54, v8
	v_cndmask_b32_e64 v9, v6, v8, s[12:13]
	v_cndmask_b32_e64 v6, v1, v14, s[38:39]
	v_and_b32_sdwa v6, s54, v6 dst_sel:DWORD dst_unused:UNUSED_PAD src0_sel:DWORD src1_sel:BYTE_0
	v_cndmask_b32_e64 v8, v1, v21, s[40:41]
	v_cndmask_b32_e64 v6, 0, v6, s[34:35]
	v_lshlrev_b16_e32 v8, 8, v8
	v_or_b32_e32 v8, v6, v8
	v_and_b32_e32 v8, 0xffff, v8
	v_cndmask_b32_e64 v6, v6, v8, s[10:11]
	v_cndmask_b32_e64 v8, v1, v25, s[36:37]
	v_perm_b32 v8, v8, v6, s57
	v_lshl_or_b32 v8, v8, 16, v6
	v_cndmask_b32_e64 v6, v6, v8, s[8:9]
	v_cndmask_b32_e64 v10, v1, v27, s[30:31]
	v_and_b32_sdwa v8, v6, s55 dst_sel:DWORD dst_unused:UNUSED_PAD src0_sel:WORD_1 src1_sel:DWORD
	v_lshlrev_b16_e32 v10, 8, v10
	v_or_b32_sdwa v8, v8, v10 dst_sel:WORD_1 dst_unused:UNUSED_PAD src0_sel:DWORD src1_sel:DWORD
	v_and_or_b32 v8, v6, s54, v8
	v_cndmask_b32_e64 v8, v6, v8, s[6:7]
	v_cndmask_b32_e64 v6, v1, v30, s[24:25]
	v_perm_b32 v6, v6, 0, s48
	v_cndmask_b32_e64 v10, v1, v32, s[28:29]
	v_cndmask_b32_e64 v6, 0, v6, s[26:27]
	v_lshlrev_b16_e32 v10, 8, v10
	v_or_b32_sdwa v10, v6, v10 dst_sel:DWORD dst_unused:UNUSED_PAD src0_sel:BYTE_0 src1_sel:DWORD
	v_and_b32_e32 v10, 0xffff, v10
	v_and_or_b32 v10, v6, s46, v10
	v_cndmask_b32_e64 v6, v6, v10, s[4:5]
	v_cndmask_b32_e64 v1, v1, v34, s[22:23]
	v_perm_b32 v1, v6, v1, s44
	v_cndmask_b32_e64 v1, v6, v1, s[2:3]
	s_mov_b32 s22, 0x60504
	v_perm_b32 v6, v1, v7, s22
	v_cndmask_b32_e64 v6, v1, v6, s[0:1]
	v_or_b32_e32 v1, s56, v5
	v_lshrrev_b32_e32 v5, 8, v12
	global_store_byte v1, v5, s[52:53]
	s_and_b64 exec, exec, s[18:19]
	s_cbranch_execz .LBB16_54
; %bb.40:
	v_add_u32_e32 v0, s56, v0
	global_store_byte_d16_hi v0, v12, s[52:53] offset:512
	s_and_b64 exec, exec, s[20:21]
	s_cbranch_execz .LBB16_54
; %bb.41:
	v_mov_b32_e32 v1, s53
	v_add_co_u32_e32 v0, vcc, s52, v0
	v_addc_co_u32_e32 v1, vcc, 0, v1, vcc
	v_lshrrev_b32_e32 v5, 24, v12
	v_cmp_gt_u32_e32 vcc, s33, v4
	global_store_byte v[0:1], v5, off offset:768
	s_and_b64 exec, exec, vcc
	s_cbranch_execz .LBB16_54
; %bb.42:
	global_store_byte v[0:1], v9, off offset:1024
	s_and_b64 exec, exec, s[16:17]
	s_cbranch_execz .LBB16_54
; %bb.43:
	v_lshrrev_b32_e32 v4, 8, v9
	global_store_byte v[0:1], v4, off offset:1280
	s_and_b64 exec, exec, s[14:15]
	s_cbranch_execz .LBB16_54
; %bb.44:
	global_store_byte_d16_hi v[0:1], v9, off offset:1536
	s_and_b64 exec, exec, s[12:13]
	s_cbranch_execz .LBB16_54
; %bb.45:
	v_lshrrev_b32_e32 v4, 24, v9
	v_cmp_gt_u32_e32 vcc, s33, v3
	global_store_byte v[0:1], v4, off offset:1792
	s_and_b64 exec, exec, vcc
	s_cbranch_execz .LBB16_54
; %bb.46:
	global_store_byte v[0:1], v8, off offset:2048
	s_and_b64 exec, exec, s[10:11]
	s_cbranch_execz .LBB16_54
; %bb.47:
	v_lshrrev_b32_e32 v3, 8, v8
	global_store_byte v[0:1], v3, off offset:2304
	s_and_b64 exec, exec, s[8:9]
	s_cbranch_execz .LBB16_54
; %bb.48:
	global_store_byte_d16_hi v[0:1], v8, off offset:2560
	s_and_b64 exec, exec, s[6:7]
	s_cbranch_execz .LBB16_54
; %bb.49:
	;; [unrolled: 19-line block ×3, first 2 shown]
	v_lshrrev_b32_e32 v2, 24, v6
	global_store_byte v[0:1], v2, off offset:3840
.LBB16_54:
	s_endpgm
	.section	.rodata,"a",@progbits
	.p2align	6, 0x0
	.amdhsa_kernel _ZN2at6native29vectorized_elementwise_kernelILi16ENS0_13BinaryFunctorIhhhZNS0_12_GLOBAL__N_121threshold_kernel_implIhEEvRNS_18TensorIteratorBaseET_S7_EUlhhE_EESt5arrayIPcLm3EEEEviT0_T1_
		.amdhsa_group_segment_fixed_size 0
		.amdhsa_private_segment_fixed_size 0
		.amdhsa_kernarg_size 32
		.amdhsa_user_sgpr_count 6
		.amdhsa_user_sgpr_private_segment_buffer 1
		.amdhsa_user_sgpr_dispatch_ptr 0
		.amdhsa_user_sgpr_queue_ptr 0
		.amdhsa_user_sgpr_kernarg_segment_ptr 1
		.amdhsa_user_sgpr_dispatch_id 0
		.amdhsa_user_sgpr_flat_scratch_init 0
		.amdhsa_user_sgpr_private_segment_size 0
		.amdhsa_uses_dynamic_stack 0
		.amdhsa_system_sgpr_private_segment_wavefront_offset 0
		.amdhsa_system_sgpr_workgroup_id_x 1
		.amdhsa_system_sgpr_workgroup_id_y 0
		.amdhsa_system_sgpr_workgroup_id_z 0
		.amdhsa_system_sgpr_workgroup_info 0
		.amdhsa_system_vgpr_workitem_id 0
		.amdhsa_next_free_vgpr 39
		.amdhsa_next_free_sgpr 59
		.amdhsa_reserve_vcc 1
		.amdhsa_reserve_flat_scratch 0
		.amdhsa_float_round_mode_32 0
		.amdhsa_float_round_mode_16_64 0
		.amdhsa_float_denorm_mode_32 3
		.amdhsa_float_denorm_mode_16_64 3
		.amdhsa_dx10_clamp 1
		.amdhsa_ieee_mode 1
		.amdhsa_fp16_overflow 0
		.amdhsa_exception_fp_ieee_invalid_op 0
		.amdhsa_exception_fp_denorm_src 0
		.amdhsa_exception_fp_ieee_div_zero 0
		.amdhsa_exception_fp_ieee_overflow 0
		.amdhsa_exception_fp_ieee_underflow 0
		.amdhsa_exception_fp_ieee_inexact 0
		.amdhsa_exception_int_div_zero 0
	.end_amdhsa_kernel
	.section	.text._ZN2at6native29vectorized_elementwise_kernelILi16ENS0_13BinaryFunctorIhhhZNS0_12_GLOBAL__N_121threshold_kernel_implIhEEvRNS_18TensorIteratorBaseET_S7_EUlhhE_EESt5arrayIPcLm3EEEEviT0_T1_,"axG",@progbits,_ZN2at6native29vectorized_elementwise_kernelILi16ENS0_13BinaryFunctorIhhhZNS0_12_GLOBAL__N_121threshold_kernel_implIhEEvRNS_18TensorIteratorBaseET_S7_EUlhhE_EESt5arrayIPcLm3EEEEviT0_T1_,comdat
.Lfunc_end16:
	.size	_ZN2at6native29vectorized_elementwise_kernelILi16ENS0_13BinaryFunctorIhhhZNS0_12_GLOBAL__N_121threshold_kernel_implIhEEvRNS_18TensorIteratorBaseET_S7_EUlhhE_EESt5arrayIPcLm3EEEEviT0_T1_, .Lfunc_end16-_ZN2at6native29vectorized_elementwise_kernelILi16ENS0_13BinaryFunctorIhhhZNS0_12_GLOBAL__N_121threshold_kernel_implIhEEvRNS_18TensorIteratorBaseET_S7_EUlhhE_EESt5arrayIPcLm3EEEEviT0_T1_
                                        ; -- End function
	.set _ZN2at6native29vectorized_elementwise_kernelILi16ENS0_13BinaryFunctorIhhhZNS0_12_GLOBAL__N_121threshold_kernel_implIhEEvRNS_18TensorIteratorBaseET_S7_EUlhhE_EESt5arrayIPcLm3EEEEviT0_T1_.num_vgpr, 39
	.set _ZN2at6native29vectorized_elementwise_kernelILi16ENS0_13BinaryFunctorIhhhZNS0_12_GLOBAL__N_121threshold_kernel_implIhEEvRNS_18TensorIteratorBaseET_S7_EUlhhE_EESt5arrayIPcLm3EEEEviT0_T1_.num_agpr, 0
	.set _ZN2at6native29vectorized_elementwise_kernelILi16ENS0_13BinaryFunctorIhhhZNS0_12_GLOBAL__N_121threshold_kernel_implIhEEvRNS_18TensorIteratorBaseET_S7_EUlhhE_EESt5arrayIPcLm3EEEEviT0_T1_.numbered_sgpr, 59
	.set _ZN2at6native29vectorized_elementwise_kernelILi16ENS0_13BinaryFunctorIhhhZNS0_12_GLOBAL__N_121threshold_kernel_implIhEEvRNS_18TensorIteratorBaseET_S7_EUlhhE_EESt5arrayIPcLm3EEEEviT0_T1_.num_named_barrier, 0
	.set _ZN2at6native29vectorized_elementwise_kernelILi16ENS0_13BinaryFunctorIhhhZNS0_12_GLOBAL__N_121threshold_kernel_implIhEEvRNS_18TensorIteratorBaseET_S7_EUlhhE_EESt5arrayIPcLm3EEEEviT0_T1_.private_seg_size, 0
	.set _ZN2at6native29vectorized_elementwise_kernelILi16ENS0_13BinaryFunctorIhhhZNS0_12_GLOBAL__N_121threshold_kernel_implIhEEvRNS_18TensorIteratorBaseET_S7_EUlhhE_EESt5arrayIPcLm3EEEEviT0_T1_.uses_vcc, 1
	.set _ZN2at6native29vectorized_elementwise_kernelILi16ENS0_13BinaryFunctorIhhhZNS0_12_GLOBAL__N_121threshold_kernel_implIhEEvRNS_18TensorIteratorBaseET_S7_EUlhhE_EESt5arrayIPcLm3EEEEviT0_T1_.uses_flat_scratch, 0
	.set _ZN2at6native29vectorized_elementwise_kernelILi16ENS0_13BinaryFunctorIhhhZNS0_12_GLOBAL__N_121threshold_kernel_implIhEEvRNS_18TensorIteratorBaseET_S7_EUlhhE_EESt5arrayIPcLm3EEEEviT0_T1_.has_dyn_sized_stack, 0
	.set _ZN2at6native29vectorized_elementwise_kernelILi16ENS0_13BinaryFunctorIhhhZNS0_12_GLOBAL__N_121threshold_kernel_implIhEEvRNS_18TensorIteratorBaseET_S7_EUlhhE_EESt5arrayIPcLm3EEEEviT0_T1_.has_recursion, 0
	.set _ZN2at6native29vectorized_elementwise_kernelILi16ENS0_13BinaryFunctorIhhhZNS0_12_GLOBAL__N_121threshold_kernel_implIhEEvRNS_18TensorIteratorBaseET_S7_EUlhhE_EESt5arrayIPcLm3EEEEviT0_T1_.has_indirect_call, 0
	.section	.AMDGPU.csdata,"",@progbits
; Kernel info:
; codeLenInByte = 3676
; TotalNumSgprs: 63
; NumVgprs: 39
; ScratchSize: 0
; MemoryBound: 0
; FloatMode: 240
; IeeeMode: 1
; LDSByteSize: 0 bytes/workgroup (compile time only)
; SGPRBlocks: 7
; VGPRBlocks: 9
; NumSGPRsForWavesPerEU: 63
; NumVGPRsForWavesPerEU: 39
; Occupancy: 6
; WaveLimiterHint : 0
; COMPUTE_PGM_RSRC2:SCRATCH_EN: 0
; COMPUTE_PGM_RSRC2:USER_SGPR: 6
; COMPUTE_PGM_RSRC2:TRAP_HANDLER: 0
; COMPUTE_PGM_RSRC2:TGID_X_EN: 1
; COMPUTE_PGM_RSRC2:TGID_Y_EN: 0
; COMPUTE_PGM_RSRC2:TGID_Z_EN: 0
; COMPUTE_PGM_RSRC2:TIDIG_COMP_CNT: 0
	.section	.text._ZN2at6native29vectorized_elementwise_kernelILi8ENS0_13BinaryFunctorIhhhZNS0_12_GLOBAL__N_121threshold_kernel_implIhEEvRNS_18TensorIteratorBaseET_S7_EUlhhE_EESt5arrayIPcLm3EEEEviT0_T1_,"axG",@progbits,_ZN2at6native29vectorized_elementwise_kernelILi8ENS0_13BinaryFunctorIhhhZNS0_12_GLOBAL__N_121threshold_kernel_implIhEEvRNS_18TensorIteratorBaseET_S7_EUlhhE_EESt5arrayIPcLm3EEEEviT0_T1_,comdat
	.globl	_ZN2at6native29vectorized_elementwise_kernelILi8ENS0_13BinaryFunctorIhhhZNS0_12_GLOBAL__N_121threshold_kernel_implIhEEvRNS_18TensorIteratorBaseET_S7_EUlhhE_EESt5arrayIPcLm3EEEEviT0_T1_ ; -- Begin function _ZN2at6native29vectorized_elementwise_kernelILi8ENS0_13BinaryFunctorIhhhZNS0_12_GLOBAL__N_121threshold_kernel_implIhEEvRNS_18TensorIteratorBaseET_S7_EUlhhE_EESt5arrayIPcLm3EEEEviT0_T1_
	.p2align	8
	.type	_ZN2at6native29vectorized_elementwise_kernelILi8ENS0_13BinaryFunctorIhhhZNS0_12_GLOBAL__N_121threshold_kernel_implIhEEvRNS_18TensorIteratorBaseET_S7_EUlhhE_EESt5arrayIPcLm3EEEEviT0_T1_,@function
_ZN2at6native29vectorized_elementwise_kernelILi8ENS0_13BinaryFunctorIhhhZNS0_12_GLOBAL__N_121threshold_kernel_implIhEEvRNS_18TensorIteratorBaseET_S7_EUlhhE_EESt5arrayIPcLm3EEEEviT0_T1_: ; @_ZN2at6native29vectorized_elementwise_kernelILi8ENS0_13BinaryFunctorIhhhZNS0_12_GLOBAL__N_121threshold_kernel_implIhEEvRNS_18TensorIteratorBaseET_S7_EUlhhE_EESt5arrayIPcLm3EEEEviT0_T1_
; %bb.0:
	v_mov_b32_e32 v1, 0
	global_load_ushort v1, v1, s[4:5] offset:4
	s_load_dword s0, s[4:5], 0x0
	s_load_dwordx4 s[52:55], s[4:5], 0x8
	s_load_dwordx2 s[8:9], s[4:5], 0x18
	s_lshl_b32 s56, s6, 12
	s_waitcnt lgkmcnt(0)
	s_sub_i32 s33, s0, s56
	s_cmpk_gt_i32 s33, 0xfff
	s_mov_b64 s[0:1], -1
	s_waitcnt vmcnt(0)
	v_readfirstlane_b32 s36, v1
	s_cbranch_scc0 .LBB17_2
; %bb.1:
	s_and_b32 s0, 0xffff, s36
	s_lshr_b32 s2, s0, 8
	s_and_b32 s3, s36, 0xff
	s_ashr_i32 s4, s56, 31
	s_add_u32 s0, s54, s56
	s_addc_u32 s1, s55, s4
	v_lshlrev_b32_e32 v9, 3, v0
	global_load_dwordx2 v[1:2], v9, s[0:1]
	global_load_dwordx2 v[3:4], v9, s[0:1] offset:2048
	s_add_u32 s0, s8, s56
	s_addc_u32 s1, s9, s4
	global_load_dwordx2 v[5:6], v9, s[0:1]
	global_load_dwordx2 v[7:8], v9, s[0:1] offset:2048
	v_mov_b32_e32 v10, s2
	s_movk_i32 s5, 0xff
	s_add_u32 s0, s52, s56
	s_addc_u32 s1, s53, s4
	s_waitcnt vmcnt(3)
	v_cmp_gt_u16_sdwa vcc, v1, s3 src0_sel:BYTE_0 src1_sel:DWORD
	v_lshrrev_b32_e32 v11, 8, v1
	v_and_b32_sdwa v12, v1, s5 dst_sel:DWORD dst_unused:UNUSED_PAD src0_sel:WORD_1 src1_sel:DWORD
	s_waitcnt vmcnt(1)
	v_lshrrev_b32_e32 v19, 8, v5
	v_lshrrev_b32_e32 v20, 16, v5
	;; [unrolled: 1-line block ×3, first 2 shown]
	v_cndmask_b32_e32 v5, v10, v5, vcc
	v_cmp_gt_u16_sdwa vcc, v2, s3 src0_sel:BYTE_0 src1_sel:DWORD
	v_lshrrev_b32_e32 v22, 8, v6
	v_lshrrev_b32_e32 v23, 16, v6
	;; [unrolled: 1-line block ×3, first 2 shown]
	v_cndmask_b32_e32 v6, v10, v6, vcc
	v_cmp_gt_u16_sdwa vcc, v3, s3 src0_sel:BYTE_0 src1_sel:DWORD
	s_waitcnt vmcnt(0)
	v_lshrrev_b32_e32 v25, 8, v7
	v_lshrrev_b32_e32 v26, 16, v7
	;; [unrolled: 1-line block ×3, first 2 shown]
	v_cndmask_b32_e32 v7, v10, v7, vcc
	v_cmp_gt_u16_sdwa vcc, v4, s3 src0_sel:BYTE_0 src1_sel:DWORD
	v_lshrrev_b32_e32 v28, 8, v8
	v_lshrrev_b32_e32 v29, 16, v8
	;; [unrolled: 1-line block ×3, first 2 shown]
	v_cndmask_b32_e32 v8, v10, v8, vcc
	v_cmp_gt_u16_sdwa vcc, v11, s3 src0_sel:BYTE_0 src1_sel:DWORD
	v_cndmask_b32_e32 v11, v10, v19, vcc
	v_cmp_lt_u16_e32 vcc, s3, v12
	v_lshrrev_b32_e32 v13, 8, v2
	v_cndmask_b32_e32 v12, v10, v20, vcc
	v_cmp_gt_u16_sdwa vcc, v1, s3 src0_sel:BYTE_3 src1_sel:DWORD
	v_and_b32_sdwa v14, v2, s5 dst_sel:DWORD dst_unused:UNUSED_PAD src0_sel:WORD_1 src1_sel:DWORD
	v_cndmask_b32_e32 v1, v10, v21, vcc
	v_cmp_gt_u16_sdwa vcc, v13, s3 src0_sel:BYTE_0 src1_sel:DWORD
	v_cndmask_b32_e32 v13, v10, v22, vcc
	v_cmp_lt_u16_e32 vcc, s3, v14
	v_lshrrev_b32_e32 v15, 8, v3
	v_cndmask_b32_e32 v14, v10, v23, vcc
	v_cmp_gt_u16_sdwa vcc, v2, s3 src0_sel:BYTE_3 src1_sel:DWORD
	v_and_b32_sdwa v16, v3, s5 dst_sel:DWORD dst_unused:UNUSED_PAD src0_sel:WORD_1 src1_sel:DWORD
	;; [unrolled: 8-line block ×3, first 2 shown]
	v_cndmask_b32_e32 v3, v10, v27, vcc
	v_cmp_gt_u16_sdwa vcc, v17, s3 src0_sel:BYTE_0 src1_sel:DWORD
	v_cndmask_b32_e32 v17, v10, v28, vcc
	v_cmp_lt_u16_e32 vcc, s3, v18
	v_cndmask_b32_e32 v18, v10, v29, vcc
	v_cmp_gt_u16_sdwa vcc, v4, s3 src0_sel:BYTE_3 src1_sel:DWORD
	v_cndmask_b32_e32 v4, v10, v30, vcc
	v_lshlrev_b16_e32 v10, 8, v17
	v_lshlrev_b16_e32 v4, 8, v4
	;; [unrolled: 1-line block ×8, first 2 shown]
	v_or_b32_sdwa v8, v8, v10 dst_sel:DWORD dst_unused:UNUSED_PAD src0_sel:BYTE_0 src1_sel:DWORD
	v_or_b32_sdwa v4, v18, v4 dst_sel:WORD_1 dst_unused:UNUSED_PAD src0_sel:BYTE_0 src1_sel:DWORD
	v_or_b32_sdwa v7, v7, v15 dst_sel:DWORD dst_unused:UNUSED_PAD src0_sel:BYTE_0 src1_sel:DWORD
	v_or_b32_sdwa v3, v16, v3 dst_sel:WORD_1 dst_unused:UNUSED_PAD src0_sel:BYTE_0 src1_sel:DWORD
	v_or_b32_sdwa v6, v6, v13 dst_sel:DWORD dst_unused:UNUSED_PAD src0_sel:BYTE_0 src1_sel:DWORD
	v_or_b32_sdwa v10, v14, v2 dst_sel:WORD_1 dst_unused:UNUSED_PAD src0_sel:BYTE_0 src1_sel:DWORD
	v_or_b32_sdwa v5, v5, v11 dst_sel:DWORD dst_unused:UNUSED_PAD src0_sel:BYTE_0 src1_sel:DWORD
	v_or_b32_sdwa v11, v12, v1 dst_sel:WORD_1 dst_unused:UNUSED_PAD src0_sel:BYTE_0 src1_sel:DWORD
	v_or_b32_sdwa v2, v8, v4 dst_sel:DWORD dst_unused:UNUSED_PAD src0_sel:WORD_0 src1_sel:DWORD
	v_or_b32_sdwa v1, v7, v3 dst_sel:DWORD dst_unused:UNUSED_PAD src0_sel:WORD_0 src1_sel:DWORD
	;; [unrolled: 1-line block ×4, first 2 shown]
	global_store_dwordx2 v9, v[3:4], s[0:1]
	global_store_dwordx2 v9, v[1:2], s[0:1] offset:2048
	s_mov_b64 s[0:1], 0
.LBB17_2:
	s_andn2_b64 vcc, exec, s[0:1]
	s_cbranch_vccnz .LBB17_54
; %bb.3:
	v_cmp_gt_i32_e32 vcc, s33, v0
	v_cmp_le_i32_e64 s[0:1], s33, v0
                                        ; implicit-def: $sgpr4
                                        ; implicit-def: $vgpr5
	s_and_saveexec_b64 s[2:3], s[0:1]
	s_xor_b64 s[0:1], exec, s[2:3]
; %bb.4:
	s_and_b32 s2, 0xffff, s36
	s_lshr_b32 s4, s2, 8
	v_or_b32_e32 v5, 0x100, v0
; %bb.5:
	s_or_saveexec_b64 s[2:3], s[0:1]
	v_mov_b32_e32 v37, 0
	v_mov_b32_e32 v7, s4
	v_or_b32_e32 v6, s56, v0
	v_mov_b32_e32 v34, 0
	v_mov_b32_e32 v36, 0
	;; [unrolled: 1-line block ×29, first 2 shown]
	s_xor_b64 exec, exec, s[2:3]
	s_cbranch_execz .LBB17_37
; %bb.6:
	global_load_ubyte v12, v6, s[54:55]
	global_load_ubyte v13, v6, s[8:9]
	s_and_b32 s0, 0xffff, s36
	s_lshr_b32 s37, s0, 8
	v_or_b32_e32 v5, 0x100, v0
	v_cmp_gt_u32_e64 s[0:1], s33, v5
	v_mov_b32_e32 v15, 0
	v_mov_b32_e32 v7, s37
	v_mov_b32_e32 v16, 0
	v_mov_b32_e32 v17, 0
	v_mov_b32_e32 v19, 0
	v_mov_b32_e32 v18, 0
	v_mov_b32_e32 v20, 0
	v_mov_b32_e32 v8, 0
	v_mov_b32_e32 v22, 0
	v_mov_b32_e32 v9, 0
	v_mov_b32_e32 v24, 0
	v_mov_b32_e32 v11, 0
	v_mov_b32_e32 v23, 0
	v_mov_b32_e32 v10, 0
	v_mov_b32_e32 v26, 0
	v_mov_b32_e32 v14, 0
	v_mov_b32_e32 v28, 0
	v_mov_b32_e32 v21, 0
	v_mov_b32_e32 v29, 0
	v_mov_b32_e32 v25, 0
	v_mov_b32_e32 v31, 0
	v_mov_b32_e32 v27, 0
	v_mov_b32_e32 v33, 0
	v_mov_b32_e32 v30, 0
	v_mov_b32_e32 v35, 0
	v_mov_b32_e32 v32, 0
	v_mov_b32_e32 v36, 0
	v_mov_b32_e32 v34, 0
	v_mov_b32_e32 v37, 0
	s_and_saveexec_b64 s[4:5], s[0:1]
	s_cbranch_execz .LBB17_36
; %bb.7:
	v_add_u32_e32 v3, s56, v0
	global_load_ubyte v16, v3, s[54:55] offset:256
	global_load_ubyte v15, v3, s[8:9] offset:256
	v_or_b32_e32 v1, 0x200, v0
	v_mov_b32_e32 v17, 0
	v_cmp_gt_u32_e64 s[0:1], s33, v1
	v_mov_b32_e32 v7, s37
	v_mov_b32_e32 v19, 0
	;; [unrolled: 1-line block ×26, first 2 shown]
	s_and_saveexec_b64 s[6:7], s[0:1]
	s_cbranch_execz .LBB17_35
; %bb.8:
	v_mov_b32_e32 v2, s55
	v_add_co_u32_e64 v1, s[0:1], s54, v3
	v_addc_co_u32_e64 v2, s[0:1], 0, v2, s[0:1]
	v_mov_b32_e32 v4, s9
	v_add_co_u32_e64 v3, s[0:1], s8, v3
	v_addc_co_u32_e64 v4, s[0:1], 0, v4, s[0:1]
	global_load_ubyte v19, v[1:2], off offset:512
	global_load_ubyte v17, v[3:4], off offset:512
	v_or_b32_e32 v7, 0x300, v0
	v_cmp_gt_u32_e64 s[0:1], s33, v7
	v_mov_b32_e32 v18, 0
	v_mov_b32_e32 v7, s37
	;; [unrolled: 1-line block ×25, first 2 shown]
	s_and_saveexec_b64 s[8:9], s[0:1]
	s_cbranch_execz .LBB17_34
; %bb.9:
	global_load_ubyte v20, v[1:2], off offset:768
	global_load_ubyte v18, v[3:4], off offset:768
	v_or_b32_e32 v7, 0x400, v0
	v_cmp_gt_u32_e64 s[0:1], s33, v7
	v_mov_b32_e32 v8, 0
	v_mov_b32_e32 v7, s37
	;; [unrolled: 1-line block ×23, first 2 shown]
	s_and_saveexec_b64 s[10:11], s[0:1]
	s_cbranch_execz .LBB17_33
; %bb.10:
	global_load_ubyte v22, v[1:2], off offset:1024
	global_load_ubyte v8, v[3:4], off offset:1024
	v_or_b32_e32 v7, 0x500, v0
	v_cmp_gt_u32_e64 s[0:1], s33, v7
	v_mov_b32_e32 v9, 0
	v_mov_b32_e32 v7, s37
	;; [unrolled: 1-line block ×21, first 2 shown]
	s_and_saveexec_b64 s[12:13], s[0:1]
	s_cbranch_execz .LBB17_32
; %bb.11:
	global_load_ubyte v24, v[1:2], off offset:1280
	global_load_ubyte v9, v[3:4], off offset:1280
	v_or_b32_e32 v7, 0x600, v0
	v_cmp_gt_u32_e64 s[0:1], s33, v7
	v_mov_b32_e32 v11, 0
	v_mov_b32_e32 v7, s37
	;; [unrolled: 1-line block ×19, first 2 shown]
	s_and_saveexec_b64 s[14:15], s[0:1]
	s_cbranch_execz .LBB17_31
; %bb.12:
	global_load_ubyte v23, v[1:2], off offset:1536
	global_load_ubyte v11, v[3:4], off offset:1536
	v_or_b32_e32 v7, 0x700, v0
	v_cmp_gt_u32_e64 s[0:1], s33, v7
	v_mov_b32_e32 v10, 0
	v_mov_b32_e32 v7, s37
	;; [unrolled: 1-line block ×17, first 2 shown]
	s_and_saveexec_b64 s[16:17], s[0:1]
	s_cbranch_execz .LBB17_30
; %bb.13:
	global_load_ubyte v26, v[1:2], off offset:1792
	global_load_ubyte v10, v[3:4], off offset:1792
	v_or_b32_e32 v7, 0x800, v0
	v_cmp_gt_u32_e64 s[0:1], s33, v7
	v_mov_b32_e32 v14, 0
	v_mov_b32_e32 v7, s37
	v_mov_b32_e32 v28, 0
	v_mov_b32_e32 v21, 0
	v_mov_b32_e32 v29, 0
	v_mov_b32_e32 v25, 0
	v_mov_b32_e32 v31, 0
	v_mov_b32_e32 v27, 0
	v_mov_b32_e32 v33, 0
	v_mov_b32_e32 v30, 0
	v_mov_b32_e32 v35, 0
	v_mov_b32_e32 v32, 0
	v_mov_b32_e32 v36, 0
	v_mov_b32_e32 v34, 0
	v_mov_b32_e32 v37, 0
	s_and_saveexec_b64 s[18:19], s[0:1]
	s_cbranch_execz .LBB17_29
; %bb.14:
	global_load_ubyte v28, v[1:2], off offset:2048
	global_load_ubyte v14, v[3:4], off offset:2048
	v_or_b32_e32 v7, 0x900, v0
	v_cmp_gt_u32_e64 s[0:1], s33, v7
	v_mov_b32_e32 v21, 0
	v_mov_b32_e32 v7, s37
	;; [unrolled: 1-line block ×13, first 2 shown]
	s_and_saveexec_b64 s[20:21], s[0:1]
	s_cbranch_execz .LBB17_28
; %bb.15:
	global_load_ubyte v29, v[1:2], off offset:2304
	global_load_ubyte v21, v[3:4], off offset:2304
	v_or_b32_e32 v7, 0xa00, v0
	v_cmp_gt_u32_e64 s[0:1], s33, v7
	v_mov_b32_e32 v25, 0
	v_mov_b32_e32 v7, s37
	;; [unrolled: 1-line block ×11, first 2 shown]
	s_and_saveexec_b64 s[22:23], s[0:1]
	s_cbranch_execz .LBB17_27
; %bb.16:
	global_load_ubyte v31, v[1:2], off offset:2560
	global_load_ubyte v25, v[3:4], off offset:2560
	v_or_b32_e32 v7, 0xb00, v0
	v_cmp_gt_u32_e64 s[0:1], s33, v7
	v_mov_b32_e32 v27, 0
	v_mov_b32_e32 v7, s37
	;; [unrolled: 1-line block ×9, first 2 shown]
	s_and_saveexec_b64 s[24:25], s[0:1]
	s_cbranch_execz .LBB17_26
; %bb.17:
	global_load_ubyte v33, v[1:2], off offset:2816
	global_load_ubyte v27, v[3:4], off offset:2816
	v_or_b32_e32 v7, 0xc00, v0
	v_cmp_gt_u32_e64 s[0:1], s33, v7
	v_mov_b32_e32 v30, 0
	v_mov_b32_e32 v7, s37
	;; [unrolled: 1-line block ×7, first 2 shown]
	s_and_saveexec_b64 s[26:27], s[0:1]
	s_cbranch_execz .LBB17_25
; %bb.18:
	global_load_ubyte v35, v[1:2], off offset:3072
	global_load_ubyte v30, v[3:4], off offset:3072
	v_or_b32_e32 v7, 0xd00, v0
	v_cmp_gt_u32_e64 s[0:1], s33, v7
	v_mov_b32_e32 v32, 0
	v_mov_b32_e32 v7, s37
	;; [unrolled: 1-line block ×5, first 2 shown]
	s_and_saveexec_b64 s[28:29], s[0:1]
	s_cbranch_execz .LBB17_24
; %bb.19:
	global_load_ubyte v36, v[1:2], off offset:3328
	global_load_ubyte v32, v[3:4], off offset:3328
	v_or_b32_e32 v7, 0xe00, v0
	v_cmp_gt_u32_e64 s[0:1], s33, v7
	v_mov_b32_e32 v34, 0
	v_mov_b32_e32 v7, s37
	;; [unrolled: 1-line block ×3, first 2 shown]
	s_and_saveexec_b64 s[30:31], s[0:1]
	s_cbranch_execz .LBB17_23
; %bb.20:
	global_load_ubyte v37, v[1:2], off offset:3584
	global_load_ubyte v34, v[3:4], off offset:3584
	v_or_b32_e32 v7, 0xf00, v0
	v_cmp_gt_u32_e64 s[0:1], s33, v7
	v_mov_b32_e32 v7, s37
	s_and_saveexec_b64 s[34:35], s[0:1]
	s_cbranch_execz .LBB17_22
; %bb.21:
	global_load_ubyte v7, v[1:2], off offset:3840
	global_load_ubyte v38, v[3:4], off offset:3840
	s_and_b32 s0, s36, 0xff
	v_mov_b32_e32 v1, s37
	s_waitcnt vmcnt(1)
	v_cmp_lt_u16_e64 s[0:1], s0, v7
	s_waitcnt vmcnt(0)
	v_cndmask_b32_e64 v7, v1, v38, s[0:1]
.LBB17_22:
	s_or_b64 exec, exec, s[34:35]
.LBB17_23:
	s_or_b64 exec, exec, s[30:31]
.LBB17_24:
	s_or_b64 exec, exec, s[28:29]
.LBB17_25:
	s_or_b64 exec, exec, s[26:27]
.LBB17_26:
	s_or_b64 exec, exec, s[24:25]
.LBB17_27:
	s_or_b64 exec, exec, s[22:23]
.LBB17_28:
	s_or_b64 exec, exec, s[20:21]
.LBB17_29:
	s_or_b64 exec, exec, s[18:19]
.LBB17_30:
	s_or_b64 exec, exec, s[16:17]
.LBB17_31:
	s_or_b64 exec, exec, s[14:15]
.LBB17_32:
	s_or_b64 exec, exec, s[12:13]
.LBB17_33:
	s_or_b64 exec, exec, s[10:11]
.LBB17_34:
	s_or_b64 exec, exec, s[8:9]
.LBB17_35:
	s_or_b64 exec, exec, s[6:7]
.LBB17_36:
	s_or_b64 exec, exec, s[4:5]
.LBB17_37:
	s_or_b64 exec, exec, s[2:3]
	s_and_saveexec_b64 s[0:1], vcc
	s_cbranch_execz .LBB17_54
; %bb.38:
	s_and_b32 s0, 0xffff, s36
	s_lshr_b32 s58, s0, 8
	s_and_b32 s22, s36, 0xff
	v_mov_b32_e32 v1, s58
	s_waitcnt vmcnt(1)
	v_cmp_gt_u16_sdwa s[0:1], v12, s22 src0_sel:BYTE_0 src1_sel:DWORD
	s_mov_b32 s54, 0xffff
	s_waitcnt vmcnt(0)
	v_cndmask_b32_e64 v2, v1, v13, s[0:1]
	v_and_b32_sdwa v2, s54, v2 dst_sel:DWORD dst_unused:UNUSED_PAD src0_sel:DWORD src1_sel:BYTE_0
	v_cndmask_b32_e32 v2, 0, v2, vcc
	v_cmp_gt_u16_sdwa vcc, v16, s22 src0_sel:BYTE_0 src1_sel:DWORD
	v_cndmask_b32_e32 v3, v1, v15, vcc
	v_lshlrev_b16_e32 v3, 8, v3
	v_or_b32_e32 v3, v2, v3
	v_and_b32_e32 v3, 0xffff, v3
	v_cmp_gt_i32_e64 s[50:51], s33, v5
	v_cmp_gt_u16_sdwa vcc, v19, s22 src0_sel:BYTE_0 src1_sel:DWORD
	v_cndmask_b32_e64 v2, v2, v3, s[50:51]
	v_cndmask_b32_e32 v4, v1, v17, vcc
	s_mov_b32 s57, 0xc0c0304
	v_or_b32_e32 v3, 0x200, v0
	v_perm_b32 v4, v4, v2, s57
	v_lshl_or_b32 v4, v4, 16, v2
	v_cmp_gt_i32_e64 s[18:19], s33, v3
	v_cmp_gt_u16_sdwa vcc, v20, s22 src0_sel:BYTE_0 src1_sel:DWORD
	s_movk_i32 s55, 0xff
	v_cndmask_b32_e64 v2, v2, v4, s[18:19]
	v_cndmask_b32_e32 v1, v1, v18, vcc
	v_and_b32_sdwa v3, v2, s55 dst_sel:DWORD dst_unused:UNUSED_PAD src0_sel:WORD_1 src1_sel:DWORD
	v_lshlrev_b16_e32 v1, 8, v1
	v_or_b32_e32 v4, 0x300, v0
	v_or_b32_sdwa v1, v3, v1 dst_sel:WORD_1 dst_unused:UNUSED_PAD src0_sel:DWORD src1_sel:DWORD
	v_and_or_b32 v1, v2, s54, v1
	v_cmp_gt_i32_e64 s[20:21], s33, v4
	v_cndmask_b32_e64 v12, v2, v1, s[20:21]
	v_or_b32_e32 v1, 0x500, v0
	v_cmp_gt_i32_e64 s[16:17], s33, v1
	v_or_b32_e32 v1, 0x600, v0
	v_cmp_gt_i32_e64 s[14:15], s33, v1
	;; [unrolled: 2-line block ×7, first 2 shown]
	v_or_b32_e32 v1, 0xe00, v0
	v_or_b32_e32 v4, 0x400, v0
	;; [unrolled: 1-line block ×4, first 2 shown]
	v_cmp_gt_i32_e64 s[2:3], s33, v1
	v_or_b32_e32 v1, 0xf00, v0
	v_cmp_gt_u16_sdwa s[48:49], v22, s22 src0_sel:BYTE_0 src1_sel:DWORD
	v_cmp_gt_i32_e64 s[46:47], s33, v4
	v_cmp_gt_u16_sdwa vcc, v24, s22 src0_sel:BYTE_0 src1_sel:DWORD
	v_cmp_gt_u16_sdwa s[44:45], v23, s22 src0_sel:BYTE_0 src1_sel:DWORD
	v_cmp_gt_u16_sdwa s[42:43], v26, s22 src0_sel:BYTE_0 src1_sel:DWORD
	v_cmp_gt_i32_e64 s[34:35], s33, v3
	v_cmp_gt_u16_sdwa s[38:39], v28, s22 src0_sel:BYTE_0 src1_sel:DWORD
	v_cmp_gt_u16_sdwa s[40:41], v29, s22 src0_sel:BYTE_0 src1_sel:DWORD
	v_cmp_gt_u16_sdwa s[36:37], v31, s22 src0_sel:BYTE_0 src1_sel:DWORD
	v_cmp_gt_u16_sdwa s[30:31], v33, s22 src0_sel:BYTE_0 src1_sel:DWORD
	v_cmp_gt_u16_sdwa s[24:25], v35, s22 src0_sel:BYTE_0 src1_sel:DWORD
	v_cmp_gt_i32_e64 s[26:27], s33, v2
	v_cmp_gt_u16_sdwa s[28:29], v36, s22 src0_sel:BYTE_0 src1_sel:DWORD
	v_cmp_gt_u16_sdwa s[22:23], v37, s22 src0_sel:BYTE_0 src1_sel:DWORD
	v_cmp_gt_i32_e64 s[0:1], s33, v1
	global_store_byte v6, v12, s[52:53]
	s_and_b64 exec, exec, s[50:51]
	s_cbranch_execz .LBB17_54
; %bb.39:
	v_mov_b32_e32 v1, s58
	v_cndmask_b32_e64 v6, v1, v8, s[48:49]
	s_mov_b32 s48, 0x3020104
	v_perm_b32 v6, v6, 0, s48
	v_cndmask_b32_e64 v6, 0, v6, s[46:47]
	v_cndmask_b32_sdwa v8, v1, v9, vcc dst_sel:BYTE_1 dst_unused:UNUSED_PAD src0_sel:DWORD src1_sel:DWORD
	v_or_b32_sdwa v8, v6, v8 dst_sel:DWORD dst_unused:UNUSED_PAD src0_sel:BYTE_0 src1_sel:DWORD
	v_and_b32_e32 v8, 0xffff, v8
	s_mov_b32 s46, 0xffff0000
	v_and_or_b32 v8, v6, s46, v8
	v_cndmask_b32_e64 v6, v6, v8, s[16:17]
	v_cndmask_b32_e64 v8, v1, v11, s[44:45]
	s_mov_b32 s44, 0x7000504
	v_perm_b32 v8, v6, v8, s44
	v_cndmask_b32_e64 v6, v6, v8, s[14:15]
	v_cndmask_b32_e64 v9, v1, v10, s[42:43]
	v_and_b32_sdwa v8, v6, s55 dst_sel:DWORD dst_unused:UNUSED_PAD src0_sel:WORD_1 src1_sel:DWORD
	v_lshlrev_b16_e32 v9, 8, v9
	v_or_b32_sdwa v8, v8, v9 dst_sel:WORD_1 dst_unused:UNUSED_PAD src0_sel:DWORD src1_sel:DWORD
	v_and_or_b32 v8, v6, s54, v8
	v_cndmask_b32_e64 v9, v6, v8, s[12:13]
	v_cndmask_b32_e64 v6, v1, v14, s[38:39]
	v_and_b32_sdwa v6, s54, v6 dst_sel:DWORD dst_unused:UNUSED_PAD src0_sel:DWORD src1_sel:BYTE_0
	v_cndmask_b32_e64 v8, v1, v21, s[40:41]
	v_cndmask_b32_e64 v6, 0, v6, s[34:35]
	v_lshlrev_b16_e32 v8, 8, v8
	v_or_b32_e32 v8, v6, v8
	v_and_b32_e32 v8, 0xffff, v8
	v_cndmask_b32_e64 v6, v6, v8, s[10:11]
	v_cndmask_b32_e64 v8, v1, v25, s[36:37]
	v_perm_b32 v8, v8, v6, s57
	v_lshl_or_b32 v8, v8, 16, v6
	v_cndmask_b32_e64 v6, v6, v8, s[8:9]
	v_cndmask_b32_e64 v10, v1, v27, s[30:31]
	v_and_b32_sdwa v8, v6, s55 dst_sel:DWORD dst_unused:UNUSED_PAD src0_sel:WORD_1 src1_sel:DWORD
	v_lshlrev_b16_e32 v10, 8, v10
	v_or_b32_sdwa v8, v8, v10 dst_sel:WORD_1 dst_unused:UNUSED_PAD src0_sel:DWORD src1_sel:DWORD
	v_and_or_b32 v8, v6, s54, v8
	v_cndmask_b32_e64 v8, v6, v8, s[6:7]
	v_cndmask_b32_e64 v6, v1, v30, s[24:25]
	v_perm_b32 v6, v6, 0, s48
	v_cndmask_b32_e64 v10, v1, v32, s[28:29]
	v_cndmask_b32_e64 v6, 0, v6, s[26:27]
	v_lshlrev_b16_e32 v10, 8, v10
	v_or_b32_sdwa v10, v6, v10 dst_sel:DWORD dst_unused:UNUSED_PAD src0_sel:BYTE_0 src1_sel:DWORD
	v_and_b32_e32 v10, 0xffff, v10
	v_and_or_b32 v10, v6, s46, v10
	v_cndmask_b32_e64 v6, v6, v10, s[4:5]
	v_cndmask_b32_e64 v1, v1, v34, s[22:23]
	v_perm_b32 v1, v6, v1, s44
	v_cndmask_b32_e64 v1, v6, v1, s[2:3]
	s_mov_b32 s22, 0x60504
	v_perm_b32 v6, v1, v7, s22
	v_cndmask_b32_e64 v6, v1, v6, s[0:1]
	v_or_b32_e32 v1, s56, v5
	v_lshrrev_b32_e32 v5, 8, v12
	global_store_byte v1, v5, s[52:53]
	s_and_b64 exec, exec, s[18:19]
	s_cbranch_execz .LBB17_54
; %bb.40:
	v_add_u32_e32 v0, s56, v0
	global_store_byte_d16_hi v0, v12, s[52:53] offset:512
	s_and_b64 exec, exec, s[20:21]
	s_cbranch_execz .LBB17_54
; %bb.41:
	v_mov_b32_e32 v1, s53
	v_add_co_u32_e32 v0, vcc, s52, v0
	v_addc_co_u32_e32 v1, vcc, 0, v1, vcc
	v_lshrrev_b32_e32 v5, 24, v12
	v_cmp_gt_u32_e32 vcc, s33, v4
	global_store_byte v[0:1], v5, off offset:768
	s_and_b64 exec, exec, vcc
	s_cbranch_execz .LBB17_54
; %bb.42:
	global_store_byte v[0:1], v9, off offset:1024
	s_and_b64 exec, exec, s[16:17]
	s_cbranch_execz .LBB17_54
; %bb.43:
	v_lshrrev_b32_e32 v4, 8, v9
	global_store_byte v[0:1], v4, off offset:1280
	s_and_b64 exec, exec, s[14:15]
	s_cbranch_execz .LBB17_54
; %bb.44:
	global_store_byte_d16_hi v[0:1], v9, off offset:1536
	s_and_b64 exec, exec, s[12:13]
	s_cbranch_execz .LBB17_54
; %bb.45:
	v_lshrrev_b32_e32 v4, 24, v9
	v_cmp_gt_u32_e32 vcc, s33, v3
	global_store_byte v[0:1], v4, off offset:1792
	s_and_b64 exec, exec, vcc
	s_cbranch_execz .LBB17_54
; %bb.46:
	global_store_byte v[0:1], v8, off offset:2048
	s_and_b64 exec, exec, s[10:11]
	s_cbranch_execz .LBB17_54
; %bb.47:
	v_lshrrev_b32_e32 v3, 8, v8
	global_store_byte v[0:1], v3, off offset:2304
	s_and_b64 exec, exec, s[8:9]
	s_cbranch_execz .LBB17_54
; %bb.48:
	global_store_byte_d16_hi v[0:1], v8, off offset:2560
	s_and_b64 exec, exec, s[6:7]
	s_cbranch_execz .LBB17_54
; %bb.49:
	;; [unrolled: 19-line block ×3, first 2 shown]
	v_lshrrev_b32_e32 v2, 24, v6
	global_store_byte v[0:1], v2, off offset:3840
.LBB17_54:
	s_endpgm
	.section	.rodata,"a",@progbits
	.p2align	6, 0x0
	.amdhsa_kernel _ZN2at6native29vectorized_elementwise_kernelILi8ENS0_13BinaryFunctorIhhhZNS0_12_GLOBAL__N_121threshold_kernel_implIhEEvRNS_18TensorIteratorBaseET_S7_EUlhhE_EESt5arrayIPcLm3EEEEviT0_T1_
		.amdhsa_group_segment_fixed_size 0
		.amdhsa_private_segment_fixed_size 0
		.amdhsa_kernarg_size 32
		.amdhsa_user_sgpr_count 6
		.amdhsa_user_sgpr_private_segment_buffer 1
		.amdhsa_user_sgpr_dispatch_ptr 0
		.amdhsa_user_sgpr_queue_ptr 0
		.amdhsa_user_sgpr_kernarg_segment_ptr 1
		.amdhsa_user_sgpr_dispatch_id 0
		.amdhsa_user_sgpr_flat_scratch_init 0
		.amdhsa_user_sgpr_private_segment_size 0
		.amdhsa_uses_dynamic_stack 0
		.amdhsa_system_sgpr_private_segment_wavefront_offset 0
		.amdhsa_system_sgpr_workgroup_id_x 1
		.amdhsa_system_sgpr_workgroup_id_y 0
		.amdhsa_system_sgpr_workgroup_id_z 0
		.amdhsa_system_sgpr_workgroup_info 0
		.amdhsa_system_vgpr_workitem_id 0
		.amdhsa_next_free_vgpr 39
		.amdhsa_next_free_sgpr 59
		.amdhsa_reserve_vcc 1
		.amdhsa_reserve_flat_scratch 0
		.amdhsa_float_round_mode_32 0
		.amdhsa_float_round_mode_16_64 0
		.amdhsa_float_denorm_mode_32 3
		.amdhsa_float_denorm_mode_16_64 3
		.amdhsa_dx10_clamp 1
		.amdhsa_ieee_mode 1
		.amdhsa_fp16_overflow 0
		.amdhsa_exception_fp_ieee_invalid_op 0
		.amdhsa_exception_fp_denorm_src 0
		.amdhsa_exception_fp_ieee_div_zero 0
		.amdhsa_exception_fp_ieee_overflow 0
		.amdhsa_exception_fp_ieee_underflow 0
		.amdhsa_exception_fp_ieee_inexact 0
		.amdhsa_exception_int_div_zero 0
	.end_amdhsa_kernel
	.section	.text._ZN2at6native29vectorized_elementwise_kernelILi8ENS0_13BinaryFunctorIhhhZNS0_12_GLOBAL__N_121threshold_kernel_implIhEEvRNS_18TensorIteratorBaseET_S7_EUlhhE_EESt5arrayIPcLm3EEEEviT0_T1_,"axG",@progbits,_ZN2at6native29vectorized_elementwise_kernelILi8ENS0_13BinaryFunctorIhhhZNS0_12_GLOBAL__N_121threshold_kernel_implIhEEvRNS_18TensorIteratorBaseET_S7_EUlhhE_EESt5arrayIPcLm3EEEEviT0_T1_,comdat
.Lfunc_end17:
	.size	_ZN2at6native29vectorized_elementwise_kernelILi8ENS0_13BinaryFunctorIhhhZNS0_12_GLOBAL__N_121threshold_kernel_implIhEEvRNS_18TensorIteratorBaseET_S7_EUlhhE_EESt5arrayIPcLm3EEEEviT0_T1_, .Lfunc_end17-_ZN2at6native29vectorized_elementwise_kernelILi8ENS0_13BinaryFunctorIhhhZNS0_12_GLOBAL__N_121threshold_kernel_implIhEEvRNS_18TensorIteratorBaseET_S7_EUlhhE_EESt5arrayIPcLm3EEEEviT0_T1_
                                        ; -- End function
	.set _ZN2at6native29vectorized_elementwise_kernelILi8ENS0_13BinaryFunctorIhhhZNS0_12_GLOBAL__N_121threshold_kernel_implIhEEvRNS_18TensorIteratorBaseET_S7_EUlhhE_EESt5arrayIPcLm3EEEEviT0_T1_.num_vgpr, 39
	.set _ZN2at6native29vectorized_elementwise_kernelILi8ENS0_13BinaryFunctorIhhhZNS0_12_GLOBAL__N_121threshold_kernel_implIhEEvRNS_18TensorIteratorBaseET_S7_EUlhhE_EESt5arrayIPcLm3EEEEviT0_T1_.num_agpr, 0
	.set _ZN2at6native29vectorized_elementwise_kernelILi8ENS0_13BinaryFunctorIhhhZNS0_12_GLOBAL__N_121threshold_kernel_implIhEEvRNS_18TensorIteratorBaseET_S7_EUlhhE_EESt5arrayIPcLm3EEEEviT0_T1_.numbered_sgpr, 59
	.set _ZN2at6native29vectorized_elementwise_kernelILi8ENS0_13BinaryFunctorIhhhZNS0_12_GLOBAL__N_121threshold_kernel_implIhEEvRNS_18TensorIteratorBaseET_S7_EUlhhE_EESt5arrayIPcLm3EEEEviT0_T1_.num_named_barrier, 0
	.set _ZN2at6native29vectorized_elementwise_kernelILi8ENS0_13BinaryFunctorIhhhZNS0_12_GLOBAL__N_121threshold_kernel_implIhEEvRNS_18TensorIteratorBaseET_S7_EUlhhE_EESt5arrayIPcLm3EEEEviT0_T1_.private_seg_size, 0
	.set _ZN2at6native29vectorized_elementwise_kernelILi8ENS0_13BinaryFunctorIhhhZNS0_12_GLOBAL__N_121threshold_kernel_implIhEEvRNS_18TensorIteratorBaseET_S7_EUlhhE_EESt5arrayIPcLm3EEEEviT0_T1_.uses_vcc, 1
	.set _ZN2at6native29vectorized_elementwise_kernelILi8ENS0_13BinaryFunctorIhhhZNS0_12_GLOBAL__N_121threshold_kernel_implIhEEvRNS_18TensorIteratorBaseET_S7_EUlhhE_EESt5arrayIPcLm3EEEEviT0_T1_.uses_flat_scratch, 0
	.set _ZN2at6native29vectorized_elementwise_kernelILi8ENS0_13BinaryFunctorIhhhZNS0_12_GLOBAL__N_121threshold_kernel_implIhEEvRNS_18TensorIteratorBaseET_S7_EUlhhE_EESt5arrayIPcLm3EEEEviT0_T1_.has_dyn_sized_stack, 0
	.set _ZN2at6native29vectorized_elementwise_kernelILi8ENS0_13BinaryFunctorIhhhZNS0_12_GLOBAL__N_121threshold_kernel_implIhEEvRNS_18TensorIteratorBaseET_S7_EUlhhE_EESt5arrayIPcLm3EEEEviT0_T1_.has_recursion, 0
	.set _ZN2at6native29vectorized_elementwise_kernelILi8ENS0_13BinaryFunctorIhhhZNS0_12_GLOBAL__N_121threshold_kernel_implIhEEvRNS_18TensorIteratorBaseET_S7_EUlhhE_EESt5arrayIPcLm3EEEEviT0_T1_.has_indirect_call, 0
	.section	.AMDGPU.csdata,"",@progbits
; Kernel info:
; codeLenInByte = 3704
; TotalNumSgprs: 63
; NumVgprs: 39
; ScratchSize: 0
; MemoryBound: 0
; FloatMode: 240
; IeeeMode: 1
; LDSByteSize: 0 bytes/workgroup (compile time only)
; SGPRBlocks: 7
; VGPRBlocks: 9
; NumSGPRsForWavesPerEU: 63
; NumVGPRsForWavesPerEU: 39
; Occupancy: 6
; WaveLimiterHint : 1
; COMPUTE_PGM_RSRC2:SCRATCH_EN: 0
; COMPUTE_PGM_RSRC2:USER_SGPR: 6
; COMPUTE_PGM_RSRC2:TRAP_HANDLER: 0
; COMPUTE_PGM_RSRC2:TGID_X_EN: 1
; COMPUTE_PGM_RSRC2:TGID_Y_EN: 0
; COMPUTE_PGM_RSRC2:TGID_Z_EN: 0
; COMPUTE_PGM_RSRC2:TIDIG_COMP_CNT: 0
	.section	.text._ZN2at6native29vectorized_elementwise_kernelILi4ENS0_13BinaryFunctorIhhhZNS0_12_GLOBAL__N_121threshold_kernel_implIhEEvRNS_18TensorIteratorBaseET_S7_EUlhhE_EESt5arrayIPcLm3EEEEviT0_T1_,"axG",@progbits,_ZN2at6native29vectorized_elementwise_kernelILi4ENS0_13BinaryFunctorIhhhZNS0_12_GLOBAL__N_121threshold_kernel_implIhEEvRNS_18TensorIteratorBaseET_S7_EUlhhE_EESt5arrayIPcLm3EEEEviT0_T1_,comdat
	.globl	_ZN2at6native29vectorized_elementwise_kernelILi4ENS0_13BinaryFunctorIhhhZNS0_12_GLOBAL__N_121threshold_kernel_implIhEEvRNS_18TensorIteratorBaseET_S7_EUlhhE_EESt5arrayIPcLm3EEEEviT0_T1_ ; -- Begin function _ZN2at6native29vectorized_elementwise_kernelILi4ENS0_13BinaryFunctorIhhhZNS0_12_GLOBAL__N_121threshold_kernel_implIhEEvRNS_18TensorIteratorBaseET_S7_EUlhhE_EESt5arrayIPcLm3EEEEviT0_T1_
	.p2align	8
	.type	_ZN2at6native29vectorized_elementwise_kernelILi4ENS0_13BinaryFunctorIhhhZNS0_12_GLOBAL__N_121threshold_kernel_implIhEEvRNS_18TensorIteratorBaseET_S7_EUlhhE_EESt5arrayIPcLm3EEEEviT0_T1_,@function
_ZN2at6native29vectorized_elementwise_kernelILi4ENS0_13BinaryFunctorIhhhZNS0_12_GLOBAL__N_121threshold_kernel_implIhEEvRNS_18TensorIteratorBaseET_S7_EUlhhE_EESt5arrayIPcLm3EEEEviT0_T1_: ; @_ZN2at6native29vectorized_elementwise_kernelILi4ENS0_13BinaryFunctorIhhhZNS0_12_GLOBAL__N_121threshold_kernel_implIhEEvRNS_18TensorIteratorBaseET_S7_EUlhhE_EESt5arrayIPcLm3EEEEviT0_T1_
; %bb.0:
	v_mov_b32_e32 v1, 0
	global_load_ushort v1, v1, s[4:5] offset:4
	s_load_dword s0, s[4:5], 0x0
	s_load_dwordx4 s[52:55], s[4:5], 0x8
	s_load_dwordx2 s[8:9], s[4:5], 0x18
	s_lshl_b32 s56, s6, 12
	s_waitcnt lgkmcnt(0)
	s_sub_i32 s33, s0, s56
	s_cmpk_gt_i32 s33, 0xfff
	s_mov_b64 s[0:1], -1
	s_waitcnt vmcnt(0)
	v_readfirstlane_b32 s36, v1
	s_cbranch_scc0 .LBB18_2
; %bb.1:
	s_and_b32 s0, 0xffff, s36
	s_lshr_b32 s2, s0, 8
	s_and_b32 s3, s36, 0xff
	s_ashr_i32 s4, s56, 31
	s_add_u32 s0, s54, s56
	s_addc_u32 s1, s55, s4
	v_lshlrev_b32_e32 v1, 2, v0
	global_load_dword v2, v1, s[0:1]
	global_load_dword v3, v1, s[0:1] offset:1024
	global_load_dword v4, v1, s[0:1] offset:2048
	;; [unrolled: 1-line block ×3, first 2 shown]
	s_add_u32 s0, s8, s56
	s_addc_u32 s1, s9, s4
	global_load_dword v6, v1, s[0:1]
	global_load_dword v7, v1, s[0:1] offset:1024
	global_load_dword v8, v1, s[0:1] offset:2048
	;; [unrolled: 1-line block ×3, first 2 shown]
	v_mov_b32_e32 v10, s2
	s_movk_i32 s0, 0xff
	s_waitcnt vmcnt(7)
	v_cmp_gt_u16_sdwa vcc, v2, s3 src0_sel:BYTE_0 src1_sel:DWORD
	v_lshrrev_b32_e32 v11, 8, v2
	v_and_b32_sdwa v12, v2, s0 dst_sel:DWORD dst_unused:UNUSED_PAD src0_sel:WORD_1 src1_sel:DWORD
	s_waitcnt vmcnt(3)
	v_lshrrev_b32_e32 v19, 8, v6
	v_lshrrev_b32_e32 v20, 16, v6
	v_lshrrev_b32_e32 v21, 24, v6
	v_cndmask_b32_e32 v6, v10, v6, vcc
	v_cmp_gt_u16_sdwa vcc, v3, s3 src0_sel:BYTE_0 src1_sel:DWORD
	s_waitcnt vmcnt(2)
	v_lshrrev_b32_e32 v22, 8, v7
	v_lshrrev_b32_e32 v23, 16, v7
	v_lshrrev_b32_e32 v24, 24, v7
	v_cndmask_b32_e32 v7, v10, v7, vcc
	v_cmp_gt_u16_sdwa vcc, v4, s3 src0_sel:BYTE_0 src1_sel:DWORD
	;; [unrolled: 6-line block ×4, first 2 shown]
	v_cndmask_b32_e32 v11, v10, v19, vcc
	v_cmp_lt_u16_e32 vcc, s3, v12
	v_lshrrev_b32_e32 v13, 8, v3
	v_cndmask_b32_e32 v12, v10, v20, vcc
	v_cmp_gt_u16_sdwa vcc, v2, s3 src0_sel:BYTE_3 src1_sel:DWORD
	v_and_b32_sdwa v14, v3, s0 dst_sel:DWORD dst_unused:UNUSED_PAD src0_sel:WORD_1 src1_sel:DWORD
	v_cndmask_b32_e32 v2, v10, v21, vcc
	v_cmp_gt_u16_sdwa vcc, v13, s3 src0_sel:BYTE_0 src1_sel:DWORD
	v_cndmask_b32_e32 v13, v10, v22, vcc
	v_cmp_lt_u16_e32 vcc, s3, v14
	v_lshrrev_b32_e32 v15, 8, v4
	v_cndmask_b32_e32 v14, v10, v23, vcc
	v_cmp_gt_u16_sdwa vcc, v3, s3 src0_sel:BYTE_3 src1_sel:DWORD
	v_and_b32_sdwa v16, v4, s0 dst_sel:DWORD dst_unused:UNUSED_PAD src0_sel:WORD_1 src1_sel:DWORD
	v_cndmask_b32_e32 v3, v10, v24, vcc
	v_cmp_gt_u16_sdwa vcc, v15, s3 src0_sel:BYTE_0 src1_sel:DWORD
	;; [unrolled: 8-line block ×3, first 2 shown]
	v_cndmask_b32_e32 v17, v10, v28, vcc
	v_cmp_lt_u16_e32 vcc, s3, v18
	v_cndmask_b32_e32 v18, v10, v29, vcc
	v_cmp_gt_u16_sdwa vcc, v5, s3 src0_sel:BYTE_3 src1_sel:DWORD
	v_cndmask_b32_e32 v5, v10, v30, vcc
	v_lshlrev_b16_e32 v11, 8, v11
	v_lshlrev_b16_e32 v2, 8, v2
	;; [unrolled: 1-line block ×8, first 2 shown]
	v_or_b32_sdwa v6, v6, v11 dst_sel:DWORD dst_unused:UNUSED_PAD src0_sel:BYTE_0 src1_sel:DWORD
	v_or_b32_sdwa v2, v12, v2 dst_sel:WORD_1 dst_unused:UNUSED_PAD src0_sel:BYTE_0 src1_sel:DWORD
	s_add_u32 s0, s52, s56
	v_or_b32_sdwa v9, v9, v10 dst_sel:DWORD dst_unused:UNUSED_PAD src0_sel:BYTE_0 src1_sel:DWORD
	v_or_b32_sdwa v5, v18, v5 dst_sel:WORD_1 dst_unused:UNUSED_PAD src0_sel:BYTE_0 src1_sel:DWORD
	v_or_b32_sdwa v8, v8, v15 dst_sel:DWORD dst_unused:UNUSED_PAD src0_sel:BYTE_0 src1_sel:DWORD
	v_or_b32_sdwa v4, v16, v4 dst_sel:WORD_1 dst_unused:UNUSED_PAD src0_sel:BYTE_0 src1_sel:DWORD
	;; [unrolled: 2-line block ×3, first 2 shown]
	v_or_b32_sdwa v2, v6, v2 dst_sel:DWORD dst_unused:UNUSED_PAD src0_sel:WORD_0 src1_sel:DWORD
	s_addc_u32 s1, s53, s4
	v_or_b32_sdwa v5, v9, v5 dst_sel:DWORD dst_unused:UNUSED_PAD src0_sel:WORD_0 src1_sel:DWORD
	v_or_b32_sdwa v4, v8, v4 dst_sel:DWORD dst_unused:UNUSED_PAD src0_sel:WORD_0 src1_sel:DWORD
	;; [unrolled: 1-line block ×3, first 2 shown]
	global_store_dword v1, v2, s[0:1]
	global_store_dword v1, v3, s[0:1] offset:1024
	global_store_dword v1, v4, s[0:1] offset:2048
	;; [unrolled: 1-line block ×3, first 2 shown]
	s_mov_b64 s[0:1], 0
.LBB18_2:
	s_andn2_b64 vcc, exec, s[0:1]
	s_cbranch_vccnz .LBB18_54
; %bb.3:
	v_cmp_gt_i32_e32 vcc, s33, v0
	v_cmp_le_i32_e64 s[0:1], s33, v0
                                        ; implicit-def: $sgpr4
                                        ; implicit-def: $vgpr5
	s_and_saveexec_b64 s[2:3], s[0:1]
	s_xor_b64 s[0:1], exec, s[2:3]
; %bb.4:
	s_and_b32 s2, 0xffff, s36
	s_lshr_b32 s4, s2, 8
	v_or_b32_e32 v5, 0x100, v0
; %bb.5:
	s_or_saveexec_b64 s[2:3], s[0:1]
	v_mov_b32_e32 v37, 0
	v_mov_b32_e32 v7, s4
	v_or_b32_e32 v6, s56, v0
	v_mov_b32_e32 v34, 0
	v_mov_b32_e32 v36, 0
	;; [unrolled: 1-line block ×29, first 2 shown]
	s_xor_b64 exec, exec, s[2:3]
	s_cbranch_execz .LBB18_37
; %bb.6:
	global_load_ubyte v12, v6, s[54:55]
	global_load_ubyte v13, v6, s[8:9]
	s_and_b32 s0, 0xffff, s36
	s_lshr_b32 s37, s0, 8
	v_or_b32_e32 v5, 0x100, v0
	v_cmp_gt_u32_e64 s[0:1], s33, v5
	v_mov_b32_e32 v15, 0
	v_mov_b32_e32 v7, s37
	;; [unrolled: 1-line block ×29, first 2 shown]
	s_and_saveexec_b64 s[4:5], s[0:1]
	s_cbranch_execz .LBB18_36
; %bb.7:
	v_add_u32_e32 v3, s56, v0
	global_load_ubyte v16, v3, s[54:55] offset:256
	global_load_ubyte v15, v3, s[8:9] offset:256
	v_or_b32_e32 v1, 0x200, v0
	v_mov_b32_e32 v17, 0
	v_cmp_gt_u32_e64 s[0:1], s33, v1
	v_mov_b32_e32 v7, s37
	v_mov_b32_e32 v19, 0
	;; [unrolled: 1-line block ×26, first 2 shown]
	s_and_saveexec_b64 s[6:7], s[0:1]
	s_cbranch_execz .LBB18_35
; %bb.8:
	v_mov_b32_e32 v2, s55
	v_add_co_u32_e64 v1, s[0:1], s54, v3
	v_addc_co_u32_e64 v2, s[0:1], 0, v2, s[0:1]
	v_mov_b32_e32 v4, s9
	v_add_co_u32_e64 v3, s[0:1], s8, v3
	v_addc_co_u32_e64 v4, s[0:1], 0, v4, s[0:1]
	global_load_ubyte v19, v[1:2], off offset:512
	global_load_ubyte v17, v[3:4], off offset:512
	v_or_b32_e32 v7, 0x300, v0
	v_cmp_gt_u32_e64 s[0:1], s33, v7
	v_mov_b32_e32 v18, 0
	v_mov_b32_e32 v7, s37
	;; [unrolled: 1-line block ×25, first 2 shown]
	s_and_saveexec_b64 s[8:9], s[0:1]
	s_cbranch_execz .LBB18_34
; %bb.9:
	global_load_ubyte v20, v[1:2], off offset:768
	global_load_ubyte v18, v[3:4], off offset:768
	v_or_b32_e32 v7, 0x400, v0
	v_cmp_gt_u32_e64 s[0:1], s33, v7
	v_mov_b32_e32 v8, 0
	v_mov_b32_e32 v7, s37
	;; [unrolled: 1-line block ×23, first 2 shown]
	s_and_saveexec_b64 s[10:11], s[0:1]
	s_cbranch_execz .LBB18_33
; %bb.10:
	global_load_ubyte v22, v[1:2], off offset:1024
	global_load_ubyte v8, v[3:4], off offset:1024
	v_or_b32_e32 v7, 0x500, v0
	v_cmp_gt_u32_e64 s[0:1], s33, v7
	v_mov_b32_e32 v9, 0
	v_mov_b32_e32 v7, s37
	;; [unrolled: 1-line block ×21, first 2 shown]
	s_and_saveexec_b64 s[12:13], s[0:1]
	s_cbranch_execz .LBB18_32
; %bb.11:
	global_load_ubyte v24, v[1:2], off offset:1280
	global_load_ubyte v9, v[3:4], off offset:1280
	v_or_b32_e32 v7, 0x600, v0
	v_cmp_gt_u32_e64 s[0:1], s33, v7
	v_mov_b32_e32 v11, 0
	v_mov_b32_e32 v7, s37
	;; [unrolled: 1-line block ×19, first 2 shown]
	s_and_saveexec_b64 s[14:15], s[0:1]
	s_cbranch_execz .LBB18_31
; %bb.12:
	global_load_ubyte v23, v[1:2], off offset:1536
	global_load_ubyte v11, v[3:4], off offset:1536
	v_or_b32_e32 v7, 0x700, v0
	v_cmp_gt_u32_e64 s[0:1], s33, v7
	v_mov_b32_e32 v10, 0
	v_mov_b32_e32 v7, s37
	;; [unrolled: 1-line block ×17, first 2 shown]
	s_and_saveexec_b64 s[16:17], s[0:1]
	s_cbranch_execz .LBB18_30
; %bb.13:
	global_load_ubyte v26, v[1:2], off offset:1792
	global_load_ubyte v10, v[3:4], off offset:1792
	v_or_b32_e32 v7, 0x800, v0
	v_cmp_gt_u32_e64 s[0:1], s33, v7
	v_mov_b32_e32 v14, 0
	v_mov_b32_e32 v7, s37
	;; [unrolled: 1-line block ×15, first 2 shown]
	s_and_saveexec_b64 s[18:19], s[0:1]
	s_cbranch_execz .LBB18_29
; %bb.14:
	global_load_ubyte v28, v[1:2], off offset:2048
	global_load_ubyte v14, v[3:4], off offset:2048
	v_or_b32_e32 v7, 0x900, v0
	v_cmp_gt_u32_e64 s[0:1], s33, v7
	v_mov_b32_e32 v21, 0
	v_mov_b32_e32 v7, s37
	;; [unrolled: 1-line block ×13, first 2 shown]
	s_and_saveexec_b64 s[20:21], s[0:1]
	s_cbranch_execz .LBB18_28
; %bb.15:
	global_load_ubyte v29, v[1:2], off offset:2304
	global_load_ubyte v21, v[3:4], off offset:2304
	v_or_b32_e32 v7, 0xa00, v0
	v_cmp_gt_u32_e64 s[0:1], s33, v7
	v_mov_b32_e32 v25, 0
	v_mov_b32_e32 v7, s37
	;; [unrolled: 1-line block ×11, first 2 shown]
	s_and_saveexec_b64 s[22:23], s[0:1]
	s_cbranch_execz .LBB18_27
; %bb.16:
	global_load_ubyte v31, v[1:2], off offset:2560
	global_load_ubyte v25, v[3:4], off offset:2560
	v_or_b32_e32 v7, 0xb00, v0
	v_cmp_gt_u32_e64 s[0:1], s33, v7
	v_mov_b32_e32 v27, 0
	v_mov_b32_e32 v7, s37
	;; [unrolled: 1-line block ×9, first 2 shown]
	s_and_saveexec_b64 s[24:25], s[0:1]
	s_cbranch_execz .LBB18_26
; %bb.17:
	global_load_ubyte v33, v[1:2], off offset:2816
	global_load_ubyte v27, v[3:4], off offset:2816
	v_or_b32_e32 v7, 0xc00, v0
	v_cmp_gt_u32_e64 s[0:1], s33, v7
	v_mov_b32_e32 v30, 0
	v_mov_b32_e32 v7, s37
	;; [unrolled: 1-line block ×7, first 2 shown]
	s_and_saveexec_b64 s[26:27], s[0:1]
	s_cbranch_execz .LBB18_25
; %bb.18:
	global_load_ubyte v35, v[1:2], off offset:3072
	global_load_ubyte v30, v[3:4], off offset:3072
	v_or_b32_e32 v7, 0xd00, v0
	v_cmp_gt_u32_e64 s[0:1], s33, v7
	v_mov_b32_e32 v32, 0
	v_mov_b32_e32 v7, s37
	;; [unrolled: 1-line block ×5, first 2 shown]
	s_and_saveexec_b64 s[28:29], s[0:1]
	s_cbranch_execz .LBB18_24
; %bb.19:
	global_load_ubyte v36, v[1:2], off offset:3328
	global_load_ubyte v32, v[3:4], off offset:3328
	v_or_b32_e32 v7, 0xe00, v0
	v_cmp_gt_u32_e64 s[0:1], s33, v7
	v_mov_b32_e32 v34, 0
	v_mov_b32_e32 v7, s37
	;; [unrolled: 1-line block ×3, first 2 shown]
	s_and_saveexec_b64 s[30:31], s[0:1]
	s_cbranch_execz .LBB18_23
; %bb.20:
	global_load_ubyte v37, v[1:2], off offset:3584
	global_load_ubyte v34, v[3:4], off offset:3584
	v_or_b32_e32 v7, 0xf00, v0
	v_cmp_gt_u32_e64 s[0:1], s33, v7
	v_mov_b32_e32 v7, s37
	s_and_saveexec_b64 s[34:35], s[0:1]
	s_cbranch_execz .LBB18_22
; %bb.21:
	global_load_ubyte v7, v[1:2], off offset:3840
	global_load_ubyte v38, v[3:4], off offset:3840
	s_and_b32 s0, s36, 0xff
	v_mov_b32_e32 v1, s37
	s_waitcnt vmcnt(1)
	v_cmp_lt_u16_e64 s[0:1], s0, v7
	s_waitcnt vmcnt(0)
	v_cndmask_b32_e64 v7, v1, v38, s[0:1]
.LBB18_22:
	s_or_b64 exec, exec, s[34:35]
.LBB18_23:
	s_or_b64 exec, exec, s[30:31]
.LBB18_24:
	s_or_b64 exec, exec, s[28:29]
.LBB18_25:
	s_or_b64 exec, exec, s[26:27]
.LBB18_26:
	s_or_b64 exec, exec, s[24:25]
.LBB18_27:
	s_or_b64 exec, exec, s[22:23]
.LBB18_28:
	s_or_b64 exec, exec, s[20:21]
.LBB18_29:
	s_or_b64 exec, exec, s[18:19]
.LBB18_30:
	s_or_b64 exec, exec, s[16:17]
.LBB18_31:
	s_or_b64 exec, exec, s[14:15]
.LBB18_32:
	s_or_b64 exec, exec, s[12:13]
.LBB18_33:
	s_or_b64 exec, exec, s[10:11]
.LBB18_34:
	s_or_b64 exec, exec, s[8:9]
.LBB18_35:
	s_or_b64 exec, exec, s[6:7]
.LBB18_36:
	s_or_b64 exec, exec, s[4:5]
.LBB18_37:
	s_or_b64 exec, exec, s[2:3]
	s_and_saveexec_b64 s[0:1], vcc
	s_cbranch_execz .LBB18_54
; %bb.38:
	s_and_b32 s0, 0xffff, s36
	s_lshr_b32 s58, s0, 8
	s_and_b32 s22, s36, 0xff
	v_mov_b32_e32 v1, s58
	s_waitcnt vmcnt(1)
	v_cmp_gt_u16_sdwa s[0:1], v12, s22 src0_sel:BYTE_0 src1_sel:DWORD
	s_mov_b32 s54, 0xffff
	s_waitcnt vmcnt(0)
	v_cndmask_b32_e64 v2, v1, v13, s[0:1]
	v_and_b32_sdwa v2, s54, v2 dst_sel:DWORD dst_unused:UNUSED_PAD src0_sel:DWORD src1_sel:BYTE_0
	v_cndmask_b32_e32 v2, 0, v2, vcc
	v_cmp_gt_u16_sdwa vcc, v16, s22 src0_sel:BYTE_0 src1_sel:DWORD
	v_cndmask_b32_e32 v3, v1, v15, vcc
	v_lshlrev_b16_e32 v3, 8, v3
	v_or_b32_e32 v3, v2, v3
	v_and_b32_e32 v3, 0xffff, v3
	v_cmp_gt_i32_e64 s[50:51], s33, v5
	v_cmp_gt_u16_sdwa vcc, v19, s22 src0_sel:BYTE_0 src1_sel:DWORD
	v_cndmask_b32_e64 v2, v2, v3, s[50:51]
	v_cndmask_b32_e32 v4, v1, v17, vcc
	s_mov_b32 s57, 0xc0c0304
	v_or_b32_e32 v3, 0x200, v0
	v_perm_b32 v4, v4, v2, s57
	v_lshl_or_b32 v4, v4, 16, v2
	v_cmp_gt_i32_e64 s[18:19], s33, v3
	v_cmp_gt_u16_sdwa vcc, v20, s22 src0_sel:BYTE_0 src1_sel:DWORD
	s_movk_i32 s55, 0xff
	v_cndmask_b32_e64 v2, v2, v4, s[18:19]
	v_cndmask_b32_e32 v1, v1, v18, vcc
	v_and_b32_sdwa v3, v2, s55 dst_sel:DWORD dst_unused:UNUSED_PAD src0_sel:WORD_1 src1_sel:DWORD
	v_lshlrev_b16_e32 v1, 8, v1
	v_or_b32_e32 v4, 0x300, v0
	v_or_b32_sdwa v1, v3, v1 dst_sel:WORD_1 dst_unused:UNUSED_PAD src0_sel:DWORD src1_sel:DWORD
	v_and_or_b32 v1, v2, s54, v1
	v_cmp_gt_i32_e64 s[20:21], s33, v4
	v_cndmask_b32_e64 v12, v2, v1, s[20:21]
	v_or_b32_e32 v1, 0x500, v0
	v_cmp_gt_i32_e64 s[16:17], s33, v1
	v_or_b32_e32 v1, 0x600, v0
	v_cmp_gt_i32_e64 s[14:15], s33, v1
	;; [unrolled: 2-line block ×7, first 2 shown]
	v_or_b32_e32 v1, 0xe00, v0
	v_or_b32_e32 v4, 0x400, v0
	;; [unrolled: 1-line block ×4, first 2 shown]
	v_cmp_gt_i32_e64 s[2:3], s33, v1
	v_or_b32_e32 v1, 0xf00, v0
	v_cmp_gt_u16_sdwa s[48:49], v22, s22 src0_sel:BYTE_0 src1_sel:DWORD
	v_cmp_gt_i32_e64 s[46:47], s33, v4
	v_cmp_gt_u16_sdwa vcc, v24, s22 src0_sel:BYTE_0 src1_sel:DWORD
	v_cmp_gt_u16_sdwa s[44:45], v23, s22 src0_sel:BYTE_0 src1_sel:DWORD
	v_cmp_gt_u16_sdwa s[42:43], v26, s22 src0_sel:BYTE_0 src1_sel:DWORD
	v_cmp_gt_i32_e64 s[34:35], s33, v3
	v_cmp_gt_u16_sdwa s[38:39], v28, s22 src0_sel:BYTE_0 src1_sel:DWORD
	v_cmp_gt_u16_sdwa s[40:41], v29, s22 src0_sel:BYTE_0 src1_sel:DWORD
	;; [unrolled: 1-line block ×5, first 2 shown]
	v_cmp_gt_i32_e64 s[26:27], s33, v2
	v_cmp_gt_u16_sdwa s[28:29], v36, s22 src0_sel:BYTE_0 src1_sel:DWORD
	v_cmp_gt_u16_sdwa s[22:23], v37, s22 src0_sel:BYTE_0 src1_sel:DWORD
	v_cmp_gt_i32_e64 s[0:1], s33, v1
	global_store_byte v6, v12, s[52:53]
	s_and_b64 exec, exec, s[50:51]
	s_cbranch_execz .LBB18_54
; %bb.39:
	v_mov_b32_e32 v1, s58
	v_cndmask_b32_e64 v6, v1, v8, s[48:49]
	s_mov_b32 s48, 0x3020104
	v_perm_b32 v6, v6, 0, s48
	v_cndmask_b32_e64 v6, 0, v6, s[46:47]
	v_cndmask_b32_sdwa v8, v1, v9, vcc dst_sel:BYTE_1 dst_unused:UNUSED_PAD src0_sel:DWORD src1_sel:DWORD
	v_or_b32_sdwa v8, v6, v8 dst_sel:DWORD dst_unused:UNUSED_PAD src0_sel:BYTE_0 src1_sel:DWORD
	v_and_b32_e32 v8, 0xffff, v8
	s_mov_b32 s46, 0xffff0000
	v_and_or_b32 v8, v6, s46, v8
	v_cndmask_b32_e64 v6, v6, v8, s[16:17]
	v_cndmask_b32_e64 v8, v1, v11, s[44:45]
	s_mov_b32 s44, 0x7000504
	v_perm_b32 v8, v6, v8, s44
	v_cndmask_b32_e64 v6, v6, v8, s[14:15]
	v_cndmask_b32_e64 v9, v1, v10, s[42:43]
	v_and_b32_sdwa v8, v6, s55 dst_sel:DWORD dst_unused:UNUSED_PAD src0_sel:WORD_1 src1_sel:DWORD
	v_lshlrev_b16_e32 v9, 8, v9
	v_or_b32_sdwa v8, v8, v9 dst_sel:WORD_1 dst_unused:UNUSED_PAD src0_sel:DWORD src1_sel:DWORD
	v_and_or_b32 v8, v6, s54, v8
	v_cndmask_b32_e64 v9, v6, v8, s[12:13]
	v_cndmask_b32_e64 v6, v1, v14, s[38:39]
	v_and_b32_sdwa v6, s54, v6 dst_sel:DWORD dst_unused:UNUSED_PAD src0_sel:DWORD src1_sel:BYTE_0
	v_cndmask_b32_e64 v8, v1, v21, s[40:41]
	v_cndmask_b32_e64 v6, 0, v6, s[34:35]
	v_lshlrev_b16_e32 v8, 8, v8
	v_or_b32_e32 v8, v6, v8
	v_and_b32_e32 v8, 0xffff, v8
	v_cndmask_b32_e64 v6, v6, v8, s[10:11]
	v_cndmask_b32_e64 v8, v1, v25, s[36:37]
	v_perm_b32 v8, v8, v6, s57
	v_lshl_or_b32 v8, v8, 16, v6
	v_cndmask_b32_e64 v6, v6, v8, s[8:9]
	v_cndmask_b32_e64 v10, v1, v27, s[30:31]
	v_and_b32_sdwa v8, v6, s55 dst_sel:DWORD dst_unused:UNUSED_PAD src0_sel:WORD_1 src1_sel:DWORD
	v_lshlrev_b16_e32 v10, 8, v10
	v_or_b32_sdwa v8, v8, v10 dst_sel:WORD_1 dst_unused:UNUSED_PAD src0_sel:DWORD src1_sel:DWORD
	v_and_or_b32 v8, v6, s54, v8
	v_cndmask_b32_e64 v8, v6, v8, s[6:7]
	v_cndmask_b32_e64 v6, v1, v30, s[24:25]
	v_perm_b32 v6, v6, 0, s48
	v_cndmask_b32_e64 v10, v1, v32, s[28:29]
	v_cndmask_b32_e64 v6, 0, v6, s[26:27]
	v_lshlrev_b16_e32 v10, 8, v10
	v_or_b32_sdwa v10, v6, v10 dst_sel:DWORD dst_unused:UNUSED_PAD src0_sel:BYTE_0 src1_sel:DWORD
	v_and_b32_e32 v10, 0xffff, v10
	v_and_or_b32 v10, v6, s46, v10
	v_cndmask_b32_e64 v6, v6, v10, s[4:5]
	v_cndmask_b32_e64 v1, v1, v34, s[22:23]
	v_perm_b32 v1, v6, v1, s44
	v_cndmask_b32_e64 v1, v6, v1, s[2:3]
	s_mov_b32 s22, 0x60504
	v_perm_b32 v6, v1, v7, s22
	v_cndmask_b32_e64 v6, v1, v6, s[0:1]
	v_or_b32_e32 v1, s56, v5
	v_lshrrev_b32_e32 v5, 8, v12
	global_store_byte v1, v5, s[52:53]
	s_and_b64 exec, exec, s[18:19]
	s_cbranch_execz .LBB18_54
; %bb.40:
	v_add_u32_e32 v0, s56, v0
	global_store_byte_d16_hi v0, v12, s[52:53] offset:512
	s_and_b64 exec, exec, s[20:21]
	s_cbranch_execz .LBB18_54
; %bb.41:
	v_mov_b32_e32 v1, s53
	v_add_co_u32_e32 v0, vcc, s52, v0
	v_addc_co_u32_e32 v1, vcc, 0, v1, vcc
	v_lshrrev_b32_e32 v5, 24, v12
	v_cmp_gt_u32_e32 vcc, s33, v4
	global_store_byte v[0:1], v5, off offset:768
	s_and_b64 exec, exec, vcc
	s_cbranch_execz .LBB18_54
; %bb.42:
	global_store_byte v[0:1], v9, off offset:1024
	s_and_b64 exec, exec, s[16:17]
	s_cbranch_execz .LBB18_54
; %bb.43:
	v_lshrrev_b32_e32 v4, 8, v9
	global_store_byte v[0:1], v4, off offset:1280
	s_and_b64 exec, exec, s[14:15]
	s_cbranch_execz .LBB18_54
; %bb.44:
	global_store_byte_d16_hi v[0:1], v9, off offset:1536
	s_and_b64 exec, exec, s[12:13]
	s_cbranch_execz .LBB18_54
; %bb.45:
	v_lshrrev_b32_e32 v4, 24, v9
	v_cmp_gt_u32_e32 vcc, s33, v3
	global_store_byte v[0:1], v4, off offset:1792
	s_and_b64 exec, exec, vcc
	s_cbranch_execz .LBB18_54
; %bb.46:
	global_store_byte v[0:1], v8, off offset:2048
	s_and_b64 exec, exec, s[10:11]
	s_cbranch_execz .LBB18_54
; %bb.47:
	v_lshrrev_b32_e32 v3, 8, v8
	global_store_byte v[0:1], v3, off offset:2304
	s_and_b64 exec, exec, s[8:9]
	s_cbranch_execz .LBB18_54
; %bb.48:
	global_store_byte_d16_hi v[0:1], v8, off offset:2560
	s_and_b64 exec, exec, s[6:7]
	s_cbranch_execz .LBB18_54
; %bb.49:
	;; [unrolled: 19-line block ×3, first 2 shown]
	v_lshrrev_b32_e32 v2, 24, v6
	global_store_byte v[0:1], v2, off offset:3840
.LBB18_54:
	s_endpgm
	.section	.rodata,"a",@progbits
	.p2align	6, 0x0
	.amdhsa_kernel _ZN2at6native29vectorized_elementwise_kernelILi4ENS0_13BinaryFunctorIhhhZNS0_12_GLOBAL__N_121threshold_kernel_implIhEEvRNS_18TensorIteratorBaseET_S7_EUlhhE_EESt5arrayIPcLm3EEEEviT0_T1_
		.amdhsa_group_segment_fixed_size 0
		.amdhsa_private_segment_fixed_size 0
		.amdhsa_kernarg_size 32
		.amdhsa_user_sgpr_count 6
		.amdhsa_user_sgpr_private_segment_buffer 1
		.amdhsa_user_sgpr_dispatch_ptr 0
		.amdhsa_user_sgpr_queue_ptr 0
		.amdhsa_user_sgpr_kernarg_segment_ptr 1
		.amdhsa_user_sgpr_dispatch_id 0
		.amdhsa_user_sgpr_flat_scratch_init 0
		.amdhsa_user_sgpr_private_segment_size 0
		.amdhsa_uses_dynamic_stack 0
		.amdhsa_system_sgpr_private_segment_wavefront_offset 0
		.amdhsa_system_sgpr_workgroup_id_x 1
		.amdhsa_system_sgpr_workgroup_id_y 0
		.amdhsa_system_sgpr_workgroup_id_z 0
		.amdhsa_system_sgpr_workgroup_info 0
		.amdhsa_system_vgpr_workitem_id 0
		.amdhsa_next_free_vgpr 39
		.amdhsa_next_free_sgpr 59
		.amdhsa_reserve_vcc 1
		.amdhsa_reserve_flat_scratch 0
		.amdhsa_float_round_mode_32 0
		.amdhsa_float_round_mode_16_64 0
		.amdhsa_float_denorm_mode_32 3
		.amdhsa_float_denorm_mode_16_64 3
		.amdhsa_dx10_clamp 1
		.amdhsa_ieee_mode 1
		.amdhsa_fp16_overflow 0
		.amdhsa_exception_fp_ieee_invalid_op 0
		.amdhsa_exception_fp_denorm_src 0
		.amdhsa_exception_fp_ieee_div_zero 0
		.amdhsa_exception_fp_ieee_overflow 0
		.amdhsa_exception_fp_ieee_underflow 0
		.amdhsa_exception_fp_ieee_inexact 0
		.amdhsa_exception_int_div_zero 0
	.end_amdhsa_kernel
	.section	.text._ZN2at6native29vectorized_elementwise_kernelILi4ENS0_13BinaryFunctorIhhhZNS0_12_GLOBAL__N_121threshold_kernel_implIhEEvRNS_18TensorIteratorBaseET_S7_EUlhhE_EESt5arrayIPcLm3EEEEviT0_T1_,"axG",@progbits,_ZN2at6native29vectorized_elementwise_kernelILi4ENS0_13BinaryFunctorIhhhZNS0_12_GLOBAL__N_121threshold_kernel_implIhEEvRNS_18TensorIteratorBaseET_S7_EUlhhE_EESt5arrayIPcLm3EEEEviT0_T1_,comdat
.Lfunc_end18:
	.size	_ZN2at6native29vectorized_elementwise_kernelILi4ENS0_13BinaryFunctorIhhhZNS0_12_GLOBAL__N_121threshold_kernel_implIhEEvRNS_18TensorIteratorBaseET_S7_EUlhhE_EESt5arrayIPcLm3EEEEviT0_T1_, .Lfunc_end18-_ZN2at6native29vectorized_elementwise_kernelILi4ENS0_13BinaryFunctorIhhhZNS0_12_GLOBAL__N_121threshold_kernel_implIhEEvRNS_18TensorIteratorBaseET_S7_EUlhhE_EESt5arrayIPcLm3EEEEviT0_T1_
                                        ; -- End function
	.set _ZN2at6native29vectorized_elementwise_kernelILi4ENS0_13BinaryFunctorIhhhZNS0_12_GLOBAL__N_121threshold_kernel_implIhEEvRNS_18TensorIteratorBaseET_S7_EUlhhE_EESt5arrayIPcLm3EEEEviT0_T1_.num_vgpr, 39
	.set _ZN2at6native29vectorized_elementwise_kernelILi4ENS0_13BinaryFunctorIhhhZNS0_12_GLOBAL__N_121threshold_kernel_implIhEEvRNS_18TensorIteratorBaseET_S7_EUlhhE_EESt5arrayIPcLm3EEEEviT0_T1_.num_agpr, 0
	.set _ZN2at6native29vectorized_elementwise_kernelILi4ENS0_13BinaryFunctorIhhhZNS0_12_GLOBAL__N_121threshold_kernel_implIhEEvRNS_18TensorIteratorBaseET_S7_EUlhhE_EESt5arrayIPcLm3EEEEviT0_T1_.numbered_sgpr, 59
	.set _ZN2at6native29vectorized_elementwise_kernelILi4ENS0_13BinaryFunctorIhhhZNS0_12_GLOBAL__N_121threshold_kernel_implIhEEvRNS_18TensorIteratorBaseET_S7_EUlhhE_EESt5arrayIPcLm3EEEEviT0_T1_.num_named_barrier, 0
	.set _ZN2at6native29vectorized_elementwise_kernelILi4ENS0_13BinaryFunctorIhhhZNS0_12_GLOBAL__N_121threshold_kernel_implIhEEvRNS_18TensorIteratorBaseET_S7_EUlhhE_EESt5arrayIPcLm3EEEEviT0_T1_.private_seg_size, 0
	.set _ZN2at6native29vectorized_elementwise_kernelILi4ENS0_13BinaryFunctorIhhhZNS0_12_GLOBAL__N_121threshold_kernel_implIhEEvRNS_18TensorIteratorBaseET_S7_EUlhhE_EESt5arrayIPcLm3EEEEviT0_T1_.uses_vcc, 1
	.set _ZN2at6native29vectorized_elementwise_kernelILi4ENS0_13BinaryFunctorIhhhZNS0_12_GLOBAL__N_121threshold_kernel_implIhEEvRNS_18TensorIteratorBaseET_S7_EUlhhE_EESt5arrayIPcLm3EEEEviT0_T1_.uses_flat_scratch, 0
	.set _ZN2at6native29vectorized_elementwise_kernelILi4ENS0_13BinaryFunctorIhhhZNS0_12_GLOBAL__N_121threshold_kernel_implIhEEvRNS_18TensorIteratorBaseET_S7_EUlhhE_EESt5arrayIPcLm3EEEEviT0_T1_.has_dyn_sized_stack, 0
	.set _ZN2at6native29vectorized_elementwise_kernelILi4ENS0_13BinaryFunctorIhhhZNS0_12_GLOBAL__N_121threshold_kernel_implIhEEvRNS_18TensorIteratorBaseET_S7_EUlhhE_EESt5arrayIPcLm3EEEEviT0_T1_.has_recursion, 0
	.set _ZN2at6native29vectorized_elementwise_kernelILi4ENS0_13BinaryFunctorIhhhZNS0_12_GLOBAL__N_121threshold_kernel_implIhEEvRNS_18TensorIteratorBaseET_S7_EUlhhE_EESt5arrayIPcLm3EEEEviT0_T1_.has_indirect_call, 0
	.section	.AMDGPU.csdata,"",@progbits
; Kernel info:
; codeLenInByte = 3760
; TotalNumSgprs: 63
; NumVgprs: 39
; ScratchSize: 0
; MemoryBound: 0
; FloatMode: 240
; IeeeMode: 1
; LDSByteSize: 0 bytes/workgroup (compile time only)
; SGPRBlocks: 7
; VGPRBlocks: 9
; NumSGPRsForWavesPerEU: 63
; NumVGPRsForWavesPerEU: 39
; Occupancy: 6
; WaveLimiterHint : 1
; COMPUTE_PGM_RSRC2:SCRATCH_EN: 0
; COMPUTE_PGM_RSRC2:USER_SGPR: 6
; COMPUTE_PGM_RSRC2:TRAP_HANDLER: 0
; COMPUTE_PGM_RSRC2:TGID_X_EN: 1
; COMPUTE_PGM_RSRC2:TGID_Y_EN: 0
; COMPUTE_PGM_RSRC2:TGID_Z_EN: 0
; COMPUTE_PGM_RSRC2:TIDIG_COMP_CNT: 0
	.section	.text._ZN2at6native29vectorized_elementwise_kernelILi2ENS0_13BinaryFunctorIhhhZNS0_12_GLOBAL__N_121threshold_kernel_implIhEEvRNS_18TensorIteratorBaseET_S7_EUlhhE_EESt5arrayIPcLm3EEEEviT0_T1_,"axG",@progbits,_ZN2at6native29vectorized_elementwise_kernelILi2ENS0_13BinaryFunctorIhhhZNS0_12_GLOBAL__N_121threshold_kernel_implIhEEvRNS_18TensorIteratorBaseET_S7_EUlhhE_EESt5arrayIPcLm3EEEEviT0_T1_,comdat
	.globl	_ZN2at6native29vectorized_elementwise_kernelILi2ENS0_13BinaryFunctorIhhhZNS0_12_GLOBAL__N_121threshold_kernel_implIhEEvRNS_18TensorIteratorBaseET_S7_EUlhhE_EESt5arrayIPcLm3EEEEviT0_T1_ ; -- Begin function _ZN2at6native29vectorized_elementwise_kernelILi2ENS0_13BinaryFunctorIhhhZNS0_12_GLOBAL__N_121threshold_kernel_implIhEEvRNS_18TensorIteratorBaseET_S7_EUlhhE_EESt5arrayIPcLm3EEEEviT0_T1_
	.p2align	8
	.type	_ZN2at6native29vectorized_elementwise_kernelILi2ENS0_13BinaryFunctorIhhhZNS0_12_GLOBAL__N_121threshold_kernel_implIhEEvRNS_18TensorIteratorBaseET_S7_EUlhhE_EESt5arrayIPcLm3EEEEviT0_T1_,@function
_ZN2at6native29vectorized_elementwise_kernelILi2ENS0_13BinaryFunctorIhhhZNS0_12_GLOBAL__N_121threshold_kernel_implIhEEvRNS_18TensorIteratorBaseET_S7_EUlhhE_EESt5arrayIPcLm3EEEEviT0_T1_: ; @_ZN2at6native29vectorized_elementwise_kernelILi2ENS0_13BinaryFunctorIhhhZNS0_12_GLOBAL__N_121threshold_kernel_implIhEEvRNS_18TensorIteratorBaseET_S7_EUlhhE_EESt5arrayIPcLm3EEEEviT0_T1_
; %bb.0:
	v_mov_b32_e32 v1, 0
	global_load_ushort v1, v1, s[4:5] offset:4
	s_load_dword s0, s[4:5], 0x0
	s_load_dwordx4 s[52:55], s[4:5], 0x8
	s_load_dwordx2 s[8:9], s[4:5], 0x18
	s_lshl_b32 s56, s6, 12
	s_waitcnt lgkmcnt(0)
	s_sub_i32 s33, s0, s56
	s_cmpk_gt_i32 s33, 0xfff
	s_mov_b64 s[0:1], -1
	s_waitcnt vmcnt(0)
	v_readfirstlane_b32 s36, v1
	s_cbranch_scc0 .LBB19_2
; %bb.1:
	s_and_b32 s0, 0xffff, s36
	s_lshr_b32 s4, s0, 8
	s_and_b32 s5, s36, 0xff
	s_ashr_i32 s6, s56, 31
	s_add_u32 s0, s54, s56
	s_addc_u32 s1, s55, s6
	s_add_u32 s2, s8, s56
	v_lshlrev_b32_e32 v1, 1, v0
	s_addc_u32 s3, s9, s6
	global_load_ushort v2, v1, s[2:3]
	global_load_ushort v3, v1, s[2:3] offset:512
	global_load_ushort v4, v1, s[2:3] offset:1024
	;; [unrolled: 1-line block ×7, first 2 shown]
	global_load_ushort v10, v1, s[0:1]
	global_load_ushort v11, v1, s[0:1] offset:512
	global_load_ushort v12, v1, s[0:1] offset:1024
	;; [unrolled: 1-line block ×6, first 2 shown]
                                        ; kill: killed $sgpr2 killed $sgpr3
	global_load_ushort v17, v1, s[0:1] offset:3584
	v_mov_b32_e32 v18, s4
	s_add_u32 s0, s52, s56
	s_addc_u32 s1, s53, s6
	s_waitcnt vmcnt(15)
	v_lshrrev_b16_e32 v19, 8, v2
	s_waitcnt vmcnt(14)
	v_lshrrev_b16_e32 v20, 8, v3
	;; [unrolled: 2-line block ×8, first 2 shown]
	s_waitcnt vmcnt(7)
	v_cmp_gt_u16_sdwa vcc, v10, s5 src0_sel:BYTE_0 src1_sel:DWORD
	v_cndmask_b32_e32 v2, v18, v2, vcc
	s_waitcnt vmcnt(6)
	v_cmp_gt_u16_sdwa vcc, v11, s5 src0_sel:BYTE_0 src1_sel:DWORD
	v_cndmask_b32_e32 v3, v18, v3, vcc
	s_waitcnt vmcnt(5)
	v_cmp_gt_u16_sdwa vcc, v12, s5 src0_sel:BYTE_0 src1_sel:DWORD
	v_cndmask_b32_e32 v4, v18, v4, vcc
	s_waitcnt vmcnt(4)
	v_cmp_gt_u16_sdwa vcc, v13, s5 src0_sel:BYTE_0 src1_sel:DWORD
	v_cndmask_b32_e32 v5, v18, v5, vcc
	s_waitcnt vmcnt(3)
	v_cmp_gt_u16_sdwa vcc, v14, s5 src0_sel:BYTE_0 src1_sel:DWORD
	v_cndmask_b32_e32 v6, v18, v6, vcc
	s_waitcnt vmcnt(2)
	v_cmp_gt_u16_sdwa vcc, v15, s5 src0_sel:BYTE_0 src1_sel:DWORD
	v_cndmask_b32_e32 v7, v18, v7, vcc
	s_waitcnt vmcnt(1)
	v_cmp_gt_u16_sdwa vcc, v16, s5 src0_sel:BYTE_0 src1_sel:DWORD
	v_cndmask_b32_e32 v8, v18, v8, vcc
	s_waitcnt vmcnt(0)
	v_cmp_gt_u16_sdwa vcc, v17, s5 src0_sel:BYTE_0 src1_sel:DWORD
	v_cndmask_b32_e32 v9, v18, v9, vcc
	v_cmp_gt_u16_sdwa vcc, v10, s5 src0_sel:BYTE_1 src1_sel:DWORD
	v_cndmask_b32_e32 v10, v18, v19, vcc
	v_cmp_gt_u16_sdwa vcc, v11, s5 src0_sel:BYTE_1 src1_sel:DWORD
	v_cndmask_b32_e32 v11, v18, v20, vcc
	;; [unrolled: 2-line block ×8, first 2 shown]
	v_lshlrev_b16_e32 v10, 8, v10
	v_lshlrev_b16_e32 v17, 8, v17
	;; [unrolled: 1-line block ×8, first 2 shown]
	v_or_b32_sdwa v2, v2, v10 dst_sel:DWORD dst_unused:UNUSED_PAD src0_sel:BYTE_0 src1_sel:DWORD
	v_or_b32_sdwa v9, v9, v17 dst_sel:DWORD dst_unused:UNUSED_PAD src0_sel:BYTE_0 src1_sel:DWORD
	;; [unrolled: 1-line block ×8, first 2 shown]
	global_store_short v1, v2, s[0:1]
	global_store_short v1, v3, s[0:1] offset:512
	global_store_short v1, v4, s[0:1] offset:1024
	;; [unrolled: 1-line block ×7, first 2 shown]
	s_mov_b64 s[0:1], 0
.LBB19_2:
	s_andn2_b64 vcc, exec, s[0:1]
	s_cbranch_vccnz .LBB19_54
; %bb.3:
	v_cmp_gt_i32_e32 vcc, s33, v0
	v_cmp_le_i32_e64 s[0:1], s33, v0
                                        ; implicit-def: $sgpr4
                                        ; implicit-def: $vgpr5
	s_and_saveexec_b64 s[2:3], s[0:1]
	s_xor_b64 s[0:1], exec, s[2:3]
; %bb.4:
	s_and_b32 s2, 0xffff, s36
	s_lshr_b32 s4, s2, 8
	v_or_b32_e32 v5, 0x100, v0
; %bb.5:
	s_or_saveexec_b64 s[2:3], s[0:1]
	v_mov_b32_e32 v37, 0
	v_mov_b32_e32 v7, s4
	v_or_b32_e32 v6, s56, v0
	v_mov_b32_e32 v34, 0
	v_mov_b32_e32 v36, 0
	;; [unrolled: 1-line block ×29, first 2 shown]
	s_xor_b64 exec, exec, s[2:3]
	s_cbranch_execz .LBB19_37
; %bb.6:
	global_load_ubyte v12, v6, s[54:55]
	global_load_ubyte v13, v6, s[8:9]
	s_and_b32 s0, 0xffff, s36
	s_lshr_b32 s37, s0, 8
	v_or_b32_e32 v5, 0x100, v0
	v_cmp_gt_u32_e64 s[0:1], s33, v5
	v_mov_b32_e32 v15, 0
	v_mov_b32_e32 v7, s37
	;; [unrolled: 1-line block ×29, first 2 shown]
	s_and_saveexec_b64 s[4:5], s[0:1]
	s_cbranch_execz .LBB19_36
; %bb.7:
	v_add_u32_e32 v3, s56, v0
	global_load_ubyte v16, v3, s[54:55] offset:256
	global_load_ubyte v15, v3, s[8:9] offset:256
	v_or_b32_e32 v1, 0x200, v0
	v_mov_b32_e32 v17, 0
	v_cmp_gt_u32_e64 s[0:1], s33, v1
	v_mov_b32_e32 v7, s37
	v_mov_b32_e32 v19, 0
	;; [unrolled: 1-line block ×26, first 2 shown]
	s_and_saveexec_b64 s[6:7], s[0:1]
	s_cbranch_execz .LBB19_35
; %bb.8:
	v_mov_b32_e32 v2, s55
	v_add_co_u32_e64 v1, s[0:1], s54, v3
	v_addc_co_u32_e64 v2, s[0:1], 0, v2, s[0:1]
	v_mov_b32_e32 v4, s9
	v_add_co_u32_e64 v3, s[0:1], s8, v3
	v_addc_co_u32_e64 v4, s[0:1], 0, v4, s[0:1]
	global_load_ubyte v19, v[1:2], off offset:512
	global_load_ubyte v17, v[3:4], off offset:512
	v_or_b32_e32 v7, 0x300, v0
	v_cmp_gt_u32_e64 s[0:1], s33, v7
	v_mov_b32_e32 v18, 0
	v_mov_b32_e32 v7, s37
	;; [unrolled: 1-line block ×25, first 2 shown]
	s_and_saveexec_b64 s[8:9], s[0:1]
	s_cbranch_execz .LBB19_34
; %bb.9:
	global_load_ubyte v20, v[1:2], off offset:768
	global_load_ubyte v18, v[3:4], off offset:768
	v_or_b32_e32 v7, 0x400, v0
	v_cmp_gt_u32_e64 s[0:1], s33, v7
	v_mov_b32_e32 v8, 0
	v_mov_b32_e32 v7, s37
	;; [unrolled: 1-line block ×23, first 2 shown]
	s_and_saveexec_b64 s[10:11], s[0:1]
	s_cbranch_execz .LBB19_33
; %bb.10:
	global_load_ubyte v22, v[1:2], off offset:1024
	global_load_ubyte v8, v[3:4], off offset:1024
	v_or_b32_e32 v7, 0x500, v0
	v_cmp_gt_u32_e64 s[0:1], s33, v7
	v_mov_b32_e32 v9, 0
	v_mov_b32_e32 v7, s37
	;; [unrolled: 1-line block ×21, first 2 shown]
	s_and_saveexec_b64 s[12:13], s[0:1]
	s_cbranch_execz .LBB19_32
; %bb.11:
	global_load_ubyte v24, v[1:2], off offset:1280
	global_load_ubyte v9, v[3:4], off offset:1280
	v_or_b32_e32 v7, 0x600, v0
	v_cmp_gt_u32_e64 s[0:1], s33, v7
	v_mov_b32_e32 v11, 0
	v_mov_b32_e32 v7, s37
	;; [unrolled: 1-line block ×19, first 2 shown]
	s_and_saveexec_b64 s[14:15], s[0:1]
	s_cbranch_execz .LBB19_31
; %bb.12:
	global_load_ubyte v23, v[1:2], off offset:1536
	global_load_ubyte v11, v[3:4], off offset:1536
	v_or_b32_e32 v7, 0x700, v0
	v_cmp_gt_u32_e64 s[0:1], s33, v7
	v_mov_b32_e32 v10, 0
	v_mov_b32_e32 v7, s37
	;; [unrolled: 1-line block ×17, first 2 shown]
	s_and_saveexec_b64 s[16:17], s[0:1]
	s_cbranch_execz .LBB19_30
; %bb.13:
	global_load_ubyte v26, v[1:2], off offset:1792
	global_load_ubyte v10, v[3:4], off offset:1792
	v_or_b32_e32 v7, 0x800, v0
	v_cmp_gt_u32_e64 s[0:1], s33, v7
	v_mov_b32_e32 v14, 0
	v_mov_b32_e32 v7, s37
	;; [unrolled: 1-line block ×15, first 2 shown]
	s_and_saveexec_b64 s[18:19], s[0:1]
	s_cbranch_execz .LBB19_29
; %bb.14:
	global_load_ubyte v28, v[1:2], off offset:2048
	global_load_ubyte v14, v[3:4], off offset:2048
	v_or_b32_e32 v7, 0x900, v0
	v_cmp_gt_u32_e64 s[0:1], s33, v7
	v_mov_b32_e32 v21, 0
	v_mov_b32_e32 v7, s37
	v_mov_b32_e32 v29, 0
	v_mov_b32_e32 v25, 0
	v_mov_b32_e32 v31, 0
	v_mov_b32_e32 v27, 0
	v_mov_b32_e32 v33, 0
	v_mov_b32_e32 v30, 0
	v_mov_b32_e32 v35, 0
	v_mov_b32_e32 v32, 0
	v_mov_b32_e32 v36, 0
	v_mov_b32_e32 v34, 0
	v_mov_b32_e32 v37, 0
	s_and_saveexec_b64 s[20:21], s[0:1]
	s_cbranch_execz .LBB19_28
; %bb.15:
	global_load_ubyte v29, v[1:2], off offset:2304
	global_load_ubyte v21, v[3:4], off offset:2304
	v_or_b32_e32 v7, 0xa00, v0
	v_cmp_gt_u32_e64 s[0:1], s33, v7
	v_mov_b32_e32 v25, 0
	v_mov_b32_e32 v7, s37
	;; [unrolled: 1-line block ×11, first 2 shown]
	s_and_saveexec_b64 s[22:23], s[0:1]
	s_cbranch_execz .LBB19_27
; %bb.16:
	global_load_ubyte v31, v[1:2], off offset:2560
	global_load_ubyte v25, v[3:4], off offset:2560
	v_or_b32_e32 v7, 0xb00, v0
	v_cmp_gt_u32_e64 s[0:1], s33, v7
	v_mov_b32_e32 v27, 0
	v_mov_b32_e32 v7, s37
	v_mov_b32_e32 v33, 0
	v_mov_b32_e32 v30, 0
	v_mov_b32_e32 v35, 0
	v_mov_b32_e32 v32, 0
	v_mov_b32_e32 v36, 0
	v_mov_b32_e32 v34, 0
	v_mov_b32_e32 v37, 0
	s_and_saveexec_b64 s[24:25], s[0:1]
	s_cbranch_execz .LBB19_26
; %bb.17:
	global_load_ubyte v33, v[1:2], off offset:2816
	global_load_ubyte v27, v[3:4], off offset:2816
	v_or_b32_e32 v7, 0xc00, v0
	v_cmp_gt_u32_e64 s[0:1], s33, v7
	v_mov_b32_e32 v30, 0
	v_mov_b32_e32 v7, s37
	;; [unrolled: 1-line block ×7, first 2 shown]
	s_and_saveexec_b64 s[26:27], s[0:1]
	s_cbranch_execz .LBB19_25
; %bb.18:
	global_load_ubyte v35, v[1:2], off offset:3072
	global_load_ubyte v30, v[3:4], off offset:3072
	v_or_b32_e32 v7, 0xd00, v0
	v_cmp_gt_u32_e64 s[0:1], s33, v7
	v_mov_b32_e32 v32, 0
	v_mov_b32_e32 v7, s37
	;; [unrolled: 1-line block ×5, first 2 shown]
	s_and_saveexec_b64 s[28:29], s[0:1]
	s_cbranch_execz .LBB19_24
; %bb.19:
	global_load_ubyte v36, v[1:2], off offset:3328
	global_load_ubyte v32, v[3:4], off offset:3328
	v_or_b32_e32 v7, 0xe00, v0
	v_cmp_gt_u32_e64 s[0:1], s33, v7
	v_mov_b32_e32 v34, 0
	v_mov_b32_e32 v7, s37
	;; [unrolled: 1-line block ×3, first 2 shown]
	s_and_saveexec_b64 s[30:31], s[0:1]
	s_cbranch_execz .LBB19_23
; %bb.20:
	global_load_ubyte v37, v[1:2], off offset:3584
	global_load_ubyte v34, v[3:4], off offset:3584
	v_or_b32_e32 v7, 0xf00, v0
	v_cmp_gt_u32_e64 s[0:1], s33, v7
	v_mov_b32_e32 v7, s37
	s_and_saveexec_b64 s[34:35], s[0:1]
	s_cbranch_execz .LBB19_22
; %bb.21:
	global_load_ubyte v7, v[1:2], off offset:3840
	global_load_ubyte v38, v[3:4], off offset:3840
	s_and_b32 s0, s36, 0xff
	v_mov_b32_e32 v1, s37
	s_waitcnt vmcnt(1)
	v_cmp_lt_u16_e64 s[0:1], s0, v7
	s_waitcnt vmcnt(0)
	v_cndmask_b32_e64 v7, v1, v38, s[0:1]
.LBB19_22:
	s_or_b64 exec, exec, s[34:35]
.LBB19_23:
	s_or_b64 exec, exec, s[30:31]
.LBB19_24:
	s_or_b64 exec, exec, s[28:29]
.LBB19_25:
	s_or_b64 exec, exec, s[26:27]
.LBB19_26:
	s_or_b64 exec, exec, s[24:25]
.LBB19_27:
	s_or_b64 exec, exec, s[22:23]
.LBB19_28:
	s_or_b64 exec, exec, s[20:21]
.LBB19_29:
	s_or_b64 exec, exec, s[18:19]
.LBB19_30:
	s_or_b64 exec, exec, s[16:17]
.LBB19_31:
	s_or_b64 exec, exec, s[14:15]
.LBB19_32:
	s_or_b64 exec, exec, s[12:13]
.LBB19_33:
	s_or_b64 exec, exec, s[10:11]
.LBB19_34:
	s_or_b64 exec, exec, s[8:9]
.LBB19_35:
	s_or_b64 exec, exec, s[6:7]
.LBB19_36:
	s_or_b64 exec, exec, s[4:5]
.LBB19_37:
	s_or_b64 exec, exec, s[2:3]
	s_and_saveexec_b64 s[0:1], vcc
	s_cbranch_execz .LBB19_54
; %bb.38:
	s_and_b32 s0, 0xffff, s36
	s_lshr_b32 s58, s0, 8
	s_and_b32 s22, s36, 0xff
	v_mov_b32_e32 v1, s58
	s_waitcnt vmcnt(1)
	v_cmp_gt_u16_sdwa s[0:1], v12, s22 src0_sel:BYTE_0 src1_sel:DWORD
	s_mov_b32 s54, 0xffff
	s_waitcnt vmcnt(0)
	v_cndmask_b32_e64 v2, v1, v13, s[0:1]
	v_and_b32_sdwa v2, s54, v2 dst_sel:DWORD dst_unused:UNUSED_PAD src0_sel:DWORD src1_sel:BYTE_0
	v_cndmask_b32_e32 v2, 0, v2, vcc
	v_cmp_gt_u16_sdwa vcc, v16, s22 src0_sel:BYTE_0 src1_sel:DWORD
	v_cndmask_b32_e32 v3, v1, v15, vcc
	v_lshlrev_b16_e32 v3, 8, v3
	v_or_b32_e32 v3, v2, v3
	v_and_b32_e32 v3, 0xffff, v3
	v_cmp_gt_i32_e64 s[50:51], s33, v5
	v_cmp_gt_u16_sdwa vcc, v19, s22 src0_sel:BYTE_0 src1_sel:DWORD
	v_cndmask_b32_e64 v2, v2, v3, s[50:51]
	v_cndmask_b32_e32 v4, v1, v17, vcc
	s_mov_b32 s57, 0xc0c0304
	v_or_b32_e32 v3, 0x200, v0
	v_perm_b32 v4, v4, v2, s57
	v_lshl_or_b32 v4, v4, 16, v2
	v_cmp_gt_i32_e64 s[18:19], s33, v3
	v_cmp_gt_u16_sdwa vcc, v20, s22 src0_sel:BYTE_0 src1_sel:DWORD
	s_movk_i32 s55, 0xff
	v_cndmask_b32_e64 v2, v2, v4, s[18:19]
	v_cndmask_b32_e32 v1, v1, v18, vcc
	v_and_b32_sdwa v3, v2, s55 dst_sel:DWORD dst_unused:UNUSED_PAD src0_sel:WORD_1 src1_sel:DWORD
	v_lshlrev_b16_e32 v1, 8, v1
	v_or_b32_e32 v4, 0x300, v0
	v_or_b32_sdwa v1, v3, v1 dst_sel:WORD_1 dst_unused:UNUSED_PAD src0_sel:DWORD src1_sel:DWORD
	v_and_or_b32 v1, v2, s54, v1
	v_cmp_gt_i32_e64 s[20:21], s33, v4
	v_cndmask_b32_e64 v12, v2, v1, s[20:21]
	v_or_b32_e32 v1, 0x500, v0
	v_cmp_gt_i32_e64 s[16:17], s33, v1
	v_or_b32_e32 v1, 0x600, v0
	v_cmp_gt_i32_e64 s[14:15], s33, v1
	;; [unrolled: 2-line block ×7, first 2 shown]
	v_or_b32_e32 v1, 0xe00, v0
	v_or_b32_e32 v4, 0x400, v0
	;; [unrolled: 1-line block ×4, first 2 shown]
	v_cmp_gt_i32_e64 s[2:3], s33, v1
	v_or_b32_e32 v1, 0xf00, v0
	v_cmp_gt_u16_sdwa s[48:49], v22, s22 src0_sel:BYTE_0 src1_sel:DWORD
	v_cmp_gt_i32_e64 s[46:47], s33, v4
	v_cmp_gt_u16_sdwa vcc, v24, s22 src0_sel:BYTE_0 src1_sel:DWORD
	v_cmp_gt_u16_sdwa s[44:45], v23, s22 src0_sel:BYTE_0 src1_sel:DWORD
	v_cmp_gt_u16_sdwa s[42:43], v26, s22 src0_sel:BYTE_0 src1_sel:DWORD
	v_cmp_gt_i32_e64 s[34:35], s33, v3
	v_cmp_gt_u16_sdwa s[38:39], v28, s22 src0_sel:BYTE_0 src1_sel:DWORD
	v_cmp_gt_u16_sdwa s[40:41], v29, s22 src0_sel:BYTE_0 src1_sel:DWORD
	;; [unrolled: 1-line block ×5, first 2 shown]
	v_cmp_gt_i32_e64 s[26:27], s33, v2
	v_cmp_gt_u16_sdwa s[28:29], v36, s22 src0_sel:BYTE_0 src1_sel:DWORD
	v_cmp_gt_u16_sdwa s[22:23], v37, s22 src0_sel:BYTE_0 src1_sel:DWORD
	v_cmp_gt_i32_e64 s[0:1], s33, v1
	global_store_byte v6, v12, s[52:53]
	s_and_b64 exec, exec, s[50:51]
	s_cbranch_execz .LBB19_54
; %bb.39:
	v_mov_b32_e32 v1, s58
	v_cndmask_b32_e64 v6, v1, v8, s[48:49]
	s_mov_b32 s48, 0x3020104
	v_perm_b32 v6, v6, 0, s48
	v_cndmask_b32_e64 v6, 0, v6, s[46:47]
	v_cndmask_b32_sdwa v8, v1, v9, vcc dst_sel:BYTE_1 dst_unused:UNUSED_PAD src0_sel:DWORD src1_sel:DWORD
	v_or_b32_sdwa v8, v6, v8 dst_sel:DWORD dst_unused:UNUSED_PAD src0_sel:BYTE_0 src1_sel:DWORD
	v_and_b32_e32 v8, 0xffff, v8
	s_mov_b32 s46, 0xffff0000
	v_and_or_b32 v8, v6, s46, v8
	v_cndmask_b32_e64 v6, v6, v8, s[16:17]
	v_cndmask_b32_e64 v8, v1, v11, s[44:45]
	s_mov_b32 s44, 0x7000504
	v_perm_b32 v8, v6, v8, s44
	v_cndmask_b32_e64 v6, v6, v8, s[14:15]
	v_cndmask_b32_e64 v9, v1, v10, s[42:43]
	v_and_b32_sdwa v8, v6, s55 dst_sel:DWORD dst_unused:UNUSED_PAD src0_sel:WORD_1 src1_sel:DWORD
	v_lshlrev_b16_e32 v9, 8, v9
	v_or_b32_sdwa v8, v8, v9 dst_sel:WORD_1 dst_unused:UNUSED_PAD src0_sel:DWORD src1_sel:DWORD
	v_and_or_b32 v8, v6, s54, v8
	v_cndmask_b32_e64 v9, v6, v8, s[12:13]
	v_cndmask_b32_e64 v6, v1, v14, s[38:39]
	v_and_b32_sdwa v6, s54, v6 dst_sel:DWORD dst_unused:UNUSED_PAD src0_sel:DWORD src1_sel:BYTE_0
	v_cndmask_b32_e64 v8, v1, v21, s[40:41]
	v_cndmask_b32_e64 v6, 0, v6, s[34:35]
	v_lshlrev_b16_e32 v8, 8, v8
	v_or_b32_e32 v8, v6, v8
	v_and_b32_e32 v8, 0xffff, v8
	v_cndmask_b32_e64 v6, v6, v8, s[10:11]
	v_cndmask_b32_e64 v8, v1, v25, s[36:37]
	v_perm_b32 v8, v8, v6, s57
	v_lshl_or_b32 v8, v8, 16, v6
	v_cndmask_b32_e64 v6, v6, v8, s[8:9]
	v_cndmask_b32_e64 v10, v1, v27, s[30:31]
	v_and_b32_sdwa v8, v6, s55 dst_sel:DWORD dst_unused:UNUSED_PAD src0_sel:WORD_1 src1_sel:DWORD
	v_lshlrev_b16_e32 v10, 8, v10
	v_or_b32_sdwa v8, v8, v10 dst_sel:WORD_1 dst_unused:UNUSED_PAD src0_sel:DWORD src1_sel:DWORD
	v_and_or_b32 v8, v6, s54, v8
	v_cndmask_b32_e64 v8, v6, v8, s[6:7]
	v_cndmask_b32_e64 v6, v1, v30, s[24:25]
	v_perm_b32 v6, v6, 0, s48
	v_cndmask_b32_e64 v10, v1, v32, s[28:29]
	v_cndmask_b32_e64 v6, 0, v6, s[26:27]
	v_lshlrev_b16_e32 v10, 8, v10
	v_or_b32_sdwa v10, v6, v10 dst_sel:DWORD dst_unused:UNUSED_PAD src0_sel:BYTE_0 src1_sel:DWORD
	v_and_b32_e32 v10, 0xffff, v10
	v_and_or_b32 v10, v6, s46, v10
	v_cndmask_b32_e64 v6, v6, v10, s[4:5]
	v_cndmask_b32_e64 v1, v1, v34, s[22:23]
	v_perm_b32 v1, v6, v1, s44
	v_cndmask_b32_e64 v1, v6, v1, s[2:3]
	s_mov_b32 s22, 0x60504
	v_perm_b32 v6, v1, v7, s22
	v_cndmask_b32_e64 v6, v1, v6, s[0:1]
	v_or_b32_e32 v1, s56, v5
	v_lshrrev_b32_e32 v5, 8, v12
	global_store_byte v1, v5, s[52:53]
	s_and_b64 exec, exec, s[18:19]
	s_cbranch_execz .LBB19_54
; %bb.40:
	v_add_u32_e32 v0, s56, v0
	global_store_byte_d16_hi v0, v12, s[52:53] offset:512
	s_and_b64 exec, exec, s[20:21]
	s_cbranch_execz .LBB19_54
; %bb.41:
	v_mov_b32_e32 v1, s53
	v_add_co_u32_e32 v0, vcc, s52, v0
	v_addc_co_u32_e32 v1, vcc, 0, v1, vcc
	v_lshrrev_b32_e32 v5, 24, v12
	v_cmp_gt_u32_e32 vcc, s33, v4
	global_store_byte v[0:1], v5, off offset:768
	s_and_b64 exec, exec, vcc
	s_cbranch_execz .LBB19_54
; %bb.42:
	global_store_byte v[0:1], v9, off offset:1024
	s_and_b64 exec, exec, s[16:17]
	s_cbranch_execz .LBB19_54
; %bb.43:
	v_lshrrev_b32_e32 v4, 8, v9
	global_store_byte v[0:1], v4, off offset:1280
	s_and_b64 exec, exec, s[14:15]
	s_cbranch_execz .LBB19_54
; %bb.44:
	global_store_byte_d16_hi v[0:1], v9, off offset:1536
	s_and_b64 exec, exec, s[12:13]
	s_cbranch_execz .LBB19_54
; %bb.45:
	v_lshrrev_b32_e32 v4, 24, v9
	v_cmp_gt_u32_e32 vcc, s33, v3
	global_store_byte v[0:1], v4, off offset:1792
	s_and_b64 exec, exec, vcc
	s_cbranch_execz .LBB19_54
; %bb.46:
	global_store_byte v[0:1], v8, off offset:2048
	s_and_b64 exec, exec, s[10:11]
	s_cbranch_execz .LBB19_54
; %bb.47:
	v_lshrrev_b32_e32 v3, 8, v8
	global_store_byte v[0:1], v3, off offset:2304
	s_and_b64 exec, exec, s[8:9]
	s_cbranch_execz .LBB19_54
; %bb.48:
	global_store_byte_d16_hi v[0:1], v8, off offset:2560
	s_and_b64 exec, exec, s[6:7]
	s_cbranch_execz .LBB19_54
; %bb.49:
	;; [unrolled: 19-line block ×3, first 2 shown]
	v_lshrrev_b32_e32 v2, 24, v6
	global_store_byte v[0:1], v2, off offset:3840
.LBB19_54:
	s_endpgm
	.section	.rodata,"a",@progbits
	.p2align	6, 0x0
	.amdhsa_kernel _ZN2at6native29vectorized_elementwise_kernelILi2ENS0_13BinaryFunctorIhhhZNS0_12_GLOBAL__N_121threshold_kernel_implIhEEvRNS_18TensorIteratorBaseET_S7_EUlhhE_EESt5arrayIPcLm3EEEEviT0_T1_
		.amdhsa_group_segment_fixed_size 0
		.amdhsa_private_segment_fixed_size 0
		.amdhsa_kernarg_size 32
		.amdhsa_user_sgpr_count 6
		.amdhsa_user_sgpr_private_segment_buffer 1
		.amdhsa_user_sgpr_dispatch_ptr 0
		.amdhsa_user_sgpr_queue_ptr 0
		.amdhsa_user_sgpr_kernarg_segment_ptr 1
		.amdhsa_user_sgpr_dispatch_id 0
		.amdhsa_user_sgpr_flat_scratch_init 0
		.amdhsa_user_sgpr_private_segment_size 0
		.amdhsa_uses_dynamic_stack 0
		.amdhsa_system_sgpr_private_segment_wavefront_offset 0
		.amdhsa_system_sgpr_workgroup_id_x 1
		.amdhsa_system_sgpr_workgroup_id_y 0
		.amdhsa_system_sgpr_workgroup_id_z 0
		.amdhsa_system_sgpr_workgroup_info 0
		.amdhsa_system_vgpr_workitem_id 0
		.amdhsa_next_free_vgpr 39
		.amdhsa_next_free_sgpr 59
		.amdhsa_reserve_vcc 1
		.amdhsa_reserve_flat_scratch 0
		.amdhsa_float_round_mode_32 0
		.amdhsa_float_round_mode_16_64 0
		.amdhsa_float_denorm_mode_32 3
		.amdhsa_float_denorm_mode_16_64 3
		.amdhsa_dx10_clamp 1
		.amdhsa_ieee_mode 1
		.amdhsa_fp16_overflow 0
		.amdhsa_exception_fp_ieee_invalid_op 0
		.amdhsa_exception_fp_denorm_src 0
		.amdhsa_exception_fp_ieee_div_zero 0
		.amdhsa_exception_fp_ieee_overflow 0
		.amdhsa_exception_fp_ieee_underflow 0
		.amdhsa_exception_fp_ieee_inexact 0
		.amdhsa_exception_int_div_zero 0
	.end_amdhsa_kernel
	.section	.text._ZN2at6native29vectorized_elementwise_kernelILi2ENS0_13BinaryFunctorIhhhZNS0_12_GLOBAL__N_121threshold_kernel_implIhEEvRNS_18TensorIteratorBaseET_S7_EUlhhE_EESt5arrayIPcLm3EEEEviT0_T1_,"axG",@progbits,_ZN2at6native29vectorized_elementwise_kernelILi2ENS0_13BinaryFunctorIhhhZNS0_12_GLOBAL__N_121threshold_kernel_implIhEEvRNS_18TensorIteratorBaseET_S7_EUlhhE_EESt5arrayIPcLm3EEEEviT0_T1_,comdat
.Lfunc_end19:
	.size	_ZN2at6native29vectorized_elementwise_kernelILi2ENS0_13BinaryFunctorIhhhZNS0_12_GLOBAL__N_121threshold_kernel_implIhEEvRNS_18TensorIteratorBaseET_S7_EUlhhE_EESt5arrayIPcLm3EEEEviT0_T1_, .Lfunc_end19-_ZN2at6native29vectorized_elementwise_kernelILi2ENS0_13BinaryFunctorIhhhZNS0_12_GLOBAL__N_121threshold_kernel_implIhEEvRNS_18TensorIteratorBaseET_S7_EUlhhE_EESt5arrayIPcLm3EEEEviT0_T1_
                                        ; -- End function
	.set _ZN2at6native29vectorized_elementwise_kernelILi2ENS0_13BinaryFunctorIhhhZNS0_12_GLOBAL__N_121threshold_kernel_implIhEEvRNS_18TensorIteratorBaseET_S7_EUlhhE_EESt5arrayIPcLm3EEEEviT0_T1_.num_vgpr, 39
	.set _ZN2at6native29vectorized_elementwise_kernelILi2ENS0_13BinaryFunctorIhhhZNS0_12_GLOBAL__N_121threshold_kernel_implIhEEvRNS_18TensorIteratorBaseET_S7_EUlhhE_EESt5arrayIPcLm3EEEEviT0_T1_.num_agpr, 0
	.set _ZN2at6native29vectorized_elementwise_kernelILi2ENS0_13BinaryFunctorIhhhZNS0_12_GLOBAL__N_121threshold_kernel_implIhEEvRNS_18TensorIteratorBaseET_S7_EUlhhE_EESt5arrayIPcLm3EEEEviT0_T1_.numbered_sgpr, 59
	.set _ZN2at6native29vectorized_elementwise_kernelILi2ENS0_13BinaryFunctorIhhhZNS0_12_GLOBAL__N_121threshold_kernel_implIhEEvRNS_18TensorIteratorBaseET_S7_EUlhhE_EESt5arrayIPcLm3EEEEviT0_T1_.num_named_barrier, 0
	.set _ZN2at6native29vectorized_elementwise_kernelILi2ENS0_13BinaryFunctorIhhhZNS0_12_GLOBAL__N_121threshold_kernel_implIhEEvRNS_18TensorIteratorBaseET_S7_EUlhhE_EESt5arrayIPcLm3EEEEviT0_T1_.private_seg_size, 0
	.set _ZN2at6native29vectorized_elementwise_kernelILi2ENS0_13BinaryFunctorIhhhZNS0_12_GLOBAL__N_121threshold_kernel_implIhEEvRNS_18TensorIteratorBaseET_S7_EUlhhE_EESt5arrayIPcLm3EEEEviT0_T1_.uses_vcc, 1
	.set _ZN2at6native29vectorized_elementwise_kernelILi2ENS0_13BinaryFunctorIhhhZNS0_12_GLOBAL__N_121threshold_kernel_implIhEEvRNS_18TensorIteratorBaseET_S7_EUlhhE_EESt5arrayIPcLm3EEEEviT0_T1_.uses_flat_scratch, 0
	.set _ZN2at6native29vectorized_elementwise_kernelILi2ENS0_13BinaryFunctorIhhhZNS0_12_GLOBAL__N_121threshold_kernel_implIhEEvRNS_18TensorIteratorBaseET_S7_EUlhhE_EESt5arrayIPcLm3EEEEviT0_T1_.has_dyn_sized_stack, 0
	.set _ZN2at6native29vectorized_elementwise_kernelILi2ENS0_13BinaryFunctorIhhhZNS0_12_GLOBAL__N_121threshold_kernel_implIhEEvRNS_18TensorIteratorBaseET_S7_EUlhhE_EESt5arrayIPcLm3EEEEviT0_T1_.has_recursion, 0
	.set _ZN2at6native29vectorized_elementwise_kernelILi2ENS0_13BinaryFunctorIhhhZNS0_12_GLOBAL__N_121threshold_kernel_implIhEEvRNS_18TensorIteratorBaseET_S7_EUlhhE_EESt5arrayIPcLm3EEEEviT0_T1_.has_indirect_call, 0
	.section	.AMDGPU.csdata,"",@progbits
; Kernel info:
; codeLenInByte = 3816
; TotalNumSgprs: 63
; NumVgprs: 39
; ScratchSize: 0
; MemoryBound: 0
; FloatMode: 240
; IeeeMode: 1
; LDSByteSize: 0 bytes/workgroup (compile time only)
; SGPRBlocks: 7
; VGPRBlocks: 9
; NumSGPRsForWavesPerEU: 63
; NumVGPRsForWavesPerEU: 39
; Occupancy: 6
; WaveLimiterHint : 1
; COMPUTE_PGM_RSRC2:SCRATCH_EN: 0
; COMPUTE_PGM_RSRC2:USER_SGPR: 6
; COMPUTE_PGM_RSRC2:TRAP_HANDLER: 0
; COMPUTE_PGM_RSRC2:TGID_X_EN: 1
; COMPUTE_PGM_RSRC2:TGID_Y_EN: 0
; COMPUTE_PGM_RSRC2:TGID_Z_EN: 0
; COMPUTE_PGM_RSRC2:TIDIG_COMP_CNT: 0
	.section	.text._ZN2at6native27unrolled_elementwise_kernelINS0_13BinaryFunctorIhhhZNS0_12_GLOBAL__N_121threshold_kernel_implIhEEvRNS_18TensorIteratorBaseET_S7_EUlhhE_EESt5arrayIPcLm3EELi4E23TrivialOffsetCalculatorILi2EjESD_ILi1EjENS0_6memory15LoadWithoutCastENSG_16StoreWithoutCastEEEviS7_T0_T2_T3_T4_T5_,"axG",@progbits,_ZN2at6native27unrolled_elementwise_kernelINS0_13BinaryFunctorIhhhZNS0_12_GLOBAL__N_121threshold_kernel_implIhEEvRNS_18TensorIteratorBaseET_S7_EUlhhE_EESt5arrayIPcLm3EELi4E23TrivialOffsetCalculatorILi2EjESD_ILi1EjENS0_6memory15LoadWithoutCastENSG_16StoreWithoutCastEEEviS7_T0_T2_T3_T4_T5_,comdat
	.globl	_ZN2at6native27unrolled_elementwise_kernelINS0_13BinaryFunctorIhhhZNS0_12_GLOBAL__N_121threshold_kernel_implIhEEvRNS_18TensorIteratorBaseET_S7_EUlhhE_EESt5arrayIPcLm3EELi4E23TrivialOffsetCalculatorILi2EjESD_ILi1EjENS0_6memory15LoadWithoutCastENSG_16StoreWithoutCastEEEviS7_T0_T2_T3_T4_T5_ ; -- Begin function _ZN2at6native27unrolled_elementwise_kernelINS0_13BinaryFunctorIhhhZNS0_12_GLOBAL__N_121threshold_kernel_implIhEEvRNS_18TensorIteratorBaseET_S7_EUlhhE_EESt5arrayIPcLm3EELi4E23TrivialOffsetCalculatorILi2EjESD_ILi1EjENS0_6memory15LoadWithoutCastENSG_16StoreWithoutCastEEEviS7_T0_T2_T3_T4_T5_
	.p2align	8
	.type	_ZN2at6native27unrolled_elementwise_kernelINS0_13BinaryFunctorIhhhZNS0_12_GLOBAL__N_121threshold_kernel_implIhEEvRNS_18TensorIteratorBaseET_S7_EUlhhE_EESt5arrayIPcLm3EELi4E23TrivialOffsetCalculatorILi2EjESD_ILi1EjENS0_6memory15LoadWithoutCastENSG_16StoreWithoutCastEEEviS7_T0_T2_T3_T4_T5_,@function
_ZN2at6native27unrolled_elementwise_kernelINS0_13BinaryFunctorIhhhZNS0_12_GLOBAL__N_121threshold_kernel_implIhEEvRNS_18TensorIteratorBaseET_S7_EUlhhE_EESt5arrayIPcLm3EELi4E23TrivialOffsetCalculatorILi2EjESD_ILi1EjENS0_6memory15LoadWithoutCastENSG_16StoreWithoutCastEEEviS7_T0_T2_T3_T4_T5_: ; @_ZN2at6native27unrolled_elementwise_kernelINS0_13BinaryFunctorIhhhZNS0_12_GLOBAL__N_121threshold_kernel_implIhEEvRNS_18TensorIteratorBaseET_S7_EUlhhE_EESt5arrayIPcLm3EELi4E23TrivialOffsetCalculatorILi2EjESD_ILi1EjENS0_6memory15LoadWithoutCastENSG_16StoreWithoutCastEEEviS7_T0_T2_T3_T4_T5_
; %bb.0:
	v_mov_b32_e32 v3, 0
	global_load_ushort v1, v3, s[4:5] offset:4
	s_load_dword s0, s[4:5], 0x0
	s_load_dwordx4 s[8:11], s[4:5], 0x8
	s_load_dwordx2 s[12:13], s[4:5], 0x18
	s_lshl_b32 s16, s6, 10
                                        ; implicit-def: $sgpr4
	s_waitcnt lgkmcnt(0)
	s_sub_i32 s17, s0, s16
	v_cmp_gt_i32_e32 vcc, s17, v0
	v_cmp_le_i32_e64 s[0:1], s17, v0
	s_waitcnt vmcnt(0)
	v_readfirstlane_b32 s18, v1
                                        ; implicit-def: $vgpr1
	s_and_saveexec_b64 s[2:3], s[0:1]
	s_xor_b64 s[0:1], exec, s[2:3]
; %bb.1:
	s_and_b32 s2, 0xffff, s18
	s_lshr_b32 s4, s2, 8
	v_or_b32_e32 v1, 0x100, v0
; %bb.2:
	s_or_saveexec_b64 s[2:3], s[0:1]
	v_mov_b32_e32 v7, s4
	v_or_b32_e32 v2, s16, v0
	v_mov_b32_e32 v6, 0
	v_mov_b32_e32 v9, 0
	;; [unrolled: 1-line block ×5, first 2 shown]
	s_xor_b64 exec, exec, s[2:3]
	s_cbranch_execz .LBB20_10
; %bb.3:
	global_load_ubyte v4, v2, s[10:11]
	global_load_ubyte v8, v2, s[12:13]
	s_and_b32 s0, 0xffff, s18
	s_lshr_b32 s19, s0, 8
	v_or_b32_e32 v1, 0x100, v0
	v_cmp_gt_u32_e64 s[0:1], s17, v1
	v_mov_b32_e32 v5, 0
	v_mov_b32_e32 v7, s19
	;; [unrolled: 1-line block ×5, first 2 shown]
	s_and_saveexec_b64 s[4:5], s[0:1]
	s_cbranch_execz .LBB20_9
; %bb.4:
	v_add_u32_e32 v3, s16, v1
	global_load_ubyte v9, v3, s[10:11]
	global_load_ubyte v5, v3, s[12:13]
	v_or_b32_e32 v10, 0x200, v0
	v_cmp_gt_u32_e64 s[0:1], s17, v10
	v_mov_b32_e32 v6, 0
	v_mov_b32_e32 v7, s19
	;; [unrolled: 1-line block ×3, first 2 shown]
	s_and_saveexec_b64 s[6:7], s[0:1]
	s_cbranch_execz .LBB20_8
; %bb.5:
	v_add_u32_e32 v7, s16, v10
	global_load_ubyte v3, v7, s[10:11]
	global_load_ubyte v6, v7, s[12:13]
	v_or_b32_e32 v10, 0x300, v0
	v_cmp_gt_u32_e64 s[0:1], s17, v10
	v_mov_b32_e32 v7, s19
	s_and_saveexec_b64 s[14:15], s[0:1]
	s_cbranch_execz .LBB20_7
; %bb.6:
	v_add_u32_e32 v7, s16, v10
	global_load_ubyte v10, v7, s[10:11]
	global_load_ubyte v11, v7, s[12:13]
	s_and_b32 s0, s18, 0xff
	v_mov_b32_e32 v7, s19
	s_waitcnt vmcnt(1)
	v_cmp_lt_u16_e64 s[0:1], s0, v10
	s_waitcnt vmcnt(0)
	v_cndmask_b32_e64 v7, v7, v11, s[0:1]
.LBB20_7:
	s_or_b64 exec, exec, s[14:15]
.LBB20_8:
	s_or_b64 exec, exec, s[6:7]
.LBB20_9:
	s_or_b64 exec, exec, s[4:5]
.LBB20_10:
	s_or_b64 exec, exec, s[2:3]
	s_and_saveexec_b64 s[0:1], vcc
	s_cbranch_execz .LBB20_15
; %bb.11:
	s_and_b32 s0, 0xffff, s18
	s_lshr_b32 s0, s0, 8
	s_and_b32 s5, s18, 0xff
	v_mov_b32_e32 v10, s0
	s_waitcnt vmcnt(1)
	v_cmp_gt_u16_sdwa s[0:1], v4, s5 src0_sel:BYTE_0 src1_sel:DWORD
	s_mov_b32 s4, 0xffff
	s_waitcnt vmcnt(0)
	v_cndmask_b32_e64 v4, v10, v8, s[0:1]
	v_and_b32_sdwa v4, s4, v4 dst_sel:DWORD dst_unused:UNUSED_PAD src0_sel:DWORD src1_sel:BYTE_0
	v_cndmask_b32_e32 v4, 0, v4, vcc
	v_cmp_gt_u16_sdwa vcc, v9, s5 src0_sel:BYTE_0 src1_sel:DWORD
	v_cndmask_b32_e32 v5, v10, v5, vcc
	v_lshlrev_b16_e32 v5, 8, v5
	v_or_b32_e32 v5, v4, v5
	v_and_b32_e32 v5, 0xffff, v5
	v_cmp_gt_i32_e64 s[2:3], s17, v1
	v_cmp_gt_u16_sdwa vcc, v3, s5 src0_sel:BYTE_0 src1_sel:DWORD
	v_cndmask_b32_e64 v5, v4, v5, s[2:3]
	v_cndmask_b32_e32 v3, v10, v6, vcc
	s_mov_b32 s0, 0xc0c0304
	v_or_b32_e32 v4, 0x200, v0
	v_perm_b32 v3, v3, v5, s0
	v_lshl_or_b32 v3, v3, 16, v5
	v_cmp_gt_i32_e32 vcc, s17, v4
	v_cndmask_b32_e32 v3, v5, v3, vcc
	s_mov_b32 s0, 0xc0c0006
	v_perm_b32 v5, v3, v7, s0
	v_or_b32_e32 v0, 0x300, v0
	v_lshlrev_b32_e32 v5, 16, v5
	v_and_or_b32 v5, v3, s4, v5
	v_cmp_gt_i32_e64 s[0:1], s17, v0
	v_cndmask_b32_e64 v3, v3, v5, s[0:1]
	global_store_byte v2, v3, s[8:9]
	s_and_b64 exec, exec, s[2:3]
	s_cbranch_execz .LBB20_15
; %bb.12:
	v_add_u32_e32 v1, s16, v1
	v_lshrrev_b32_e32 v2, 8, v3
	global_store_byte v1, v2, s[8:9]
	s_and_b64 exec, exec, vcc
	s_cbranch_execz .LBB20_15
; %bb.13:
	v_add_u32_e32 v1, s16, v4
	global_store_byte_d16_hi v1, v3, s[8:9]
	s_and_b64 exec, exec, s[0:1]
	s_cbranch_execz .LBB20_15
; %bb.14:
	v_lshrrev_b32_e32 v1, 24, v3
	v_add_u32_e32 v0, s16, v0
	global_store_byte v0, v1, s[8:9]
.LBB20_15:
	s_endpgm
	.section	.rodata,"a",@progbits
	.p2align	6, 0x0
	.amdhsa_kernel _ZN2at6native27unrolled_elementwise_kernelINS0_13BinaryFunctorIhhhZNS0_12_GLOBAL__N_121threshold_kernel_implIhEEvRNS_18TensorIteratorBaseET_S7_EUlhhE_EESt5arrayIPcLm3EELi4E23TrivialOffsetCalculatorILi2EjESD_ILi1EjENS0_6memory15LoadWithoutCastENSG_16StoreWithoutCastEEEviS7_T0_T2_T3_T4_T5_
		.amdhsa_group_segment_fixed_size 0
		.amdhsa_private_segment_fixed_size 0
		.amdhsa_kernarg_size 36
		.amdhsa_user_sgpr_count 6
		.amdhsa_user_sgpr_private_segment_buffer 1
		.amdhsa_user_sgpr_dispatch_ptr 0
		.amdhsa_user_sgpr_queue_ptr 0
		.amdhsa_user_sgpr_kernarg_segment_ptr 1
		.amdhsa_user_sgpr_dispatch_id 0
		.amdhsa_user_sgpr_flat_scratch_init 0
		.amdhsa_user_sgpr_private_segment_size 0
		.amdhsa_uses_dynamic_stack 0
		.amdhsa_system_sgpr_private_segment_wavefront_offset 0
		.amdhsa_system_sgpr_workgroup_id_x 1
		.amdhsa_system_sgpr_workgroup_id_y 0
		.amdhsa_system_sgpr_workgroup_id_z 0
		.amdhsa_system_sgpr_workgroup_info 0
		.amdhsa_system_vgpr_workitem_id 0
		.amdhsa_next_free_vgpr 12
		.amdhsa_next_free_sgpr 20
		.amdhsa_reserve_vcc 1
		.amdhsa_reserve_flat_scratch 0
		.amdhsa_float_round_mode_32 0
		.amdhsa_float_round_mode_16_64 0
		.amdhsa_float_denorm_mode_32 3
		.amdhsa_float_denorm_mode_16_64 3
		.amdhsa_dx10_clamp 1
		.amdhsa_ieee_mode 1
		.amdhsa_fp16_overflow 0
		.amdhsa_exception_fp_ieee_invalid_op 0
		.amdhsa_exception_fp_denorm_src 0
		.amdhsa_exception_fp_ieee_div_zero 0
		.amdhsa_exception_fp_ieee_overflow 0
		.amdhsa_exception_fp_ieee_underflow 0
		.amdhsa_exception_fp_ieee_inexact 0
		.amdhsa_exception_int_div_zero 0
	.end_amdhsa_kernel
	.section	.text._ZN2at6native27unrolled_elementwise_kernelINS0_13BinaryFunctorIhhhZNS0_12_GLOBAL__N_121threshold_kernel_implIhEEvRNS_18TensorIteratorBaseET_S7_EUlhhE_EESt5arrayIPcLm3EELi4E23TrivialOffsetCalculatorILi2EjESD_ILi1EjENS0_6memory15LoadWithoutCastENSG_16StoreWithoutCastEEEviS7_T0_T2_T3_T4_T5_,"axG",@progbits,_ZN2at6native27unrolled_elementwise_kernelINS0_13BinaryFunctorIhhhZNS0_12_GLOBAL__N_121threshold_kernel_implIhEEvRNS_18TensorIteratorBaseET_S7_EUlhhE_EESt5arrayIPcLm3EELi4E23TrivialOffsetCalculatorILi2EjESD_ILi1EjENS0_6memory15LoadWithoutCastENSG_16StoreWithoutCastEEEviS7_T0_T2_T3_T4_T5_,comdat
.Lfunc_end20:
	.size	_ZN2at6native27unrolled_elementwise_kernelINS0_13BinaryFunctorIhhhZNS0_12_GLOBAL__N_121threshold_kernel_implIhEEvRNS_18TensorIteratorBaseET_S7_EUlhhE_EESt5arrayIPcLm3EELi4E23TrivialOffsetCalculatorILi2EjESD_ILi1EjENS0_6memory15LoadWithoutCastENSG_16StoreWithoutCastEEEviS7_T0_T2_T3_T4_T5_, .Lfunc_end20-_ZN2at6native27unrolled_elementwise_kernelINS0_13BinaryFunctorIhhhZNS0_12_GLOBAL__N_121threshold_kernel_implIhEEvRNS_18TensorIteratorBaseET_S7_EUlhhE_EESt5arrayIPcLm3EELi4E23TrivialOffsetCalculatorILi2EjESD_ILi1EjENS0_6memory15LoadWithoutCastENSG_16StoreWithoutCastEEEviS7_T0_T2_T3_T4_T5_
                                        ; -- End function
	.set _ZN2at6native27unrolled_elementwise_kernelINS0_13BinaryFunctorIhhhZNS0_12_GLOBAL__N_121threshold_kernel_implIhEEvRNS_18TensorIteratorBaseET_S7_EUlhhE_EESt5arrayIPcLm3EELi4E23TrivialOffsetCalculatorILi2EjESD_ILi1EjENS0_6memory15LoadWithoutCastENSG_16StoreWithoutCastEEEviS7_T0_T2_T3_T4_T5_.num_vgpr, 12
	.set _ZN2at6native27unrolled_elementwise_kernelINS0_13BinaryFunctorIhhhZNS0_12_GLOBAL__N_121threshold_kernel_implIhEEvRNS_18TensorIteratorBaseET_S7_EUlhhE_EESt5arrayIPcLm3EELi4E23TrivialOffsetCalculatorILi2EjESD_ILi1EjENS0_6memory15LoadWithoutCastENSG_16StoreWithoutCastEEEviS7_T0_T2_T3_T4_T5_.num_agpr, 0
	.set _ZN2at6native27unrolled_elementwise_kernelINS0_13BinaryFunctorIhhhZNS0_12_GLOBAL__N_121threshold_kernel_implIhEEvRNS_18TensorIteratorBaseET_S7_EUlhhE_EESt5arrayIPcLm3EELi4E23TrivialOffsetCalculatorILi2EjESD_ILi1EjENS0_6memory15LoadWithoutCastENSG_16StoreWithoutCastEEEviS7_T0_T2_T3_T4_T5_.numbered_sgpr, 20
	.set _ZN2at6native27unrolled_elementwise_kernelINS0_13BinaryFunctorIhhhZNS0_12_GLOBAL__N_121threshold_kernel_implIhEEvRNS_18TensorIteratorBaseET_S7_EUlhhE_EESt5arrayIPcLm3EELi4E23TrivialOffsetCalculatorILi2EjESD_ILi1EjENS0_6memory15LoadWithoutCastENSG_16StoreWithoutCastEEEviS7_T0_T2_T3_T4_T5_.num_named_barrier, 0
	.set _ZN2at6native27unrolled_elementwise_kernelINS0_13BinaryFunctorIhhhZNS0_12_GLOBAL__N_121threshold_kernel_implIhEEvRNS_18TensorIteratorBaseET_S7_EUlhhE_EESt5arrayIPcLm3EELi4E23TrivialOffsetCalculatorILi2EjESD_ILi1EjENS0_6memory15LoadWithoutCastENSG_16StoreWithoutCastEEEviS7_T0_T2_T3_T4_T5_.private_seg_size, 0
	.set _ZN2at6native27unrolled_elementwise_kernelINS0_13BinaryFunctorIhhhZNS0_12_GLOBAL__N_121threshold_kernel_implIhEEvRNS_18TensorIteratorBaseET_S7_EUlhhE_EESt5arrayIPcLm3EELi4E23TrivialOffsetCalculatorILi2EjESD_ILi1EjENS0_6memory15LoadWithoutCastENSG_16StoreWithoutCastEEEviS7_T0_T2_T3_T4_T5_.uses_vcc, 1
	.set _ZN2at6native27unrolled_elementwise_kernelINS0_13BinaryFunctorIhhhZNS0_12_GLOBAL__N_121threshold_kernel_implIhEEvRNS_18TensorIteratorBaseET_S7_EUlhhE_EESt5arrayIPcLm3EELi4E23TrivialOffsetCalculatorILi2EjESD_ILi1EjENS0_6memory15LoadWithoutCastENSG_16StoreWithoutCastEEEviS7_T0_T2_T3_T4_T5_.uses_flat_scratch, 0
	.set _ZN2at6native27unrolled_elementwise_kernelINS0_13BinaryFunctorIhhhZNS0_12_GLOBAL__N_121threshold_kernel_implIhEEvRNS_18TensorIteratorBaseET_S7_EUlhhE_EESt5arrayIPcLm3EELi4E23TrivialOffsetCalculatorILi2EjESD_ILi1EjENS0_6memory15LoadWithoutCastENSG_16StoreWithoutCastEEEviS7_T0_T2_T3_T4_T5_.has_dyn_sized_stack, 0
	.set _ZN2at6native27unrolled_elementwise_kernelINS0_13BinaryFunctorIhhhZNS0_12_GLOBAL__N_121threshold_kernel_implIhEEvRNS_18TensorIteratorBaseET_S7_EUlhhE_EESt5arrayIPcLm3EELi4E23TrivialOffsetCalculatorILi2EjESD_ILi1EjENS0_6memory15LoadWithoutCastENSG_16StoreWithoutCastEEEviS7_T0_T2_T3_T4_T5_.has_recursion, 0
	.set _ZN2at6native27unrolled_elementwise_kernelINS0_13BinaryFunctorIhhhZNS0_12_GLOBAL__N_121threshold_kernel_implIhEEvRNS_18TensorIteratorBaseET_S7_EUlhhE_EESt5arrayIPcLm3EELi4E23TrivialOffsetCalculatorILi2EjESD_ILi1EjENS0_6memory15LoadWithoutCastENSG_16StoreWithoutCastEEEviS7_T0_T2_T3_T4_T5_.has_indirect_call, 0
	.section	.AMDGPU.csdata,"",@progbits
; Kernel info:
; codeLenInByte = 688
; TotalNumSgprs: 24
; NumVgprs: 12
; ScratchSize: 0
; MemoryBound: 0
; FloatMode: 240
; IeeeMode: 1
; LDSByteSize: 0 bytes/workgroup (compile time only)
; SGPRBlocks: 2
; VGPRBlocks: 2
; NumSGPRsForWavesPerEU: 24
; NumVGPRsForWavesPerEU: 12
; Occupancy: 10
; WaveLimiterHint : 0
; COMPUTE_PGM_RSRC2:SCRATCH_EN: 0
; COMPUTE_PGM_RSRC2:USER_SGPR: 6
; COMPUTE_PGM_RSRC2:TRAP_HANDLER: 0
; COMPUTE_PGM_RSRC2:TGID_X_EN: 1
; COMPUTE_PGM_RSRC2:TGID_Y_EN: 0
; COMPUTE_PGM_RSRC2:TGID_Z_EN: 0
; COMPUTE_PGM_RSRC2:TIDIG_COMP_CNT: 0
	.section	.text._ZN2at6native32elementwise_kernel_manual_unrollILi128ELi8EZNS0_22gpu_kernel_impl_nocastINS0_13BinaryFunctorIhhhZNS0_12_GLOBAL__N_121threshold_kernel_implIhEEvRNS_18TensorIteratorBaseET_S8_EUlhhE_EEEEvS7_RKS8_EUlibE_EEviT1_,"axG",@progbits,_ZN2at6native32elementwise_kernel_manual_unrollILi128ELi8EZNS0_22gpu_kernel_impl_nocastINS0_13BinaryFunctorIhhhZNS0_12_GLOBAL__N_121threshold_kernel_implIhEEvRNS_18TensorIteratorBaseET_S8_EUlhhE_EEEEvS7_RKS8_EUlibE_EEviT1_,comdat
	.globl	_ZN2at6native32elementwise_kernel_manual_unrollILi128ELi8EZNS0_22gpu_kernel_impl_nocastINS0_13BinaryFunctorIhhhZNS0_12_GLOBAL__N_121threshold_kernel_implIhEEvRNS_18TensorIteratorBaseET_S8_EUlhhE_EEEEvS7_RKS8_EUlibE_EEviT1_ ; -- Begin function _ZN2at6native32elementwise_kernel_manual_unrollILi128ELi8EZNS0_22gpu_kernel_impl_nocastINS0_13BinaryFunctorIhhhZNS0_12_GLOBAL__N_121threshold_kernel_implIhEEvRNS_18TensorIteratorBaseET_S8_EUlhhE_EEEEvS7_RKS8_EUlibE_EEviT1_
	.p2align	8
	.type	_ZN2at6native32elementwise_kernel_manual_unrollILi128ELi8EZNS0_22gpu_kernel_impl_nocastINS0_13BinaryFunctorIhhhZNS0_12_GLOBAL__N_121threshold_kernel_implIhEEvRNS_18TensorIteratorBaseET_S8_EUlhhE_EEEEvS7_RKS8_EUlibE_EEviT1_,@function
_ZN2at6native32elementwise_kernel_manual_unrollILi128ELi8EZNS0_22gpu_kernel_impl_nocastINS0_13BinaryFunctorIhhhZNS0_12_GLOBAL__N_121threshold_kernel_implIhEEvRNS_18TensorIteratorBaseET_S8_EUlhhE_EEEEvS7_RKS8_EUlibE_EEviT1_: ; @_ZN2at6native32elementwise_kernel_manual_unrollILi128ELi8EZNS0_22gpu_kernel_impl_nocastINS0_13BinaryFunctorIhhhZNS0_12_GLOBAL__N_121threshold_kernel_implIhEEvRNS_18TensorIteratorBaseET_S8_EUlhhE_EEEEvS7_RKS8_EUlibE_EEviT1_
; %bb.0:
	s_load_dword s38, s[4:5], 0x0
	s_load_dword s33, s[4:5], 0x8
	s_add_u32 s12, s4, 8
	s_addc_u32 s13, s5, 0
	v_lshl_or_b32 v31, s6, 10, v0
	v_or_b32_e32 v41, 0x380, v31
	s_waitcnt lgkmcnt(0)
	s_add_i32 s34, s33, -1
	s_cmp_gt_u32 s34, 1
	v_cmp_le_i32_e32 vcc, s38, v41
	s_cselect_b64 s[14:15], -1, 0
	s_and_saveexec_b64 s[0:1], vcc
	s_xor_b64 s[16:17], exec, s[0:1]
	s_cbranch_execz .LBB21_106
; %bb.1:
	s_cmp_lg_u32 s33, 0
	s_load_dwordx4 s[8:11], s[12:13], 0x4
	s_load_dwordx2 s[22:23], s[12:13], 0x14
	s_load_dwordx4 s[4:7], s[12:13], 0xc4
	s_load_dwordx2 s[20:21], s[12:13], 0xd4
	s_load_dword s35, s[12:13], 0x1a0
	s_load_dwordx2 s[18:19], s[12:13], 0x198
	s_load_dwordx4 s[0:3], s[12:13], 0x188
	s_cselect_b64 s[26:27], -1, 0
	s_min_u32 s37, s34, 15
	s_cmp_gt_u32 s33, 1
	s_cselect_b64 s[24:25], -1, 0
	s_waitcnt lgkmcnt(0)
	s_bfe_u32 s36, s35, 0x80008
	v_cmp_gt_i32_e32 vcc, s38, v31
	s_and_saveexec_b64 s[28:29], vcc
	s_cbranch_execnz .LBB21_9
; %bb.2:
	s_or_b64 exec, exec, s[28:29]
	v_cmp_gt_i32_e32 vcc, s38, v31
	s_and_saveexec_b64 s[28:29], vcc
	s_cbranch_execnz .LBB21_21
.LBB21_3:
	s_or_b64 exec, exec, s[28:29]
	v_cmp_gt_i32_e32 vcc, s38, v31
	s_and_saveexec_b64 s[28:29], vcc
	s_cbranch_execnz .LBB21_33
.LBB21_4:
	s_or_b64 exec, exec, s[28:29]
	v_cmp_gt_i32_e32 vcc, s38, v31
	s_and_saveexec_b64 s[28:29], vcc
	s_cbranch_execnz .LBB21_45
.LBB21_5:
	s_or_b64 exec, exec, s[28:29]
	v_cmp_gt_i32_e32 vcc, s38, v31
	s_and_saveexec_b64 s[28:29], vcc
	s_cbranch_execnz .LBB21_57
.LBB21_6:
	s_or_b64 exec, exec, s[28:29]
	v_cmp_gt_i32_e32 vcc, s38, v31
	s_and_saveexec_b64 s[28:29], vcc
	s_cbranch_execnz .LBB21_69
.LBB21_7:
	s_or_b64 exec, exec, s[28:29]
	v_cmp_gt_i32_e32 vcc, s38, v31
	s_and_saveexec_b64 s[28:29], vcc
	s_cbranch_execnz .LBB21_81
.LBB21_8:
	s_or_b64 exec, exec, s[28:29]
	v_cmp_gt_i32_e32 vcc, s38, v31
	s_and_saveexec_b64 s[28:29], vcc
	s_cbranch_execnz .LBB21_93
	s_branch .LBB21_105
.LBB21_9:
	s_andn2_b64 vcc, exec, s[14:15]
	s_cbranch_vccnz .LBB21_15
; %bb.10:
	s_andn2_b64 vcc, exec, s[26:27]
	s_cbranch_vccnz .LBB21_16
; %bb.11:
	s_add_i32 s30, s37, 1
	s_and_b32 s39, s30, 30
	s_add_u32 s30, s12, 0xffffffe8
	s_addc_u32 s31, s13, -1
	v_mov_b32_e32 v2, 0
	v_mov_b32_e32 v4, 0
	;; [unrolled: 1-line block ×4, first 2 shown]
.LBB21_12:                              ; =>This Inner Loop Header: Depth=1
	s_load_dwordx4 s[40:43], s[30:31], 0x1c
	s_load_dwordx2 s[48:49], s[30:31], 0x2c
	s_load_dwordx2 s[50:51], s[30:31], 0xec
	s_load_dwordx4 s[44:47], s[30:31], 0xdc
	s_add_u32 s30, s30, 24
	s_waitcnt lgkmcnt(0)
	v_mul_hi_u32 v3, s41, v1
	s_addc_u32 s31, s31, 0
	s_add_i32 s39, s39, -2
	s_cmp_lg_u32 s39, 0
	v_add_u32_e32 v3, v1, v3
	v_lshrrev_b32_e32 v3, s42, v3
	v_mul_lo_u32 v5, v3, s40
	v_mul_hi_u32 v6, s48, v3
	v_sub_u32_e32 v5, v1, v5
	v_add_u32_e32 v1, v3, v6
	v_lshrrev_b32_e32 v1, s49, v1
	v_mul_lo_u32 v8, v1, s43
	v_mul_lo_u32 v6, v5, s44
	;; [unrolled: 1-line block ×4, first 2 shown]
	v_sub_u32_e32 v3, v3, v8
	v_mul_lo_u32 v8, v3, s47
	v_mul_lo_u32 v9, v3, s50
	;; [unrolled: 1-line block ×3, first 2 shown]
	v_add3_u32 v0, v6, v0, v8
	v_add3_u32 v4, v7, v4, v9
	;; [unrolled: 1-line block ×3, first 2 shown]
	s_cbranch_scc1 .LBB21_12
; %bb.13:
	s_bitcmp1_b32 s37, 0
	s_cselect_b64 s[40:41], -1, 0
	s_and_b64 vcc, exec, s[40:41]
	s_cbranch_vccnz .LBB21_17
; %bb.14:
	s_load_dwordx2 s[40:41], s[30:31], 0x1c
	s_load_dword s39, s[30:31], 0x24
	s_load_dwordx2 s[42:43], s[30:31], 0xdc
	s_waitcnt lgkmcnt(0)
	v_mul_hi_u32 v3, s41, v1
	v_add_u32_e32 v3, v1, v3
	v_lshrrev_b32_e32 v3, s39, v3
	v_mul_lo_u32 v3, v3, s40
	s_load_dword s39, s[30:31], 0xe4
	v_sub_u32_e32 v3, v1, v3
	v_mad_u64_u32 v[0:1], s[30:31], v3, s42, v[0:1]
	v_mad_u64_u32 v[4:5], s[30:31], v3, s43, v[4:5]
	s_waitcnt lgkmcnt(0)
	v_mad_u64_u32 v[2:3], s[30:31], v3, s39, v[2:3]
	s_cbranch_execz .LBB21_18
	s_branch .LBB21_20
.LBB21_15:
                                        ; implicit-def: $vgpr0
                                        ; implicit-def: $vgpr4
                                        ; implicit-def: $vgpr2
	s_branch .LBB21_18
.LBB21_16:
	v_mov_b32_e32 v0, 0
	v_mov_b32_e32 v4, 0
	;; [unrolled: 1-line block ×3, first 2 shown]
.LBB21_17:
	s_cbranch_execnz .LBB21_20
.LBB21_18:
	v_mul_hi_u32 v0, s9, v31
	s_andn2_b64 vcc, exec, s[24:25]
	v_add_u32_e32 v0, v31, v0
	v_lshrrev_b32_e32 v1, s10, v0
	v_mul_lo_u32 v0, v1, s8
	v_sub_u32_e32 v2, v31, v0
	v_mul_lo_u32 v0, v2, s4
	v_mul_lo_u32 v4, v2, s5
	;; [unrolled: 1-line block ×3, first 2 shown]
	s_cbranch_vccnz .LBB21_20
; %bb.19:
	v_mul_hi_u32 v3, s22, v1
	v_add_u32_e32 v3, v1, v3
	v_lshrrev_b32_e32 v3, s23, v3
	v_mul_lo_u32 v3, v3, s11
	v_sub_u32_e32 v3, v1, v3
	v_mad_u64_u32 v[0:1], s[30:31], v3, s7, v[0:1]
	v_mad_u64_u32 v[4:5], s[30:31], v3, s20, v[4:5]
	;; [unrolled: 1-line block ×3, first 2 shown]
.LBB21_20:
	global_load_ubyte v1, v4, s[2:3]
	global_load_ubyte v3, v2, s[18:19]
	s_and_b32 s30, s35, 0xff
	v_mov_b32_e32 v2, s36
	v_add_u32_e32 v31, 0x80, v31
	s_waitcnt vmcnt(1)
	v_cmp_lt_u16_e32 vcc, s30, v1
	s_waitcnt vmcnt(0)
	v_cndmask_b32_e32 v1, v2, v3, vcc
	global_store_byte v0, v1, s[0:1]
	s_or_b64 exec, exec, s[28:29]
	v_cmp_gt_i32_e32 vcc, s38, v31
	s_and_saveexec_b64 s[28:29], vcc
	s_cbranch_execz .LBB21_3
.LBB21_21:
	s_andn2_b64 vcc, exec, s[14:15]
	s_cbranch_vccnz .LBB21_27
; %bb.22:
	s_andn2_b64 vcc, exec, s[26:27]
	s_cbranch_vccnz .LBB21_28
; %bb.23:
	s_add_i32 s30, s37, 1
	s_and_b32 s39, s30, 30
	s_add_u32 s30, s12, 0xffffffe8
	s_addc_u32 s31, s13, -1
	v_mov_b32_e32 v2, 0
	v_mov_b32_e32 v4, 0
	v_mov_b32_e32 v0, 0
	v_mov_b32_e32 v1, v31
.LBB21_24:                              ; =>This Inner Loop Header: Depth=1
	s_load_dwordx4 s[40:43], s[30:31], 0x1c
	s_load_dwordx2 s[48:49], s[30:31], 0x2c
	s_load_dwordx2 s[50:51], s[30:31], 0xec
	s_load_dwordx4 s[44:47], s[30:31], 0xdc
	s_add_u32 s30, s30, 24
	s_waitcnt lgkmcnt(0)
	v_mul_hi_u32 v3, s41, v1
	s_addc_u32 s31, s31, 0
	s_add_i32 s39, s39, -2
	s_cmp_eq_u32 s39, 0
	v_add_u32_e32 v3, v1, v3
	v_lshrrev_b32_e32 v3, s42, v3
	v_mul_lo_u32 v5, v3, s40
	v_mul_hi_u32 v6, s48, v3
	v_sub_u32_e32 v5, v1, v5
	v_add_u32_e32 v1, v3, v6
	v_lshrrev_b32_e32 v1, s49, v1
	v_mul_lo_u32 v8, v1, s43
	v_mul_lo_u32 v6, v5, s44
	;; [unrolled: 1-line block ×4, first 2 shown]
	v_sub_u32_e32 v3, v3, v8
	v_mul_lo_u32 v8, v3, s47
	v_mul_lo_u32 v9, v3, s50
	;; [unrolled: 1-line block ×3, first 2 shown]
	v_add3_u32 v0, v6, v0, v8
	v_add3_u32 v4, v7, v4, v9
	v_add3_u32 v2, v5, v2, v3
	s_cbranch_scc0 .LBB21_24
; %bb.25:
	s_bitcmp1_b32 s37, 0
	s_cselect_b64 s[40:41], -1, 0
	s_and_b64 vcc, exec, s[40:41]
	s_cbranch_vccnz .LBB21_29
; %bb.26:
	s_load_dwordx2 s[40:41], s[30:31], 0x1c
	s_load_dword s39, s[30:31], 0x24
	s_load_dwordx2 s[42:43], s[30:31], 0xdc
	s_waitcnt lgkmcnt(0)
	v_mul_hi_u32 v3, s41, v1
	v_add_u32_e32 v3, v1, v3
	v_lshrrev_b32_e32 v3, s39, v3
	v_mul_lo_u32 v3, v3, s40
	s_load_dword s39, s[30:31], 0xe4
	v_sub_u32_e32 v3, v1, v3
	v_mad_u64_u32 v[0:1], s[30:31], v3, s42, v[0:1]
	v_mad_u64_u32 v[4:5], s[30:31], v3, s43, v[4:5]
	s_waitcnt lgkmcnt(0)
	v_mad_u64_u32 v[2:3], s[30:31], v3, s39, v[2:3]
	s_branch .LBB21_29
.LBB21_27:
                                        ; implicit-def: $vgpr0
                                        ; implicit-def: $vgpr4
                                        ; implicit-def: $vgpr2
	s_branch .LBB21_30
.LBB21_28:
	v_mov_b32_e32 v0, 0
	v_mov_b32_e32 v4, 0
	;; [unrolled: 1-line block ×3, first 2 shown]
.LBB21_29:
	s_cbranch_execnz .LBB21_32
.LBB21_30:
	v_mul_hi_u32 v0, s9, v31
	s_andn2_b64 vcc, exec, s[24:25]
	v_add_u32_e32 v0, v31, v0
	v_lshrrev_b32_e32 v1, s10, v0
	v_mul_lo_u32 v0, v1, s8
	v_sub_u32_e32 v2, v31, v0
	v_mul_lo_u32 v0, v2, s4
	v_mul_lo_u32 v4, v2, s5
	;; [unrolled: 1-line block ×3, first 2 shown]
	s_cbranch_vccnz .LBB21_32
; %bb.31:
	v_mul_hi_u32 v3, s22, v1
	v_add_u32_e32 v3, v1, v3
	v_lshrrev_b32_e32 v3, s23, v3
	v_mul_lo_u32 v3, v3, s11
	v_sub_u32_e32 v3, v1, v3
	v_mad_u64_u32 v[0:1], s[30:31], v3, s7, v[0:1]
	v_mad_u64_u32 v[4:5], s[30:31], v3, s20, v[4:5]
	;; [unrolled: 1-line block ×3, first 2 shown]
.LBB21_32:
	global_load_ubyte v1, v4, s[2:3]
	global_load_ubyte v3, v2, s[18:19]
	s_and_b32 s30, s35, 0xff
	v_mov_b32_e32 v2, s36
	v_add_u32_e32 v31, 0x80, v31
	s_waitcnt vmcnt(1)
	v_cmp_lt_u16_e32 vcc, s30, v1
	s_waitcnt vmcnt(0)
	v_cndmask_b32_e32 v1, v2, v3, vcc
	global_store_byte v0, v1, s[0:1]
	s_or_b64 exec, exec, s[28:29]
	v_cmp_gt_i32_e32 vcc, s38, v31
	s_and_saveexec_b64 s[28:29], vcc
	s_cbranch_execz .LBB21_4
.LBB21_33:
	s_andn2_b64 vcc, exec, s[14:15]
	s_cbranch_vccnz .LBB21_39
; %bb.34:
	s_andn2_b64 vcc, exec, s[26:27]
	s_cbranch_vccnz .LBB21_40
; %bb.35:
	s_add_i32 s30, s37, 1
	s_and_b32 s39, s30, 30
	s_add_u32 s30, s12, 0xffffffe8
	s_addc_u32 s31, s13, -1
	v_mov_b32_e32 v2, 0
	v_mov_b32_e32 v4, 0
	;; [unrolled: 1-line block ×4, first 2 shown]
.LBB21_36:                              ; =>This Inner Loop Header: Depth=1
	s_load_dwordx4 s[40:43], s[30:31], 0x1c
	s_load_dwordx2 s[48:49], s[30:31], 0x2c
	s_load_dwordx2 s[50:51], s[30:31], 0xec
	s_load_dwordx4 s[44:47], s[30:31], 0xdc
	s_add_u32 s30, s30, 24
	s_waitcnt lgkmcnt(0)
	v_mul_hi_u32 v3, s41, v1
	s_addc_u32 s31, s31, 0
	s_add_i32 s39, s39, -2
	s_cmp_eq_u32 s39, 0
	v_add_u32_e32 v3, v1, v3
	v_lshrrev_b32_e32 v3, s42, v3
	v_mul_lo_u32 v5, v3, s40
	v_mul_hi_u32 v6, s48, v3
	v_sub_u32_e32 v5, v1, v5
	v_add_u32_e32 v1, v3, v6
	v_lshrrev_b32_e32 v1, s49, v1
	v_mul_lo_u32 v8, v1, s43
	v_mul_lo_u32 v6, v5, s44
	;; [unrolled: 1-line block ×4, first 2 shown]
	v_sub_u32_e32 v3, v3, v8
	v_mul_lo_u32 v8, v3, s47
	v_mul_lo_u32 v9, v3, s50
	;; [unrolled: 1-line block ×3, first 2 shown]
	v_add3_u32 v0, v6, v0, v8
	v_add3_u32 v4, v7, v4, v9
	;; [unrolled: 1-line block ×3, first 2 shown]
	s_cbranch_scc0 .LBB21_36
; %bb.37:
	s_bitcmp1_b32 s37, 0
	s_cselect_b64 s[40:41], -1, 0
	s_and_b64 vcc, exec, s[40:41]
	s_cbranch_vccnz .LBB21_41
; %bb.38:
	s_load_dwordx2 s[40:41], s[30:31], 0x1c
	s_load_dword s39, s[30:31], 0x24
	s_load_dwordx2 s[42:43], s[30:31], 0xdc
	s_waitcnt lgkmcnt(0)
	v_mul_hi_u32 v3, s41, v1
	v_add_u32_e32 v3, v1, v3
	v_lshrrev_b32_e32 v3, s39, v3
	v_mul_lo_u32 v3, v3, s40
	s_load_dword s39, s[30:31], 0xe4
	v_sub_u32_e32 v3, v1, v3
	v_mad_u64_u32 v[0:1], s[30:31], v3, s42, v[0:1]
	v_mad_u64_u32 v[4:5], s[30:31], v3, s43, v[4:5]
	s_waitcnt lgkmcnt(0)
	v_mad_u64_u32 v[2:3], s[30:31], v3, s39, v[2:3]
	s_branch .LBB21_41
.LBB21_39:
                                        ; implicit-def: $vgpr0
                                        ; implicit-def: $vgpr4
                                        ; implicit-def: $vgpr2
	s_branch .LBB21_42
.LBB21_40:
	v_mov_b32_e32 v0, 0
	v_mov_b32_e32 v4, 0
	;; [unrolled: 1-line block ×3, first 2 shown]
.LBB21_41:
	s_cbranch_execnz .LBB21_44
.LBB21_42:
	v_mul_hi_u32 v0, s9, v31
	s_andn2_b64 vcc, exec, s[24:25]
	v_add_u32_e32 v0, v31, v0
	v_lshrrev_b32_e32 v1, s10, v0
	v_mul_lo_u32 v0, v1, s8
	v_sub_u32_e32 v2, v31, v0
	v_mul_lo_u32 v0, v2, s4
	v_mul_lo_u32 v4, v2, s5
	;; [unrolled: 1-line block ×3, first 2 shown]
	s_cbranch_vccnz .LBB21_44
; %bb.43:
	v_mul_hi_u32 v3, s22, v1
	v_add_u32_e32 v3, v1, v3
	v_lshrrev_b32_e32 v3, s23, v3
	v_mul_lo_u32 v3, v3, s11
	v_sub_u32_e32 v3, v1, v3
	v_mad_u64_u32 v[0:1], s[30:31], v3, s7, v[0:1]
	v_mad_u64_u32 v[4:5], s[30:31], v3, s20, v[4:5]
	;; [unrolled: 1-line block ×3, first 2 shown]
.LBB21_44:
	global_load_ubyte v1, v4, s[2:3]
	global_load_ubyte v3, v2, s[18:19]
	s_and_b32 s30, s35, 0xff
	v_mov_b32_e32 v2, s36
	v_add_u32_e32 v31, 0x80, v31
	s_waitcnt vmcnt(1)
	v_cmp_lt_u16_e32 vcc, s30, v1
	s_waitcnt vmcnt(0)
	v_cndmask_b32_e32 v1, v2, v3, vcc
	global_store_byte v0, v1, s[0:1]
	s_or_b64 exec, exec, s[28:29]
	v_cmp_gt_i32_e32 vcc, s38, v31
	s_and_saveexec_b64 s[28:29], vcc
	s_cbranch_execz .LBB21_5
.LBB21_45:
	s_andn2_b64 vcc, exec, s[14:15]
	s_cbranch_vccnz .LBB21_51
; %bb.46:
	s_andn2_b64 vcc, exec, s[26:27]
	s_cbranch_vccnz .LBB21_52
; %bb.47:
	s_add_i32 s30, s37, 1
	s_and_b32 s39, s30, 30
	s_add_u32 s30, s12, 0xffffffe8
	s_addc_u32 s31, s13, -1
	v_mov_b32_e32 v2, 0
	v_mov_b32_e32 v4, 0
	;; [unrolled: 1-line block ×4, first 2 shown]
.LBB21_48:                              ; =>This Inner Loop Header: Depth=1
	s_load_dwordx4 s[40:43], s[30:31], 0x1c
	s_load_dwordx2 s[48:49], s[30:31], 0x2c
	s_load_dwordx2 s[50:51], s[30:31], 0xec
	s_load_dwordx4 s[44:47], s[30:31], 0xdc
	s_add_u32 s30, s30, 24
	s_waitcnt lgkmcnt(0)
	v_mul_hi_u32 v3, s41, v1
	s_addc_u32 s31, s31, 0
	s_add_i32 s39, s39, -2
	s_cmp_eq_u32 s39, 0
	v_add_u32_e32 v3, v1, v3
	v_lshrrev_b32_e32 v3, s42, v3
	v_mul_lo_u32 v5, v3, s40
	v_mul_hi_u32 v6, s48, v3
	v_sub_u32_e32 v5, v1, v5
	v_add_u32_e32 v1, v3, v6
	v_lshrrev_b32_e32 v1, s49, v1
	v_mul_lo_u32 v8, v1, s43
	v_mul_lo_u32 v6, v5, s44
	;; [unrolled: 1-line block ×4, first 2 shown]
	v_sub_u32_e32 v3, v3, v8
	v_mul_lo_u32 v8, v3, s47
	v_mul_lo_u32 v9, v3, s50
	;; [unrolled: 1-line block ×3, first 2 shown]
	v_add3_u32 v0, v6, v0, v8
	v_add3_u32 v4, v7, v4, v9
	;; [unrolled: 1-line block ×3, first 2 shown]
	s_cbranch_scc0 .LBB21_48
; %bb.49:
	s_bitcmp1_b32 s37, 0
	s_cselect_b64 s[40:41], -1, 0
	s_and_b64 vcc, exec, s[40:41]
	s_cbranch_vccnz .LBB21_53
; %bb.50:
	s_load_dwordx2 s[40:41], s[30:31], 0x1c
	s_load_dword s39, s[30:31], 0x24
	s_load_dwordx2 s[42:43], s[30:31], 0xdc
	s_waitcnt lgkmcnt(0)
	v_mul_hi_u32 v3, s41, v1
	v_add_u32_e32 v3, v1, v3
	v_lshrrev_b32_e32 v3, s39, v3
	v_mul_lo_u32 v3, v3, s40
	s_load_dword s39, s[30:31], 0xe4
	v_sub_u32_e32 v3, v1, v3
	v_mad_u64_u32 v[0:1], s[30:31], v3, s42, v[0:1]
	v_mad_u64_u32 v[4:5], s[30:31], v3, s43, v[4:5]
	s_waitcnt lgkmcnt(0)
	v_mad_u64_u32 v[2:3], s[30:31], v3, s39, v[2:3]
	s_branch .LBB21_53
.LBB21_51:
                                        ; implicit-def: $vgpr0
                                        ; implicit-def: $vgpr4
                                        ; implicit-def: $vgpr2
	s_branch .LBB21_54
.LBB21_52:
	v_mov_b32_e32 v0, 0
	v_mov_b32_e32 v4, 0
	;; [unrolled: 1-line block ×3, first 2 shown]
.LBB21_53:
	s_cbranch_execnz .LBB21_56
.LBB21_54:
	v_mul_hi_u32 v0, s9, v31
	s_andn2_b64 vcc, exec, s[24:25]
	v_add_u32_e32 v0, v31, v0
	v_lshrrev_b32_e32 v1, s10, v0
	v_mul_lo_u32 v0, v1, s8
	v_sub_u32_e32 v2, v31, v0
	v_mul_lo_u32 v0, v2, s4
	v_mul_lo_u32 v4, v2, s5
	;; [unrolled: 1-line block ×3, first 2 shown]
	s_cbranch_vccnz .LBB21_56
; %bb.55:
	v_mul_hi_u32 v3, s22, v1
	v_add_u32_e32 v3, v1, v3
	v_lshrrev_b32_e32 v3, s23, v3
	v_mul_lo_u32 v3, v3, s11
	v_sub_u32_e32 v3, v1, v3
	v_mad_u64_u32 v[0:1], s[30:31], v3, s7, v[0:1]
	v_mad_u64_u32 v[4:5], s[30:31], v3, s20, v[4:5]
	;; [unrolled: 1-line block ×3, first 2 shown]
.LBB21_56:
	global_load_ubyte v1, v4, s[2:3]
	global_load_ubyte v3, v2, s[18:19]
	s_and_b32 s30, s35, 0xff
	v_mov_b32_e32 v2, s36
	v_add_u32_e32 v31, 0x80, v31
	s_waitcnt vmcnt(1)
	v_cmp_lt_u16_e32 vcc, s30, v1
	s_waitcnt vmcnt(0)
	v_cndmask_b32_e32 v1, v2, v3, vcc
	global_store_byte v0, v1, s[0:1]
	s_or_b64 exec, exec, s[28:29]
	v_cmp_gt_i32_e32 vcc, s38, v31
	s_and_saveexec_b64 s[28:29], vcc
	s_cbranch_execz .LBB21_6
.LBB21_57:
	s_andn2_b64 vcc, exec, s[14:15]
	s_cbranch_vccnz .LBB21_63
; %bb.58:
	s_andn2_b64 vcc, exec, s[26:27]
	s_cbranch_vccnz .LBB21_64
; %bb.59:
	s_add_i32 s30, s37, 1
	s_and_b32 s39, s30, 30
	s_add_u32 s30, s12, 0xffffffe8
	s_addc_u32 s31, s13, -1
	v_mov_b32_e32 v2, 0
	v_mov_b32_e32 v4, 0
	;; [unrolled: 1-line block ×4, first 2 shown]
.LBB21_60:                              ; =>This Inner Loop Header: Depth=1
	s_load_dwordx4 s[40:43], s[30:31], 0x1c
	s_load_dwordx2 s[48:49], s[30:31], 0x2c
	s_load_dwordx2 s[50:51], s[30:31], 0xec
	s_load_dwordx4 s[44:47], s[30:31], 0xdc
	s_add_u32 s30, s30, 24
	s_waitcnt lgkmcnt(0)
	v_mul_hi_u32 v3, s41, v1
	s_addc_u32 s31, s31, 0
	s_add_i32 s39, s39, -2
	s_cmp_eq_u32 s39, 0
	v_add_u32_e32 v3, v1, v3
	v_lshrrev_b32_e32 v3, s42, v3
	v_mul_lo_u32 v5, v3, s40
	v_mul_hi_u32 v6, s48, v3
	v_sub_u32_e32 v5, v1, v5
	v_add_u32_e32 v1, v3, v6
	v_lshrrev_b32_e32 v1, s49, v1
	v_mul_lo_u32 v8, v1, s43
	v_mul_lo_u32 v6, v5, s44
	;; [unrolled: 1-line block ×4, first 2 shown]
	v_sub_u32_e32 v3, v3, v8
	v_mul_lo_u32 v8, v3, s47
	v_mul_lo_u32 v9, v3, s50
	;; [unrolled: 1-line block ×3, first 2 shown]
	v_add3_u32 v0, v6, v0, v8
	v_add3_u32 v4, v7, v4, v9
	;; [unrolled: 1-line block ×3, first 2 shown]
	s_cbranch_scc0 .LBB21_60
; %bb.61:
	s_bitcmp1_b32 s37, 0
	s_cselect_b64 s[40:41], -1, 0
	s_and_b64 vcc, exec, s[40:41]
	s_cbranch_vccnz .LBB21_65
; %bb.62:
	s_load_dwordx2 s[40:41], s[30:31], 0x1c
	s_load_dword s39, s[30:31], 0x24
	s_load_dwordx2 s[42:43], s[30:31], 0xdc
	s_waitcnt lgkmcnt(0)
	v_mul_hi_u32 v3, s41, v1
	v_add_u32_e32 v3, v1, v3
	v_lshrrev_b32_e32 v3, s39, v3
	v_mul_lo_u32 v3, v3, s40
	s_load_dword s39, s[30:31], 0xe4
	v_sub_u32_e32 v3, v1, v3
	v_mad_u64_u32 v[0:1], s[30:31], v3, s42, v[0:1]
	v_mad_u64_u32 v[4:5], s[30:31], v3, s43, v[4:5]
	s_waitcnt lgkmcnt(0)
	v_mad_u64_u32 v[2:3], s[30:31], v3, s39, v[2:3]
	s_branch .LBB21_65
.LBB21_63:
                                        ; implicit-def: $vgpr0
                                        ; implicit-def: $vgpr4
                                        ; implicit-def: $vgpr2
	s_branch .LBB21_66
.LBB21_64:
	v_mov_b32_e32 v0, 0
	v_mov_b32_e32 v4, 0
	;; [unrolled: 1-line block ×3, first 2 shown]
.LBB21_65:
	s_cbranch_execnz .LBB21_68
.LBB21_66:
	v_mul_hi_u32 v0, s9, v31
	s_andn2_b64 vcc, exec, s[24:25]
	v_add_u32_e32 v0, v31, v0
	v_lshrrev_b32_e32 v1, s10, v0
	v_mul_lo_u32 v0, v1, s8
	v_sub_u32_e32 v2, v31, v0
	v_mul_lo_u32 v0, v2, s4
	v_mul_lo_u32 v4, v2, s5
	;; [unrolled: 1-line block ×3, first 2 shown]
	s_cbranch_vccnz .LBB21_68
; %bb.67:
	v_mul_hi_u32 v3, s22, v1
	v_add_u32_e32 v3, v1, v3
	v_lshrrev_b32_e32 v3, s23, v3
	v_mul_lo_u32 v3, v3, s11
	v_sub_u32_e32 v3, v1, v3
	v_mad_u64_u32 v[0:1], s[30:31], v3, s7, v[0:1]
	v_mad_u64_u32 v[4:5], s[30:31], v3, s20, v[4:5]
	;; [unrolled: 1-line block ×3, first 2 shown]
.LBB21_68:
	global_load_ubyte v1, v4, s[2:3]
	global_load_ubyte v3, v2, s[18:19]
	s_and_b32 s30, s35, 0xff
	v_mov_b32_e32 v2, s36
	v_add_u32_e32 v31, 0x80, v31
	s_waitcnt vmcnt(1)
	v_cmp_lt_u16_e32 vcc, s30, v1
	s_waitcnt vmcnt(0)
	v_cndmask_b32_e32 v1, v2, v3, vcc
	global_store_byte v0, v1, s[0:1]
	s_or_b64 exec, exec, s[28:29]
	v_cmp_gt_i32_e32 vcc, s38, v31
	s_and_saveexec_b64 s[28:29], vcc
	s_cbranch_execz .LBB21_7
.LBB21_69:
	s_andn2_b64 vcc, exec, s[14:15]
	s_cbranch_vccnz .LBB21_75
; %bb.70:
	s_andn2_b64 vcc, exec, s[26:27]
	s_cbranch_vccnz .LBB21_76
; %bb.71:
	s_add_i32 s30, s37, 1
	s_and_b32 s39, s30, 30
	s_add_u32 s30, s12, 0xffffffe8
	s_addc_u32 s31, s13, -1
	v_mov_b32_e32 v2, 0
	v_mov_b32_e32 v4, 0
	;; [unrolled: 1-line block ×4, first 2 shown]
.LBB21_72:                              ; =>This Inner Loop Header: Depth=1
	s_load_dwordx4 s[40:43], s[30:31], 0x1c
	s_load_dwordx2 s[48:49], s[30:31], 0x2c
	s_load_dwordx2 s[50:51], s[30:31], 0xec
	s_load_dwordx4 s[44:47], s[30:31], 0xdc
	s_add_u32 s30, s30, 24
	s_waitcnt lgkmcnt(0)
	v_mul_hi_u32 v3, s41, v1
	s_addc_u32 s31, s31, 0
	s_add_i32 s39, s39, -2
	s_cmp_eq_u32 s39, 0
	v_add_u32_e32 v3, v1, v3
	v_lshrrev_b32_e32 v3, s42, v3
	v_mul_lo_u32 v5, v3, s40
	v_mul_hi_u32 v6, s48, v3
	v_sub_u32_e32 v5, v1, v5
	v_add_u32_e32 v1, v3, v6
	v_lshrrev_b32_e32 v1, s49, v1
	v_mul_lo_u32 v8, v1, s43
	v_mul_lo_u32 v6, v5, s44
	;; [unrolled: 1-line block ×4, first 2 shown]
	v_sub_u32_e32 v3, v3, v8
	v_mul_lo_u32 v8, v3, s47
	v_mul_lo_u32 v9, v3, s50
	;; [unrolled: 1-line block ×3, first 2 shown]
	v_add3_u32 v0, v6, v0, v8
	v_add3_u32 v4, v7, v4, v9
	v_add3_u32 v2, v5, v2, v3
	s_cbranch_scc0 .LBB21_72
; %bb.73:
	s_bitcmp1_b32 s37, 0
	s_cselect_b64 s[40:41], -1, 0
	s_and_b64 vcc, exec, s[40:41]
	s_cbranch_vccnz .LBB21_77
; %bb.74:
	s_load_dwordx2 s[40:41], s[30:31], 0x1c
	s_load_dword s39, s[30:31], 0x24
	s_load_dwordx2 s[42:43], s[30:31], 0xdc
	s_waitcnt lgkmcnt(0)
	v_mul_hi_u32 v3, s41, v1
	v_add_u32_e32 v3, v1, v3
	v_lshrrev_b32_e32 v3, s39, v3
	v_mul_lo_u32 v3, v3, s40
	s_load_dword s39, s[30:31], 0xe4
	v_sub_u32_e32 v3, v1, v3
	v_mad_u64_u32 v[0:1], s[30:31], v3, s42, v[0:1]
	v_mad_u64_u32 v[4:5], s[30:31], v3, s43, v[4:5]
	s_waitcnt lgkmcnt(0)
	v_mad_u64_u32 v[2:3], s[30:31], v3, s39, v[2:3]
	s_branch .LBB21_77
.LBB21_75:
                                        ; implicit-def: $vgpr0
                                        ; implicit-def: $vgpr4
                                        ; implicit-def: $vgpr2
	s_branch .LBB21_78
.LBB21_76:
	v_mov_b32_e32 v0, 0
	v_mov_b32_e32 v4, 0
	;; [unrolled: 1-line block ×3, first 2 shown]
.LBB21_77:
	s_cbranch_execnz .LBB21_80
.LBB21_78:
	v_mul_hi_u32 v0, s9, v31
	s_andn2_b64 vcc, exec, s[24:25]
	v_add_u32_e32 v0, v31, v0
	v_lshrrev_b32_e32 v1, s10, v0
	v_mul_lo_u32 v0, v1, s8
	v_sub_u32_e32 v2, v31, v0
	v_mul_lo_u32 v0, v2, s4
	v_mul_lo_u32 v4, v2, s5
	;; [unrolled: 1-line block ×3, first 2 shown]
	s_cbranch_vccnz .LBB21_80
; %bb.79:
	v_mul_hi_u32 v3, s22, v1
	v_add_u32_e32 v3, v1, v3
	v_lshrrev_b32_e32 v3, s23, v3
	v_mul_lo_u32 v3, v3, s11
	v_sub_u32_e32 v3, v1, v3
	v_mad_u64_u32 v[0:1], s[30:31], v3, s7, v[0:1]
	v_mad_u64_u32 v[4:5], s[30:31], v3, s20, v[4:5]
	;; [unrolled: 1-line block ×3, first 2 shown]
.LBB21_80:
	global_load_ubyte v1, v4, s[2:3]
	global_load_ubyte v3, v2, s[18:19]
	s_and_b32 s30, s35, 0xff
	v_mov_b32_e32 v2, s36
	v_add_u32_e32 v31, 0x80, v31
	s_waitcnt vmcnt(1)
	v_cmp_lt_u16_e32 vcc, s30, v1
	s_waitcnt vmcnt(0)
	v_cndmask_b32_e32 v1, v2, v3, vcc
	global_store_byte v0, v1, s[0:1]
	s_or_b64 exec, exec, s[28:29]
	v_cmp_gt_i32_e32 vcc, s38, v31
	s_and_saveexec_b64 s[28:29], vcc
	s_cbranch_execz .LBB21_8
.LBB21_81:
	s_andn2_b64 vcc, exec, s[14:15]
	s_cbranch_vccnz .LBB21_87
; %bb.82:
	s_andn2_b64 vcc, exec, s[26:27]
	s_cbranch_vccnz .LBB21_88
; %bb.83:
	s_add_i32 s30, s37, 1
	s_and_b32 s39, s30, 30
	s_add_u32 s30, s12, 0xffffffe8
	s_addc_u32 s31, s13, -1
	v_mov_b32_e32 v2, 0
	v_mov_b32_e32 v4, 0
	;; [unrolled: 1-line block ×4, first 2 shown]
.LBB21_84:                              ; =>This Inner Loop Header: Depth=1
	s_load_dwordx4 s[40:43], s[30:31], 0x1c
	s_load_dwordx2 s[48:49], s[30:31], 0x2c
	s_load_dwordx2 s[50:51], s[30:31], 0xec
	s_load_dwordx4 s[44:47], s[30:31], 0xdc
	s_add_u32 s30, s30, 24
	s_waitcnt lgkmcnt(0)
	v_mul_hi_u32 v3, s41, v1
	s_addc_u32 s31, s31, 0
	s_add_i32 s39, s39, -2
	s_cmp_eq_u32 s39, 0
	v_add_u32_e32 v3, v1, v3
	v_lshrrev_b32_e32 v3, s42, v3
	v_mul_lo_u32 v5, v3, s40
	v_mul_hi_u32 v6, s48, v3
	v_sub_u32_e32 v5, v1, v5
	v_add_u32_e32 v1, v3, v6
	v_lshrrev_b32_e32 v1, s49, v1
	v_mul_lo_u32 v8, v1, s43
	v_mul_lo_u32 v6, v5, s44
	;; [unrolled: 1-line block ×4, first 2 shown]
	v_sub_u32_e32 v3, v3, v8
	v_mul_lo_u32 v8, v3, s47
	v_mul_lo_u32 v9, v3, s50
	;; [unrolled: 1-line block ×3, first 2 shown]
	v_add3_u32 v0, v6, v0, v8
	v_add3_u32 v4, v7, v4, v9
	;; [unrolled: 1-line block ×3, first 2 shown]
	s_cbranch_scc0 .LBB21_84
; %bb.85:
	s_bitcmp1_b32 s37, 0
	s_cselect_b64 s[40:41], -1, 0
	s_and_b64 vcc, exec, s[40:41]
	s_cbranch_vccnz .LBB21_89
; %bb.86:
	s_load_dwordx2 s[40:41], s[30:31], 0x1c
	s_load_dword s39, s[30:31], 0x24
	s_load_dwordx2 s[42:43], s[30:31], 0xdc
	s_waitcnt lgkmcnt(0)
	v_mul_hi_u32 v3, s41, v1
	v_add_u32_e32 v3, v1, v3
	v_lshrrev_b32_e32 v3, s39, v3
	v_mul_lo_u32 v3, v3, s40
	s_load_dword s39, s[30:31], 0xe4
	v_sub_u32_e32 v3, v1, v3
	v_mad_u64_u32 v[0:1], s[30:31], v3, s42, v[0:1]
	v_mad_u64_u32 v[4:5], s[30:31], v3, s43, v[4:5]
	s_waitcnt lgkmcnt(0)
	v_mad_u64_u32 v[2:3], s[30:31], v3, s39, v[2:3]
	s_branch .LBB21_89
.LBB21_87:
                                        ; implicit-def: $vgpr0
                                        ; implicit-def: $vgpr4
                                        ; implicit-def: $vgpr2
	s_branch .LBB21_90
.LBB21_88:
	v_mov_b32_e32 v0, 0
	v_mov_b32_e32 v4, 0
	;; [unrolled: 1-line block ×3, first 2 shown]
.LBB21_89:
	s_cbranch_execnz .LBB21_92
.LBB21_90:
	v_mul_hi_u32 v0, s9, v31
	s_andn2_b64 vcc, exec, s[24:25]
	v_add_u32_e32 v0, v31, v0
	v_lshrrev_b32_e32 v1, s10, v0
	v_mul_lo_u32 v0, v1, s8
	v_sub_u32_e32 v2, v31, v0
	v_mul_lo_u32 v0, v2, s4
	v_mul_lo_u32 v4, v2, s5
	v_mul_lo_u32 v2, v2, s6
	s_cbranch_vccnz .LBB21_92
; %bb.91:
	v_mul_hi_u32 v3, s22, v1
	v_add_u32_e32 v3, v1, v3
	v_lshrrev_b32_e32 v3, s23, v3
	v_mul_lo_u32 v3, v3, s11
	v_sub_u32_e32 v3, v1, v3
	v_mad_u64_u32 v[0:1], s[30:31], v3, s7, v[0:1]
	v_mad_u64_u32 v[4:5], s[30:31], v3, s20, v[4:5]
	;; [unrolled: 1-line block ×3, first 2 shown]
.LBB21_92:
	global_load_ubyte v1, v4, s[2:3]
	global_load_ubyte v3, v2, s[18:19]
	s_and_b32 s30, s35, 0xff
	v_mov_b32_e32 v2, s36
	v_add_u32_e32 v31, 0x80, v31
	s_waitcnt vmcnt(1)
	v_cmp_lt_u16_e32 vcc, s30, v1
	s_waitcnt vmcnt(0)
	v_cndmask_b32_e32 v1, v2, v3, vcc
	global_store_byte v0, v1, s[0:1]
	s_or_b64 exec, exec, s[28:29]
	v_cmp_gt_i32_e32 vcc, s38, v31
	s_and_saveexec_b64 s[28:29], vcc
	s_cbranch_execz .LBB21_105
.LBB21_93:
	s_andn2_b64 vcc, exec, s[14:15]
	s_cbranch_vccnz .LBB21_99
; %bb.94:
	s_andn2_b64 vcc, exec, s[26:27]
	s_cbranch_vccnz .LBB21_100
; %bb.95:
	s_add_i32 s26, s37, 1
	s_and_b32 s30, s26, 30
	s_add_u32 s26, s12, 0xffffffe8
	s_addc_u32 s27, s13, -1
	v_mov_b32_e32 v2, 0
	v_mov_b32_e32 v4, 0
	;; [unrolled: 1-line block ×4, first 2 shown]
.LBB21_96:                              ; =>This Inner Loop Header: Depth=1
	s_load_dwordx4 s[40:43], s[26:27], 0x1c
	s_load_dwordx2 s[38:39], s[26:27], 0x2c
	s_load_dwordx2 s[48:49], s[26:27], 0xec
	s_load_dwordx4 s[44:47], s[26:27], 0xdc
	s_add_u32 s26, s26, 24
	s_waitcnt lgkmcnt(0)
	v_mul_hi_u32 v3, s41, v1
	s_addc_u32 s27, s27, 0
	s_add_i32 s30, s30, -2
	s_cmp_eq_u32 s30, 0
	v_add_u32_e32 v3, v1, v3
	v_lshrrev_b32_e32 v3, s42, v3
	v_mul_lo_u32 v5, v3, s40
	v_mul_hi_u32 v6, s38, v3
	v_sub_u32_e32 v5, v1, v5
	v_add_u32_e32 v1, v3, v6
	v_lshrrev_b32_e32 v1, s39, v1
	v_mul_lo_u32 v8, v1, s43
	v_mul_lo_u32 v6, v5, s44
	v_mul_lo_u32 v7, v5, s45
	v_mul_lo_u32 v5, v5, s46
	v_sub_u32_e32 v3, v3, v8
	v_mul_lo_u32 v8, v3, s47
	v_mul_lo_u32 v9, v3, s48
	;; [unrolled: 1-line block ×3, first 2 shown]
	v_add3_u32 v0, v6, v0, v8
	v_add3_u32 v4, v7, v4, v9
	;; [unrolled: 1-line block ×3, first 2 shown]
	s_cbranch_scc0 .LBB21_96
; %bb.97:
	s_bitcmp1_b32 s37, 0
	s_cselect_b64 s[30:31], -1, 0
	s_and_b64 vcc, exec, s[30:31]
	s_cbranch_vccnz .LBB21_101
; %bb.98:
	s_load_dwordx2 s[30:31], s[26:27], 0x1c
	s_load_dword s37, s[26:27], 0x24
	s_load_dwordx2 s[38:39], s[26:27], 0xdc
	s_waitcnt lgkmcnt(0)
	v_mul_hi_u32 v3, s31, v1
	v_add_u32_e32 v3, v1, v3
	v_lshrrev_b32_e32 v3, s37, v3
	v_mul_lo_u32 v3, v3, s30
	s_load_dword s30, s[26:27], 0xe4
	v_sub_u32_e32 v3, v1, v3
	v_mad_u64_u32 v[0:1], s[26:27], v3, s38, v[0:1]
	v_mad_u64_u32 v[4:5], s[26:27], v3, s39, v[4:5]
	s_waitcnt lgkmcnt(0)
	v_mad_u64_u32 v[2:3], s[26:27], v3, s30, v[2:3]
	s_branch .LBB21_101
.LBB21_99:
                                        ; implicit-def: $vgpr0
                                        ; implicit-def: $vgpr4
                                        ; implicit-def: $vgpr2
	s_branch .LBB21_102
.LBB21_100:
	v_mov_b32_e32 v0, 0
	v_mov_b32_e32 v4, 0
	;; [unrolled: 1-line block ×3, first 2 shown]
.LBB21_101:
	s_cbranch_execnz .LBB21_104
.LBB21_102:
	v_mul_hi_u32 v0, s9, v31
	s_andn2_b64 vcc, exec, s[24:25]
	v_add_u32_e32 v0, v31, v0
	v_lshrrev_b32_e32 v1, s10, v0
	v_mul_lo_u32 v0, v1, s8
	v_sub_u32_e32 v2, v31, v0
	v_mul_lo_u32 v0, v2, s4
	v_mul_lo_u32 v4, v2, s5
	;; [unrolled: 1-line block ×3, first 2 shown]
	s_cbranch_vccnz .LBB21_104
; %bb.103:
	v_mul_hi_u32 v3, s22, v1
	v_add_u32_e32 v3, v1, v3
	v_lshrrev_b32_e32 v3, s23, v3
	v_mul_lo_u32 v3, v3, s11
	v_sub_u32_e32 v3, v1, v3
	v_mad_u64_u32 v[0:1], s[4:5], v3, s7, v[0:1]
	v_mad_u64_u32 v[4:5], s[4:5], v3, s20, v[4:5]
	;; [unrolled: 1-line block ×3, first 2 shown]
.LBB21_104:
	global_load_ubyte v1, v4, s[2:3]
	global_load_ubyte v3, v2, s[18:19]
	s_and_b32 s2, s35, 0xff
	v_mov_b32_e32 v2, s36
	s_waitcnt vmcnt(1)
	v_cmp_lt_u16_e32 vcc, s2, v1
	s_waitcnt vmcnt(0)
	v_cndmask_b32_e32 v1, v2, v3, vcc
	global_store_byte v0, v1, s[0:1]
.LBB21_105:
	s_or_b64 exec, exec, s[28:29]
                                        ; implicit-def: $vgpr41
                                        ; implicit-def: $vgpr31
.LBB21_106:
	s_andn2_saveexec_b64 s[0:1], s[16:17]
	s_cbranch_execz .LBB21_113
; %bb.107:
	v_cndmask_b32_e64 v0, 0, 1, s[14:15]
	v_cmp_ne_u32_e64 s[0:1], 1, v0
	s_andn2_b64 vcc, exec, s[14:15]
	s_cbranch_vccnz .LBB21_114
; %bb.108:
	s_cmp_lg_u32 s33, 0
	s_cbranch_scc0 .LBB21_115
; %bb.109:
	s_min_u32 s4, s34, 15
	s_add_i32 s2, s4, 1
	s_and_b32 s5, s2, 30
	s_add_u32 s2, s12, 0xffffffe8
	s_addc_u32 s3, s13, -1
	v_mov_b32_e32 v2, 0
	v_mov_b32_e32 v4, 0
	v_mov_b32_e32 v0, 0
	v_mov_b32_e32 v1, v31
.LBB21_110:                             ; =>This Inner Loop Header: Depth=1
	s_load_dwordx4 s[8:11], s[2:3], 0x1c
	s_load_dwordx2 s[6:7], s[2:3], 0x2c
	s_load_dwordx2 s[14:15], s[2:3], 0xec
	s_load_dwordx4 s[16:19], s[2:3], 0xdc
	s_add_u32 s2, s2, 24
	s_waitcnt lgkmcnt(0)
	v_mul_hi_u32 v3, s9, v1
	s_addc_u32 s3, s3, 0
	s_add_i32 s5, s5, -2
	s_cmp_lg_u32 s5, 0
	v_add_u32_e32 v3, v1, v3
	v_lshrrev_b32_e32 v3, s10, v3
	v_mul_lo_u32 v5, v3, s8
	v_mul_hi_u32 v6, s6, v3
	v_sub_u32_e32 v5, v1, v5
	v_add_u32_e32 v1, v3, v6
	v_lshrrev_b32_e32 v1, s7, v1
	v_mul_lo_u32 v8, v1, s11
	v_mul_lo_u32 v6, v5, s16
	;; [unrolled: 1-line block ×4, first 2 shown]
	v_sub_u32_e32 v3, v3, v8
	v_mul_lo_u32 v8, v3, s19
	v_mul_lo_u32 v9, v3, s14
	;; [unrolled: 1-line block ×3, first 2 shown]
	v_add3_u32 v0, v6, v0, v8
	v_add3_u32 v4, v7, v4, v9
	;; [unrolled: 1-line block ×3, first 2 shown]
	s_cbranch_scc1 .LBB21_110
; %bb.111:
	s_bitcmp1_b32 s4, 0
	s_cselect_b64 s[4:5], -1, 0
	s_and_b64 vcc, exec, s[4:5]
	s_cbranch_vccnz .LBB21_116
; %bb.112:
	s_load_dwordx2 s[4:5], s[2:3], 0x1c
	s_load_dword s8, s[2:3], 0x24
	s_load_dwordx2 s[6:7], s[2:3], 0xdc
	s_waitcnt lgkmcnt(0)
	v_mul_hi_u32 v3, s5, v1
	v_add_u32_e32 v3, v1, v3
	v_lshrrev_b32_e32 v3, s8, v3
	v_mul_lo_u32 v3, v3, s4
	s_load_dword s4, s[2:3], 0xe4
	v_sub_u32_e32 v3, v1, v3
	v_mad_u64_u32 v[0:1], s[2:3], v3, s6, v[0:1]
	v_mad_u64_u32 v[4:5], s[2:3], v3, s7, v[4:5]
	s_waitcnt lgkmcnt(0)
	v_mad_u64_u32 v[2:3], s[2:3], v3, s4, v[2:3]
	s_cbranch_execz .LBB21_117
	s_branch .LBB21_119
.LBB21_113:
	s_endpgm
.LBB21_114:
                                        ; implicit-def: $vgpr0
                                        ; implicit-def: $vgpr4
                                        ; implicit-def: $vgpr2
	s_branch .LBB21_117
.LBB21_115:
	v_mov_b32_e32 v0, 0
	v_mov_b32_e32 v4, 0
	;; [unrolled: 1-line block ×3, first 2 shown]
.LBB21_116:
	s_cbranch_execnz .LBB21_119
.LBB21_117:
	s_load_dwordx4 s[4:7], s[12:13], 0x4
	s_load_dwordx4 s[8:11], s[12:13], 0xc4
	s_cmp_lt_u32 s33, 2
	s_waitcnt lgkmcnt(0)
	v_mul_hi_u32 v0, s5, v31
	v_add_u32_e32 v0, v31, v0
	v_lshrrev_b32_e32 v1, s6, v0
	v_mul_lo_u32 v0, v1, s4
	v_sub_u32_e32 v2, v31, v0
	v_mul_lo_u32 v0, v2, s8
	v_mul_lo_u32 v4, v2, s9
	;; [unrolled: 1-line block ×3, first 2 shown]
	s_cbranch_scc1 .LBB21_119
; %bb.118:
	s_load_dwordx4 s[4:7], s[12:13], 0x10
	s_load_dwordx4 s[8:11], s[12:13], 0xd0
	s_waitcnt lgkmcnt(0)
	v_mul_hi_u32 v3, s5, v1
	v_add_u32_e32 v3, v1, v3
	v_lshrrev_b32_e32 v3, s6, v3
	v_mul_lo_u32 v3, v3, s4
	v_sub_u32_e32 v3, v1, v3
	v_mad_u64_u32 v[0:1], s[2:3], v3, s8, v[0:1]
	v_mad_u64_u32 v[4:5], s[2:3], v3, s9, v[4:5]
	;; [unrolled: 1-line block ×3, first 2 shown]
.LBB21_119:
	s_and_b64 vcc, exec, s[0:1]
	v_add_u32_e32 v1, 0x80, v31
	s_cbranch_vccnz .LBB21_125
; %bb.120:
	s_cmp_lg_u32 s33, 0
	s_cbranch_scc0 .LBB21_126
; %bb.121:
	s_min_u32 s4, s34, 15
	s_add_i32 s2, s4, 1
	s_and_b32 s5, s2, 30
	s_add_u32 s2, s12, 0xffffffe8
	s_addc_u32 s3, s13, -1
	v_mov_b32_e32 v7, 0
	v_mov_b32_e32 v9, 0
	;; [unrolled: 1-line block ×4, first 2 shown]
.LBB21_122:                             ; =>This Inner Loop Header: Depth=1
	s_load_dwordx4 s[8:11], s[2:3], 0x1c
	s_load_dwordx2 s[6:7], s[2:3], 0x2c
	s_load_dwordx2 s[14:15], s[2:3], 0xec
	s_load_dwordx4 s[16:19], s[2:3], 0xdc
	s_add_u32 s2, s2, 24
	s_waitcnt lgkmcnt(0)
	v_mul_hi_u32 v6, s9, v3
	s_addc_u32 s3, s3, 0
	s_add_i32 s5, s5, -2
	s_cmp_lg_u32 s5, 0
	v_add_u32_e32 v6, v3, v6
	v_lshrrev_b32_e32 v6, s10, v6
	v_mul_lo_u32 v8, v6, s8
	v_mul_hi_u32 v10, s6, v6
	v_sub_u32_e32 v8, v3, v8
	v_add_u32_e32 v3, v6, v10
	v_lshrrev_b32_e32 v3, s7, v3
	v_mul_lo_u32 v12, v3, s11
	v_mul_lo_u32 v10, v8, s16
	;; [unrolled: 1-line block ×4, first 2 shown]
	v_sub_u32_e32 v6, v6, v12
	v_mul_lo_u32 v12, v6, s19
	v_mul_lo_u32 v13, v6, s14
	;; [unrolled: 1-line block ×3, first 2 shown]
	v_add3_u32 v5, v10, v5, v12
	v_add3_u32 v9, v11, v9, v13
	;; [unrolled: 1-line block ×3, first 2 shown]
	s_cbranch_scc1 .LBB21_122
; %bb.123:
	s_bitcmp1_b32 s4, 0
	s_cselect_b64 s[4:5], -1, 0
	s_and_b64 vcc, exec, s[4:5]
	s_cbranch_vccnz .LBB21_127
; %bb.124:
	s_load_dwordx2 s[4:5], s[2:3], 0x1c
	s_load_dword s8, s[2:3], 0x24
	s_load_dwordx2 s[6:7], s[2:3], 0xdc
	s_waitcnt lgkmcnt(0)
	v_mul_hi_u32 v6, s5, v3
	v_add_u32_e32 v6, v3, v6
	v_lshrrev_b32_e32 v6, s8, v6
	v_mul_lo_u32 v6, v6, s4
	s_load_dword s4, s[2:3], 0xe4
	v_sub_u32_e32 v3, v3, v6
	v_mad_u64_u32 v[5:6], s[2:3], v3, s6, v[5:6]
	v_mad_u64_u32 v[9:10], s[2:3], v3, s7, v[9:10]
	s_waitcnt lgkmcnt(0)
	v_mad_u64_u32 v[7:8], s[2:3], v3, s4, v[7:8]
	s_cbranch_execz .LBB21_128
	s_branch .LBB21_130
.LBB21_125:
                                        ; implicit-def: $vgpr5
                                        ; implicit-def: $vgpr9
                                        ; implicit-def: $vgpr7
	s_branch .LBB21_128
.LBB21_126:
	v_mov_b32_e32 v5, 0
	v_mov_b32_e32 v9, 0
	v_mov_b32_e32 v7, 0
.LBB21_127:
	s_cbranch_execnz .LBB21_130
.LBB21_128:
	s_load_dwordx4 s[4:7], s[12:13], 0x4
	s_load_dwordx4 s[8:11], s[12:13], 0xc4
	s_cmp_lt_u32 s33, 2
	s_waitcnt lgkmcnt(0)
	v_mul_hi_u32 v3, s5, v1
	v_add_u32_e32 v3, v1, v3
	v_lshrrev_b32_e32 v3, s6, v3
	v_mul_lo_u32 v5, v3, s4
	v_sub_u32_e32 v1, v1, v5
	v_mul_lo_u32 v5, v1, s8
	v_mul_lo_u32 v9, v1, s9
	;; [unrolled: 1-line block ×3, first 2 shown]
	s_cbranch_scc1 .LBB21_130
; %bb.129:
	s_load_dwordx4 s[4:7], s[12:13], 0x10
	s_load_dwordx4 s[8:11], s[12:13], 0xd0
	s_waitcnt lgkmcnt(0)
	v_mul_hi_u32 v1, s5, v3
	v_add_u32_e32 v1, v3, v1
	v_lshrrev_b32_e32 v1, s6, v1
	v_mul_lo_u32 v1, v1, s4
	v_sub_u32_e32 v1, v3, v1
	v_mad_u64_u32 v[5:6], s[2:3], v1, s8, v[5:6]
	v_mad_u64_u32 v[9:10], s[2:3], v1, s9, v[9:10]
	;; [unrolled: 1-line block ×3, first 2 shown]
.LBB21_130:
	s_and_b64 vcc, exec, s[0:1]
	v_add_u32_e32 v1, 0x100, v31
	s_cbranch_vccnz .LBB21_136
; %bb.131:
	s_cmp_lg_u32 s33, 0
	s_cbranch_scc0 .LBB21_137
; %bb.132:
	s_min_u32 s4, s34, 15
	s_add_i32 s2, s4, 1
	s_and_b32 s5, s2, 30
	s_add_u32 s2, s12, 0xffffffe8
	s_addc_u32 s3, s13, -1
	v_mov_b32_e32 v12, 0
	v_mov_b32_e32 v14, 0
	;; [unrolled: 1-line block ×4, first 2 shown]
.LBB21_133:                             ; =>This Inner Loop Header: Depth=1
	s_load_dwordx4 s[8:11], s[2:3], 0x1c
	s_load_dwordx2 s[6:7], s[2:3], 0x2c
	s_load_dwordx2 s[14:15], s[2:3], 0xec
	s_load_dwordx4 s[16:19], s[2:3], 0xdc
	s_add_u32 s2, s2, 24
	s_waitcnt lgkmcnt(0)
	v_mul_hi_u32 v6, s9, v3
	s_addc_u32 s3, s3, 0
	s_add_i32 s5, s5, -2
	s_cmp_lg_u32 s5, 0
	v_add_u32_e32 v6, v3, v6
	v_lshrrev_b32_e32 v6, s10, v6
	v_mul_lo_u32 v8, v6, s8
	v_mul_hi_u32 v11, s6, v6
	v_sub_u32_e32 v8, v3, v8
	v_add_u32_e32 v3, v6, v11
	v_lshrrev_b32_e32 v3, s7, v3
	v_mul_lo_u32 v15, v3, s11
	v_mul_lo_u32 v11, v8, s16
	;; [unrolled: 1-line block ×4, first 2 shown]
	v_sub_u32_e32 v6, v6, v15
	v_mul_lo_u32 v15, v6, s19
	v_mul_lo_u32 v16, v6, s14
	;; [unrolled: 1-line block ×3, first 2 shown]
	v_add3_u32 v10, v11, v10, v15
	v_add3_u32 v14, v13, v14, v16
	;; [unrolled: 1-line block ×3, first 2 shown]
	s_cbranch_scc1 .LBB21_133
; %bb.134:
	s_bitcmp1_b32 s4, 0
	s_cselect_b64 s[4:5], -1, 0
	s_and_b64 vcc, exec, s[4:5]
	s_cbranch_vccnz .LBB21_138
; %bb.135:
	s_load_dwordx2 s[4:5], s[2:3], 0x1c
	s_load_dword s8, s[2:3], 0x24
	s_load_dwordx2 s[6:7], s[2:3], 0xdc
	s_waitcnt lgkmcnt(0)
	v_mul_hi_u32 v6, s5, v3
	v_add_u32_e32 v6, v3, v6
	v_lshrrev_b32_e32 v6, s8, v6
	v_mul_lo_u32 v6, v6, s4
	s_load_dword s4, s[2:3], 0xe4
	v_sub_u32_e32 v3, v3, v6
	v_mad_u64_u32 v[10:11], s[2:3], v3, s6, v[10:11]
	v_mad_u64_u32 v[14:15], s[2:3], v3, s7, v[14:15]
	s_waitcnt lgkmcnt(0)
	v_mad_u64_u32 v[12:13], s[2:3], v3, s4, v[12:13]
	s_cbranch_execz .LBB21_139
	s_branch .LBB21_141
.LBB21_136:
                                        ; implicit-def: $vgpr10
                                        ; implicit-def: $vgpr14
                                        ; implicit-def: $vgpr12
	s_branch .LBB21_139
.LBB21_137:
	v_mov_b32_e32 v10, 0
	v_mov_b32_e32 v14, 0
	v_mov_b32_e32 v12, 0
.LBB21_138:
	s_cbranch_execnz .LBB21_141
.LBB21_139:
	s_load_dwordx4 s[4:7], s[12:13], 0x4
	s_load_dwordx4 s[8:11], s[12:13], 0xc4
	s_cmp_lt_u32 s33, 2
	s_waitcnt lgkmcnt(0)
	v_mul_hi_u32 v3, s5, v1
	v_add_u32_e32 v3, v1, v3
	v_lshrrev_b32_e32 v3, s6, v3
	v_mul_lo_u32 v6, v3, s4
	v_sub_u32_e32 v1, v1, v6
	v_mul_lo_u32 v10, v1, s8
	v_mul_lo_u32 v14, v1, s9
	;; [unrolled: 1-line block ×3, first 2 shown]
	s_cbranch_scc1 .LBB21_141
; %bb.140:
	s_load_dwordx4 s[4:7], s[12:13], 0x10
	s_load_dwordx4 s[8:11], s[12:13], 0xd0
	s_waitcnt lgkmcnt(0)
	v_mul_hi_u32 v1, s5, v3
	v_add_u32_e32 v1, v3, v1
	v_lshrrev_b32_e32 v1, s6, v1
	v_mul_lo_u32 v1, v1, s4
	v_sub_u32_e32 v1, v3, v1
	v_mad_u64_u32 v[10:11], s[2:3], v1, s8, v[10:11]
	v_mad_u64_u32 v[14:15], s[2:3], v1, s9, v[14:15]
	;; [unrolled: 1-line block ×3, first 2 shown]
.LBB21_141:
	s_and_b64 vcc, exec, s[0:1]
	v_add_u32_e32 v1, 0x180, v31
	s_cbranch_vccnz .LBB21_147
; %bb.142:
	s_cmp_lg_u32 s33, 0
	s_cbranch_scc0 .LBB21_148
; %bb.143:
	s_min_u32 s4, s34, 15
	s_add_i32 s2, s4, 1
	s_and_b32 s5, s2, 30
	s_add_u32 s2, s12, 0xffffffe8
	s_addc_u32 s3, s13, -1
	v_mov_b32_e32 v17, 0
	v_mov_b32_e32 v19, 0
	;; [unrolled: 1-line block ×4, first 2 shown]
.LBB21_144:                             ; =>This Inner Loop Header: Depth=1
	s_load_dwordx4 s[8:11], s[2:3], 0x1c
	s_load_dwordx2 s[6:7], s[2:3], 0x2c
	s_load_dwordx2 s[14:15], s[2:3], 0xec
	s_load_dwordx4 s[16:19], s[2:3], 0xdc
	s_add_u32 s2, s2, 24
	s_waitcnt lgkmcnt(0)
	v_mul_hi_u32 v6, s9, v3
	s_addc_u32 s3, s3, 0
	s_add_i32 s5, s5, -2
	s_cmp_lg_u32 s5, 0
	v_add_u32_e32 v6, v3, v6
	v_lshrrev_b32_e32 v6, s10, v6
	v_mul_lo_u32 v8, v6, s8
	v_mul_hi_u32 v11, s6, v6
	v_sub_u32_e32 v8, v3, v8
	v_add_u32_e32 v3, v6, v11
	v_lshrrev_b32_e32 v3, s7, v3
	v_mul_lo_u32 v16, v3, s11
	v_mul_lo_u32 v11, v8, s16
	v_mul_lo_u32 v13, v8, s17
	v_mul_lo_u32 v8, v8, s18
	v_sub_u32_e32 v6, v6, v16
	v_mul_lo_u32 v16, v6, s19
	v_mul_lo_u32 v18, v6, s14
	;; [unrolled: 1-line block ×3, first 2 shown]
	v_add3_u32 v15, v11, v15, v16
	v_add3_u32 v19, v13, v19, v18
	v_add3_u32 v17, v8, v17, v6
	s_cbranch_scc1 .LBB21_144
; %bb.145:
	s_bitcmp1_b32 s4, 0
	s_cselect_b64 s[4:5], -1, 0
	s_and_b64 vcc, exec, s[4:5]
	s_cbranch_vccnz .LBB21_149
; %bb.146:
	s_load_dwordx2 s[4:5], s[2:3], 0x1c
	s_load_dword s8, s[2:3], 0x24
	s_load_dwordx2 s[6:7], s[2:3], 0xdc
	s_waitcnt lgkmcnt(0)
	v_mul_hi_u32 v6, s5, v3
	v_add_u32_e32 v6, v3, v6
	v_lshrrev_b32_e32 v6, s8, v6
	v_mul_lo_u32 v6, v6, s4
	s_load_dword s4, s[2:3], 0xe4
	v_sub_u32_e32 v3, v3, v6
	v_mad_u64_u32 v[15:16], s[2:3], v3, s6, v[15:16]
	v_mad_u64_u32 v[19:20], s[2:3], v3, s7, v[19:20]
	s_waitcnt lgkmcnt(0)
	v_mad_u64_u32 v[17:18], s[2:3], v3, s4, v[17:18]
	s_cbranch_execz .LBB21_150
	s_branch .LBB21_152
.LBB21_147:
                                        ; implicit-def: $vgpr15
                                        ; implicit-def: $vgpr19
                                        ; implicit-def: $vgpr17
	s_branch .LBB21_150
.LBB21_148:
	v_mov_b32_e32 v15, 0
	v_mov_b32_e32 v19, 0
	;; [unrolled: 1-line block ×3, first 2 shown]
.LBB21_149:
	s_cbranch_execnz .LBB21_152
.LBB21_150:
	s_load_dwordx4 s[4:7], s[12:13], 0x4
	s_load_dwordx4 s[8:11], s[12:13], 0xc4
	s_cmp_lt_u32 s33, 2
	s_waitcnt lgkmcnt(0)
	v_mul_hi_u32 v3, s5, v1
	v_add_u32_e32 v3, v1, v3
	v_lshrrev_b32_e32 v3, s6, v3
	v_mul_lo_u32 v6, v3, s4
	v_sub_u32_e32 v1, v1, v6
	v_mul_lo_u32 v15, v1, s8
	v_mul_lo_u32 v19, v1, s9
	;; [unrolled: 1-line block ×3, first 2 shown]
	s_cbranch_scc1 .LBB21_152
; %bb.151:
	s_load_dwordx4 s[4:7], s[12:13], 0x10
	s_load_dwordx4 s[8:11], s[12:13], 0xd0
	s_waitcnt lgkmcnt(0)
	v_mul_hi_u32 v1, s5, v3
	v_add_u32_e32 v1, v3, v1
	v_lshrrev_b32_e32 v1, s6, v1
	v_mul_lo_u32 v1, v1, s4
	v_sub_u32_e32 v1, v3, v1
	v_mad_u64_u32 v[15:16], s[2:3], v1, s8, v[15:16]
	v_mad_u64_u32 v[19:20], s[2:3], v1, s9, v[19:20]
	;; [unrolled: 1-line block ×3, first 2 shown]
.LBB21_152:
	s_and_b64 vcc, exec, s[0:1]
	v_add_u32_e32 v1, 0x200, v31
	s_cbranch_vccnz .LBB21_158
; %bb.153:
	s_cmp_lg_u32 s33, 0
	s_cbranch_scc0 .LBB21_159
; %bb.154:
	s_min_u32 s4, s34, 15
	s_add_i32 s2, s4, 1
	s_and_b32 s5, s2, 30
	s_add_u32 s2, s12, 0xffffffe8
	s_addc_u32 s3, s13, -1
	v_mov_b32_e32 v24, 0
	v_mov_b32_e32 v22, 0
	;; [unrolled: 1-line block ×4, first 2 shown]
.LBB21_155:                             ; =>This Inner Loop Header: Depth=1
	s_load_dwordx4 s[8:11], s[2:3], 0x1c
	s_load_dwordx2 s[6:7], s[2:3], 0x2c
	s_load_dwordx2 s[14:15], s[2:3], 0xec
	s_load_dwordx4 s[16:19], s[2:3], 0xdc
	s_add_u32 s2, s2, 24
	s_waitcnt lgkmcnt(0)
	v_mul_hi_u32 v6, s9, v3
	s_addc_u32 s3, s3, 0
	s_add_i32 s5, s5, -2
	s_cmp_lg_u32 s5, 0
	v_add_u32_e32 v6, v3, v6
	v_lshrrev_b32_e32 v6, s10, v6
	v_mul_lo_u32 v8, v6, s8
	v_mul_hi_u32 v11, s6, v6
	v_sub_u32_e32 v8, v3, v8
	v_add_u32_e32 v3, v6, v11
	v_lshrrev_b32_e32 v3, s7, v3
	v_mul_lo_u32 v16, v3, s11
	v_mul_lo_u32 v11, v8, s16
	;; [unrolled: 1-line block ×4, first 2 shown]
	v_sub_u32_e32 v6, v6, v16
	v_mul_lo_u32 v16, v6, s19
	v_mul_lo_u32 v18, v6, s14
	;; [unrolled: 1-line block ×3, first 2 shown]
	v_add3_u32 v20, v11, v20, v16
	v_add3_u32 v22, v13, v22, v18
	;; [unrolled: 1-line block ×3, first 2 shown]
	s_cbranch_scc1 .LBB21_155
; %bb.156:
	s_bitcmp1_b32 s4, 0
	s_cselect_b64 s[4:5], -1, 0
	s_and_b64 vcc, exec, s[4:5]
	s_cbranch_vccnz .LBB21_160
; %bb.157:
	s_load_dwordx2 s[4:5], s[2:3], 0x1c
	s_load_dword s8, s[2:3], 0x24
	s_load_dwordx2 s[6:7], s[2:3], 0xdc
	s_waitcnt lgkmcnt(0)
	v_mul_hi_u32 v6, s5, v3
	v_add_u32_e32 v6, v3, v6
	v_lshrrev_b32_e32 v6, s8, v6
	v_mul_lo_u32 v6, v6, s4
	s_load_dword s4, s[2:3], 0xe4
	v_sub_u32_e32 v3, v3, v6
	v_mad_u64_u32 v[20:21], s[2:3], v3, s6, v[20:21]
	v_mad_u64_u32 v[22:23], s[2:3], v3, s7, v[22:23]
	s_waitcnt lgkmcnt(0)
	v_mad_u64_u32 v[24:25], s[2:3], v3, s4, v[24:25]
	s_cbranch_execz .LBB21_161
	s_branch .LBB21_163
.LBB21_158:
                                        ; implicit-def: $vgpr20
                                        ; implicit-def: $vgpr22
                                        ; implicit-def: $vgpr24
	s_branch .LBB21_161
.LBB21_159:
	v_mov_b32_e32 v20, 0
	v_mov_b32_e32 v22, 0
	;; [unrolled: 1-line block ×3, first 2 shown]
.LBB21_160:
	s_cbranch_execnz .LBB21_163
.LBB21_161:
	s_load_dwordx4 s[4:7], s[12:13], 0x4
	s_load_dwordx4 s[8:11], s[12:13], 0xc4
	s_cmp_lt_u32 s33, 2
	s_waitcnt lgkmcnt(0)
	v_mul_hi_u32 v3, s5, v1
	v_add_u32_e32 v3, v1, v3
	v_lshrrev_b32_e32 v3, s6, v3
	v_mul_lo_u32 v6, v3, s4
	v_sub_u32_e32 v1, v1, v6
	v_mul_lo_u32 v20, v1, s8
	v_mul_lo_u32 v22, v1, s9
	;; [unrolled: 1-line block ×3, first 2 shown]
	s_cbranch_scc1 .LBB21_163
; %bb.162:
	s_load_dwordx4 s[4:7], s[12:13], 0x10
	s_load_dwordx4 s[8:11], s[12:13], 0xd0
	s_waitcnt lgkmcnt(0)
	v_mul_hi_u32 v1, s5, v3
	v_add_u32_e32 v1, v3, v1
	v_lshrrev_b32_e32 v1, s6, v1
	v_mul_lo_u32 v1, v1, s4
	v_sub_u32_e32 v1, v3, v1
	v_mad_u64_u32 v[20:21], s[2:3], v1, s8, v[20:21]
	v_mad_u64_u32 v[22:23], s[2:3], v1, s9, v[22:23]
	;; [unrolled: 1-line block ×3, first 2 shown]
.LBB21_163:
	s_and_b64 vcc, exec, s[0:1]
	v_add_u32_e32 v1, 0x280, v31
	s_cbranch_vccnz .LBB21_169
; %bb.164:
	s_cmp_lg_u32 s33, 0
	s_cbranch_scc0 .LBB21_170
; %bb.165:
	s_min_u32 s4, s34, 15
	s_add_i32 s2, s4, 1
	s_and_b32 s5, s2, 30
	s_add_u32 s2, s12, 0xffffffe8
	s_addc_u32 s3, s13, -1
	v_mov_b32_e32 v29, 0
	v_mov_b32_e32 v27, 0
	;; [unrolled: 1-line block ×4, first 2 shown]
.LBB21_166:                             ; =>This Inner Loop Header: Depth=1
	s_load_dwordx4 s[8:11], s[2:3], 0x1c
	s_load_dwordx2 s[6:7], s[2:3], 0x2c
	s_load_dwordx2 s[14:15], s[2:3], 0xec
	s_load_dwordx4 s[16:19], s[2:3], 0xdc
	s_add_u32 s2, s2, 24
	s_waitcnt lgkmcnt(0)
	v_mul_hi_u32 v6, s9, v3
	s_addc_u32 s3, s3, 0
	s_add_i32 s5, s5, -2
	s_cmp_lg_u32 s5, 0
	v_add_u32_e32 v6, v3, v6
	v_lshrrev_b32_e32 v6, s10, v6
	v_mul_lo_u32 v8, v6, s8
	v_mul_hi_u32 v11, s6, v6
	v_sub_u32_e32 v8, v3, v8
	v_add_u32_e32 v3, v6, v11
	v_lshrrev_b32_e32 v3, s7, v3
	v_mul_lo_u32 v16, v3, s11
	v_mul_lo_u32 v11, v8, s16
	;; [unrolled: 1-line block ×4, first 2 shown]
	v_sub_u32_e32 v6, v6, v16
	v_mul_lo_u32 v16, v6, s19
	v_mul_lo_u32 v18, v6, s14
	;; [unrolled: 1-line block ×3, first 2 shown]
	v_add3_u32 v25, v11, v25, v16
	v_add3_u32 v27, v13, v27, v18
	v_add3_u32 v29, v8, v29, v6
	s_cbranch_scc1 .LBB21_166
; %bb.167:
	s_bitcmp1_b32 s4, 0
	s_cselect_b64 s[4:5], -1, 0
	s_and_b64 vcc, exec, s[4:5]
	s_cbranch_vccnz .LBB21_171
; %bb.168:
	s_load_dwordx2 s[4:5], s[2:3], 0x1c
	s_load_dword s8, s[2:3], 0x24
	s_load_dwordx2 s[6:7], s[2:3], 0xdc
	s_waitcnt lgkmcnt(0)
	v_mul_hi_u32 v6, s5, v3
	v_add_u32_e32 v6, v3, v6
	v_lshrrev_b32_e32 v6, s8, v6
	v_mul_lo_u32 v6, v6, s4
	s_load_dword s4, s[2:3], 0xe4
	v_sub_u32_e32 v3, v3, v6
	v_mad_u64_u32 v[25:26], s[2:3], v3, s6, v[25:26]
	v_mad_u64_u32 v[27:28], s[2:3], v3, s7, v[27:28]
	s_waitcnt lgkmcnt(0)
	v_mad_u64_u32 v[29:30], s[2:3], v3, s4, v[29:30]
	s_cbranch_execz .LBB21_172
	s_branch .LBB21_174
.LBB21_169:
                                        ; implicit-def: $vgpr25
                                        ; implicit-def: $vgpr27
                                        ; implicit-def: $vgpr29
	s_branch .LBB21_172
.LBB21_170:
	v_mov_b32_e32 v25, 0
	v_mov_b32_e32 v27, 0
	;; [unrolled: 1-line block ×3, first 2 shown]
.LBB21_171:
	s_cbranch_execnz .LBB21_174
.LBB21_172:
	s_load_dwordx4 s[4:7], s[12:13], 0x4
	s_load_dwordx4 s[8:11], s[12:13], 0xc4
	s_cmp_lt_u32 s33, 2
	s_waitcnt lgkmcnt(0)
	v_mul_hi_u32 v3, s5, v1
	v_add_u32_e32 v3, v1, v3
	v_lshrrev_b32_e32 v3, s6, v3
	v_mul_lo_u32 v6, v3, s4
	v_sub_u32_e32 v1, v1, v6
	v_mul_lo_u32 v25, v1, s8
	v_mul_lo_u32 v27, v1, s9
	;; [unrolled: 1-line block ×3, first 2 shown]
	s_cbranch_scc1 .LBB21_174
; %bb.173:
	s_load_dwordx4 s[4:7], s[12:13], 0x10
	s_load_dwordx4 s[8:11], s[12:13], 0xd0
	s_waitcnt lgkmcnt(0)
	v_mul_hi_u32 v1, s5, v3
	v_add_u32_e32 v1, v3, v1
	v_lshrrev_b32_e32 v1, s6, v1
	v_mul_lo_u32 v1, v1, s4
	v_sub_u32_e32 v1, v3, v1
	v_mad_u64_u32 v[25:26], s[2:3], v1, s8, v[25:26]
	v_mad_u64_u32 v[27:28], s[2:3], v1, s9, v[27:28]
	;; [unrolled: 1-line block ×3, first 2 shown]
.LBB21_174:
	s_and_b64 vcc, exec, s[0:1]
	v_add_u32_e32 v1, 0x300, v31
	s_cbranch_vccnz .LBB21_180
; %bb.175:
	s_cmp_lg_u32 s33, 0
	s_cbranch_scc0 .LBB21_181
; %bb.176:
	s_min_u32 s4, s34, 15
	s_add_i32 s2, s4, 1
	s_and_b32 s5, s2, 30
	s_add_u32 s2, s12, 0xffffffe8
	s_addc_u32 s3, s13, -1
	v_mov_b32_e32 v32, 0
	v_mov_b32_e32 v34, 0
	;; [unrolled: 1-line block ×4, first 2 shown]
.LBB21_177:                             ; =>This Inner Loop Header: Depth=1
	s_load_dwordx4 s[8:11], s[2:3], 0x1c
	s_load_dwordx2 s[6:7], s[2:3], 0x2c
	s_load_dwordx2 s[14:15], s[2:3], 0xec
	s_load_dwordx4 s[16:19], s[2:3], 0xdc
	s_add_u32 s2, s2, 24
	s_waitcnt lgkmcnt(0)
	v_mul_hi_u32 v6, s9, v3
	s_addc_u32 s3, s3, 0
	s_add_i32 s5, s5, -2
	s_cmp_lg_u32 s5, 0
	v_add_u32_e32 v6, v3, v6
	v_lshrrev_b32_e32 v6, s10, v6
	v_mul_lo_u32 v8, v6, s8
	v_mul_hi_u32 v11, s6, v6
	v_sub_u32_e32 v8, v3, v8
	v_add_u32_e32 v3, v6, v11
	v_lshrrev_b32_e32 v3, s7, v3
	v_mul_lo_u32 v16, v3, s11
	v_mul_lo_u32 v11, v8, s16
	;; [unrolled: 1-line block ×4, first 2 shown]
	v_sub_u32_e32 v6, v6, v16
	v_mul_lo_u32 v16, v6, s19
	v_mul_lo_u32 v18, v6, s14
	;; [unrolled: 1-line block ×3, first 2 shown]
	v_add3_u32 v30, v11, v30, v16
	v_add3_u32 v34, v13, v34, v18
	;; [unrolled: 1-line block ×3, first 2 shown]
	s_cbranch_scc1 .LBB21_177
; %bb.178:
	s_bitcmp1_b32 s4, 0
	s_cselect_b64 s[4:5], -1, 0
	s_and_b64 vcc, exec, s[4:5]
	s_cbranch_vccnz .LBB21_182
; %bb.179:
	s_load_dwordx2 s[4:5], s[2:3], 0x1c
	s_load_dword s8, s[2:3], 0x24
	s_load_dwordx2 s[6:7], s[2:3], 0xdc
	s_waitcnt lgkmcnt(0)
	v_mul_hi_u32 v6, s5, v3
	v_add_u32_e32 v6, v3, v6
	v_lshrrev_b32_e32 v6, s8, v6
	v_mul_lo_u32 v6, v6, s4
	s_load_dword s4, s[2:3], 0xe4
	v_sub_u32_e32 v3, v3, v6
	v_mad_u64_u32 v[30:31], s[2:3], v3, s6, v[30:31]
	v_mad_u64_u32 v[34:35], s[2:3], v3, s7, v[34:35]
	s_waitcnt lgkmcnt(0)
	v_mad_u64_u32 v[32:33], s[2:3], v3, s4, v[32:33]
	s_cbranch_execz .LBB21_183
	s_branch .LBB21_185
.LBB21_180:
                                        ; implicit-def: $vgpr30
                                        ; implicit-def: $vgpr34
                                        ; implicit-def: $vgpr32
	s_branch .LBB21_183
.LBB21_181:
	v_mov_b32_e32 v30, 0
	v_mov_b32_e32 v34, 0
	;; [unrolled: 1-line block ×3, first 2 shown]
.LBB21_182:
	s_cbranch_execnz .LBB21_185
.LBB21_183:
	s_load_dwordx4 s[4:7], s[12:13], 0x4
	s_load_dwordx4 s[8:11], s[12:13], 0xc4
	s_cmp_lt_u32 s33, 2
	s_waitcnt lgkmcnt(0)
	v_mul_hi_u32 v3, s5, v1
	v_add_u32_e32 v3, v1, v3
	v_lshrrev_b32_e32 v3, s6, v3
	v_mul_lo_u32 v6, v3, s4
	v_sub_u32_e32 v1, v1, v6
	v_mul_lo_u32 v30, v1, s8
	v_mul_lo_u32 v34, v1, s9
	;; [unrolled: 1-line block ×3, first 2 shown]
	s_cbranch_scc1 .LBB21_185
; %bb.184:
	s_load_dwordx4 s[4:7], s[12:13], 0x10
	s_load_dwordx4 s[8:11], s[12:13], 0xd0
	s_waitcnt lgkmcnt(0)
	v_mul_hi_u32 v1, s5, v3
	v_add_u32_e32 v1, v3, v1
	v_lshrrev_b32_e32 v1, s6, v1
	v_mul_lo_u32 v1, v1, s4
	v_sub_u32_e32 v1, v3, v1
	v_mad_u64_u32 v[30:31], s[2:3], v1, s8, v[30:31]
	v_mad_u64_u32 v[34:35], s[2:3], v1, s9, v[34:35]
	;; [unrolled: 1-line block ×3, first 2 shown]
.LBB21_185:
	s_and_b64 vcc, exec, s[0:1]
	s_cbranch_vccnz .LBB21_191
; %bb.186:
	s_cmp_lg_u32 s33, 0
	s_cbranch_scc0 .LBB21_192
; %bb.187:
	s_min_u32 s2, s34, 15
	s_add_i32 s0, s2, 1
	s_and_b32 s3, s0, 30
	s_add_u32 s0, s12, 0xffffffe8
	s_addc_u32 s1, s13, -1
	v_mov_b32_e32 v37, 0
	v_mov_b32_e32 v39, 0
	;; [unrolled: 1-line block ×4, first 2 shown]
.LBB21_188:                             ; =>This Inner Loop Header: Depth=1
	s_load_dwordx4 s[4:7], s[0:1], 0x1c
	s_load_dwordx2 s[14:15], s[0:1], 0x2c
	s_load_dwordx2 s[16:17], s[0:1], 0xec
	s_load_dwordx4 s[8:11], s[0:1], 0xdc
	s_add_u32 s0, s0, 24
	s_waitcnt lgkmcnt(0)
	v_mul_hi_u32 v3, s5, v1
	s_addc_u32 s1, s1, 0
	s_add_i32 s3, s3, -2
	s_cmp_lg_u32 s3, 0
	v_add_u32_e32 v3, v1, v3
	v_lshrrev_b32_e32 v3, s6, v3
	v_mul_lo_u32 v6, v3, s4
	v_mul_hi_u32 v8, s14, v3
	v_sub_u32_e32 v6, v1, v6
	v_add_u32_e32 v1, v3, v8
	v_lshrrev_b32_e32 v1, s15, v1
	v_mul_lo_u32 v13, v1, s7
	v_mul_lo_u32 v8, v6, s8
	;; [unrolled: 1-line block ×4, first 2 shown]
	v_sub_u32_e32 v3, v3, v13
	v_mul_lo_u32 v13, v3, s11
	v_mul_lo_u32 v16, v3, s16
	;; [unrolled: 1-line block ×3, first 2 shown]
	v_add3_u32 v35, v8, v35, v13
	v_add3_u32 v39, v11, v39, v16
	;; [unrolled: 1-line block ×3, first 2 shown]
	s_cbranch_scc1 .LBB21_188
; %bb.189:
	s_bitcmp1_b32 s2, 0
	s_cselect_b64 s[2:3], -1, 0
	s_and_b64 vcc, exec, s[2:3]
	s_cbranch_vccnz .LBB21_193
; %bb.190:
	s_load_dwordx2 s[2:3], s[0:1], 0x1c
	s_load_dword s6, s[0:1], 0x24
	s_load_dwordx2 s[4:5], s[0:1], 0xdc
	s_waitcnt lgkmcnt(0)
	v_mul_hi_u32 v3, s3, v1
	v_add_u32_e32 v3, v1, v3
	v_lshrrev_b32_e32 v3, s6, v3
	v_mul_lo_u32 v3, v3, s2
	s_load_dword s2, s[0:1], 0xe4
	v_sub_u32_e32 v1, v1, v3
	v_mad_u64_u32 v[35:36], s[0:1], v1, s4, v[35:36]
	v_mad_u64_u32 v[39:40], s[0:1], v1, s5, v[39:40]
	s_waitcnt lgkmcnt(0)
	v_mad_u64_u32 v[37:38], s[0:1], v1, s2, v[37:38]
	s_cbranch_execz .LBB21_194
	s_branch .LBB21_196
.LBB21_191:
                                        ; implicit-def: $vgpr35
                                        ; implicit-def: $vgpr39
                                        ; implicit-def: $vgpr37
	s_branch .LBB21_194
.LBB21_192:
	v_mov_b32_e32 v35, 0
	v_mov_b32_e32 v39, 0
	;; [unrolled: 1-line block ×3, first 2 shown]
.LBB21_193:
	s_cbranch_execnz .LBB21_196
.LBB21_194:
	s_load_dwordx4 s[0:3], s[12:13], 0x4
	s_load_dwordx4 s[4:7], s[12:13], 0xc4
	s_cmp_lt_u32 s33, 2
	s_waitcnt lgkmcnt(0)
	v_mul_hi_u32 v1, s1, v41
	v_add_u32_e32 v1, v41, v1
	v_lshrrev_b32_e32 v1, s2, v1
	v_mul_lo_u32 v3, v1, s0
	v_sub_u32_e32 v3, v41, v3
	v_mul_lo_u32 v35, v3, s4
	v_mul_lo_u32 v39, v3, s5
	v_mul_lo_u32 v37, v3, s6
	s_cbranch_scc1 .LBB21_196
; %bb.195:
	s_load_dwordx4 s[0:3], s[12:13], 0x10
	s_load_dwordx4 s[4:7], s[12:13], 0xd0
	s_waitcnt lgkmcnt(0)
	v_mul_hi_u32 v3, s1, v1
	v_add_u32_e32 v3, v1, v3
	v_lshrrev_b32_e32 v3, s2, v3
	v_mul_lo_u32 v3, v3, s0
	v_sub_u32_e32 v1, v1, v3
	v_mad_u64_u32 v[35:36], s[0:1], v1, s4, v[35:36]
	v_mad_u64_u32 v[39:40], s[0:1], v1, s5, v[39:40]
	;; [unrolled: 1-line block ×3, first 2 shown]
.LBB21_196:
	s_load_dwordx4 s[0:3], s[12:13], 0x188
	s_load_dwordx2 s[4:5], s[12:13], 0x198
	s_waitcnt lgkmcnt(0)
	global_load_ubyte v1, v4, s[2:3]
	global_load_ubyte v3, v2, s[4:5]
	;; [unrolled: 1-line block ×8, first 2 shown]
                                        ; kill: killed $vgpr4
                                        ; kill: killed $vgpr9
                                        ; kill: killed $vgpr2
                                        ; kill: killed $vgpr14
                                        ; kill: killed $vgpr7
                                        ; kill: killed $vgpr19
                                        ; kill: killed $vgpr12
                                        ; kill: killed $vgpr17
	global_load_ubyte v2, v22, s[2:3]
	global_load_ubyte v4, v24, s[4:5]
	;; [unrolled: 1-line block ×8, first 2 shown]
	s_load_dword s2, s[12:13], 0x1a0
	s_waitcnt lgkmcnt(0)
	s_and_b32 s3, s2, 0xff
	s_bfe_u32 s2, s2, 0x80008
	v_mov_b32_e32 v21, s2
	s_waitcnt vmcnt(15)
	v_cmp_lt_u16_e32 vcc, s3, v1
	s_waitcnt vmcnt(14)
	v_cndmask_b32_e32 v1, v21, v3, vcc
	s_waitcnt vmcnt(13)
	v_cmp_lt_u16_e32 vcc, s3, v6
	s_waitcnt vmcnt(12)
	v_cndmask_b32_e32 v3, v21, v8, vcc
	;; [unrolled: 4-line block ×8, first 2 shown]
	global_store_byte v0, v1, s[0:1]
	global_store_byte v5, v3, s[0:1]
	;; [unrolled: 1-line block ×8, first 2 shown]
	s_endpgm
	.section	.rodata,"a",@progbits
	.p2align	6, 0x0
	.amdhsa_kernel _ZN2at6native32elementwise_kernel_manual_unrollILi128ELi8EZNS0_22gpu_kernel_impl_nocastINS0_13BinaryFunctorIhhhZNS0_12_GLOBAL__N_121threshold_kernel_implIhEEvRNS_18TensorIteratorBaseET_S8_EUlhhE_EEEEvS7_RKS8_EUlibE_EEviT1_
		.amdhsa_group_segment_fixed_size 0
		.amdhsa_private_segment_fixed_size 0
		.amdhsa_kernarg_size 432
		.amdhsa_user_sgpr_count 6
		.amdhsa_user_sgpr_private_segment_buffer 1
		.amdhsa_user_sgpr_dispatch_ptr 0
		.amdhsa_user_sgpr_queue_ptr 0
		.amdhsa_user_sgpr_kernarg_segment_ptr 1
		.amdhsa_user_sgpr_dispatch_id 0
		.amdhsa_user_sgpr_flat_scratch_init 0
		.amdhsa_user_sgpr_private_segment_size 0
		.amdhsa_uses_dynamic_stack 0
		.amdhsa_system_sgpr_private_segment_wavefront_offset 0
		.amdhsa_system_sgpr_workgroup_id_x 1
		.amdhsa_system_sgpr_workgroup_id_y 0
		.amdhsa_system_sgpr_workgroup_id_z 0
		.amdhsa_system_sgpr_workgroup_info 0
		.amdhsa_system_vgpr_workitem_id 0
		.amdhsa_next_free_vgpr 42
		.amdhsa_next_free_sgpr 52
		.amdhsa_reserve_vcc 1
		.amdhsa_reserve_flat_scratch 0
		.amdhsa_float_round_mode_32 0
		.amdhsa_float_round_mode_16_64 0
		.amdhsa_float_denorm_mode_32 3
		.amdhsa_float_denorm_mode_16_64 3
		.amdhsa_dx10_clamp 1
		.amdhsa_ieee_mode 1
		.amdhsa_fp16_overflow 0
		.amdhsa_exception_fp_ieee_invalid_op 0
		.amdhsa_exception_fp_denorm_src 0
		.amdhsa_exception_fp_ieee_div_zero 0
		.amdhsa_exception_fp_ieee_overflow 0
		.amdhsa_exception_fp_ieee_underflow 0
		.amdhsa_exception_fp_ieee_inexact 0
		.amdhsa_exception_int_div_zero 0
	.end_amdhsa_kernel
	.section	.text._ZN2at6native32elementwise_kernel_manual_unrollILi128ELi8EZNS0_22gpu_kernel_impl_nocastINS0_13BinaryFunctorIhhhZNS0_12_GLOBAL__N_121threshold_kernel_implIhEEvRNS_18TensorIteratorBaseET_S8_EUlhhE_EEEEvS7_RKS8_EUlibE_EEviT1_,"axG",@progbits,_ZN2at6native32elementwise_kernel_manual_unrollILi128ELi8EZNS0_22gpu_kernel_impl_nocastINS0_13BinaryFunctorIhhhZNS0_12_GLOBAL__N_121threshold_kernel_implIhEEvRNS_18TensorIteratorBaseET_S8_EUlhhE_EEEEvS7_RKS8_EUlibE_EEviT1_,comdat
.Lfunc_end21:
	.size	_ZN2at6native32elementwise_kernel_manual_unrollILi128ELi8EZNS0_22gpu_kernel_impl_nocastINS0_13BinaryFunctorIhhhZNS0_12_GLOBAL__N_121threshold_kernel_implIhEEvRNS_18TensorIteratorBaseET_S8_EUlhhE_EEEEvS7_RKS8_EUlibE_EEviT1_, .Lfunc_end21-_ZN2at6native32elementwise_kernel_manual_unrollILi128ELi8EZNS0_22gpu_kernel_impl_nocastINS0_13BinaryFunctorIhhhZNS0_12_GLOBAL__N_121threshold_kernel_implIhEEvRNS_18TensorIteratorBaseET_S8_EUlhhE_EEEEvS7_RKS8_EUlibE_EEviT1_
                                        ; -- End function
	.set _ZN2at6native32elementwise_kernel_manual_unrollILi128ELi8EZNS0_22gpu_kernel_impl_nocastINS0_13BinaryFunctorIhhhZNS0_12_GLOBAL__N_121threshold_kernel_implIhEEvRNS_18TensorIteratorBaseET_S8_EUlhhE_EEEEvS7_RKS8_EUlibE_EEviT1_.num_vgpr, 42
	.set _ZN2at6native32elementwise_kernel_manual_unrollILi128ELi8EZNS0_22gpu_kernel_impl_nocastINS0_13BinaryFunctorIhhhZNS0_12_GLOBAL__N_121threshold_kernel_implIhEEvRNS_18TensorIteratorBaseET_S8_EUlhhE_EEEEvS7_RKS8_EUlibE_EEviT1_.num_agpr, 0
	.set _ZN2at6native32elementwise_kernel_manual_unrollILi128ELi8EZNS0_22gpu_kernel_impl_nocastINS0_13BinaryFunctorIhhhZNS0_12_GLOBAL__N_121threshold_kernel_implIhEEvRNS_18TensorIteratorBaseET_S8_EUlhhE_EEEEvS7_RKS8_EUlibE_EEviT1_.numbered_sgpr, 52
	.set _ZN2at6native32elementwise_kernel_manual_unrollILi128ELi8EZNS0_22gpu_kernel_impl_nocastINS0_13BinaryFunctorIhhhZNS0_12_GLOBAL__N_121threshold_kernel_implIhEEvRNS_18TensorIteratorBaseET_S8_EUlhhE_EEEEvS7_RKS8_EUlibE_EEviT1_.num_named_barrier, 0
	.set _ZN2at6native32elementwise_kernel_manual_unrollILi128ELi8EZNS0_22gpu_kernel_impl_nocastINS0_13BinaryFunctorIhhhZNS0_12_GLOBAL__N_121threshold_kernel_implIhEEvRNS_18TensorIteratorBaseET_S8_EUlhhE_EEEEvS7_RKS8_EUlibE_EEviT1_.private_seg_size, 0
	.set _ZN2at6native32elementwise_kernel_manual_unrollILi128ELi8EZNS0_22gpu_kernel_impl_nocastINS0_13BinaryFunctorIhhhZNS0_12_GLOBAL__N_121threshold_kernel_implIhEEvRNS_18TensorIteratorBaseET_S8_EUlhhE_EEEEvS7_RKS8_EUlibE_EEviT1_.uses_vcc, 1
	.set _ZN2at6native32elementwise_kernel_manual_unrollILi128ELi8EZNS0_22gpu_kernel_impl_nocastINS0_13BinaryFunctorIhhhZNS0_12_GLOBAL__N_121threshold_kernel_implIhEEvRNS_18TensorIteratorBaseET_S8_EUlhhE_EEEEvS7_RKS8_EUlibE_EEviT1_.uses_flat_scratch, 0
	.set _ZN2at6native32elementwise_kernel_manual_unrollILi128ELi8EZNS0_22gpu_kernel_impl_nocastINS0_13BinaryFunctorIhhhZNS0_12_GLOBAL__N_121threshold_kernel_implIhEEvRNS_18TensorIteratorBaseET_S8_EUlhhE_EEEEvS7_RKS8_EUlibE_EEviT1_.has_dyn_sized_stack, 0
	.set _ZN2at6native32elementwise_kernel_manual_unrollILi128ELi8EZNS0_22gpu_kernel_impl_nocastINS0_13BinaryFunctorIhhhZNS0_12_GLOBAL__N_121threshold_kernel_implIhEEvRNS_18TensorIteratorBaseET_S8_EUlhhE_EEEEvS7_RKS8_EUlibE_EEviT1_.has_recursion, 0
	.set _ZN2at6native32elementwise_kernel_manual_unrollILi128ELi8EZNS0_22gpu_kernel_impl_nocastINS0_13BinaryFunctorIhhhZNS0_12_GLOBAL__N_121threshold_kernel_implIhEEvRNS_18TensorIteratorBaseET_S8_EUlhhE_EEEEvS7_RKS8_EUlibE_EEviT1_.has_indirect_call, 0
	.section	.AMDGPU.csdata,"",@progbits
; Kernel info:
; codeLenInByte = 9396
; TotalNumSgprs: 56
; NumVgprs: 42
; ScratchSize: 0
; MemoryBound: 0
; FloatMode: 240
; IeeeMode: 1
; LDSByteSize: 0 bytes/workgroup (compile time only)
; SGPRBlocks: 6
; VGPRBlocks: 10
; NumSGPRsForWavesPerEU: 56
; NumVGPRsForWavesPerEU: 42
; Occupancy: 5
; WaveLimiterHint : 1
; COMPUTE_PGM_RSRC2:SCRATCH_EN: 0
; COMPUTE_PGM_RSRC2:USER_SGPR: 6
; COMPUTE_PGM_RSRC2:TRAP_HANDLER: 0
; COMPUTE_PGM_RSRC2:TGID_X_EN: 1
; COMPUTE_PGM_RSRC2:TGID_Y_EN: 0
; COMPUTE_PGM_RSRC2:TGID_Z_EN: 0
; COMPUTE_PGM_RSRC2:TIDIG_COMP_CNT: 0
	.section	.text._ZN2at6native32elementwise_kernel_manual_unrollILi128ELi4EZNS0_15gpu_kernel_implINS0_13BinaryFunctorIhhhZNS0_12_GLOBAL__N_121threshold_kernel_implIhEEvRNS_18TensorIteratorBaseET_S8_EUlhhE_EEEEvS7_RKS8_EUlibE_EEviT1_,"axG",@progbits,_ZN2at6native32elementwise_kernel_manual_unrollILi128ELi4EZNS0_15gpu_kernel_implINS0_13BinaryFunctorIhhhZNS0_12_GLOBAL__N_121threshold_kernel_implIhEEvRNS_18TensorIteratorBaseET_S8_EUlhhE_EEEEvS7_RKS8_EUlibE_EEviT1_,comdat
	.globl	_ZN2at6native32elementwise_kernel_manual_unrollILi128ELi4EZNS0_15gpu_kernel_implINS0_13BinaryFunctorIhhhZNS0_12_GLOBAL__N_121threshold_kernel_implIhEEvRNS_18TensorIteratorBaseET_S8_EUlhhE_EEEEvS7_RKS8_EUlibE_EEviT1_ ; -- Begin function _ZN2at6native32elementwise_kernel_manual_unrollILi128ELi4EZNS0_15gpu_kernel_implINS0_13BinaryFunctorIhhhZNS0_12_GLOBAL__N_121threshold_kernel_implIhEEvRNS_18TensorIteratorBaseET_S8_EUlhhE_EEEEvS7_RKS8_EUlibE_EEviT1_
	.p2align	8
	.type	_ZN2at6native32elementwise_kernel_manual_unrollILi128ELi4EZNS0_15gpu_kernel_implINS0_13BinaryFunctorIhhhZNS0_12_GLOBAL__N_121threshold_kernel_implIhEEvRNS_18TensorIteratorBaseET_S8_EUlhhE_EEEEvS7_RKS8_EUlibE_EEviT1_,@function
_ZN2at6native32elementwise_kernel_manual_unrollILi128ELi4EZNS0_15gpu_kernel_implINS0_13BinaryFunctorIhhhZNS0_12_GLOBAL__N_121threshold_kernel_implIhEEvRNS_18TensorIteratorBaseET_S8_EUlhhE_EEEEvS7_RKS8_EUlibE_EEviT1_: ; @_ZN2at6native32elementwise_kernel_manual_unrollILi128ELi4EZNS0_15gpu_kernel_implINS0_13BinaryFunctorIhhhZNS0_12_GLOBAL__N_121threshold_kernel_implIhEEvRNS_18TensorIteratorBaseET_S8_EUlhhE_EEEEvS7_RKS8_EUlibE_EEviT1_
; %bb.0:
	s_load_dwordx2 s[2:3], s[4:5], 0x2c
	s_load_dword s50, s[4:5], 0x0
	s_load_dwordx4 s[8:11], s[4:5], 0x8
	s_load_dwordx2 s[16:17], s[4:5], 0x18
	s_load_dwordx4 s[12:15], s[4:5], 0x20
	v_lshl_or_b32 v11, s6, 9, v0
	v_or_b32_e32 v0, 0x180, v11
	s_waitcnt lgkmcnt(0)
	s_sext_i32_i8 s15, s3
	s_lshr_b32 s56, s2, 24
	s_lshr_b32 s33, s2, 8
	;; [unrolled: 1-line block ×3, first 2 shown]
	v_cmp_le_i32_e32 vcc, s50, v0
	s_mov_b64 s[4:5], 0
	s_mov_b64 s[18:19], 0
	s_and_saveexec_b64 s[0:1], vcc
	s_xor_b64 s[6:7], exec, s[0:1]
	s_cbranch_execz .LBB22_1512
; %bb.1:
	v_cmp_gt_i32_e32 vcc, s50, v11
	s_mov_b64 s[0:1], -1
	s_mov_b64 s[28:29], 0
	s_mov_b64 s[22:23], 0
	;; [unrolled: 1-line block ×3, first 2 shown]
	s_and_saveexec_b64 s[24:25], vcc
	s_cbranch_execz .LBB22_375
; %bb.2:
	v_mul_lo_u32 v0, v11, s13
	v_mov_b32_e32 v1, s11
	s_and_b32 s20, 0xffff, s56
	s_cmp_lt_i32 s20, 11
	v_ashrrev_i32_e32 v3, 31, v0
	v_add_co_u32_e32 v2, vcc, s10, v0
	v_addc_co_u32_e32 v3, vcc, v1, v3, vcc
	s_cbranch_scc1 .LBB22_9
; %bb.3:
	s_cmp_gt_i32 s20, 25
	s_cbranch_scc0 .LBB22_18
; %bb.4:
	s_cmp_gt_i32 s20, 28
	s_cbranch_scc0 .LBB22_28
	;; [unrolled: 3-line block ×4, first 2 shown]
; %bb.7:
	s_cmp_eq_u32 s20, 46
	s_cbranch_scc0 .LBB22_37
; %bb.8:
	global_load_dword v0, v[2:3], off
	s_mov_b32 s0, 0x2f800000
	s_mov_b32 s1, 0xcf800000
	s_waitcnt vmcnt(0)
	v_lshlrev_b32_e32 v0, 16, v0
	v_trunc_f32_e32 v0, v0
	v_mul_f32_e64 v1, |v0|, s0
	v_floor_f32_e32 v1, v1
	v_fma_f32 v1, v1, s1, |v0|
	v_cvt_u32_f32_e32 v1, v1
	v_ashrrev_i32_e32 v0, 31, v0
	s_mov_b64 s[0:1], -1
	v_xor_b32_e32 v1, v1, v0
	v_sub_u32_e32 v0, v1, v0
	s_branch .LBB22_39
.LBB22_9:
                                        ; implicit-def: $vgpr0
	s_mov_b64 s[0:1], 0
	s_cbranch_execnz .LBB22_101
.LBB22_10:
	s_andn2_b64 vcc, exec, s[0:1]
	s_cbranch_vccnz .LBB22_148
.LBB22_11:
	s_waitcnt vmcnt(0)
	v_mul_lo_u32 v1, v11, s14
	v_mov_b32_e32 v2, s17
	s_and_b32 s26, s15, 0xff
	s_cmp_lt_i32 s26, 11
	v_ashrrev_i32_e32 v3, 31, v1
	v_add_co_u32_e32 v1, vcc, s16, v1
	v_addc_co_u32_e32 v2, vcc, v2, v3, vcc
	s_cbranch_scc1 .LBB22_19
; %bb.12:
	s_and_b32 s27, 0xffff, s26
	s_cmp_gt_i32 s27, 25
	s_cbranch_scc0 .LBB22_29
; %bb.13:
	s_cmp_gt_i32 s27, 28
	s_cbranch_scc0 .LBB22_32
; %bb.14:
	;; [unrolled: 3-line block ×4, first 2 shown]
	s_cmp_eq_u32 s27, 46
	s_mov_b64 s[18:19], 0
	s_cbranch_scc0 .LBB22_149
; %bb.17:
	global_load_dword v3, v[1:2], off
	s_mov_b32 s0, 0x2f800000
	s_mov_b32 s1, 0xcf800000
	s_mov_b64 s[20:21], 0
	s_waitcnt vmcnt(0)
	v_lshlrev_b32_e32 v3, 16, v3
	v_trunc_f32_e32 v3, v3
	v_mul_f32_e64 v4, |v3|, s0
	v_floor_f32_e32 v4, v4
	v_fma_f32 v4, v4, s1, |v3|
	v_cvt_u32_f32_e32 v4, v4
	v_ashrrev_i32_e32 v3, 31, v3
	s_mov_b64 s[0:1], -1
	v_xor_b32_e32 v4, v4, v3
	v_sub_u32_e32 v3, v4, v3
	s_branch .LBB22_151
.LBB22_18:
	s_mov_b64 s[0:1], 0
                                        ; implicit-def: $vgpr0
	s_cbranch_execnz .LBB22_68
	s_branch .LBB22_100
.LBB22_19:
	s_mov_b64 s[20:21], 0
                                        ; implicit-def: $vgpr3
	s_mov_b64 s[0:1], 0
	s_cbranch_execnz .LBB22_324
.LBB22_20:
	s_andn2_b64 vcc, exec, s[0:1]
	s_cbranch_vccnz .LBB22_372
.LBB22_21:
	v_mul_lo_u32 v1, v11, s12
	s_and_b32 s0, s2, 0xff
	v_mov_b32_e32 v2, s33
	v_cmp_gt_u16_sdwa vcc, v0, s0 src0_sel:BYTE_0 src1_sel:DWORD
	s_waitcnt vmcnt(0)
	v_cndmask_b32_e32 v2, v2, v3, vcc
	v_ashrrev_i32_e32 v3, 31, v1
	v_mov_b32_e32 v4, s9
	s_and_b32 s34, s3, 0xff
	v_add_co_u32_e32 v0, vcc, s8, v1
	s_cmp_lt_i32 s34, 11
	v_addc_co_u32_e32 v1, vcc, v4, v3, vcc
	s_cbranch_scc1 .LBB22_30
; %bb.22:
	s_and_b32 s35, 0xffff, s34
	s_cmp_gt_i32 s35, 25
	s_cbranch_scc0 .LBB22_33
; %bb.23:
	s_cmp_gt_i32 s35, 28
	s_cbranch_scc0 .LBB22_36
; %bb.24:
	;; [unrolled: 3-line block ×4, first 2 shown]
	s_mov_b64 s[26:27], 0
	s_mov_b64 s[0:1], -1
	s_cmp_eq_u32 s35, 46
	s_mov_b64 s[18:19], 0
	s_cbranch_scc0 .LBB22_155
; %bb.27:
	v_cvt_f32_ubyte0_e32 v3, v2
	v_bfe_u32 v4, v3, 16, 1
	s_movk_i32 s0, 0x7fff
	v_add3_u32 v3, v3, v4, s0
	v_lshrrev_b32_e32 v3, 16, v3
	global_store_dword v[0:1], v3, off
	s_mov_b64 s[18:19], -1
	s_mov_b64 s[0:1], 0
	s_branch .LBB22_155
.LBB22_28:
	s_mov_b64 s[18:19], -1
	s_mov_b64 s[0:1], 0
                                        ; implicit-def: $vgpr0
	s_branch .LBB22_51
.LBB22_29:
	s_mov_b64 s[18:19], -1
	s_mov_b64 s[20:21], 0
	s_mov_b64 s[0:1], 0
                                        ; implicit-def: $vgpr3
	s_branch .LBB22_290
.LBB22_30:
	s_mov_b64 s[26:27], -1
	s_mov_b64 s[0:1], 0
	s_mov_b64 s[18:19], 0
	s_branch .LBB22_224
.LBB22_31:
	s_mov_b64 s[18:19], -1
	s_mov_b64 s[0:1], 0
                                        ; implicit-def: $vgpr0
	s_branch .LBB22_46
.LBB22_32:
	s_mov_b64 s[18:19], -1
	s_mov_b64 s[20:21], 0
	s_mov_b64 s[0:1], 0
                                        ; implicit-def: $vgpr3
	s_branch .LBB22_273
.LBB22_33:
	s_mov_b64 s[26:27], -1
	s_mov_b64 s[0:1], 0
	s_mov_b64 s[18:19], 0
	s_branch .LBB22_182
.LBB22_34:
	s_mov_b64 s[18:19], -1
	s_branch .LBB22_38
.LBB22_35:
	s_mov_b64 s[18:19], -1
	s_mov_b64 s[20:21], 0
	s_mov_b64 s[0:1], 0
                                        ; implicit-def: $vgpr3
	s_branch .LBB22_268
.LBB22_36:
	s_mov_b64 s[26:27], -1
	s_mov_b64 s[0:1], 0
	s_mov_b64 s[18:19], 0
	s_branch .LBB22_165
.LBB22_37:
	s_mov_b64 s[22:23], -1
.LBB22_38:
	s_mov_b64 s[0:1], 0
                                        ; implicit-def: $vgpr0
.LBB22_39:
	s_and_b64 vcc, exec, s[18:19]
	s_cbranch_vccz .LBB22_45
; %bb.40:
	s_cmp_eq_u32 s20, 44
	s_cbranch_scc0 .LBB22_44
; %bb.41:
	global_load_ubyte v0, v[2:3], off
	s_mov_b32 s0, 0x2f800000
	s_mov_b32 s1, 0xcf800000
	s_mov_b64 s[22:23], 0
	s_waitcnt vmcnt(0)
	v_lshlrev_b32_e32 v1, 23, v0
	v_trunc_f32_e32 v1, v1
	v_mul_f32_e64 v4, |v1|, s0
	v_floor_f32_e32 v4, v4
	v_fma_f32 v4, v4, s1, |v1|
	v_cvt_u32_f32_e32 v4, v4
	v_ashrrev_i32_e32 v1, 31, v1
	v_cmp_ne_u32_e32 vcc, 0, v0
	s_mov_b64 s[0:1], -1
	v_xor_b32_e32 v4, v4, v1
	v_sub_u32_e32 v1, v4, v1
	v_cndmask_b32_e32 v0, 0, v1, vcc
	s_branch .LBB22_45
.LBB22_42:
	s_mov_b64 s[18:19], -1
	s_mov_b64 s[20:21], 0
	s_branch .LBB22_150
.LBB22_43:
	s_mov_b64 s[26:27], -1
	s_mov_b64 s[0:1], 0
	s_mov_b64 s[18:19], 0
	s_branch .LBB22_161
.LBB22_44:
	s_mov_b64 s[22:23], -1
                                        ; implicit-def: $vgpr0
.LBB22_45:
	s_mov_b64 s[18:19], 0
.LBB22_46:
	s_and_b64 vcc, exec, s[18:19]
	s_cbranch_vccz .LBB22_50
; %bb.47:
	s_cmp_eq_u32 s20, 29
	s_cbranch_scc0 .LBB22_49
; %bb.48:
	global_load_dwordx2 v[0:1], v[2:3], off
	s_mov_b64 s[0:1], -1
	s_mov_b64 s[22:23], 0
	s_branch .LBB22_50
.LBB22_49:
	s_mov_b64 s[22:23], -1
                                        ; implicit-def: $vgpr0
.LBB22_50:
	s_mov_b64 s[18:19], 0
.LBB22_51:
	s_and_b64 vcc, exec, s[18:19]
	s_cbranch_vccz .LBB22_67
; %bb.52:
	s_cmp_lt_i32 s20, 27
	s_cbranch_scc1 .LBB22_55
; %bb.53:
	s_cmp_gt_i32 s20, 27
	s_cbranch_scc0 .LBB22_56
; %bb.54:
	global_load_dword v0, v[2:3], off
	s_mov_b64 s[0:1], 0
	s_branch .LBB22_57
.LBB22_55:
	s_mov_b64 s[0:1], -1
                                        ; implicit-def: $vgpr0
	s_branch .LBB22_60
.LBB22_56:
	s_mov_b64 s[0:1], -1
                                        ; implicit-def: $vgpr0
.LBB22_57:
	s_andn2_b64 vcc, exec, s[0:1]
	s_cbranch_vccnz .LBB22_59
; %bb.58:
	global_load_ushort v0, v[2:3], off
.LBB22_59:
	s_mov_b64 s[0:1], 0
.LBB22_60:
	s_andn2_b64 vcc, exec, s[0:1]
	s_cbranch_vccnz .LBB22_66
; %bb.61:
	global_load_ubyte v1, v[2:3], off
	s_movk_i32 s0, 0x7f
	s_mov_b64 s[18:19], 0
	s_waitcnt vmcnt(0)
	v_cmp_lt_i16_e32 vcc, s0, v1
	s_and_saveexec_b64 s[0:1], vcc
	s_xor_b64 s[0:1], exec, s[0:1]
	s_cbranch_execz .LBB22_77
; %bb.62:
	s_movk_i32 s18, 0x80
	v_cmp_ne_u16_e32 vcc, s18, v1
	s_and_b64 s[18:19], vcc, exec
	s_andn2_saveexec_b64 s[0:1], s[0:1]
	s_cbranch_execnz .LBB22_78
.LBB22_63:
	s_or_b64 exec, exec, s[0:1]
	v_mov_b32_e32 v0, 0
	s_and_saveexec_b64 s[0:1], s[18:19]
	s_cbranch_execz .LBB22_65
.LBB22_64:
	v_lshlrev_b32_e32 v0, 24, v1
	v_and_b32_e32 v1, 0xffff, v1
	v_and_b32_e32 v4, 7, v1
	v_ffbh_u32_e32 v6, v4
	v_min_u32_e32 v6, 32, v6
	v_subrev_u32_e32 v7, 28, v6
	v_bfe_u32 v5, v1, 3, 4
	v_lshlrev_b32_e32 v1, v7, v1
	v_sub_u32_e32 v6, 29, v6
	v_and_b32_e32 v1, 7, v1
	v_cmp_eq_u32_e32 vcc, 0, v5
	v_cndmask_b32_e32 v5, v5, v6, vcc
	v_cndmask_b32_e32 v1, v4, v1, vcc
	v_mov_b32_e32 v4, 0x3b800000
	v_lshlrev_b32_e32 v1, 20, v1
	v_and_b32_e32 v0, 0x80000000, v0
	v_lshl_add_u32 v4, v5, 23, v4
	v_or3_b32 v0, v0, v4, v1
	v_trunc_f32_e32 v0, v0
	s_mov_b32 s18, 0x2f800000
	v_mul_f32_e64 v1, |v0|, s18
	v_floor_f32_e32 v1, v1
	s_mov_b32 s18, 0xcf800000
	v_fma_f32 v1, v1, s18, |v0|
	v_cvt_u32_f32_e32 v1, v1
	v_ashrrev_i32_e32 v0, 31, v0
	v_xor_b32_e32 v1, v1, v0
	v_sub_u32_e32 v0, v1, v0
.LBB22_65:
	s_or_b64 exec, exec, s[0:1]
.LBB22_66:
	s_mov_b64 s[0:1], -1
.LBB22_67:
	s_branch .LBB22_100
.LBB22_68:
	s_cmp_gt_i32 s20, 22
	s_cbranch_scc0 .LBB22_76
; %bb.69:
	s_cmp_lt_i32 s20, 24
	s_cbranch_scc1 .LBB22_79
; %bb.70:
	s_cmp_gt_i32 s20, 24
	s_cbranch_scc0 .LBB22_80
; %bb.71:
	global_load_ubyte v1, v[2:3], off
	s_movk_i32 s0, 0x7f
	s_mov_b64 s[18:19], 0
	s_waitcnt vmcnt(0)
	v_cmp_lt_i16_e32 vcc, s0, v1
	s_and_saveexec_b64 s[0:1], vcc
	s_xor_b64 s[0:1], exec, s[0:1]
	s_cbranch_execz .LBB22_92
; %bb.72:
	s_movk_i32 s18, 0x80
	v_cmp_ne_u16_e32 vcc, s18, v1
	s_and_b64 s[18:19], vcc, exec
	s_andn2_saveexec_b64 s[0:1], s[0:1]
	s_cbranch_execnz .LBB22_93
.LBB22_73:
	s_or_b64 exec, exec, s[0:1]
	v_mov_b32_e32 v0, 0
	s_and_saveexec_b64 s[0:1], s[18:19]
	s_cbranch_execz .LBB22_75
.LBB22_74:
	v_lshlrev_b32_e32 v0, 24, v1
	v_and_b32_e32 v1, 0xffff, v1
	v_and_b32_e32 v4, 3, v1
	v_ffbh_u32_e32 v6, v4
	v_min_u32_e32 v6, 32, v6
	v_subrev_u32_e32 v7, 29, v6
	v_bfe_u32 v5, v1, 2, 5
	v_lshlrev_b32_e32 v1, v7, v1
	v_sub_u32_e32 v6, 30, v6
	v_and_b32_e32 v1, 3, v1
	v_cmp_eq_u32_e32 vcc, 0, v5
	v_cndmask_b32_e32 v5, v5, v6, vcc
	v_cndmask_b32_e32 v1, v4, v1, vcc
	v_mov_b32_e32 v4, 0x37800000
	v_lshlrev_b32_e32 v1, 21, v1
	v_and_b32_e32 v0, 0x80000000, v0
	v_lshl_add_u32 v4, v5, 23, v4
	v_or3_b32 v0, v0, v4, v1
	v_trunc_f32_e32 v0, v0
	s_mov_b32 s18, 0x2f800000
	v_mul_f32_e64 v1, |v0|, s18
	v_floor_f32_e32 v1, v1
	s_mov_b32 s18, 0xcf800000
	v_fma_f32 v1, v1, s18, |v0|
	v_cvt_u32_f32_e32 v1, v1
	v_ashrrev_i32_e32 v0, 31, v0
	v_xor_b32_e32 v1, v1, v0
	v_sub_u32_e32 v0, v1, v0
.LBB22_75:
	s_or_b64 exec, exec, s[0:1]
	s_mov_b64 s[0:1], 0
	s_branch .LBB22_81
.LBB22_76:
	s_mov_b64 s[18:19], -1
                                        ; implicit-def: $vgpr0
	s_branch .LBB22_87
.LBB22_77:
	s_andn2_saveexec_b64 s[0:1], s[0:1]
	s_cbranch_execz .LBB22_63
.LBB22_78:
	v_cmp_ne_u16_e32 vcc, 0, v1
	s_andn2_b64 s[18:19], s[18:19], exec
	s_and_b64 s[26:27], vcc, exec
	s_or_b64 s[18:19], s[18:19], s[26:27]
	s_or_b64 exec, exec, s[0:1]
	v_mov_b32_e32 v0, 0
	s_and_saveexec_b64 s[0:1], s[18:19]
	s_cbranch_execnz .LBB22_64
	s_branch .LBB22_65
.LBB22_79:
	s_mov_b64 s[0:1], -1
                                        ; implicit-def: $vgpr0
	s_branch .LBB22_84
.LBB22_80:
	s_mov_b64 s[0:1], -1
                                        ; implicit-def: $vgpr0
.LBB22_81:
	s_and_b64 vcc, exec, s[0:1]
	s_cbranch_vccz .LBB22_83
; %bb.82:
	global_load_ubyte v0, v[2:3], off
	s_mov_b32 s0, 0x7f800000
	s_brev_b32 s1, 1
	s_mov_b32 s18, 0x2f800000
	s_waitcnt vmcnt(0)
	v_lshlrev_b32_e32 v0, 24, v0
	v_and_b32_e32 v1, 0x7f000000, v0
	v_ffbh_u32_e32 v4, v1
	v_min_u32_e32 v4, 32, v4
	v_sub_u32_e64 v4, v4, 4 clamp
	v_lshlrev_b32_e32 v6, v4, v1
	v_lshlrev_b32_e32 v4, 23, v4
	v_lshrrev_b32_e32 v6, 4, v6
	v_add_u32_e32 v5, 0x1000000, v1
	v_sub_u32_e32 v4, v6, v4
	v_ashrrev_i32_e32 v5, 8, v5
	v_add_u32_e32 v4, 0x3c000000, v4
	v_and_or_b32 v4, v5, s0, v4
	v_cmp_ne_u32_e32 vcc, 0, v1
	v_cndmask_b32_e32 v1, 0, v4, vcc
	v_and_or_b32 v0, v0, s1, v1
	v_trunc_f32_e32 v0, v0
	v_mul_f32_e64 v1, |v0|, s18
	v_floor_f32_e32 v1, v1
	s_mov_b32 s0, 0xcf800000
	v_fma_f32 v1, v1, s0, |v0|
	v_cvt_u32_f32_e32 v1, v1
	v_ashrrev_i32_e32 v0, 31, v0
	v_xor_b32_e32 v1, v1, v0
	v_sub_u32_e32 v0, v1, v0
.LBB22_83:
	s_mov_b64 s[0:1], 0
.LBB22_84:
	s_andn2_b64 vcc, exec, s[0:1]
	s_cbranch_vccnz .LBB22_86
; %bb.85:
	global_load_ubyte v0, v[2:3], off
	s_movk_i32 s0, 0x7f00
	s_brev_b32 s1, 16
	s_brev_b32 s18, 1
	s_mov_b32 s19, 0x2f800000
	s_waitcnt vmcnt(0)
	v_lshlrev_b16_e32 v1, 8, v0
	v_lshlrev_b32_e32 v0, 25, v0
	v_lshrrev_b32_e32 v4, 4, v0
	v_and_or_b32 v5, v1, s0, 0.5
	v_or_b32_e32 v4, 0x70000000, v4
	v_add_f32_e32 v5, -0.5, v5
	v_mul_f32_e32 v4, 0x7800000, v4
	v_cmp_gt_u32_e32 vcc, s1, v0
	v_bfe_i32 v1, v1, 0, 16
	v_cndmask_b32_e32 v0, v4, v5, vcc
	v_and_or_b32 v0, v1, s18, v0
	v_trunc_f32_e32 v0, v0
	v_mul_f32_e64 v1, |v0|, s19
	v_floor_f32_e32 v1, v1
	s_mov_b32 s0, 0xcf800000
	v_fma_f32 v1, v1, s0, |v0|
	v_cvt_u32_f32_e32 v1, v1
	v_ashrrev_i32_e32 v0, 31, v0
	v_xor_b32_e32 v1, v1, v0
	v_sub_u32_e32 v0, v1, v0
.LBB22_86:
	s_mov_b64 s[18:19], 0
	s_mov_b64 s[0:1], -1
.LBB22_87:
	s_andn2_b64 vcc, exec, s[18:19]
	s_cbranch_vccnz .LBB22_100
; %bb.88:
	s_cmp_gt_i32 s20, 14
	s_cbranch_scc0 .LBB22_91
; %bb.89:
	s_cmp_eq_u32 s20, 15
	s_cbranch_scc0 .LBB22_94
; %bb.90:
	global_load_ushort v0, v[2:3], off
	s_mov_b32 s0, 0x2f800000
	s_mov_b32 s1, 0xcf800000
	s_mov_b64 s[22:23], 0
	s_waitcnt vmcnt(0)
	v_lshlrev_b32_e32 v0, 16, v0
	v_trunc_f32_e32 v0, v0
	v_mul_f32_e64 v1, |v0|, s0
	v_floor_f32_e32 v1, v1
	v_fma_f32 v1, v1, s1, |v0|
	v_cvt_u32_f32_e32 v1, v1
	v_ashrrev_i32_e32 v0, 31, v0
	s_mov_b64 s[0:1], -1
	v_xor_b32_e32 v1, v1, v0
	v_sub_u32_e32 v0, v1, v0
	s_branch .LBB22_95
.LBB22_91:
	s_mov_b64 s[18:19], -1
                                        ; implicit-def: $vgpr0
	s_branch .LBB22_96
.LBB22_92:
	s_andn2_saveexec_b64 s[0:1], s[0:1]
	s_cbranch_execz .LBB22_73
.LBB22_93:
	v_cmp_ne_u16_e32 vcc, 0, v1
	s_andn2_b64 s[18:19], s[18:19], exec
	s_and_b64 s[26:27], vcc, exec
	s_or_b64 s[18:19], s[18:19], s[26:27]
	s_or_b64 exec, exec, s[0:1]
	v_mov_b32_e32 v0, 0
	s_and_saveexec_b64 s[0:1], s[18:19]
	s_cbranch_execnz .LBB22_74
	s_branch .LBB22_75
.LBB22_94:
	s_mov_b64 s[22:23], -1
                                        ; implicit-def: $vgpr0
.LBB22_95:
	s_mov_b64 s[18:19], 0
.LBB22_96:
	s_and_b64 vcc, exec, s[18:19]
	s_cbranch_vccz .LBB22_100
; %bb.97:
	s_cmp_eq_u32 s20, 11
	s_cbranch_scc0 .LBB22_99
; %bb.98:
	global_load_ubyte v0, v[2:3], off
	s_mov_b64 s[0:1], -1
	s_mov_b64 s[22:23], 0
	s_waitcnt vmcnt(0)
	v_cmp_ne_u16_e32 vcc, 0, v0
	v_cndmask_b32_e64 v0, 0, 1, vcc
	s_branch .LBB22_100
.LBB22_99:
	s_mov_b64 s[22:23], -1
                                        ; implicit-def: $vgpr0
.LBB22_100:
	s_branch .LBB22_10
.LBB22_101:
	s_cmp_lt_i32 s20, 5
	s_cbranch_scc1 .LBB22_106
; %bb.102:
	s_cmp_lt_i32 s20, 8
	s_cbranch_scc1 .LBB22_107
; %bb.103:
	;; [unrolled: 3-line block ×3, first 2 shown]
	s_cmp_gt_i32 s20, 9
	s_cbranch_scc0 .LBB22_109
; %bb.105:
	global_load_dwordx2 v[0:1], v[2:3], off
	s_movk_i32 s0, 0xffe0
	s_waitcnt vmcnt(0)
	v_trunc_f64_e32 v[0:1], v[0:1]
	v_ldexp_f64 v[4:5], v[0:1], s0
	s_mov_b32 s0, 0
	s_mov_b32 s1, 0xc1f00000
	v_floor_f64_e32 v[4:5], v[4:5]
	v_fma_f64 v[0:1], v[4:5], s[0:1], v[0:1]
	s_mov_b64 s[0:1], 0
	v_cvt_u32_f64_e32 v0, v[0:1]
	s_branch .LBB22_110
.LBB22_106:
                                        ; implicit-def: $vgpr0
	s_branch .LBB22_128
.LBB22_107:
	s_mov_b64 s[0:1], -1
                                        ; implicit-def: $vgpr0
	s_branch .LBB22_116
.LBB22_108:
	s_mov_b64 s[0:1], -1
                                        ; implicit-def: $vgpr0
	s_branch .LBB22_113
.LBB22_109:
	s_mov_b64 s[0:1], -1
                                        ; implicit-def: $vgpr0
.LBB22_110:
	s_andn2_b64 vcc, exec, s[0:1]
	s_cbranch_vccnz .LBB22_112
; %bb.111:
	global_load_dword v0, v[2:3], off
	s_mov_b32 s0, 0x2f800000
	s_waitcnt vmcnt(0)
	v_trunc_f32_e32 v0, v0
	v_mul_f32_e64 v1, |v0|, s0
	v_floor_f32_e32 v1, v1
	s_mov_b32 s0, 0xcf800000
	v_fma_f32 v1, v1, s0, |v0|
	v_cvt_u32_f32_e32 v1, v1
	v_ashrrev_i32_e32 v0, 31, v0
	v_xor_b32_e32 v1, v1, v0
	v_sub_u32_e32 v0, v1, v0
.LBB22_112:
	s_mov_b64 s[0:1], 0
.LBB22_113:
	s_andn2_b64 vcc, exec, s[0:1]
	s_cbranch_vccnz .LBB22_115
; %bb.114:
	global_load_dword v0, v[2:3], off
	s_waitcnt vmcnt(0)
	v_cvt_f32_f16_e32 v0, v0
	v_cvt_i32_f32_e32 v0, v0
.LBB22_115:
	s_mov_b64 s[0:1], 0
.LBB22_116:
	s_andn2_b64 vcc, exec, s[0:1]
	s_cbranch_vccnz .LBB22_127
; %bb.117:
	s_cmp_lt_i32 s20, 6
	s_cbranch_scc1 .LBB22_120
; %bb.118:
	s_cmp_gt_i32 s20, 6
	s_cbranch_scc0 .LBB22_121
; %bb.119:
	global_load_dwordx2 v[0:1], v[2:3], off
	s_movk_i32 s0, 0xffe0
	s_waitcnt vmcnt(0)
	v_trunc_f64_e32 v[0:1], v[0:1]
	v_ldexp_f64 v[4:5], v[0:1], s0
	s_mov_b32 s0, 0
	s_mov_b32 s1, 0xc1f00000
	v_floor_f64_e32 v[4:5], v[4:5]
	v_fma_f64 v[0:1], v[4:5], s[0:1], v[0:1]
	s_mov_b64 s[0:1], 0
	v_cvt_u32_f64_e32 v0, v[0:1]
	s_branch .LBB22_122
.LBB22_120:
	s_mov_b64 s[0:1], -1
                                        ; implicit-def: $vgpr0
	s_branch .LBB22_125
.LBB22_121:
	s_mov_b64 s[0:1], -1
                                        ; implicit-def: $vgpr0
.LBB22_122:
	s_andn2_b64 vcc, exec, s[0:1]
	s_cbranch_vccnz .LBB22_124
; %bb.123:
	global_load_dword v0, v[2:3], off
	s_mov_b32 s0, 0x2f800000
	s_waitcnt vmcnt(0)
	v_trunc_f32_e32 v0, v0
	v_mul_f32_e64 v1, |v0|, s0
	v_floor_f32_e32 v1, v1
	s_mov_b32 s0, 0xcf800000
	v_fma_f32 v1, v1, s0, |v0|
	v_cvt_u32_f32_e32 v1, v1
	v_ashrrev_i32_e32 v0, 31, v0
	v_xor_b32_e32 v1, v1, v0
	v_sub_u32_e32 v0, v1, v0
.LBB22_124:
	s_mov_b64 s[0:1], 0
.LBB22_125:
	s_andn2_b64 vcc, exec, s[0:1]
	s_cbranch_vccnz .LBB22_127
; %bb.126:
	global_load_ushort v0, v[2:3], off
	s_waitcnt vmcnt(0)
	v_cvt_f32_f16_e32 v0, v0
	v_cvt_i32_f32_e32 v0, v0
.LBB22_127:
	s_cbranch_execnz .LBB22_147
.LBB22_128:
	s_cmp_lt_i32 s20, 2
	s_cbranch_scc1 .LBB22_132
; %bb.129:
	s_cmp_lt_i32 s20, 3
	s_cbranch_scc1 .LBB22_133
; %bb.130:
	s_cmp_gt_i32 s20, 3
	s_cbranch_scc0 .LBB22_134
; %bb.131:
	global_load_dwordx2 v[0:1], v[2:3], off
	s_mov_b64 s[0:1], 0
	s_branch .LBB22_135
.LBB22_132:
	s_mov_b64 s[0:1], -1
                                        ; implicit-def: $vgpr0
	s_branch .LBB22_141
.LBB22_133:
	s_mov_b64 s[0:1], -1
                                        ; implicit-def: $vgpr0
	s_branch .LBB22_138
.LBB22_134:
	s_mov_b64 s[0:1], -1
                                        ; implicit-def: $vgpr0
.LBB22_135:
	s_andn2_b64 vcc, exec, s[0:1]
	s_cbranch_vccnz .LBB22_137
; %bb.136:
	global_load_dword v0, v[2:3], off
.LBB22_137:
	s_mov_b64 s[0:1], 0
.LBB22_138:
	s_andn2_b64 vcc, exec, s[0:1]
	s_cbranch_vccnz .LBB22_140
; %bb.139:
	global_load_ushort v0, v[2:3], off
.LBB22_140:
	s_mov_b64 s[0:1], 0
.LBB22_141:
	s_andn2_b64 vcc, exec, s[0:1]
	s_cbranch_vccnz .LBB22_147
; %bb.142:
	s_cmp_gt_i32 s20, 0
	s_cbranch_scc0 .LBB22_144
; %bb.143:
	global_load_ubyte v0, v[2:3], off
	s_mov_b64 s[0:1], 0
	s_branch .LBB22_145
.LBB22_144:
	s_mov_b64 s[0:1], -1
                                        ; implicit-def: $vgpr0
.LBB22_145:
	s_andn2_b64 vcc, exec, s[0:1]
	s_cbranch_vccnz .LBB22_147
; %bb.146:
	global_load_ubyte v0, v[2:3], off
.LBB22_147:
	s_branch .LBB22_11
.LBB22_148:
	s_mov_b64 s[0:1], 0
	s_mov_b64 s[20:21], 0
	s_branch .LBB22_373
.LBB22_149:
	s_mov_b64 s[20:21], -1
.LBB22_150:
	s_mov_b64 s[0:1], 0
                                        ; implicit-def: $vgpr3
.LBB22_151:
	s_and_b64 vcc, exec, s[18:19]
	s_cbranch_vccz .LBB22_267
; %bb.152:
	s_cmp_eq_u32 s27, 44
	s_cbranch_scc0 .LBB22_266
; %bb.153:
	global_load_ubyte v3, v[1:2], off
	s_mov_b32 s0, 0x2f800000
	s_mov_b32 s1, 0xcf800000
	s_mov_b64 s[20:21], 0
	s_waitcnt vmcnt(0)
	v_lshlrev_b32_e32 v4, 23, v3
	v_trunc_f32_e32 v4, v4
	v_mul_f32_e64 v5, |v4|, s0
	v_floor_f32_e32 v5, v5
	v_fma_f32 v5, v5, s1, |v4|
	v_cvt_u32_f32_e32 v5, v5
	v_ashrrev_i32_e32 v4, 31, v4
	v_cmp_ne_u32_e32 vcc, 0, v3
	s_mov_b64 s[0:1], -1
	v_xor_b32_e32 v5, v5, v4
	v_sub_u32_e32 v4, v5, v4
	v_cndmask_b32_e32 v3, 0, v4, vcc
	s_branch .LBB22_267
.LBB22_154:
	s_mov_b64 s[26:27], -1
	s_mov_b64 s[0:1], 0
	s_mov_b64 s[18:19], 0
.LBB22_155:
	s_and_b64 vcc, exec, s[26:27]
	s_cbranch_vccz .LBB22_160
; %bb.156:
	s_cmp_eq_u32 s35, 44
	s_mov_b64 s[0:1], -1
	s_cbranch_scc0 .LBB22_160
; %bb.157:
	v_cvt_f32_ubyte0_e32 v4, v2
	v_lshrrev_b32_e32 v3, 23, v4
	s_movk_i32 s0, 0xff
	v_cmp_ne_u32_e32 vcc, s0, v3
	v_mov_b32_e32 v5, 0xff
	s_and_saveexec_b64 s[18:19], vcc
; %bb.158:
	s_mov_b32 s0, 0x3fffff
	v_and_b32_e32 v5, 0x400000, v4
	v_and_or_b32 v4, v4, s0, v3
	v_cmp_ne_u32_e32 vcc, 0, v5
	v_cmp_ne_u32_e64 s[0:1], 0, v4
	s_and_b64 s[0:1], vcc, s[0:1]
	v_cndmask_b32_e64 v4, 0, 1, s[0:1]
	v_add_u32_e32 v5, v3, v4
; %bb.159:
	s_or_b64 exec, exec, s[18:19]
	s_mov_b64 s[18:19], -1
	s_mov_b64 s[0:1], 0
	global_store_byte v[0:1], v5, off
.LBB22_160:
	s_mov_b64 s[26:27], 0
.LBB22_161:
	s_and_b64 vcc, exec, s[26:27]
	s_cbranch_vccz .LBB22_164
; %bb.162:
	s_cmp_eq_u32 s35, 29
	s_mov_b64 s[0:1], -1
	s_cbranch_scc0 .LBB22_164
; %bb.163:
	v_and_b32_e32 v3, 0xff, v2
	v_mov_b32_e32 v4, 0
	global_store_dwordx2 v[0:1], v[3:4], off
	s_mov_b64 s[18:19], -1
	s_mov_b64 s[0:1], 0
.LBB22_164:
	s_mov_b64 s[26:27], 0
.LBB22_165:
	s_and_b64 vcc, exec, s[26:27]
	s_cbranch_vccz .LBB22_181
; %bb.166:
	s_cmp_lt_i32 s35, 27
	s_mov_b64 s[18:19], -1
	s_cbranch_scc1 .LBB22_172
; %bb.167:
	s_cmp_gt_i32 s35, 27
	s_cbranch_scc0 .LBB22_169
; %bb.168:
	v_and_b32_e32 v3, 0xff, v2
	s_mov_b64 s[18:19], 0
	global_store_dword v[0:1], v3, off
.LBB22_169:
	s_andn2_b64 vcc, exec, s[18:19]
	s_cbranch_vccnz .LBB22_171
; %bb.170:
	v_and_b32_e32 v3, 0xff, v2
	global_store_short v[0:1], v3, off
.LBB22_171:
	s_mov_b64 s[18:19], 0
.LBB22_172:
	s_andn2_b64 vcc, exec, s[18:19]
	s_cbranch_vccnz .LBB22_180
; %bb.173:
	v_cvt_f32_ubyte0_e32 v4, v2
	s_mov_b32 s18, 0x43800000
	v_cmp_gt_u32_e32 vcc, s18, v4
	v_mov_b32_e32 v5, 0x80
	s_and_saveexec_b64 s[18:19], vcc
	s_cbranch_execz .LBB22_179
; %bb.174:
	s_mov_b32 s26, 0x3bffffff
	v_cmp_lt_u32_e32 vcc, s26, v4
	s_mov_b64 s[26:27], 0
                                        ; implicit-def: $vgpr3
	s_and_saveexec_b64 s[30:31], vcc
	s_xor_b64 s[30:31], exec, s[30:31]
	s_cbranch_execz .LBB22_404
; %bb.175:
	v_bfe_u32 v3, v4, 20, 1
	s_mov_b32 s36, 0x487ffff
	v_add3_u32 v3, v4, v3, s36
	s_mov_b64 s[26:27], exec
	v_lshrrev_b32_e32 v3, 20, v3
                                        ; implicit-def: $vgpr4
	s_andn2_saveexec_b64 s[30:31], s[30:31]
	s_cbranch_execnz .LBB22_405
.LBB22_176:
	s_or_b64 exec, exec, s[30:31]
	v_mov_b32_e32 v5, 0
	s_and_saveexec_b64 s[30:31], s[26:27]
.LBB22_177:
	v_mov_b32_e32 v5, v3
.LBB22_178:
	s_or_b64 exec, exec, s[30:31]
.LBB22_179:
	s_or_b64 exec, exec, s[18:19]
	global_store_byte v[0:1], v5, off
.LBB22_180:
	s_mov_b64 s[18:19], -1
.LBB22_181:
	s_mov_b64 s[26:27], 0
.LBB22_182:
	s_and_b64 vcc, exec, s[26:27]
	s_cbranch_vccz .LBB22_223
; %bb.183:
	s_cmp_gt_i32 s35, 22
	s_mov_b64 s[26:27], -1
	s_cbranch_scc0 .LBB22_215
; %bb.184:
	s_cmp_lt_i32 s35, 24
	s_mov_b64 s[18:19], -1
	s_cbranch_scc1 .LBB22_204
; %bb.185:
	s_cmp_gt_i32 s35, 24
	s_cbranch_scc0 .LBB22_193
; %bb.186:
	v_cvt_f32_ubyte0_e32 v4, v2
	s_mov_b32 s18, 0x47800000
	v_cmp_gt_u32_e32 vcc, s18, v4
	v_mov_b32_e32 v5, 0x80
	s_and_saveexec_b64 s[18:19], vcc
	s_cbranch_execz .LBB22_192
; %bb.187:
	s_mov_b32 s26, 0x37ffffff
	v_cmp_lt_u32_e32 vcc, s26, v4
	s_mov_b64 s[26:27], 0
                                        ; implicit-def: $vgpr3
	s_and_saveexec_b64 s[30:31], vcc
	s_xor_b64 s[30:31], exec, s[30:31]
	s_cbranch_execz .LBB22_519
; %bb.188:
	v_bfe_u32 v3, v4, 21, 1
	s_mov_b32 s36, 0x88fffff
	v_add3_u32 v3, v4, v3, s36
	s_mov_b64 s[26:27], exec
	v_lshrrev_b32_e32 v3, 21, v3
                                        ; implicit-def: $vgpr4
	s_andn2_saveexec_b64 s[30:31], s[30:31]
	s_cbranch_execnz .LBB22_520
.LBB22_189:
	s_or_b64 exec, exec, s[30:31]
	v_mov_b32_e32 v5, 0
	s_and_saveexec_b64 s[30:31], s[26:27]
.LBB22_190:
	v_mov_b32_e32 v5, v3
.LBB22_191:
	s_or_b64 exec, exec, s[30:31]
.LBB22_192:
	s_or_b64 exec, exec, s[18:19]
	s_mov_b64 s[18:19], 0
	global_store_byte v[0:1], v5, off
.LBB22_193:
	s_and_b64 vcc, exec, s[18:19]
	s_cbranch_vccz .LBB22_203
; %bb.194:
	v_cvt_f32_ubyte0_e32 v3, v2
	s_mov_b32 s18, 0x43f00000
	v_cmp_gt_u32_e32 vcc, s18, v3
                                        ; implicit-def: $vgpr4
	s_and_saveexec_b64 s[18:19], vcc
	s_xor_b64 s[18:19], exec, s[18:19]
	s_cbranch_execz .LBB22_200
; %bb.195:
	s_mov_b32 s26, 0x3c7fffff
	v_cmp_lt_u32_e32 vcc, s26, v3
                                        ; implicit-def: $vgpr4
	s_and_saveexec_b64 s[26:27], vcc
	s_xor_b64 s[26:27], exec, s[26:27]
; %bb.196:
	v_bfe_u32 v4, v3, 20, 1
	s_mov_b32 s30, 0x407ffff
	v_add3_u32 v3, v3, v4, s30
	v_lshrrev_b32_e32 v4, 20, v3
	v_and_b32_e32 v3, 0xff00000, v3
	s_mov_b32 s30, 0x7f00000
	v_mov_b32_e32 v5, 0x7e
	v_cmp_ne_u32_e32 vcc, s30, v3
	v_cndmask_b32_e32 v4, v5, v4, vcc
                                        ; implicit-def: $vgpr3
; %bb.197:
	s_andn2_saveexec_b64 s[26:27], s[26:27]
; %bb.198:
	v_add_f32_e32 v4, 0x46800000, v3
; %bb.199:
	s_or_b64 exec, exec, s[26:27]
                                        ; implicit-def: $vgpr3
.LBB22_200:
	s_andn2_saveexec_b64 s[18:19], s[18:19]
; %bb.201:
	s_mov_b32 s26, 0x7f800000
	v_mov_b32_e32 v4, 0x7e
	v_mov_b32_e32 v5, 0x7f
	v_cmp_lt_u32_e32 vcc, s26, v3
	v_cndmask_b32_e32 v4, v4, v5, vcc
; %bb.202:
	s_or_b64 exec, exec, s[18:19]
	global_store_byte v[0:1], v4, off
.LBB22_203:
	s_mov_b64 s[18:19], 0
.LBB22_204:
	s_andn2_b64 vcc, exec, s[18:19]
	s_cbranch_vccnz .LBB22_214
; %bb.205:
	v_cvt_f32_ubyte0_e32 v3, v2
	s_mov_b32 s18, 0x47800000
	v_cmp_gt_u32_e32 vcc, s18, v3
                                        ; implicit-def: $vgpr4
	s_and_saveexec_b64 s[18:19], vcc
	s_xor_b64 s[18:19], exec, s[18:19]
	s_cbranch_execz .LBB22_211
; %bb.206:
	s_mov_b32 s26, 0x387fffff
	v_cmp_lt_u32_e32 vcc, s26, v3
                                        ; implicit-def: $vgpr4
	s_and_saveexec_b64 s[26:27], vcc
	s_xor_b64 s[26:27], exec, s[26:27]
; %bb.207:
	v_bfe_u32 v4, v3, 21, 1
	s_mov_b32 s30, 0x80fffff
	v_add3_u32 v3, v3, v4, s30
	v_lshrrev_b32_e32 v4, 21, v3
                                        ; implicit-def: $vgpr3
; %bb.208:
	s_andn2_saveexec_b64 s[26:27], s[26:27]
; %bb.209:
	v_add_f32_e32 v4, 0x43000000, v3
; %bb.210:
	s_or_b64 exec, exec, s[26:27]
                                        ; implicit-def: $vgpr3
.LBB22_211:
	s_andn2_saveexec_b64 s[18:19], s[18:19]
; %bb.212:
	s_mov_b32 s26, 0x7f800000
	v_mov_b32_e32 v4, 0x7c
	v_mov_b32_e32 v5, 0x7f
	v_cmp_lt_u32_e32 vcc, s26, v3
	v_cndmask_b32_e32 v4, v4, v5, vcc
; %bb.213:
	s_or_b64 exec, exec, s[18:19]
	global_store_byte v[0:1], v4, off
.LBB22_214:
	s_mov_b64 s[26:27], 0
	s_mov_b64 s[18:19], -1
.LBB22_215:
	s_andn2_b64 vcc, exec, s[26:27]
	s_cbranch_vccnz .LBB22_223
; %bb.216:
	s_cmp_gt_i32 s35, 14
	s_mov_b64 s[26:27], -1
	s_cbranch_scc0 .LBB22_220
; %bb.217:
	s_cmp_eq_u32 s35, 15
	s_mov_b64 s[0:1], -1
	s_cbranch_scc0 .LBB22_219
; %bb.218:
	v_cvt_f32_ubyte0_e32 v3, v2
	v_bfe_u32 v4, v3, 16, 1
	s_movk_i32 s0, 0x7fff
	v_add3_u32 v3, v3, v4, s0
	global_store_short_d16_hi v[0:1], v3, off
	s_mov_b64 s[18:19], -1
	s_mov_b64 s[0:1], 0
.LBB22_219:
	s_mov_b64 s[26:27], 0
.LBB22_220:
	s_and_b64 vcc, exec, s[26:27]
	s_cbranch_vccz .LBB22_223
; %bb.221:
	s_cmp_eq_u32 s35, 11
	s_mov_b64 s[0:1], -1
	s_cbranch_scc0 .LBB22_223
; %bb.222:
	v_mov_b32_e32 v3, 0
	v_cmp_ne_u16_sdwa s[0:1], v2, v3 src0_sel:BYTE_0 src1_sel:DWORD
	v_cndmask_b32_e64 v3, 0, 1, s[0:1]
	s_mov_b64 s[18:19], -1
	s_mov_b64 s[0:1], 0
	global_store_byte v[0:1], v3, off
.LBB22_223:
	s_mov_b64 s[26:27], 0
.LBB22_224:
	s_and_b64 vcc, exec, s[26:27]
	s_cbranch_vccz .LBB22_263
; %bb.225:
	s_and_b32 s26, 0xffff, s34
	s_cmp_lt_i32 s26, 5
	s_mov_b64 s[18:19], -1
	s_cbranch_scc1 .LBB22_246
; %bb.226:
	s_cmp_lt_i32 s26, 8
	s_cbranch_scc1 .LBB22_236
; %bb.227:
	s_cmp_lt_i32 s26, 9
	s_cbranch_scc1 .LBB22_233
; %bb.228:
	s_cmp_gt_i32 s26, 9
	s_cbranch_scc0 .LBB22_230
; %bb.229:
	s_mov_b32 s18, 0xffff
	v_and_b32_sdwa v3, s18, v2 dst_sel:DWORD dst_unused:UNUSED_PAD src0_sel:DWORD src1_sel:BYTE_0
	v_cvt_f64_u32_e32 v[3:4], v3
	v_mov_b32_e32 v5, 0
	v_mov_b32_e32 v6, v5
	s_mov_b64 s[18:19], 0
	global_store_dwordx4 v[0:1], v[3:6], off
.LBB22_230:
	s_andn2_b64 vcc, exec, s[18:19]
	s_cbranch_vccnz .LBB22_232
; %bb.231:
	v_cvt_f32_ubyte0_e32 v3, v2
	v_mov_b32_e32 v4, 0
	global_store_dwordx2 v[0:1], v[3:4], off
.LBB22_232:
	s_mov_b64 s[18:19], 0
.LBB22_233:
	s_andn2_b64 vcc, exec, s[18:19]
	s_cbranch_vccnz .LBB22_235
; %bb.234:
	v_cvt_f16_u16_sdwa v3, v2 dst_sel:DWORD dst_unused:UNUSED_PAD src0_sel:BYTE_0
	global_store_dword v[0:1], v3, off
.LBB22_235:
	s_mov_b64 s[18:19], 0
.LBB22_236:
	s_andn2_b64 vcc, exec, s[18:19]
	s_cbranch_vccnz .LBB22_245
; %bb.237:
	s_cmp_lt_i32 s26, 6
	s_mov_b64 s[18:19], -1
	s_cbranch_scc1 .LBB22_243
; %bb.238:
	s_cmp_gt_i32 s26, 6
	s_cbranch_scc0 .LBB22_240
; %bb.239:
	s_mov_b32 s18, 0xffff
	v_and_b32_sdwa v3, s18, v2 dst_sel:DWORD dst_unused:UNUSED_PAD src0_sel:DWORD src1_sel:BYTE_0
	v_cvt_f64_u32_e32 v[3:4], v3
	s_mov_b64 s[18:19], 0
	global_store_dwordx2 v[0:1], v[3:4], off
.LBB22_240:
	s_andn2_b64 vcc, exec, s[18:19]
	s_cbranch_vccnz .LBB22_242
; %bb.241:
	v_cvt_f32_ubyte0_e32 v3, v2
	global_store_dword v[0:1], v3, off
.LBB22_242:
	s_mov_b64 s[18:19], 0
.LBB22_243:
	s_andn2_b64 vcc, exec, s[18:19]
	s_cbranch_vccnz .LBB22_245
; %bb.244:
	v_cvt_f16_u16_sdwa v3, v2 dst_sel:DWORD dst_unused:UNUSED_PAD src0_sel:BYTE_0
	global_store_short v[0:1], v3, off
.LBB22_245:
	s_mov_b64 s[18:19], 0
.LBB22_246:
	s_andn2_b64 vcc, exec, s[18:19]
	s_cbranch_vccnz .LBB22_262
; %bb.247:
	s_cmp_lt_i32 s26, 2
	s_mov_b64 s[18:19], -1
	s_cbranch_scc1 .LBB22_257
; %bb.248:
	s_cmp_lt_i32 s26, 3
	s_cbranch_scc1 .LBB22_254
; %bb.249:
	s_cmp_gt_i32 s26, 3
	s_cbranch_scc0 .LBB22_251
; %bb.250:
	v_and_b32_e32 v3, 0xff, v2
	v_mov_b32_e32 v4, 0
	global_store_dwordx2 v[0:1], v[3:4], off
	s_mov_b64 s[18:19], 0
.LBB22_251:
	s_andn2_b64 vcc, exec, s[18:19]
	s_cbranch_vccnz .LBB22_253
; %bb.252:
	v_and_b32_e32 v3, 0xff, v2
	global_store_dword v[0:1], v3, off
.LBB22_253:
	s_mov_b64 s[18:19], 0
.LBB22_254:
	s_andn2_b64 vcc, exec, s[18:19]
	s_cbranch_vccnz .LBB22_256
; %bb.255:
	v_and_b32_e32 v3, 0xff, v2
	global_store_short v[0:1], v3, off
.LBB22_256:
	s_mov_b64 s[18:19], 0
.LBB22_257:
	s_andn2_b64 vcc, exec, s[18:19]
	s_cbranch_vccnz .LBB22_262
; %bb.258:
	s_cmp_gt_i32 s26, 0
	s_mov_b64 s[18:19], -1
	s_cbranch_scc0 .LBB22_260
; %bb.259:
	global_store_byte v[0:1], v2, off
	s_mov_b64 s[18:19], 0
.LBB22_260:
	s_andn2_b64 vcc, exec, s[18:19]
	s_cbranch_vccnz .LBB22_262
; %bb.261:
	global_store_byte v[0:1], v2, off
.LBB22_262:
	s_mov_b64 s[18:19], -1
.LBB22_263:
	s_andn2_b64 vcc, exec, s[18:19]
	s_cbranch_vccnz .LBB22_265
; %bb.264:
	v_add_u32_e32 v11, 0x80, v11
	s_mov_b64 s[26:27], -1
	s_branch .LBB22_374
.LBB22_265:
	s_mov_b64 s[26:27], 0
                                        ; implicit-def: $vgpr11
	s_branch .LBB22_374
.LBB22_266:
	s_mov_b64 s[20:21], -1
                                        ; implicit-def: $vgpr3
.LBB22_267:
	s_mov_b64 s[18:19], 0
.LBB22_268:
	s_and_b64 vcc, exec, s[18:19]
	s_cbranch_vccz .LBB22_272
; %bb.269:
	s_cmp_eq_u32 s27, 29
	s_cbranch_scc0 .LBB22_271
; %bb.270:
	global_load_dwordx2 v[3:4], v[1:2], off
	s_mov_b64 s[0:1], -1
	s_mov_b64 s[20:21], 0
	s_branch .LBB22_272
.LBB22_271:
	s_mov_b64 s[20:21], -1
                                        ; implicit-def: $vgpr3
.LBB22_272:
	s_mov_b64 s[18:19], 0
.LBB22_273:
	s_and_b64 vcc, exec, s[18:19]
	s_cbranch_vccz .LBB22_289
; %bb.274:
	s_cmp_lt_i32 s27, 27
	s_cbranch_scc1 .LBB22_277
; %bb.275:
	s_cmp_gt_i32 s27, 27
	s_cbranch_scc0 .LBB22_278
; %bb.276:
	global_load_dword v3, v[1:2], off
	s_mov_b64 s[0:1], 0
	s_branch .LBB22_279
.LBB22_277:
	s_mov_b64 s[0:1], -1
                                        ; implicit-def: $vgpr3
	s_branch .LBB22_282
.LBB22_278:
	s_mov_b64 s[0:1], -1
                                        ; implicit-def: $vgpr3
.LBB22_279:
	s_andn2_b64 vcc, exec, s[0:1]
	s_cbranch_vccnz .LBB22_281
; %bb.280:
	global_load_ushort v3, v[1:2], off
.LBB22_281:
	s_mov_b64 s[0:1], 0
.LBB22_282:
	s_andn2_b64 vcc, exec, s[0:1]
	s_cbranch_vccnz .LBB22_288
; %bb.283:
	global_load_ubyte v4, v[1:2], off
	s_movk_i32 s0, 0x7f
	s_mov_b64 s[18:19], 0
	s_waitcnt vmcnt(0)
	v_cmp_lt_i16_e32 vcc, s0, v4
	s_and_saveexec_b64 s[0:1], vcc
	s_xor_b64 s[0:1], exec, s[0:1]
	s_cbranch_execz .LBB22_300
; %bb.284:
	s_movk_i32 s18, 0x80
	v_cmp_ne_u16_e32 vcc, s18, v4
	s_and_b64 s[18:19], vcc, exec
	s_andn2_saveexec_b64 s[0:1], s[0:1]
	s_cbranch_execnz .LBB22_301
.LBB22_285:
	s_or_b64 exec, exec, s[0:1]
	v_mov_b32_e32 v3, 0
	s_and_saveexec_b64 s[0:1], s[18:19]
	s_cbranch_execz .LBB22_287
.LBB22_286:
	v_lshlrev_b32_e32 v3, 24, v4
	v_and_b32_e32 v4, 0xffff, v4
	v_and_b32_e32 v5, 7, v4
	v_ffbh_u32_e32 v7, v5
	v_min_u32_e32 v7, 32, v7
	v_subrev_u32_e32 v8, 28, v7
	v_bfe_u32 v6, v4, 3, 4
	v_lshlrev_b32_e32 v4, v8, v4
	v_sub_u32_e32 v7, 29, v7
	v_and_b32_e32 v4, 7, v4
	v_cmp_eq_u32_e32 vcc, 0, v6
	v_cndmask_b32_e32 v6, v6, v7, vcc
	v_cndmask_b32_e32 v4, v5, v4, vcc
	v_mov_b32_e32 v5, 0x3b800000
	v_lshlrev_b32_e32 v4, 20, v4
	v_and_b32_e32 v3, 0x80000000, v3
	v_lshl_add_u32 v5, v6, 23, v5
	v_or3_b32 v3, v3, v5, v4
	v_trunc_f32_e32 v3, v3
	s_mov_b32 s18, 0x2f800000
	v_mul_f32_e64 v4, |v3|, s18
	v_floor_f32_e32 v4, v4
	s_mov_b32 s18, 0xcf800000
	v_fma_f32 v4, v4, s18, |v3|
	v_cvt_u32_f32_e32 v4, v4
	v_ashrrev_i32_e32 v3, 31, v3
	v_xor_b32_e32 v4, v4, v3
	v_sub_u32_e32 v3, v4, v3
.LBB22_287:
	s_or_b64 exec, exec, s[0:1]
.LBB22_288:
	s_mov_b64 s[0:1], -1
.LBB22_289:
	s_mov_b64 s[18:19], 0
.LBB22_290:
	s_and_b64 vcc, exec, s[18:19]
	s_cbranch_vccz .LBB22_323
; %bb.291:
	s_cmp_gt_i32 s27, 22
	s_cbranch_scc0 .LBB22_299
; %bb.292:
	s_cmp_lt_i32 s27, 24
	s_cbranch_scc1 .LBB22_302
; %bb.293:
	s_cmp_gt_i32 s27, 24
	s_cbranch_scc0 .LBB22_303
; %bb.294:
	global_load_ubyte v4, v[1:2], off
	s_movk_i32 s0, 0x7f
	s_mov_b64 s[18:19], 0
	s_waitcnt vmcnt(0)
	v_cmp_lt_i16_e32 vcc, s0, v4
	s_and_saveexec_b64 s[0:1], vcc
	s_xor_b64 s[0:1], exec, s[0:1]
	s_cbranch_execz .LBB22_315
; %bb.295:
	s_movk_i32 s18, 0x80
	v_cmp_ne_u16_e32 vcc, s18, v4
	s_and_b64 s[18:19], vcc, exec
	s_andn2_saveexec_b64 s[0:1], s[0:1]
	s_cbranch_execnz .LBB22_316
.LBB22_296:
	s_or_b64 exec, exec, s[0:1]
	v_mov_b32_e32 v3, 0
	s_and_saveexec_b64 s[0:1], s[18:19]
	s_cbranch_execz .LBB22_298
.LBB22_297:
	v_lshlrev_b32_e32 v3, 24, v4
	v_and_b32_e32 v4, 0xffff, v4
	v_and_b32_e32 v5, 3, v4
	v_ffbh_u32_e32 v7, v5
	v_min_u32_e32 v7, 32, v7
	v_subrev_u32_e32 v8, 29, v7
	v_bfe_u32 v6, v4, 2, 5
	v_lshlrev_b32_e32 v4, v8, v4
	v_sub_u32_e32 v7, 30, v7
	v_and_b32_e32 v4, 3, v4
	v_cmp_eq_u32_e32 vcc, 0, v6
	v_cndmask_b32_e32 v6, v6, v7, vcc
	v_cndmask_b32_e32 v4, v5, v4, vcc
	v_mov_b32_e32 v5, 0x37800000
	v_lshlrev_b32_e32 v4, 21, v4
	v_and_b32_e32 v3, 0x80000000, v3
	v_lshl_add_u32 v5, v6, 23, v5
	v_or3_b32 v3, v3, v5, v4
	v_trunc_f32_e32 v3, v3
	s_mov_b32 s18, 0x2f800000
	v_mul_f32_e64 v4, |v3|, s18
	v_floor_f32_e32 v4, v4
	s_mov_b32 s18, 0xcf800000
	v_fma_f32 v4, v4, s18, |v3|
	v_cvt_u32_f32_e32 v4, v4
	v_ashrrev_i32_e32 v3, 31, v3
	v_xor_b32_e32 v4, v4, v3
	v_sub_u32_e32 v3, v4, v3
.LBB22_298:
	s_or_b64 exec, exec, s[0:1]
	s_mov_b64 s[0:1], 0
	s_branch .LBB22_304
.LBB22_299:
	s_mov_b64 s[18:19], -1
                                        ; implicit-def: $vgpr3
	s_branch .LBB22_310
.LBB22_300:
	s_andn2_saveexec_b64 s[0:1], s[0:1]
	s_cbranch_execz .LBB22_285
.LBB22_301:
	v_cmp_ne_u16_e32 vcc, 0, v4
	s_andn2_b64 s[18:19], s[18:19], exec
	s_and_b64 s[30:31], vcc, exec
	s_or_b64 s[18:19], s[18:19], s[30:31]
	s_or_b64 exec, exec, s[0:1]
	v_mov_b32_e32 v3, 0
	s_and_saveexec_b64 s[0:1], s[18:19]
	s_cbranch_execnz .LBB22_286
	s_branch .LBB22_287
.LBB22_302:
	s_mov_b64 s[0:1], -1
                                        ; implicit-def: $vgpr3
	s_branch .LBB22_307
.LBB22_303:
	s_mov_b64 s[0:1], -1
                                        ; implicit-def: $vgpr3
.LBB22_304:
	s_and_b64 vcc, exec, s[0:1]
	s_cbranch_vccz .LBB22_306
; %bb.305:
	global_load_ubyte v3, v[1:2], off
	s_mov_b32 s0, 0x7f800000
	s_brev_b32 s1, 1
	s_mov_b32 s18, 0x2f800000
	s_waitcnt vmcnt(0)
	v_lshlrev_b32_e32 v3, 24, v3
	v_and_b32_e32 v4, 0x7f000000, v3
	v_ffbh_u32_e32 v5, v4
	v_min_u32_e32 v5, 32, v5
	v_sub_u32_e64 v5, v5, 4 clamp
	v_lshlrev_b32_e32 v7, v5, v4
	v_lshlrev_b32_e32 v5, 23, v5
	v_lshrrev_b32_e32 v7, 4, v7
	v_add_u32_e32 v6, 0x1000000, v4
	v_sub_u32_e32 v5, v7, v5
	v_ashrrev_i32_e32 v6, 8, v6
	v_add_u32_e32 v5, 0x3c000000, v5
	v_and_or_b32 v5, v6, s0, v5
	v_cmp_ne_u32_e32 vcc, 0, v4
	v_cndmask_b32_e32 v4, 0, v5, vcc
	v_and_or_b32 v3, v3, s1, v4
	v_trunc_f32_e32 v3, v3
	v_mul_f32_e64 v4, |v3|, s18
	v_floor_f32_e32 v4, v4
	s_mov_b32 s0, 0xcf800000
	v_fma_f32 v4, v4, s0, |v3|
	v_cvt_u32_f32_e32 v4, v4
	v_ashrrev_i32_e32 v3, 31, v3
	v_xor_b32_e32 v4, v4, v3
	v_sub_u32_e32 v3, v4, v3
.LBB22_306:
	s_mov_b64 s[0:1], 0
.LBB22_307:
	s_andn2_b64 vcc, exec, s[0:1]
	s_cbranch_vccnz .LBB22_309
; %bb.308:
	global_load_ubyte v3, v[1:2], off
	s_movk_i32 s0, 0x7f00
	s_brev_b32 s1, 16
	s_brev_b32 s18, 1
	s_mov_b32 s19, 0x2f800000
	s_waitcnt vmcnt(0)
	v_lshlrev_b16_e32 v4, 8, v3
	v_lshlrev_b32_e32 v3, 25, v3
	v_lshrrev_b32_e32 v5, 4, v3
	v_and_or_b32 v6, v4, s0, 0.5
	v_or_b32_e32 v5, 0x70000000, v5
	v_add_f32_e32 v6, -0.5, v6
	v_mul_f32_e32 v5, 0x7800000, v5
	v_cmp_gt_u32_e32 vcc, s1, v3
	v_bfe_i32 v4, v4, 0, 16
	v_cndmask_b32_e32 v3, v5, v6, vcc
	v_and_or_b32 v3, v4, s18, v3
	v_trunc_f32_e32 v3, v3
	v_mul_f32_e64 v4, |v3|, s19
	v_floor_f32_e32 v4, v4
	s_mov_b32 s0, 0xcf800000
	v_fma_f32 v4, v4, s0, |v3|
	v_cvt_u32_f32_e32 v4, v4
	v_ashrrev_i32_e32 v3, 31, v3
	v_xor_b32_e32 v4, v4, v3
	v_sub_u32_e32 v3, v4, v3
.LBB22_309:
	s_mov_b64 s[18:19], 0
	s_mov_b64 s[0:1], -1
.LBB22_310:
	s_andn2_b64 vcc, exec, s[18:19]
	s_cbranch_vccnz .LBB22_323
; %bb.311:
	s_cmp_gt_i32 s27, 14
	s_cbranch_scc0 .LBB22_314
; %bb.312:
	s_cmp_eq_u32 s27, 15
	s_cbranch_scc0 .LBB22_317
; %bb.313:
	global_load_ushort v3, v[1:2], off
	s_mov_b32 s0, 0x2f800000
	s_mov_b32 s1, 0xcf800000
	s_mov_b64 s[20:21], 0
	s_waitcnt vmcnt(0)
	v_lshlrev_b32_e32 v3, 16, v3
	v_trunc_f32_e32 v3, v3
	v_mul_f32_e64 v4, |v3|, s0
	v_floor_f32_e32 v4, v4
	v_fma_f32 v4, v4, s1, |v3|
	v_cvt_u32_f32_e32 v4, v4
	v_ashrrev_i32_e32 v3, 31, v3
	s_mov_b64 s[0:1], -1
	v_xor_b32_e32 v4, v4, v3
	v_sub_u32_e32 v3, v4, v3
	s_branch .LBB22_318
.LBB22_314:
	s_mov_b64 s[18:19], -1
                                        ; implicit-def: $vgpr3
	s_branch .LBB22_319
.LBB22_315:
	s_andn2_saveexec_b64 s[0:1], s[0:1]
	s_cbranch_execz .LBB22_296
.LBB22_316:
	v_cmp_ne_u16_e32 vcc, 0, v4
	s_andn2_b64 s[18:19], s[18:19], exec
	s_and_b64 s[30:31], vcc, exec
	s_or_b64 s[18:19], s[18:19], s[30:31]
	s_or_b64 exec, exec, s[0:1]
	v_mov_b32_e32 v3, 0
	s_and_saveexec_b64 s[0:1], s[18:19]
	s_cbranch_execnz .LBB22_297
	s_branch .LBB22_298
.LBB22_317:
	s_mov_b64 s[20:21], -1
                                        ; implicit-def: $vgpr3
.LBB22_318:
	s_mov_b64 s[18:19], 0
.LBB22_319:
	s_and_b64 vcc, exec, s[18:19]
	s_cbranch_vccz .LBB22_323
; %bb.320:
	s_cmp_eq_u32 s27, 11
	s_cbranch_scc0 .LBB22_322
; %bb.321:
	global_load_ubyte v3, v[1:2], off
	s_mov_b64 s[0:1], -1
	s_mov_b64 s[20:21], 0
	s_waitcnt vmcnt(0)
	v_cmp_ne_u16_e32 vcc, 0, v3
	v_cndmask_b32_e64 v3, 0, 1, vcc
	s_branch .LBB22_323
.LBB22_322:
	s_mov_b64 s[20:21], -1
                                        ; implicit-def: $vgpr3
.LBB22_323:
	s_branch .LBB22_20
.LBB22_324:
	s_and_b32 s18, 0xffff, s26
	s_cmp_lt_i32 s18, 5
	s_cbranch_scc1 .LBB22_329
; %bb.325:
	s_cmp_lt_i32 s18, 8
	s_cbranch_scc1 .LBB22_330
; %bb.326:
	;; [unrolled: 3-line block ×3, first 2 shown]
	s_cmp_gt_i32 s18, 9
	s_cbranch_scc0 .LBB22_332
; %bb.328:
	global_load_dwordx2 v[3:4], v[1:2], off
	s_movk_i32 s0, 0xffe0
	s_waitcnt vmcnt(0)
	v_trunc_f64_e32 v[3:4], v[3:4]
	v_ldexp_f64 v[5:6], v[3:4], s0
	s_mov_b32 s0, 0
	s_mov_b32 s1, 0xc1f00000
	v_floor_f64_e32 v[5:6], v[5:6]
	v_fma_f64 v[3:4], v[5:6], s[0:1], v[3:4]
	s_mov_b64 s[0:1], 0
	v_cvt_u32_f64_e32 v3, v[3:4]
	s_branch .LBB22_333
.LBB22_329:
	s_mov_b64 s[0:1], -1
                                        ; implicit-def: $vgpr3
	s_branch .LBB22_351
.LBB22_330:
	s_mov_b64 s[0:1], -1
                                        ; implicit-def: $vgpr3
	s_branch .LBB22_339
.LBB22_331:
	s_mov_b64 s[0:1], -1
                                        ; implicit-def: $vgpr3
	s_branch .LBB22_336
.LBB22_332:
	s_mov_b64 s[0:1], -1
                                        ; implicit-def: $vgpr3
.LBB22_333:
	s_andn2_b64 vcc, exec, s[0:1]
	s_cbranch_vccnz .LBB22_335
; %bb.334:
	global_load_dword v3, v[1:2], off
	s_mov_b32 s0, 0x2f800000
	s_waitcnt vmcnt(0)
	v_trunc_f32_e32 v3, v3
	v_mul_f32_e64 v4, |v3|, s0
	v_floor_f32_e32 v4, v4
	s_mov_b32 s0, 0xcf800000
	v_fma_f32 v4, v4, s0, |v3|
	v_cvt_u32_f32_e32 v4, v4
	v_ashrrev_i32_e32 v3, 31, v3
	v_xor_b32_e32 v4, v4, v3
	v_sub_u32_e32 v3, v4, v3
.LBB22_335:
	s_mov_b64 s[0:1], 0
.LBB22_336:
	s_andn2_b64 vcc, exec, s[0:1]
	s_cbranch_vccnz .LBB22_338
; %bb.337:
	global_load_dword v3, v[1:2], off
	s_waitcnt vmcnt(0)
	v_cvt_f32_f16_e32 v3, v3
	v_cvt_i32_f32_e32 v3, v3
.LBB22_338:
	s_mov_b64 s[0:1], 0
.LBB22_339:
	s_andn2_b64 vcc, exec, s[0:1]
	s_cbranch_vccnz .LBB22_350
; %bb.340:
	s_cmp_lt_i32 s18, 6
	s_cbranch_scc1 .LBB22_343
; %bb.341:
	s_cmp_gt_i32 s18, 6
	s_cbranch_scc0 .LBB22_344
; %bb.342:
	global_load_dwordx2 v[3:4], v[1:2], off
	s_movk_i32 s0, 0xffe0
	s_waitcnt vmcnt(0)
	v_trunc_f64_e32 v[3:4], v[3:4]
	v_ldexp_f64 v[5:6], v[3:4], s0
	s_mov_b32 s0, 0
	s_mov_b32 s1, 0xc1f00000
	v_floor_f64_e32 v[5:6], v[5:6]
	v_fma_f64 v[3:4], v[5:6], s[0:1], v[3:4]
	s_mov_b64 s[0:1], 0
	v_cvt_u32_f64_e32 v3, v[3:4]
	s_branch .LBB22_345
.LBB22_343:
	s_mov_b64 s[0:1], -1
                                        ; implicit-def: $vgpr3
	s_branch .LBB22_348
.LBB22_344:
	s_mov_b64 s[0:1], -1
                                        ; implicit-def: $vgpr3
.LBB22_345:
	s_andn2_b64 vcc, exec, s[0:1]
	s_cbranch_vccnz .LBB22_347
; %bb.346:
	global_load_dword v3, v[1:2], off
	s_mov_b32 s0, 0x2f800000
	s_waitcnt vmcnt(0)
	v_trunc_f32_e32 v3, v3
	v_mul_f32_e64 v4, |v3|, s0
	v_floor_f32_e32 v4, v4
	s_mov_b32 s0, 0xcf800000
	v_fma_f32 v4, v4, s0, |v3|
	v_cvt_u32_f32_e32 v4, v4
	v_ashrrev_i32_e32 v3, 31, v3
	v_xor_b32_e32 v4, v4, v3
	v_sub_u32_e32 v3, v4, v3
.LBB22_347:
	s_mov_b64 s[0:1], 0
.LBB22_348:
	s_andn2_b64 vcc, exec, s[0:1]
	s_cbranch_vccnz .LBB22_350
; %bb.349:
	global_load_ushort v3, v[1:2], off
	s_waitcnt vmcnt(0)
	v_cvt_f32_f16_e32 v3, v3
	v_cvt_i32_f32_e32 v3, v3
.LBB22_350:
	s_mov_b64 s[0:1], 0
.LBB22_351:
	s_andn2_b64 vcc, exec, s[0:1]
	s_cbranch_vccnz .LBB22_371
; %bb.352:
	s_cmp_lt_i32 s18, 2
	s_cbranch_scc1 .LBB22_356
; %bb.353:
	s_cmp_lt_i32 s18, 3
	s_cbranch_scc1 .LBB22_357
; %bb.354:
	s_cmp_gt_i32 s18, 3
	s_cbranch_scc0 .LBB22_358
; %bb.355:
	global_load_dwordx2 v[3:4], v[1:2], off
	s_mov_b64 s[0:1], 0
	s_branch .LBB22_359
.LBB22_356:
	s_mov_b64 s[0:1], -1
                                        ; implicit-def: $vgpr3
	s_branch .LBB22_365
.LBB22_357:
	s_mov_b64 s[0:1], -1
                                        ; implicit-def: $vgpr3
	s_branch .LBB22_362
.LBB22_358:
	s_mov_b64 s[0:1], -1
                                        ; implicit-def: $vgpr3
.LBB22_359:
	s_andn2_b64 vcc, exec, s[0:1]
	s_cbranch_vccnz .LBB22_361
; %bb.360:
	global_load_dword v3, v[1:2], off
.LBB22_361:
	s_mov_b64 s[0:1], 0
.LBB22_362:
	s_andn2_b64 vcc, exec, s[0:1]
	s_cbranch_vccnz .LBB22_364
; %bb.363:
	global_load_ushort v3, v[1:2], off
.LBB22_364:
	s_mov_b64 s[0:1], 0
.LBB22_365:
	s_andn2_b64 vcc, exec, s[0:1]
	s_cbranch_vccnz .LBB22_371
; %bb.366:
	s_cmp_gt_i32 s18, 0
	s_cbranch_scc0 .LBB22_368
; %bb.367:
	global_load_ubyte v3, v[1:2], off
	s_mov_b64 s[0:1], 0
	s_branch .LBB22_369
.LBB22_368:
	s_mov_b64 s[0:1], -1
                                        ; implicit-def: $vgpr3
.LBB22_369:
	s_andn2_b64 vcc, exec, s[0:1]
	s_cbranch_vccnz .LBB22_371
; %bb.370:
	global_load_ubyte v3, v[1:2], off
.LBB22_371:
	s_branch .LBB22_21
.LBB22_372:
	s_mov_b64 s[0:1], 0
.LBB22_373:
                                        ; implicit-def: $vgpr11
	s_mov_b64 s[26:27], 0
.LBB22_374:
	s_and_b64 s[18:19], s[0:1], exec
	s_and_b64 s[20:21], s[20:21], exec
	;; [unrolled: 1-line block ×3, first 2 shown]
	s_orn2_b64 s[0:1], s[26:27], exec
.LBB22_375:
	s_or_b64 exec, exec, s[24:25]
	s_mov_b64 s[34:35], 0
	s_mov_b64 s[30:31], 0
                                        ; implicit-def: $vgpr2_vgpr3
                                        ; implicit-def: $vgpr0
	s_and_saveexec_b64 s[24:25], s[0:1]
	s_cbranch_execz .LBB22_384
; %bb.376:
	v_cmp_gt_i32_e32 vcc, s50, v11
	s_mov_b64 s[0:1], -1
	s_mov_b64 s[26:27], s[22:23]
	s_mov_b64 s[28:29], s[20:21]
	;; [unrolled: 1-line block ×3, first 2 shown]
	s_and_saveexec_b64 s[34:35], vcc
	s_cbranch_execz .LBB22_757
; %bb.377:
	s_waitcnt vmcnt(0)
	v_mul_lo_u32 v0, v11, s13
	v_mov_b32_e32 v1, s11
	s_and_b32 s30, 0xffff, s56
	s_cmp_lt_i32 s30, 11
	v_ashrrev_i32_e32 v3, 31, v0
	v_add_co_u32_e32 v2, vcc, s10, v0
	v_addc_co_u32_e32 v3, vcc, v1, v3, vcc
	s_cbranch_scc1 .LBB22_387
; %bb.378:
	s_cmp_gt_i32 s30, 25
	s_cbranch_scc0 .LBB22_396
; %bb.379:
	s_cmp_gt_i32 s30, 28
	s_cbranch_scc0 .LBB22_398
	;; [unrolled: 3-line block ×4, first 2 shown]
; %bb.382:
	s_cmp_eq_u32 s30, 46
	s_mov_b64 s[28:29], 0
	s_cbranch_scc0 .LBB22_406
; %bb.383:
	global_load_dword v0, v[2:3], off
	s_mov_b32 s0, 0x2f800000
	s_mov_b32 s1, 0xcf800000
	s_mov_b64 s[26:27], 0
	s_waitcnt vmcnt(0)
	v_lshlrev_b32_e32 v0, 16, v0
	v_trunc_f32_e32 v0, v0
	v_mul_f32_e64 v1, |v0|, s0
	v_floor_f32_e32 v1, v1
	v_fma_f32 v1, v1, s1, |v0|
	v_cvt_u32_f32_e32 v1, v1
	v_ashrrev_i32_e32 v0, 31, v0
	s_mov_b64 s[0:1], -1
	v_xor_b32_e32 v1, v1, v0
	v_sub_u32_e32 v0, v1, v0
	s_branch .LBB22_407
.LBB22_384:
	s_or_b64 exec, exec, s[24:25]
	s_mov_b64 s[24:25], 0
	s_and_saveexec_b64 s[0:1], s[22:23]
	s_cbranch_execnz .LBB22_1220
.LBB22_385:
	s_or_b64 exec, exec, s[0:1]
	s_and_saveexec_b64 s[0:1], s[28:29]
	s_xor_b64 s[0:1], exec, s[0:1]
	s_cbranch_execz .LBB22_1221
.LBB22_386:
	s_waitcnt vmcnt(0)
	global_load_ubyte v0, v[2:3], off
	s_or_b64 s[30:31], s[30:31], exec
	s_waitcnt vmcnt(0)
	v_cmp_ne_u16_e32 vcc, 0, v0
	v_cndmask_b32_e64 v0, 0, 1, vcc
	s_or_b64 exec, exec, s[0:1]
	s_and_saveexec_b64 s[0:1], s[34:35]
	s_cbranch_execz .LBB22_1267
	s_branch .LBB22_1222
.LBB22_387:
	s_mov_b64 s[0:1], 0
                                        ; implicit-def: $vgpr0
	s_mov_b64 s[26:27], s[22:23]
	s_cbranch_execnz .LBB22_469
.LBB22_388:
	s_andn2_b64 vcc, exec, s[0:1]
	s_cbranch_vccnz .LBB22_517
.LBB22_389:
	s_waitcnt vmcnt(0)
	v_mul_lo_u32 v1, v11, s14
	v_mov_b32_e32 v2, s17
	s_and_b32 s36, s15, 0xff
	s_cmp_lt_i32 s36, 11
	v_ashrrev_i32_e32 v3, 31, v1
	v_add_co_u32_e32 v1, vcc, s16, v1
	v_addc_co_u32_e32 v2, vcc, v2, v3, vcc
	s_cbranch_scc1 .LBB22_397
; %bb.390:
	s_and_b32 s37, 0xffff, s36
	s_cmp_gt_i32 s37, 25
	s_cbranch_scc0 .LBB22_399
; %bb.391:
	s_cmp_gt_i32 s37, 28
	s_cbranch_scc0 .LBB22_401
; %bb.392:
	;; [unrolled: 3-line block ×4, first 2 shown]
	s_cmp_eq_u32 s37, 46
	s_mov_b64 s[30:31], 0
	s_cbranch_scc0 .LBB22_521
; %bb.395:
	global_load_dword v3, v[1:2], off
	s_mov_b32 s0, 0x2f800000
	s_mov_b32 s1, 0xcf800000
	s_mov_b64 s[28:29], 0
	s_waitcnt vmcnt(0)
	v_lshlrev_b32_e32 v3, 16, v3
	v_trunc_f32_e32 v3, v3
	v_mul_f32_e64 v4, |v3|, s0
	v_floor_f32_e32 v4, v4
	v_fma_f32 v4, v4, s1, |v3|
	v_cvt_u32_f32_e32 v4, v4
	v_ashrrev_i32_e32 v3, 31, v3
	s_mov_b64 s[0:1], -1
	v_xor_b32_e32 v4, v4, v3
	v_sub_u32_e32 v3, v4, v3
	s_branch .LBB22_522
.LBB22_396:
	s_mov_b64 s[28:29], -1
	s_mov_b64 s[0:1], 0
	s_mov_b64 s[26:27], s[22:23]
                                        ; implicit-def: $vgpr0
	s_branch .LBB22_435
.LBB22_397:
	s_mov_b64 s[30:31], -1
	s_mov_b64 s[0:1], 0
                                        ; implicit-def: $vgpr3
	s_mov_b64 s[28:29], s[20:21]
	s_branch .LBB22_583
.LBB22_398:
	s_mov_b64 s[28:29], -1
	s_mov_b64 s[0:1], 0
	s_mov_b64 s[26:27], s[22:23]
                                        ; implicit-def: $vgpr0
	s_branch .LBB22_418
.LBB22_399:
	s_mov_b64 s[30:31], -1
	s_mov_b64 s[0:1], 0
	s_mov_b64 s[28:29], s[20:21]
                                        ; implicit-def: $vgpr3
	s_branch .LBB22_549
.LBB22_400:
	s_mov_b64 s[28:29], -1
	s_mov_b64 s[0:1], 0
	s_mov_b64 s[26:27], s[22:23]
                                        ; implicit-def: $vgpr0
	s_branch .LBB22_413
.LBB22_401:
	s_mov_b64 s[30:31], -1
	s_mov_b64 s[0:1], 0
	s_mov_b64 s[28:29], s[20:21]
                                        ; implicit-def: $vgpr3
	s_branch .LBB22_532
.LBB22_402:
	s_mov_b64 s[28:29], -1
	s_mov_b64 s[0:1], 0
	s_mov_b64 s[26:27], s[22:23]
                                        ; implicit-def: $vgpr0
	s_branch .LBB22_407
.LBB22_403:
	s_mov_b64 s[30:31], -1
	s_mov_b64 s[0:1], 0
	s_mov_b64 s[28:29], s[20:21]
                                        ; implicit-def: $vgpr3
	s_branch .LBB22_527
.LBB22_404:
	s_andn2_saveexec_b64 s[30:31], s[30:31]
	s_cbranch_execz .LBB22_176
.LBB22_405:
	v_add_f32_e32 v3, 0x46000000, v4
	v_and_b32_e32 v3, 0xff, v3
	v_cmp_ne_u32_e32 vcc, 0, v3
	s_andn2_b64 s[26:27], s[26:27], exec
	s_and_b64 s[36:37], vcc, exec
	s_or_b64 s[26:27], s[26:27], s[36:37]
	s_or_b64 exec, exec, s[30:31]
	v_mov_b32_e32 v5, 0
	s_and_saveexec_b64 s[30:31], s[26:27]
	s_cbranch_execnz .LBB22_177
	s_branch .LBB22_178
.LBB22_406:
	s_mov_b64 s[26:27], -1
                                        ; implicit-def: $vgpr0
	s_mov_b64 s[0:1], 0
.LBB22_407:
	s_and_b64 vcc, exec, s[28:29]
	s_cbranch_vccz .LBB22_412
; %bb.408:
	s_cmp_eq_u32 s30, 44
	s_cbranch_scc0 .LBB22_411
; %bb.409:
	global_load_ubyte v0, v[2:3], off
	s_mov_b32 s0, 0x2f800000
	s_mov_b32 s1, 0xcf800000
	s_mov_b64 s[26:27], 0
	s_waitcnt vmcnt(0)
	v_lshlrev_b32_e32 v1, 23, v0
	v_trunc_f32_e32 v1, v1
	v_mul_f32_e64 v4, |v1|, s0
	v_floor_f32_e32 v4, v4
	v_fma_f32 v4, v4, s1, |v1|
	v_cvt_u32_f32_e32 v4, v4
	v_ashrrev_i32_e32 v1, 31, v1
	v_cmp_ne_u32_e32 vcc, 0, v0
	s_mov_b64 s[0:1], -1
	v_xor_b32_e32 v4, v4, v1
	v_sub_u32_e32 v1, v4, v1
	v_cndmask_b32_e32 v0, 0, v1, vcc
	s_branch .LBB22_412
.LBB22_410:
	s_mov_b64 s[30:31], -1
	s_mov_b64 s[0:1], 0
	s_mov_b64 s[28:29], s[20:21]
                                        ; implicit-def: $vgpr3
	s_branch .LBB22_522
.LBB22_411:
	s_mov_b64 s[26:27], -1
                                        ; implicit-def: $vgpr0
.LBB22_412:
	s_mov_b64 s[28:29], 0
.LBB22_413:
	s_and_b64 vcc, exec, s[28:29]
	s_cbranch_vccz .LBB22_417
; %bb.414:
	s_cmp_eq_u32 s30, 29
	s_cbranch_scc0 .LBB22_416
; %bb.415:
	global_load_dwordx2 v[0:1], v[2:3], off
	s_mov_b64 s[0:1], -1
	s_mov_b64 s[26:27], 0
	s_branch .LBB22_417
.LBB22_416:
	s_mov_b64 s[26:27], -1
                                        ; implicit-def: $vgpr0
.LBB22_417:
	s_mov_b64 s[28:29], 0
.LBB22_418:
	s_and_b64 vcc, exec, s[28:29]
	s_cbranch_vccz .LBB22_434
; %bb.419:
	s_cmp_lt_i32 s30, 27
	s_cbranch_scc1 .LBB22_422
; %bb.420:
	s_cmp_gt_i32 s30, 27
	s_cbranch_scc0 .LBB22_423
; %bb.421:
	global_load_dword v0, v[2:3], off
	s_mov_b64 s[0:1], 0
	s_branch .LBB22_424
.LBB22_422:
	s_mov_b64 s[0:1], -1
                                        ; implicit-def: $vgpr0
	s_branch .LBB22_427
.LBB22_423:
	s_mov_b64 s[0:1], -1
                                        ; implicit-def: $vgpr0
.LBB22_424:
	s_andn2_b64 vcc, exec, s[0:1]
	s_cbranch_vccnz .LBB22_426
; %bb.425:
	global_load_ushort v0, v[2:3], off
.LBB22_426:
	s_mov_b64 s[0:1], 0
.LBB22_427:
	s_andn2_b64 vcc, exec, s[0:1]
	s_cbranch_vccnz .LBB22_433
; %bb.428:
	global_load_ubyte v1, v[2:3], off
	s_movk_i32 s0, 0x7f
	s_mov_b64 s[28:29], 0
	s_waitcnt vmcnt(0)
	v_cmp_lt_i16_e32 vcc, s0, v1
	s_and_saveexec_b64 s[0:1], vcc
	s_xor_b64 s[0:1], exec, s[0:1]
	s_cbranch_execz .LBB22_445
; %bb.429:
	s_movk_i32 s28, 0x80
	v_cmp_ne_u16_e32 vcc, s28, v1
	s_and_b64 s[28:29], vcc, exec
	s_andn2_saveexec_b64 s[0:1], s[0:1]
	s_cbranch_execnz .LBB22_446
.LBB22_430:
	s_or_b64 exec, exec, s[0:1]
	v_mov_b32_e32 v0, 0
	s_and_saveexec_b64 s[0:1], s[28:29]
	s_cbranch_execz .LBB22_432
.LBB22_431:
	v_lshlrev_b32_e32 v0, 24, v1
	v_and_b32_e32 v1, 0xffff, v1
	v_and_b32_e32 v4, 7, v1
	v_ffbh_u32_e32 v6, v4
	v_min_u32_e32 v6, 32, v6
	v_subrev_u32_e32 v7, 28, v6
	v_bfe_u32 v5, v1, 3, 4
	v_lshlrev_b32_e32 v1, v7, v1
	v_sub_u32_e32 v6, 29, v6
	v_and_b32_e32 v1, 7, v1
	v_cmp_eq_u32_e32 vcc, 0, v5
	v_cndmask_b32_e32 v5, v5, v6, vcc
	v_cndmask_b32_e32 v1, v4, v1, vcc
	v_mov_b32_e32 v4, 0x3b800000
	v_lshlrev_b32_e32 v1, 20, v1
	v_and_b32_e32 v0, 0x80000000, v0
	v_lshl_add_u32 v4, v5, 23, v4
	v_or3_b32 v0, v0, v4, v1
	v_trunc_f32_e32 v0, v0
	s_mov_b32 s28, 0x2f800000
	v_mul_f32_e64 v1, |v0|, s28
	v_floor_f32_e32 v1, v1
	s_mov_b32 s28, 0xcf800000
	v_fma_f32 v1, v1, s28, |v0|
	v_cvt_u32_f32_e32 v1, v1
	v_ashrrev_i32_e32 v0, 31, v0
	v_xor_b32_e32 v1, v1, v0
	v_sub_u32_e32 v0, v1, v0
.LBB22_432:
	s_or_b64 exec, exec, s[0:1]
.LBB22_433:
	s_mov_b64 s[0:1], -1
.LBB22_434:
	s_mov_b64 s[28:29], 0
.LBB22_435:
	s_and_b64 vcc, exec, s[28:29]
	s_cbranch_vccz .LBB22_468
; %bb.436:
	s_cmp_gt_i32 s30, 22
	s_cbranch_scc0 .LBB22_444
; %bb.437:
	s_cmp_lt_i32 s30, 24
	s_cbranch_scc1 .LBB22_447
; %bb.438:
	s_cmp_gt_i32 s30, 24
	s_cbranch_scc0 .LBB22_448
; %bb.439:
	global_load_ubyte v1, v[2:3], off
	s_movk_i32 s0, 0x7f
	s_mov_b64 s[28:29], 0
	s_waitcnt vmcnt(0)
	v_cmp_lt_i16_e32 vcc, s0, v1
	s_and_saveexec_b64 s[0:1], vcc
	s_xor_b64 s[0:1], exec, s[0:1]
	s_cbranch_execz .LBB22_460
; %bb.440:
	s_movk_i32 s28, 0x80
	v_cmp_ne_u16_e32 vcc, s28, v1
	s_and_b64 s[28:29], vcc, exec
	s_andn2_saveexec_b64 s[0:1], s[0:1]
	s_cbranch_execnz .LBB22_461
.LBB22_441:
	s_or_b64 exec, exec, s[0:1]
	v_mov_b32_e32 v0, 0
	s_and_saveexec_b64 s[0:1], s[28:29]
	s_cbranch_execz .LBB22_443
.LBB22_442:
	v_lshlrev_b32_e32 v0, 24, v1
	v_and_b32_e32 v1, 0xffff, v1
	v_and_b32_e32 v4, 3, v1
	v_ffbh_u32_e32 v6, v4
	v_min_u32_e32 v6, 32, v6
	v_subrev_u32_e32 v7, 29, v6
	v_bfe_u32 v5, v1, 2, 5
	v_lshlrev_b32_e32 v1, v7, v1
	v_sub_u32_e32 v6, 30, v6
	v_and_b32_e32 v1, 3, v1
	v_cmp_eq_u32_e32 vcc, 0, v5
	v_cndmask_b32_e32 v5, v5, v6, vcc
	v_cndmask_b32_e32 v1, v4, v1, vcc
	v_mov_b32_e32 v4, 0x37800000
	v_lshlrev_b32_e32 v1, 21, v1
	v_and_b32_e32 v0, 0x80000000, v0
	v_lshl_add_u32 v4, v5, 23, v4
	v_or3_b32 v0, v0, v4, v1
	v_trunc_f32_e32 v0, v0
	s_mov_b32 s28, 0x2f800000
	v_mul_f32_e64 v1, |v0|, s28
	v_floor_f32_e32 v1, v1
	s_mov_b32 s28, 0xcf800000
	v_fma_f32 v1, v1, s28, |v0|
	v_cvt_u32_f32_e32 v1, v1
	v_ashrrev_i32_e32 v0, 31, v0
	v_xor_b32_e32 v1, v1, v0
	v_sub_u32_e32 v0, v1, v0
.LBB22_443:
	s_or_b64 exec, exec, s[0:1]
	s_mov_b64 s[0:1], 0
	s_branch .LBB22_449
.LBB22_444:
	s_mov_b64 s[28:29], -1
                                        ; implicit-def: $vgpr0
	s_branch .LBB22_455
.LBB22_445:
	s_andn2_saveexec_b64 s[0:1], s[0:1]
	s_cbranch_execz .LBB22_430
.LBB22_446:
	v_cmp_ne_u16_e32 vcc, 0, v1
	s_andn2_b64 s[28:29], s[28:29], exec
	s_and_b64 s[36:37], vcc, exec
	s_or_b64 s[28:29], s[28:29], s[36:37]
	s_or_b64 exec, exec, s[0:1]
	v_mov_b32_e32 v0, 0
	s_and_saveexec_b64 s[0:1], s[28:29]
	s_cbranch_execnz .LBB22_431
	s_branch .LBB22_432
.LBB22_447:
	s_mov_b64 s[0:1], -1
                                        ; implicit-def: $vgpr0
	s_branch .LBB22_452
.LBB22_448:
	s_mov_b64 s[0:1], -1
                                        ; implicit-def: $vgpr0
.LBB22_449:
	s_and_b64 vcc, exec, s[0:1]
	s_cbranch_vccz .LBB22_451
; %bb.450:
	global_load_ubyte v0, v[2:3], off
	s_mov_b32 s0, 0x7f800000
	s_brev_b32 s1, 1
	s_mov_b32 s28, 0x2f800000
	s_waitcnt vmcnt(0)
	v_lshlrev_b32_e32 v0, 24, v0
	v_and_b32_e32 v1, 0x7f000000, v0
	v_ffbh_u32_e32 v4, v1
	v_min_u32_e32 v4, 32, v4
	v_sub_u32_e64 v4, v4, 4 clamp
	v_lshlrev_b32_e32 v6, v4, v1
	v_lshlrev_b32_e32 v4, 23, v4
	v_lshrrev_b32_e32 v6, 4, v6
	v_add_u32_e32 v5, 0x1000000, v1
	v_sub_u32_e32 v4, v6, v4
	v_ashrrev_i32_e32 v5, 8, v5
	v_add_u32_e32 v4, 0x3c000000, v4
	v_and_or_b32 v4, v5, s0, v4
	v_cmp_ne_u32_e32 vcc, 0, v1
	v_cndmask_b32_e32 v1, 0, v4, vcc
	v_and_or_b32 v0, v0, s1, v1
	v_trunc_f32_e32 v0, v0
	v_mul_f32_e64 v1, |v0|, s28
	v_floor_f32_e32 v1, v1
	s_mov_b32 s0, 0xcf800000
	v_fma_f32 v1, v1, s0, |v0|
	v_cvt_u32_f32_e32 v1, v1
	v_ashrrev_i32_e32 v0, 31, v0
	v_xor_b32_e32 v1, v1, v0
	v_sub_u32_e32 v0, v1, v0
.LBB22_451:
	s_mov_b64 s[0:1], 0
.LBB22_452:
	s_andn2_b64 vcc, exec, s[0:1]
	s_cbranch_vccnz .LBB22_454
; %bb.453:
	global_load_ubyte v0, v[2:3], off
	s_movk_i32 s0, 0x7f00
	s_brev_b32 s1, 16
	s_brev_b32 s28, 1
	s_mov_b32 s29, 0x2f800000
	s_waitcnt vmcnt(0)
	v_lshlrev_b16_e32 v1, 8, v0
	v_lshlrev_b32_e32 v0, 25, v0
	v_lshrrev_b32_e32 v4, 4, v0
	v_and_or_b32 v5, v1, s0, 0.5
	v_or_b32_e32 v4, 0x70000000, v4
	v_add_f32_e32 v5, -0.5, v5
	v_mul_f32_e32 v4, 0x7800000, v4
	v_cmp_gt_u32_e32 vcc, s1, v0
	v_bfe_i32 v1, v1, 0, 16
	v_cndmask_b32_e32 v0, v4, v5, vcc
	v_and_or_b32 v0, v1, s28, v0
	v_trunc_f32_e32 v0, v0
	v_mul_f32_e64 v1, |v0|, s29
	v_floor_f32_e32 v1, v1
	s_mov_b32 s0, 0xcf800000
	v_fma_f32 v1, v1, s0, |v0|
	v_cvt_u32_f32_e32 v1, v1
	v_ashrrev_i32_e32 v0, 31, v0
	v_xor_b32_e32 v1, v1, v0
	v_sub_u32_e32 v0, v1, v0
.LBB22_454:
	s_mov_b64 s[28:29], 0
	s_mov_b64 s[0:1], -1
.LBB22_455:
	s_andn2_b64 vcc, exec, s[28:29]
	s_cbranch_vccnz .LBB22_468
; %bb.456:
	s_cmp_gt_i32 s30, 14
	s_cbranch_scc0 .LBB22_459
; %bb.457:
	s_cmp_eq_u32 s30, 15
	s_cbranch_scc0 .LBB22_462
; %bb.458:
	global_load_ushort v0, v[2:3], off
	s_mov_b32 s0, 0x2f800000
	s_mov_b32 s1, 0xcf800000
	s_mov_b64 s[26:27], 0
	s_waitcnt vmcnt(0)
	v_lshlrev_b32_e32 v0, 16, v0
	v_trunc_f32_e32 v0, v0
	v_mul_f32_e64 v1, |v0|, s0
	v_floor_f32_e32 v1, v1
	v_fma_f32 v1, v1, s1, |v0|
	v_cvt_u32_f32_e32 v1, v1
	v_ashrrev_i32_e32 v0, 31, v0
	s_mov_b64 s[0:1], -1
	v_xor_b32_e32 v1, v1, v0
	v_sub_u32_e32 v0, v1, v0
	s_branch .LBB22_463
.LBB22_459:
	s_mov_b64 s[28:29], -1
                                        ; implicit-def: $vgpr0
	s_branch .LBB22_464
.LBB22_460:
	s_andn2_saveexec_b64 s[0:1], s[0:1]
	s_cbranch_execz .LBB22_441
.LBB22_461:
	v_cmp_ne_u16_e32 vcc, 0, v1
	s_andn2_b64 s[28:29], s[28:29], exec
	s_and_b64 s[36:37], vcc, exec
	s_or_b64 s[28:29], s[28:29], s[36:37]
	s_or_b64 exec, exec, s[0:1]
	v_mov_b32_e32 v0, 0
	s_and_saveexec_b64 s[0:1], s[28:29]
	s_cbranch_execnz .LBB22_442
	s_branch .LBB22_443
.LBB22_462:
	s_mov_b64 s[26:27], -1
                                        ; implicit-def: $vgpr0
.LBB22_463:
	s_mov_b64 s[28:29], 0
.LBB22_464:
	s_and_b64 vcc, exec, s[28:29]
	s_cbranch_vccz .LBB22_468
; %bb.465:
	s_cmp_eq_u32 s30, 11
	s_cbranch_scc0 .LBB22_467
; %bb.466:
	global_load_ubyte v0, v[2:3], off
	s_mov_b64 s[0:1], -1
	s_mov_b64 s[26:27], 0
	s_waitcnt vmcnt(0)
	v_cmp_ne_u16_e32 vcc, 0, v0
	v_cndmask_b32_e64 v0, 0, 1, vcc
	s_branch .LBB22_468
.LBB22_467:
	s_mov_b64 s[26:27], -1
                                        ; implicit-def: $vgpr0
.LBB22_468:
	s_branch .LBB22_388
.LBB22_469:
	s_cmp_lt_i32 s30, 5
	s_cbranch_scc1 .LBB22_474
; %bb.470:
	s_cmp_lt_i32 s30, 8
	s_cbranch_scc1 .LBB22_475
; %bb.471:
	;; [unrolled: 3-line block ×3, first 2 shown]
	s_cmp_gt_i32 s30, 9
	s_cbranch_scc0 .LBB22_477
; %bb.473:
	global_load_dwordx2 v[0:1], v[2:3], off
	s_movk_i32 s0, 0xffe0
	s_waitcnt vmcnt(0)
	v_trunc_f64_e32 v[0:1], v[0:1]
	v_ldexp_f64 v[4:5], v[0:1], s0
	s_mov_b32 s0, 0
	s_mov_b32 s1, 0xc1f00000
	v_floor_f64_e32 v[4:5], v[4:5]
	v_fma_f64 v[0:1], v[4:5], s[0:1], v[0:1]
	s_mov_b64 s[0:1], 0
	v_cvt_u32_f64_e32 v0, v[0:1]
	s_branch .LBB22_478
.LBB22_474:
	s_mov_b64 s[0:1], -1
                                        ; implicit-def: $vgpr0
	s_branch .LBB22_496
.LBB22_475:
	s_mov_b64 s[0:1], -1
                                        ; implicit-def: $vgpr0
	s_branch .LBB22_484
.LBB22_476:
	s_mov_b64 s[0:1], -1
                                        ; implicit-def: $vgpr0
	s_branch .LBB22_481
.LBB22_477:
	s_mov_b64 s[0:1], -1
                                        ; implicit-def: $vgpr0
.LBB22_478:
	s_andn2_b64 vcc, exec, s[0:1]
	s_cbranch_vccnz .LBB22_480
; %bb.479:
	global_load_dword v0, v[2:3], off
	s_mov_b32 s0, 0x2f800000
	s_waitcnt vmcnt(0)
	v_trunc_f32_e32 v0, v0
	v_mul_f32_e64 v1, |v0|, s0
	v_floor_f32_e32 v1, v1
	s_mov_b32 s0, 0xcf800000
	v_fma_f32 v1, v1, s0, |v0|
	v_cvt_u32_f32_e32 v1, v1
	v_ashrrev_i32_e32 v0, 31, v0
	v_xor_b32_e32 v1, v1, v0
	v_sub_u32_e32 v0, v1, v0
.LBB22_480:
	s_mov_b64 s[0:1], 0
.LBB22_481:
	s_andn2_b64 vcc, exec, s[0:1]
	s_cbranch_vccnz .LBB22_483
; %bb.482:
	global_load_dword v0, v[2:3], off
	s_waitcnt vmcnt(0)
	v_cvt_f32_f16_e32 v0, v0
	v_cvt_i32_f32_e32 v0, v0
.LBB22_483:
	s_mov_b64 s[0:1], 0
.LBB22_484:
	s_andn2_b64 vcc, exec, s[0:1]
	s_cbranch_vccnz .LBB22_495
; %bb.485:
	s_cmp_lt_i32 s30, 6
	s_cbranch_scc1 .LBB22_488
; %bb.486:
	s_cmp_gt_i32 s30, 6
	s_cbranch_scc0 .LBB22_489
; %bb.487:
	global_load_dwordx2 v[0:1], v[2:3], off
	s_movk_i32 s0, 0xffe0
	s_waitcnt vmcnt(0)
	v_trunc_f64_e32 v[0:1], v[0:1]
	v_ldexp_f64 v[4:5], v[0:1], s0
	s_mov_b32 s0, 0
	s_mov_b32 s1, 0xc1f00000
	v_floor_f64_e32 v[4:5], v[4:5]
	v_fma_f64 v[0:1], v[4:5], s[0:1], v[0:1]
	s_mov_b64 s[0:1], 0
	v_cvt_u32_f64_e32 v0, v[0:1]
	s_branch .LBB22_490
.LBB22_488:
	s_mov_b64 s[0:1], -1
                                        ; implicit-def: $vgpr0
	s_branch .LBB22_493
.LBB22_489:
	s_mov_b64 s[0:1], -1
                                        ; implicit-def: $vgpr0
.LBB22_490:
	s_andn2_b64 vcc, exec, s[0:1]
	s_cbranch_vccnz .LBB22_492
; %bb.491:
	global_load_dword v0, v[2:3], off
	s_mov_b32 s0, 0x2f800000
	s_waitcnt vmcnt(0)
	v_trunc_f32_e32 v0, v0
	v_mul_f32_e64 v1, |v0|, s0
	v_floor_f32_e32 v1, v1
	s_mov_b32 s0, 0xcf800000
	v_fma_f32 v1, v1, s0, |v0|
	v_cvt_u32_f32_e32 v1, v1
	v_ashrrev_i32_e32 v0, 31, v0
	v_xor_b32_e32 v1, v1, v0
	v_sub_u32_e32 v0, v1, v0
.LBB22_492:
	s_mov_b64 s[0:1], 0
.LBB22_493:
	s_andn2_b64 vcc, exec, s[0:1]
	s_cbranch_vccnz .LBB22_495
; %bb.494:
	global_load_ushort v0, v[2:3], off
	s_waitcnt vmcnt(0)
	v_cvt_f32_f16_e32 v0, v0
	v_cvt_i32_f32_e32 v0, v0
.LBB22_495:
	s_mov_b64 s[0:1], 0
.LBB22_496:
	s_andn2_b64 vcc, exec, s[0:1]
	s_cbranch_vccnz .LBB22_516
; %bb.497:
	s_cmp_lt_i32 s30, 2
	s_cbranch_scc1 .LBB22_501
; %bb.498:
	s_cmp_lt_i32 s30, 3
	s_cbranch_scc1 .LBB22_502
; %bb.499:
	s_cmp_gt_i32 s30, 3
	s_cbranch_scc0 .LBB22_503
; %bb.500:
	global_load_dwordx2 v[0:1], v[2:3], off
	s_mov_b64 s[0:1], 0
	s_branch .LBB22_504
.LBB22_501:
	s_mov_b64 s[0:1], -1
                                        ; implicit-def: $vgpr0
	s_branch .LBB22_510
.LBB22_502:
	s_mov_b64 s[0:1], -1
                                        ; implicit-def: $vgpr0
	s_branch .LBB22_507
.LBB22_503:
	s_mov_b64 s[0:1], -1
                                        ; implicit-def: $vgpr0
.LBB22_504:
	s_andn2_b64 vcc, exec, s[0:1]
	s_cbranch_vccnz .LBB22_506
; %bb.505:
	global_load_dword v0, v[2:3], off
.LBB22_506:
	s_mov_b64 s[0:1], 0
.LBB22_507:
	s_andn2_b64 vcc, exec, s[0:1]
	s_cbranch_vccnz .LBB22_509
; %bb.508:
	global_load_ushort v0, v[2:3], off
.LBB22_509:
	s_mov_b64 s[0:1], 0
.LBB22_510:
	s_andn2_b64 vcc, exec, s[0:1]
	s_cbranch_vccnz .LBB22_516
; %bb.511:
	s_cmp_gt_i32 s30, 0
	s_cbranch_scc0 .LBB22_513
; %bb.512:
	global_load_ubyte v0, v[2:3], off
	s_mov_b64 s[0:1], 0
	s_branch .LBB22_514
.LBB22_513:
	s_mov_b64 s[0:1], -1
                                        ; implicit-def: $vgpr0
.LBB22_514:
	s_andn2_b64 vcc, exec, s[0:1]
	s_cbranch_vccnz .LBB22_516
; %bb.515:
	global_load_ubyte v0, v[2:3], off
.LBB22_516:
	s_branch .LBB22_389
.LBB22_517:
	s_mov_b64 s[36:37], 0
	s_mov_b64 s[0:1], s[18:19]
	;; [unrolled: 1-line block ×3, first 2 shown]
.LBB22_518:
                                        ; implicit-def: $vgpr11
	s_branch .LBB22_756
.LBB22_519:
	s_andn2_saveexec_b64 s[30:31], s[30:31]
	s_cbranch_execz .LBB22_189
.LBB22_520:
	v_add_f32_e32 v3, 0x42800000, v4
	v_and_b32_e32 v3, 0xff, v3
	v_cmp_ne_u32_e32 vcc, 0, v3
	s_andn2_b64 s[26:27], s[26:27], exec
	s_and_b64 s[36:37], vcc, exec
	s_or_b64 s[26:27], s[26:27], s[36:37]
	s_or_b64 exec, exec, s[30:31]
	v_mov_b32_e32 v5, 0
	s_and_saveexec_b64 s[30:31], s[26:27]
	s_cbranch_execnz .LBB22_190
	s_branch .LBB22_191
.LBB22_521:
	s_mov_b64 s[28:29], -1
                                        ; implicit-def: $vgpr3
	s_mov_b64 s[0:1], 0
.LBB22_522:
	s_and_b64 vcc, exec, s[30:31]
	s_cbranch_vccz .LBB22_526
; %bb.523:
	s_cmp_eq_u32 s37, 44
	s_cbranch_scc0 .LBB22_525
; %bb.524:
	global_load_ubyte v3, v[1:2], off
	s_mov_b32 s0, 0x2f800000
	s_mov_b32 s1, 0xcf800000
	s_mov_b64 s[28:29], 0
	s_waitcnt vmcnt(0)
	v_lshlrev_b32_e32 v4, 23, v3
	v_trunc_f32_e32 v4, v4
	v_mul_f32_e64 v5, |v4|, s0
	v_floor_f32_e32 v5, v5
	v_fma_f32 v5, v5, s1, |v4|
	v_cvt_u32_f32_e32 v5, v5
	v_ashrrev_i32_e32 v4, 31, v4
	v_cmp_ne_u32_e32 vcc, 0, v3
	s_mov_b64 s[0:1], -1
	v_xor_b32_e32 v5, v5, v4
	v_sub_u32_e32 v4, v5, v4
	v_cndmask_b32_e32 v3, 0, v4, vcc
	s_branch .LBB22_526
.LBB22_525:
	s_mov_b64 s[28:29], -1
                                        ; implicit-def: $vgpr3
.LBB22_526:
	s_mov_b64 s[30:31], 0
.LBB22_527:
	s_and_b64 vcc, exec, s[30:31]
	s_cbranch_vccz .LBB22_531
; %bb.528:
	s_cmp_eq_u32 s37, 29
	s_cbranch_scc0 .LBB22_530
; %bb.529:
	global_load_dwordx2 v[3:4], v[1:2], off
	s_mov_b64 s[0:1], -1
	s_mov_b64 s[28:29], 0
	s_branch .LBB22_531
.LBB22_530:
	s_mov_b64 s[28:29], -1
                                        ; implicit-def: $vgpr3
.LBB22_531:
	s_mov_b64 s[30:31], 0
.LBB22_532:
	s_and_b64 vcc, exec, s[30:31]
	s_cbranch_vccz .LBB22_548
; %bb.533:
	s_cmp_lt_i32 s37, 27
	s_cbranch_scc1 .LBB22_536
; %bb.534:
	s_cmp_gt_i32 s37, 27
	s_cbranch_scc0 .LBB22_537
; %bb.535:
	global_load_dword v3, v[1:2], off
	s_mov_b64 s[0:1], 0
	s_branch .LBB22_538
.LBB22_536:
	s_mov_b64 s[0:1], -1
                                        ; implicit-def: $vgpr3
	s_branch .LBB22_541
.LBB22_537:
	s_mov_b64 s[0:1], -1
                                        ; implicit-def: $vgpr3
.LBB22_538:
	s_andn2_b64 vcc, exec, s[0:1]
	s_cbranch_vccnz .LBB22_540
; %bb.539:
	global_load_ushort v3, v[1:2], off
.LBB22_540:
	s_mov_b64 s[0:1], 0
.LBB22_541:
	s_andn2_b64 vcc, exec, s[0:1]
	s_cbranch_vccnz .LBB22_547
; %bb.542:
	global_load_ubyte v4, v[1:2], off
	s_movk_i32 s0, 0x7f
	s_mov_b64 s[30:31], 0
	s_waitcnt vmcnt(0)
	v_cmp_lt_i16_e32 vcc, s0, v4
	s_and_saveexec_b64 s[0:1], vcc
	s_xor_b64 s[0:1], exec, s[0:1]
	s_cbranch_execz .LBB22_559
; %bb.543:
	s_movk_i32 s30, 0x80
	v_cmp_ne_u16_e32 vcc, s30, v4
	s_and_b64 s[30:31], vcc, exec
	s_andn2_saveexec_b64 s[0:1], s[0:1]
	s_cbranch_execnz .LBB22_560
.LBB22_544:
	s_or_b64 exec, exec, s[0:1]
	v_mov_b32_e32 v3, 0
	s_and_saveexec_b64 s[0:1], s[30:31]
	s_cbranch_execz .LBB22_546
.LBB22_545:
	v_lshlrev_b32_e32 v3, 24, v4
	v_and_b32_e32 v4, 0xffff, v4
	v_and_b32_e32 v5, 7, v4
	v_ffbh_u32_e32 v7, v5
	v_min_u32_e32 v7, 32, v7
	v_subrev_u32_e32 v8, 28, v7
	v_bfe_u32 v6, v4, 3, 4
	v_lshlrev_b32_e32 v4, v8, v4
	v_sub_u32_e32 v7, 29, v7
	v_and_b32_e32 v4, 7, v4
	v_cmp_eq_u32_e32 vcc, 0, v6
	v_cndmask_b32_e32 v6, v6, v7, vcc
	v_cndmask_b32_e32 v4, v5, v4, vcc
	v_mov_b32_e32 v5, 0x3b800000
	v_lshlrev_b32_e32 v4, 20, v4
	v_and_b32_e32 v3, 0x80000000, v3
	v_lshl_add_u32 v5, v6, 23, v5
	v_or3_b32 v3, v3, v5, v4
	v_trunc_f32_e32 v3, v3
	s_mov_b32 s30, 0x2f800000
	v_mul_f32_e64 v4, |v3|, s30
	v_floor_f32_e32 v4, v4
	s_mov_b32 s30, 0xcf800000
	v_fma_f32 v4, v4, s30, |v3|
	v_cvt_u32_f32_e32 v4, v4
	v_ashrrev_i32_e32 v3, 31, v3
	v_xor_b32_e32 v4, v4, v3
	v_sub_u32_e32 v3, v4, v3
.LBB22_546:
	s_or_b64 exec, exec, s[0:1]
.LBB22_547:
	s_mov_b64 s[0:1], -1
.LBB22_548:
	s_mov_b64 s[30:31], 0
.LBB22_549:
	s_and_b64 vcc, exec, s[30:31]
	s_cbranch_vccz .LBB22_582
; %bb.550:
	s_cmp_gt_i32 s37, 22
	s_cbranch_scc0 .LBB22_558
; %bb.551:
	s_cmp_lt_i32 s37, 24
	s_cbranch_scc1 .LBB22_561
; %bb.552:
	s_cmp_gt_i32 s37, 24
	s_cbranch_scc0 .LBB22_562
; %bb.553:
	global_load_ubyte v4, v[1:2], off
	s_movk_i32 s0, 0x7f
	s_mov_b64 s[30:31], 0
	s_waitcnt vmcnt(0)
	v_cmp_lt_i16_e32 vcc, s0, v4
	s_and_saveexec_b64 s[0:1], vcc
	s_xor_b64 s[0:1], exec, s[0:1]
	s_cbranch_execz .LBB22_574
; %bb.554:
	s_movk_i32 s30, 0x80
	v_cmp_ne_u16_e32 vcc, s30, v4
	s_and_b64 s[30:31], vcc, exec
	s_andn2_saveexec_b64 s[0:1], s[0:1]
	s_cbranch_execnz .LBB22_575
.LBB22_555:
	s_or_b64 exec, exec, s[0:1]
	v_mov_b32_e32 v3, 0
	s_and_saveexec_b64 s[0:1], s[30:31]
	s_cbranch_execz .LBB22_557
.LBB22_556:
	v_lshlrev_b32_e32 v3, 24, v4
	v_and_b32_e32 v4, 0xffff, v4
	v_and_b32_e32 v5, 3, v4
	v_ffbh_u32_e32 v7, v5
	v_min_u32_e32 v7, 32, v7
	v_subrev_u32_e32 v8, 29, v7
	v_bfe_u32 v6, v4, 2, 5
	v_lshlrev_b32_e32 v4, v8, v4
	v_sub_u32_e32 v7, 30, v7
	v_and_b32_e32 v4, 3, v4
	v_cmp_eq_u32_e32 vcc, 0, v6
	v_cndmask_b32_e32 v6, v6, v7, vcc
	v_cndmask_b32_e32 v4, v5, v4, vcc
	v_mov_b32_e32 v5, 0x37800000
	v_lshlrev_b32_e32 v4, 21, v4
	v_and_b32_e32 v3, 0x80000000, v3
	v_lshl_add_u32 v5, v6, 23, v5
	v_or3_b32 v3, v3, v5, v4
	v_trunc_f32_e32 v3, v3
	s_mov_b32 s30, 0x2f800000
	v_mul_f32_e64 v4, |v3|, s30
	v_floor_f32_e32 v4, v4
	s_mov_b32 s30, 0xcf800000
	v_fma_f32 v4, v4, s30, |v3|
	v_cvt_u32_f32_e32 v4, v4
	v_ashrrev_i32_e32 v3, 31, v3
	v_xor_b32_e32 v4, v4, v3
	v_sub_u32_e32 v3, v4, v3
.LBB22_557:
	s_or_b64 exec, exec, s[0:1]
	s_mov_b64 s[0:1], 0
	s_branch .LBB22_563
.LBB22_558:
	s_mov_b64 s[30:31], -1
                                        ; implicit-def: $vgpr3
	s_branch .LBB22_569
.LBB22_559:
	s_andn2_saveexec_b64 s[0:1], s[0:1]
	s_cbranch_execz .LBB22_544
.LBB22_560:
	v_cmp_ne_u16_e32 vcc, 0, v4
	s_andn2_b64 s[30:31], s[30:31], exec
	s_and_b64 s[38:39], vcc, exec
	s_or_b64 s[30:31], s[30:31], s[38:39]
	s_or_b64 exec, exec, s[0:1]
	v_mov_b32_e32 v3, 0
	s_and_saveexec_b64 s[0:1], s[30:31]
	s_cbranch_execnz .LBB22_545
	s_branch .LBB22_546
.LBB22_561:
	s_mov_b64 s[0:1], -1
                                        ; implicit-def: $vgpr3
	s_branch .LBB22_566
.LBB22_562:
	s_mov_b64 s[0:1], -1
                                        ; implicit-def: $vgpr3
.LBB22_563:
	s_and_b64 vcc, exec, s[0:1]
	s_cbranch_vccz .LBB22_565
; %bb.564:
	global_load_ubyte v3, v[1:2], off
	s_mov_b32 s0, 0x7f800000
	s_brev_b32 s1, 1
	s_mov_b32 s30, 0x2f800000
	s_waitcnt vmcnt(0)
	v_lshlrev_b32_e32 v3, 24, v3
	v_and_b32_e32 v4, 0x7f000000, v3
	v_ffbh_u32_e32 v5, v4
	v_min_u32_e32 v5, 32, v5
	v_sub_u32_e64 v5, v5, 4 clamp
	v_lshlrev_b32_e32 v7, v5, v4
	v_lshlrev_b32_e32 v5, 23, v5
	v_lshrrev_b32_e32 v7, 4, v7
	v_add_u32_e32 v6, 0x1000000, v4
	v_sub_u32_e32 v5, v7, v5
	v_ashrrev_i32_e32 v6, 8, v6
	v_add_u32_e32 v5, 0x3c000000, v5
	v_and_or_b32 v5, v6, s0, v5
	v_cmp_ne_u32_e32 vcc, 0, v4
	v_cndmask_b32_e32 v4, 0, v5, vcc
	v_and_or_b32 v3, v3, s1, v4
	v_trunc_f32_e32 v3, v3
	v_mul_f32_e64 v4, |v3|, s30
	v_floor_f32_e32 v4, v4
	s_mov_b32 s0, 0xcf800000
	v_fma_f32 v4, v4, s0, |v3|
	v_cvt_u32_f32_e32 v4, v4
	v_ashrrev_i32_e32 v3, 31, v3
	v_xor_b32_e32 v4, v4, v3
	v_sub_u32_e32 v3, v4, v3
.LBB22_565:
	s_mov_b64 s[0:1], 0
.LBB22_566:
	s_andn2_b64 vcc, exec, s[0:1]
	s_cbranch_vccnz .LBB22_568
; %bb.567:
	global_load_ubyte v3, v[1:2], off
	s_movk_i32 s0, 0x7f00
	s_brev_b32 s1, 16
	s_brev_b32 s30, 1
	s_mov_b32 s31, 0x2f800000
	s_waitcnt vmcnt(0)
	v_lshlrev_b16_e32 v4, 8, v3
	v_lshlrev_b32_e32 v3, 25, v3
	v_lshrrev_b32_e32 v5, 4, v3
	v_and_or_b32 v6, v4, s0, 0.5
	v_or_b32_e32 v5, 0x70000000, v5
	v_add_f32_e32 v6, -0.5, v6
	v_mul_f32_e32 v5, 0x7800000, v5
	v_cmp_gt_u32_e32 vcc, s1, v3
	v_bfe_i32 v4, v4, 0, 16
	v_cndmask_b32_e32 v3, v5, v6, vcc
	v_and_or_b32 v3, v4, s30, v3
	v_trunc_f32_e32 v3, v3
	v_mul_f32_e64 v4, |v3|, s31
	v_floor_f32_e32 v4, v4
	s_mov_b32 s0, 0xcf800000
	v_fma_f32 v4, v4, s0, |v3|
	v_cvt_u32_f32_e32 v4, v4
	v_ashrrev_i32_e32 v3, 31, v3
	v_xor_b32_e32 v4, v4, v3
	v_sub_u32_e32 v3, v4, v3
.LBB22_568:
	s_mov_b64 s[30:31], 0
	s_mov_b64 s[0:1], -1
.LBB22_569:
	s_andn2_b64 vcc, exec, s[30:31]
	s_cbranch_vccnz .LBB22_582
; %bb.570:
	s_cmp_gt_i32 s37, 14
	s_cbranch_scc0 .LBB22_573
; %bb.571:
	s_cmp_eq_u32 s37, 15
	s_cbranch_scc0 .LBB22_576
; %bb.572:
	global_load_ushort v3, v[1:2], off
	s_mov_b32 s0, 0x2f800000
	s_mov_b32 s1, 0xcf800000
	s_mov_b64 s[28:29], 0
	s_waitcnt vmcnt(0)
	v_lshlrev_b32_e32 v3, 16, v3
	v_trunc_f32_e32 v3, v3
	v_mul_f32_e64 v4, |v3|, s0
	v_floor_f32_e32 v4, v4
	v_fma_f32 v4, v4, s1, |v3|
	v_cvt_u32_f32_e32 v4, v4
	v_ashrrev_i32_e32 v3, 31, v3
	s_mov_b64 s[0:1], -1
	v_xor_b32_e32 v4, v4, v3
	v_sub_u32_e32 v3, v4, v3
	s_branch .LBB22_577
.LBB22_573:
	s_mov_b64 s[30:31], -1
                                        ; implicit-def: $vgpr3
	s_branch .LBB22_578
.LBB22_574:
	s_andn2_saveexec_b64 s[0:1], s[0:1]
	s_cbranch_execz .LBB22_555
.LBB22_575:
	v_cmp_ne_u16_e32 vcc, 0, v4
	s_andn2_b64 s[30:31], s[30:31], exec
	s_and_b64 s[38:39], vcc, exec
	s_or_b64 s[30:31], s[30:31], s[38:39]
	s_or_b64 exec, exec, s[0:1]
	v_mov_b32_e32 v3, 0
	s_and_saveexec_b64 s[0:1], s[30:31]
	s_cbranch_execnz .LBB22_556
	s_branch .LBB22_557
.LBB22_576:
	s_mov_b64 s[28:29], -1
                                        ; implicit-def: $vgpr3
.LBB22_577:
	s_mov_b64 s[30:31], 0
.LBB22_578:
	s_and_b64 vcc, exec, s[30:31]
	s_cbranch_vccz .LBB22_582
; %bb.579:
	s_cmp_eq_u32 s37, 11
	s_cbranch_scc0 .LBB22_581
; %bb.580:
	global_load_ubyte v3, v[1:2], off
	s_mov_b64 s[0:1], -1
	s_mov_b64 s[28:29], 0
	s_waitcnt vmcnt(0)
	v_cmp_ne_u16_e32 vcc, 0, v3
	v_cndmask_b32_e64 v3, 0, 1, vcc
	s_branch .LBB22_582
.LBB22_581:
	s_mov_b64 s[28:29], -1
                                        ; implicit-def: $vgpr3
.LBB22_582:
	s_mov_b64 s[30:31], 0
.LBB22_583:
	s_and_b64 vcc, exec, s[30:31]
	s_cbranch_vccz .LBB22_632
; %bb.584:
	s_and_b32 s30, 0xffff, s36
	s_cmp_lt_i32 s30, 5
	s_cbranch_scc1 .LBB22_589
; %bb.585:
	s_cmp_lt_i32 s30, 8
	s_cbranch_scc1 .LBB22_590
; %bb.586:
	;; [unrolled: 3-line block ×3, first 2 shown]
	s_cmp_gt_i32 s30, 9
	s_cbranch_scc0 .LBB22_592
; %bb.588:
	global_load_dwordx2 v[3:4], v[1:2], off
	s_movk_i32 s0, 0xffe0
	s_waitcnt vmcnt(0)
	v_trunc_f64_e32 v[3:4], v[3:4]
	v_ldexp_f64 v[5:6], v[3:4], s0
	s_mov_b32 s0, 0
	s_mov_b32 s1, 0xc1f00000
	v_floor_f64_e32 v[5:6], v[5:6]
	v_fma_f64 v[3:4], v[5:6], s[0:1], v[3:4]
	s_mov_b64 s[0:1], 0
	v_cvt_u32_f64_e32 v3, v[3:4]
	s_branch .LBB22_593
.LBB22_589:
	s_mov_b64 s[0:1], -1
                                        ; implicit-def: $vgpr3
	s_branch .LBB22_611
.LBB22_590:
	s_mov_b64 s[0:1], -1
                                        ; implicit-def: $vgpr3
	s_branch .LBB22_599
.LBB22_591:
	s_mov_b64 s[0:1], -1
                                        ; implicit-def: $vgpr3
	s_branch .LBB22_596
.LBB22_592:
	s_mov_b64 s[0:1], -1
                                        ; implicit-def: $vgpr3
.LBB22_593:
	s_andn2_b64 vcc, exec, s[0:1]
	s_cbranch_vccnz .LBB22_595
; %bb.594:
	global_load_dword v3, v[1:2], off
	s_mov_b32 s0, 0x2f800000
	s_waitcnt vmcnt(0)
	v_trunc_f32_e32 v3, v3
	v_mul_f32_e64 v4, |v3|, s0
	v_floor_f32_e32 v4, v4
	s_mov_b32 s0, 0xcf800000
	v_fma_f32 v4, v4, s0, |v3|
	v_cvt_u32_f32_e32 v4, v4
	v_ashrrev_i32_e32 v3, 31, v3
	v_xor_b32_e32 v4, v4, v3
	v_sub_u32_e32 v3, v4, v3
.LBB22_595:
	s_mov_b64 s[0:1], 0
.LBB22_596:
	s_andn2_b64 vcc, exec, s[0:1]
	s_cbranch_vccnz .LBB22_598
; %bb.597:
	global_load_dword v3, v[1:2], off
	s_waitcnt vmcnt(0)
	v_cvt_f32_f16_e32 v3, v3
	v_cvt_i32_f32_e32 v3, v3
.LBB22_598:
	s_mov_b64 s[0:1], 0
.LBB22_599:
	s_andn2_b64 vcc, exec, s[0:1]
	s_cbranch_vccnz .LBB22_610
; %bb.600:
	s_cmp_lt_i32 s30, 6
	s_cbranch_scc1 .LBB22_603
; %bb.601:
	s_cmp_gt_i32 s30, 6
	s_cbranch_scc0 .LBB22_604
; %bb.602:
	global_load_dwordx2 v[3:4], v[1:2], off
	s_movk_i32 s0, 0xffe0
	s_waitcnt vmcnt(0)
	v_trunc_f64_e32 v[3:4], v[3:4]
	v_ldexp_f64 v[5:6], v[3:4], s0
	s_mov_b32 s0, 0
	s_mov_b32 s1, 0xc1f00000
	v_floor_f64_e32 v[5:6], v[5:6]
	v_fma_f64 v[3:4], v[5:6], s[0:1], v[3:4]
	s_mov_b64 s[0:1], 0
	v_cvt_u32_f64_e32 v3, v[3:4]
	s_branch .LBB22_605
.LBB22_603:
	s_mov_b64 s[0:1], -1
                                        ; implicit-def: $vgpr3
	s_branch .LBB22_608
.LBB22_604:
	s_mov_b64 s[0:1], -1
                                        ; implicit-def: $vgpr3
.LBB22_605:
	s_andn2_b64 vcc, exec, s[0:1]
	s_cbranch_vccnz .LBB22_607
; %bb.606:
	global_load_dword v3, v[1:2], off
	s_mov_b32 s0, 0x2f800000
	s_waitcnt vmcnt(0)
	v_trunc_f32_e32 v3, v3
	v_mul_f32_e64 v4, |v3|, s0
	v_floor_f32_e32 v4, v4
	s_mov_b32 s0, 0xcf800000
	v_fma_f32 v4, v4, s0, |v3|
	v_cvt_u32_f32_e32 v4, v4
	v_ashrrev_i32_e32 v3, 31, v3
	v_xor_b32_e32 v4, v4, v3
	v_sub_u32_e32 v3, v4, v3
.LBB22_607:
	s_mov_b64 s[0:1], 0
.LBB22_608:
	s_andn2_b64 vcc, exec, s[0:1]
	s_cbranch_vccnz .LBB22_610
; %bb.609:
	global_load_ushort v3, v[1:2], off
	s_waitcnt vmcnt(0)
	v_cvt_f32_f16_e32 v3, v3
	v_cvt_i32_f32_e32 v3, v3
.LBB22_610:
	s_mov_b64 s[0:1], 0
.LBB22_611:
	s_andn2_b64 vcc, exec, s[0:1]
	s_cbranch_vccnz .LBB22_631
; %bb.612:
	s_cmp_lt_i32 s30, 2
	s_cbranch_scc1 .LBB22_616
; %bb.613:
	s_cmp_lt_i32 s30, 3
	s_cbranch_scc1 .LBB22_617
; %bb.614:
	s_cmp_gt_i32 s30, 3
	s_cbranch_scc0 .LBB22_618
; %bb.615:
	global_load_dwordx2 v[3:4], v[1:2], off
	s_mov_b64 s[0:1], 0
	s_branch .LBB22_619
.LBB22_616:
	s_mov_b64 s[0:1], -1
                                        ; implicit-def: $vgpr3
	s_branch .LBB22_625
.LBB22_617:
	s_mov_b64 s[0:1], -1
                                        ; implicit-def: $vgpr3
	s_branch .LBB22_622
.LBB22_618:
	s_mov_b64 s[0:1], -1
                                        ; implicit-def: $vgpr3
.LBB22_619:
	s_andn2_b64 vcc, exec, s[0:1]
	s_cbranch_vccnz .LBB22_621
; %bb.620:
	global_load_dword v3, v[1:2], off
.LBB22_621:
	s_mov_b64 s[0:1], 0
.LBB22_622:
	s_andn2_b64 vcc, exec, s[0:1]
	s_cbranch_vccnz .LBB22_624
; %bb.623:
	global_load_ushort v3, v[1:2], off
.LBB22_624:
	s_mov_b64 s[0:1], 0
.LBB22_625:
	s_andn2_b64 vcc, exec, s[0:1]
	s_cbranch_vccnz .LBB22_631
; %bb.626:
	s_cmp_gt_i32 s30, 0
	s_cbranch_scc0 .LBB22_628
; %bb.627:
	global_load_ubyte v3, v[1:2], off
	s_mov_b64 s[0:1], 0
	s_branch .LBB22_629
.LBB22_628:
	s_mov_b64 s[0:1], -1
                                        ; implicit-def: $vgpr3
.LBB22_629:
	s_andn2_b64 vcc, exec, s[0:1]
	s_cbranch_vccnz .LBB22_631
; %bb.630:
	global_load_ubyte v3, v[1:2], off
.LBB22_631:
	s_mov_b64 s[0:1], -1
.LBB22_632:
	s_andn2_b64 vcc, exec, s[0:1]
	s_cbranch_vccnz .LBB22_640
; %bb.633:
	v_mul_lo_u32 v1, v11, s12
	s_and_b32 s0, s2, 0xff
	v_mov_b32_e32 v2, s33
	v_cmp_gt_u16_sdwa vcc, v0, s0 src0_sel:BYTE_0 src1_sel:DWORD
	s_waitcnt vmcnt(0)
	v_cndmask_b32_e32 v2, v2, v3, vcc
	v_ashrrev_i32_e32 v3, 31, v1
	v_mov_b32_e32 v4, s9
	s_and_b32 s40, s3, 0xff
	v_add_co_u32_e32 v0, vcc, s8, v1
	s_cmp_lt_i32 s40, 11
	v_addc_co_u32_e32 v1, vcc, v4, v3, vcc
	s_cbranch_scc1 .LBB22_641
; %bb.634:
	s_and_b32 s41, 0xffff, s40
	s_cmp_gt_i32 s41, 25
	s_cbranch_scc0 .LBB22_642
; %bb.635:
	s_cmp_gt_i32 s41, 28
	s_cbranch_scc0 .LBB22_643
; %bb.636:
	;; [unrolled: 3-line block ×4, first 2 shown]
	s_mov_b64 s[36:37], 0
	s_mov_b64 s[0:1], -1
	s_cmp_eq_u32 s41, 46
	s_mov_b64 s[30:31], 0
	s_cbranch_scc0 .LBB22_646
; %bb.639:
	v_cvt_f32_ubyte0_e32 v3, v2
	v_bfe_u32 v4, v3, 16, 1
	s_movk_i32 s0, 0x7fff
	v_add3_u32 v3, v3, v4, s0
	v_lshrrev_b32_e32 v3, 16, v3
	global_store_dword v[0:1], v3, off
	s_mov_b64 s[30:31], -1
	s_mov_b64 s[0:1], 0
	s_branch .LBB22_646
.LBB22_640:
	s_mov_b64 s[36:37], 0
                                        ; implicit-def: $vgpr11
	s_mov_b64 s[0:1], s[18:19]
	s_branch .LBB22_756
.LBB22_641:
	s_mov_b64 s[36:37], -1
	s_mov_b64 s[30:31], 0
	s_mov_b64 s[0:1], s[18:19]
	s_branch .LBB22_715
.LBB22_642:
	s_mov_b64 s[36:37], -1
	s_mov_b64 s[30:31], 0
	s_mov_b64 s[0:1], s[18:19]
	s_branch .LBB22_673
.LBB22_643:
	s_mov_b64 s[36:37], -1
	s_mov_b64 s[30:31], 0
	s_mov_b64 s[0:1], s[18:19]
	s_branch .LBB22_656
.LBB22_644:
	s_mov_b64 s[36:37], -1
	s_mov_b64 s[30:31], 0
	s_mov_b64 s[0:1], s[18:19]
	s_branch .LBB22_652
.LBB22_645:
	s_mov_b64 s[36:37], -1
	s_mov_b64 s[30:31], 0
	s_mov_b64 s[0:1], s[18:19]
.LBB22_646:
	s_and_b64 vcc, exec, s[36:37]
	s_cbranch_vccz .LBB22_651
; %bb.647:
	s_cmp_eq_u32 s41, 44
	s_mov_b64 s[0:1], -1
	s_cbranch_scc0 .LBB22_651
; %bb.648:
	v_cvt_f32_ubyte0_e32 v4, v2
	v_lshrrev_b32_e32 v3, 23, v4
	s_movk_i32 s0, 0xff
	v_cmp_ne_u32_e32 vcc, s0, v3
	v_mov_b32_e32 v5, 0xff
	s_and_saveexec_b64 s[30:31], vcc
; %bb.649:
	s_mov_b32 s0, 0x3fffff
	v_and_b32_e32 v5, 0x400000, v4
	v_and_or_b32 v4, v4, s0, v3
	v_cmp_ne_u32_e32 vcc, 0, v5
	v_cmp_ne_u32_e64 s[0:1], 0, v4
	s_and_b64 s[0:1], vcc, s[0:1]
	v_cndmask_b32_e64 v4, 0, 1, s[0:1]
	v_add_u32_e32 v5, v3, v4
; %bb.650:
	s_or_b64 exec, exec, s[30:31]
	s_mov_b64 s[30:31], -1
	s_mov_b64 s[0:1], 0
	global_store_byte v[0:1], v5, off
.LBB22_651:
	s_mov_b64 s[36:37], 0
.LBB22_652:
	s_and_b64 vcc, exec, s[36:37]
	s_cbranch_vccz .LBB22_655
; %bb.653:
	s_cmp_eq_u32 s41, 29
	s_mov_b64 s[0:1], -1
	s_cbranch_scc0 .LBB22_655
; %bb.654:
	v_and_b32_e32 v3, 0xff, v2
	v_mov_b32_e32 v4, 0
	global_store_dwordx2 v[0:1], v[3:4], off
	s_mov_b64 s[30:31], -1
	s_mov_b64 s[0:1], 0
.LBB22_655:
	s_mov_b64 s[36:37], 0
.LBB22_656:
	s_and_b64 vcc, exec, s[36:37]
	s_cbranch_vccz .LBB22_672
; %bb.657:
	s_cmp_lt_i32 s41, 27
	s_mov_b64 s[30:31], -1
	s_cbranch_scc1 .LBB22_663
; %bb.658:
	s_cmp_gt_i32 s41, 27
	s_cbranch_scc0 .LBB22_660
; %bb.659:
	v_and_b32_e32 v3, 0xff, v2
	s_mov_b64 s[30:31], 0
	global_store_dword v[0:1], v3, off
.LBB22_660:
	s_andn2_b64 vcc, exec, s[30:31]
	s_cbranch_vccnz .LBB22_662
; %bb.661:
	v_and_b32_e32 v3, 0xff, v2
	global_store_short v[0:1], v3, off
.LBB22_662:
	s_mov_b64 s[30:31], 0
.LBB22_663:
	s_andn2_b64 vcc, exec, s[30:31]
	s_cbranch_vccnz .LBB22_671
; %bb.664:
	v_cvt_f32_ubyte0_e32 v4, v2
	s_mov_b32 s30, 0x43800000
	v_cmp_gt_u32_e32 vcc, s30, v4
	v_mov_b32_e32 v5, 0x80
	s_and_saveexec_b64 s[30:31], vcc
	s_cbranch_execz .LBB22_670
; %bb.665:
	s_mov_b32 s36, 0x3bffffff
	v_cmp_lt_u32_e32 vcc, s36, v4
	s_mov_b64 s[36:37], 0
                                        ; implicit-def: $vgpr3
	s_and_saveexec_b64 s[38:39], vcc
	s_xor_b64 s[38:39], exec, s[38:39]
	s_cbranch_execz .LBB22_772
; %bb.666:
	v_bfe_u32 v3, v4, 20, 1
	s_mov_b32 s42, 0x487ffff
	v_add3_u32 v3, v4, v3, s42
	s_mov_b64 s[36:37], exec
	v_lshrrev_b32_e32 v3, 20, v3
                                        ; implicit-def: $vgpr4
	s_andn2_saveexec_b64 s[38:39], s[38:39]
	s_cbranch_execnz .LBB22_773
.LBB22_667:
	s_or_b64 exec, exec, s[38:39]
	v_mov_b32_e32 v5, 0
	s_and_saveexec_b64 s[38:39], s[36:37]
.LBB22_668:
	v_mov_b32_e32 v5, v3
.LBB22_669:
	s_or_b64 exec, exec, s[38:39]
.LBB22_670:
	s_or_b64 exec, exec, s[30:31]
	global_store_byte v[0:1], v5, off
.LBB22_671:
	s_mov_b64 s[30:31], -1
.LBB22_672:
	s_mov_b64 s[36:37], 0
.LBB22_673:
	s_and_b64 vcc, exec, s[36:37]
	s_cbranch_vccz .LBB22_714
; %bb.674:
	s_cmp_gt_i32 s41, 22
	s_mov_b64 s[36:37], -1
	s_cbranch_scc0 .LBB22_706
; %bb.675:
	s_cmp_lt_i32 s41, 24
	s_mov_b64 s[30:31], -1
	s_cbranch_scc1 .LBB22_695
; %bb.676:
	s_cmp_gt_i32 s41, 24
	s_cbranch_scc0 .LBB22_684
; %bb.677:
	v_cvt_f32_ubyte0_e32 v4, v2
	s_mov_b32 s30, 0x47800000
	v_cmp_gt_u32_e32 vcc, s30, v4
	v_mov_b32_e32 v5, 0x80
	s_and_saveexec_b64 s[30:31], vcc
	s_cbranch_execz .LBB22_683
; %bb.678:
	s_mov_b32 s36, 0x37ffffff
	v_cmp_lt_u32_e32 vcc, s36, v4
	s_mov_b64 s[36:37], 0
                                        ; implicit-def: $vgpr3
	s_and_saveexec_b64 s[38:39], vcc
	s_xor_b64 s[38:39], exec, s[38:39]
	s_cbranch_execz .LBB22_900
; %bb.679:
	v_bfe_u32 v3, v4, 21, 1
	s_mov_b32 s42, 0x88fffff
	v_add3_u32 v3, v4, v3, s42
	s_mov_b64 s[36:37], exec
	v_lshrrev_b32_e32 v3, 21, v3
                                        ; implicit-def: $vgpr4
	s_andn2_saveexec_b64 s[38:39], s[38:39]
	s_cbranch_execnz .LBB22_901
.LBB22_680:
	s_or_b64 exec, exec, s[38:39]
	v_mov_b32_e32 v5, 0
	s_and_saveexec_b64 s[38:39], s[36:37]
.LBB22_681:
	v_mov_b32_e32 v5, v3
.LBB22_682:
	s_or_b64 exec, exec, s[38:39]
.LBB22_683:
	s_or_b64 exec, exec, s[30:31]
	s_mov_b64 s[30:31], 0
	global_store_byte v[0:1], v5, off
.LBB22_684:
	s_and_b64 vcc, exec, s[30:31]
	s_cbranch_vccz .LBB22_694
; %bb.685:
	v_cvt_f32_ubyte0_e32 v3, v2
	s_mov_b32 s30, 0x43f00000
	v_cmp_gt_u32_e32 vcc, s30, v3
                                        ; implicit-def: $vgpr4
	s_and_saveexec_b64 s[30:31], vcc
	s_xor_b64 s[30:31], exec, s[30:31]
	s_cbranch_execz .LBB22_691
; %bb.686:
	s_mov_b32 s36, 0x3c7fffff
	v_cmp_lt_u32_e32 vcc, s36, v3
                                        ; implicit-def: $vgpr4
	s_and_saveexec_b64 s[36:37], vcc
	s_xor_b64 s[36:37], exec, s[36:37]
; %bb.687:
	v_bfe_u32 v4, v3, 20, 1
	s_mov_b32 s38, 0x407ffff
	v_add3_u32 v3, v3, v4, s38
	v_lshrrev_b32_e32 v4, 20, v3
	v_and_b32_e32 v3, 0xff00000, v3
	s_mov_b32 s38, 0x7f00000
	v_mov_b32_e32 v5, 0x7e
	v_cmp_ne_u32_e32 vcc, s38, v3
	v_cndmask_b32_e32 v4, v5, v4, vcc
                                        ; implicit-def: $vgpr3
; %bb.688:
	s_andn2_saveexec_b64 s[36:37], s[36:37]
; %bb.689:
	v_add_f32_e32 v4, 0x46800000, v3
; %bb.690:
	s_or_b64 exec, exec, s[36:37]
                                        ; implicit-def: $vgpr3
.LBB22_691:
	s_andn2_saveexec_b64 s[30:31], s[30:31]
; %bb.692:
	s_mov_b32 s36, 0x7f800000
	v_mov_b32_e32 v4, 0x7e
	v_mov_b32_e32 v5, 0x7f
	v_cmp_lt_u32_e32 vcc, s36, v3
	v_cndmask_b32_e32 v4, v4, v5, vcc
; %bb.693:
	s_or_b64 exec, exec, s[30:31]
	global_store_byte v[0:1], v4, off
.LBB22_694:
	s_mov_b64 s[30:31], 0
.LBB22_695:
	s_andn2_b64 vcc, exec, s[30:31]
	s_cbranch_vccnz .LBB22_705
; %bb.696:
	v_cvt_f32_ubyte0_e32 v3, v2
	s_mov_b32 s30, 0x47800000
	v_cmp_gt_u32_e32 vcc, s30, v3
                                        ; implicit-def: $vgpr4
	s_and_saveexec_b64 s[30:31], vcc
	s_xor_b64 s[30:31], exec, s[30:31]
	s_cbranch_execz .LBB22_702
; %bb.697:
	s_mov_b32 s36, 0x387fffff
	v_cmp_lt_u32_e32 vcc, s36, v3
                                        ; implicit-def: $vgpr4
	s_and_saveexec_b64 s[36:37], vcc
	s_xor_b64 s[36:37], exec, s[36:37]
; %bb.698:
	v_bfe_u32 v4, v3, 21, 1
	s_mov_b32 s38, 0x80fffff
	v_add3_u32 v3, v3, v4, s38
	v_lshrrev_b32_e32 v4, 21, v3
                                        ; implicit-def: $vgpr3
; %bb.699:
	s_andn2_saveexec_b64 s[36:37], s[36:37]
; %bb.700:
	v_add_f32_e32 v4, 0x43000000, v3
; %bb.701:
	s_or_b64 exec, exec, s[36:37]
                                        ; implicit-def: $vgpr3
.LBB22_702:
	s_andn2_saveexec_b64 s[30:31], s[30:31]
; %bb.703:
	s_mov_b32 s36, 0x7f800000
	v_mov_b32_e32 v4, 0x7c
	v_mov_b32_e32 v5, 0x7f
	v_cmp_lt_u32_e32 vcc, s36, v3
	v_cndmask_b32_e32 v4, v4, v5, vcc
; %bb.704:
	s_or_b64 exec, exec, s[30:31]
	global_store_byte v[0:1], v4, off
.LBB22_705:
	s_mov_b64 s[36:37], 0
	s_mov_b64 s[30:31], -1
.LBB22_706:
	s_andn2_b64 vcc, exec, s[36:37]
	s_cbranch_vccnz .LBB22_714
; %bb.707:
	s_cmp_gt_i32 s41, 14
	s_mov_b64 s[36:37], -1
	s_cbranch_scc0 .LBB22_711
; %bb.708:
	s_cmp_eq_u32 s41, 15
	s_mov_b64 s[0:1], -1
	s_cbranch_scc0 .LBB22_710
; %bb.709:
	v_cvt_f32_ubyte0_e32 v3, v2
	v_bfe_u32 v4, v3, 16, 1
	s_movk_i32 s0, 0x7fff
	v_add3_u32 v3, v3, v4, s0
	global_store_short_d16_hi v[0:1], v3, off
	s_mov_b64 s[30:31], -1
	s_mov_b64 s[0:1], 0
.LBB22_710:
	s_mov_b64 s[36:37], 0
.LBB22_711:
	s_and_b64 vcc, exec, s[36:37]
	s_cbranch_vccz .LBB22_714
; %bb.712:
	s_cmp_eq_u32 s41, 11
	s_mov_b64 s[0:1], -1
	s_cbranch_scc0 .LBB22_714
; %bb.713:
	v_mov_b32_e32 v3, 0
	v_cmp_ne_u16_sdwa s[0:1], v2, v3 src0_sel:BYTE_0 src1_sel:DWORD
	v_cndmask_b32_e64 v3, 0, 1, s[0:1]
	s_mov_b64 s[30:31], -1
	s_mov_b64 s[0:1], 0
	global_store_byte v[0:1], v3, off
.LBB22_714:
	s_mov_b64 s[36:37], 0
.LBB22_715:
	s_and_b64 vcc, exec, s[36:37]
	s_cbranch_vccz .LBB22_754
; %bb.716:
	s_and_b32 s36, 0xffff, s40
	s_cmp_lt_i32 s36, 5
	s_mov_b64 s[30:31], -1
	s_cbranch_scc1 .LBB22_737
; %bb.717:
	s_cmp_lt_i32 s36, 8
	s_cbranch_scc1 .LBB22_727
; %bb.718:
	s_cmp_lt_i32 s36, 9
	s_cbranch_scc1 .LBB22_724
; %bb.719:
	s_cmp_gt_i32 s36, 9
	s_cbranch_scc0 .LBB22_721
; %bb.720:
	s_mov_b32 s30, 0xffff
	v_and_b32_sdwa v3, s30, v2 dst_sel:DWORD dst_unused:UNUSED_PAD src0_sel:DWORD src1_sel:BYTE_0
	v_cvt_f64_u32_e32 v[3:4], v3
	v_mov_b32_e32 v5, 0
	v_mov_b32_e32 v6, v5
	s_mov_b64 s[30:31], 0
	global_store_dwordx4 v[0:1], v[3:6], off
.LBB22_721:
	s_andn2_b64 vcc, exec, s[30:31]
	s_cbranch_vccnz .LBB22_723
; %bb.722:
	v_cvt_f32_ubyte0_e32 v3, v2
	v_mov_b32_e32 v4, 0
	global_store_dwordx2 v[0:1], v[3:4], off
.LBB22_723:
	s_mov_b64 s[30:31], 0
.LBB22_724:
	s_andn2_b64 vcc, exec, s[30:31]
	s_cbranch_vccnz .LBB22_726
; %bb.725:
	v_cvt_f16_u16_sdwa v3, v2 dst_sel:DWORD dst_unused:UNUSED_PAD src0_sel:BYTE_0
	global_store_dword v[0:1], v3, off
.LBB22_726:
	s_mov_b64 s[30:31], 0
.LBB22_727:
	s_andn2_b64 vcc, exec, s[30:31]
	s_cbranch_vccnz .LBB22_736
; %bb.728:
	s_cmp_lt_i32 s36, 6
	s_mov_b64 s[30:31], -1
	s_cbranch_scc1 .LBB22_734
; %bb.729:
	s_cmp_gt_i32 s36, 6
	s_cbranch_scc0 .LBB22_731
; %bb.730:
	s_mov_b32 s30, 0xffff
	v_and_b32_sdwa v3, s30, v2 dst_sel:DWORD dst_unused:UNUSED_PAD src0_sel:DWORD src1_sel:BYTE_0
	v_cvt_f64_u32_e32 v[3:4], v3
	s_mov_b64 s[30:31], 0
	global_store_dwordx2 v[0:1], v[3:4], off
.LBB22_731:
	s_andn2_b64 vcc, exec, s[30:31]
	s_cbranch_vccnz .LBB22_733
; %bb.732:
	v_cvt_f32_ubyte0_e32 v3, v2
	global_store_dword v[0:1], v3, off
.LBB22_733:
	s_mov_b64 s[30:31], 0
.LBB22_734:
	s_andn2_b64 vcc, exec, s[30:31]
	s_cbranch_vccnz .LBB22_736
; %bb.735:
	v_cvt_f16_u16_sdwa v3, v2 dst_sel:DWORD dst_unused:UNUSED_PAD src0_sel:BYTE_0
	global_store_short v[0:1], v3, off
.LBB22_736:
	s_mov_b64 s[30:31], 0
.LBB22_737:
	s_andn2_b64 vcc, exec, s[30:31]
	s_cbranch_vccnz .LBB22_753
; %bb.738:
	s_cmp_lt_i32 s36, 2
	s_mov_b64 s[30:31], -1
	s_cbranch_scc1 .LBB22_748
; %bb.739:
	s_cmp_lt_i32 s36, 3
	s_cbranch_scc1 .LBB22_745
; %bb.740:
	s_cmp_gt_i32 s36, 3
	s_cbranch_scc0 .LBB22_742
; %bb.741:
	v_and_b32_e32 v3, 0xff, v2
	v_mov_b32_e32 v4, 0
	s_mov_b64 s[30:31], 0
	global_store_dwordx2 v[0:1], v[3:4], off
.LBB22_742:
	s_andn2_b64 vcc, exec, s[30:31]
	s_cbranch_vccnz .LBB22_744
; %bb.743:
	v_and_b32_e32 v3, 0xff, v2
	global_store_dword v[0:1], v3, off
.LBB22_744:
	s_mov_b64 s[30:31], 0
.LBB22_745:
	s_andn2_b64 vcc, exec, s[30:31]
	s_cbranch_vccnz .LBB22_747
; %bb.746:
	v_and_b32_e32 v3, 0xff, v2
	global_store_short v[0:1], v3, off
.LBB22_747:
	s_mov_b64 s[30:31], 0
.LBB22_748:
	s_andn2_b64 vcc, exec, s[30:31]
	s_cbranch_vccnz .LBB22_753
; %bb.749:
	s_cmp_gt_i32 s36, 0
	s_mov_b64 s[30:31], -1
	s_cbranch_scc0 .LBB22_751
; %bb.750:
	s_mov_b64 s[30:31], 0
	global_store_byte v[0:1], v2, off
.LBB22_751:
	s_andn2_b64 vcc, exec, s[30:31]
	s_cbranch_vccnz .LBB22_753
; %bb.752:
	global_store_byte v[0:1], v2, off
.LBB22_753:
	s_mov_b64 s[30:31], -1
.LBB22_754:
	s_andn2_b64 vcc, exec, s[30:31]
	s_cbranch_vccnz .LBB22_767
; %bb.755:
	v_add_u32_e32 v11, 0x80, v11
	s_mov_b64 s[36:37], -1
.LBB22_756:
	s_andn2_b64 s[30:31], s[18:19], exec
	s_and_b64 s[0:1], s[0:1], exec
	s_or_b64 s[30:31], s[30:31], s[0:1]
	s_andn2_b64 s[0:1], s[20:21], exec
	s_and_b64 s[28:29], s[28:29], exec
	s_or_b64 s[28:29], s[0:1], s[28:29]
	;; [unrolled: 3-line block ×3, first 2 shown]
	s_orn2_b64 s[0:1], s[36:37], exec
.LBB22_757:
	s_or_b64 exec, exec, s[34:35]
	s_mov_b64 s[36:37], 0
	s_mov_b64 s[38:39], 0
	;; [unrolled: 1-line block ×3, first 2 shown]
                                        ; implicit-def: $vgpr2_vgpr3
                                        ; implicit-def: $vgpr0
	s_and_saveexec_b64 s[34:35], s[0:1]
	s_cbranch_execz .LBB22_1219
; %bb.758:
	v_cmp_gt_i32_e32 vcc, s50, v11
	s_mov_b64 s[48:49], -1
	s_mov_b64 s[0:1], s[26:27]
	s_mov_b64 s[40:41], s[28:29]
	;; [unrolled: 1-line block ×3, first 2 shown]
	s_and_saveexec_b64 s[36:37], vcc
	s_cbranch_execz .LBB22_1138
; %bb.759:
	s_waitcnt vmcnt(0)
	v_mul_lo_u32 v0, v11, s13
	v_mov_b32_e32 v1, s11
	s_and_b32 s42, 0xffff, s56
	s_cmp_lt_i32 s42, 11
	v_ashrrev_i32_e32 v3, 31, v0
	v_add_co_u32_e32 v2, vcc, s10, v0
	v_addc_co_u32_e32 v3, vcc, v1, v3, vcc
	s_cbranch_scc1 .LBB22_766
; %bb.760:
	s_cmp_gt_i32 s42, 25
	s_cbranch_scc0 .LBB22_768
; %bb.761:
	s_cmp_gt_i32 s42, 28
	s_cbranch_scc0 .LBB22_769
	;; [unrolled: 3-line block ×4, first 2 shown]
; %bb.764:
	s_cmp_eq_u32 s42, 46
	s_mov_b64 s[40:41], 0
	s_cbranch_scc0 .LBB22_774
; %bb.765:
	global_load_dword v0, v[2:3], off
	s_mov_b32 s0, 0x2f800000
	s_mov_b32 s1, 0xcf800000
	s_waitcnt vmcnt(0)
	v_lshlrev_b32_e32 v0, 16, v0
	v_trunc_f32_e32 v0, v0
	v_mul_f32_e64 v1, |v0|, s0
	v_floor_f32_e32 v1, v1
	v_fma_f32 v1, v1, s1, |v0|
	v_cvt_u32_f32_e32 v1, v1
	v_ashrrev_i32_e32 v0, 31, v0
	s_mov_b64 s[0:1], -1
	v_xor_b32_e32 v1, v1, v0
	v_sub_u32_e32 v0, v1, v0
	s_branch .LBB22_775
.LBB22_766:
	s_mov_b64 s[40:41], -1
	s_mov_b64 s[0:1], 0
                                        ; implicit-def: $vgpr0
	s_mov_b64 s[38:39], s[26:27]
	s_branch .LBB22_836
.LBB22_767:
	s_mov_b64 s[36:37], 0
	s_branch .LBB22_518
.LBB22_768:
	s_mov_b64 s[40:41], -1
	s_mov_b64 s[0:1], 0
	s_mov_b64 s[38:39], s[26:27]
                                        ; implicit-def: $vgpr0
	s_branch .LBB22_802
.LBB22_769:
	s_mov_b64 s[40:41], -1
	s_mov_b64 s[0:1], 0
	s_mov_b64 s[38:39], s[26:27]
                                        ; implicit-def: $vgpr0
	s_branch .LBB22_785
.LBB22_770:
	s_mov_b64 s[40:41], -1
	s_mov_b64 s[0:1], 0
	s_mov_b64 s[38:39], s[26:27]
                                        ; implicit-def: $vgpr0
	s_branch .LBB22_780
.LBB22_771:
	s_mov_b64 s[40:41], -1
	s_mov_b64 s[0:1], 0
	s_mov_b64 s[38:39], s[26:27]
                                        ; implicit-def: $vgpr0
	s_branch .LBB22_775
.LBB22_772:
	s_andn2_saveexec_b64 s[38:39], s[38:39]
	s_cbranch_execz .LBB22_667
.LBB22_773:
	v_add_f32_e32 v3, 0x46000000, v4
	v_and_b32_e32 v3, 0xff, v3
	v_cmp_ne_u32_e32 vcc, 0, v3
	s_andn2_b64 s[36:37], s[36:37], exec
	s_and_b64 s[42:43], vcc, exec
	s_or_b64 s[36:37], s[36:37], s[42:43]
	s_or_b64 exec, exec, s[38:39]
	v_mov_b32_e32 v5, 0
	s_and_saveexec_b64 s[38:39], s[36:37]
	s_cbranch_execnz .LBB22_668
	s_branch .LBB22_669
.LBB22_774:
	s_mov_b64 s[38:39], -1
                                        ; implicit-def: $vgpr0
	s_mov_b64 s[0:1], 0
.LBB22_775:
	s_and_b64 vcc, exec, s[40:41]
	s_cbranch_vccz .LBB22_779
; %bb.776:
	s_cmp_eq_u32 s42, 44
	s_cbranch_scc0 .LBB22_778
; %bb.777:
	global_load_ubyte v0, v[2:3], off
	s_mov_b32 s0, 0x2f800000
	s_mov_b32 s1, 0xcf800000
	s_mov_b64 s[38:39], 0
	s_waitcnt vmcnt(0)
	v_lshlrev_b32_e32 v1, 23, v0
	v_trunc_f32_e32 v1, v1
	v_mul_f32_e64 v4, |v1|, s0
	v_floor_f32_e32 v4, v4
	v_fma_f32 v4, v4, s1, |v1|
	v_cvt_u32_f32_e32 v4, v4
	v_ashrrev_i32_e32 v1, 31, v1
	v_cmp_ne_u32_e32 vcc, 0, v0
	s_mov_b64 s[0:1], -1
	v_xor_b32_e32 v4, v4, v1
	v_sub_u32_e32 v1, v4, v1
	v_cndmask_b32_e32 v0, 0, v1, vcc
	s_branch .LBB22_779
.LBB22_778:
	s_mov_b64 s[38:39], -1
                                        ; implicit-def: $vgpr0
.LBB22_779:
	s_mov_b64 s[40:41], 0
.LBB22_780:
	s_and_b64 vcc, exec, s[40:41]
	s_cbranch_vccz .LBB22_784
; %bb.781:
	s_cmp_eq_u32 s42, 29
	s_cbranch_scc0 .LBB22_783
; %bb.782:
	global_load_dwordx2 v[0:1], v[2:3], off
	s_mov_b64 s[0:1], -1
	s_mov_b64 s[38:39], 0
	s_branch .LBB22_784
.LBB22_783:
	s_mov_b64 s[38:39], -1
                                        ; implicit-def: $vgpr0
.LBB22_784:
	s_mov_b64 s[40:41], 0
.LBB22_785:
	s_and_b64 vcc, exec, s[40:41]
	s_cbranch_vccz .LBB22_801
; %bb.786:
	s_cmp_lt_i32 s42, 27
	s_cbranch_scc1 .LBB22_789
; %bb.787:
	s_cmp_gt_i32 s42, 27
	s_cbranch_scc0 .LBB22_790
; %bb.788:
	global_load_dword v0, v[2:3], off
	s_mov_b64 s[0:1], 0
	s_branch .LBB22_791
.LBB22_789:
	s_mov_b64 s[0:1], -1
                                        ; implicit-def: $vgpr0
	s_branch .LBB22_794
.LBB22_790:
	s_mov_b64 s[0:1], -1
                                        ; implicit-def: $vgpr0
.LBB22_791:
	s_andn2_b64 vcc, exec, s[0:1]
	s_cbranch_vccnz .LBB22_793
; %bb.792:
	global_load_ushort v0, v[2:3], off
.LBB22_793:
	s_mov_b64 s[0:1], 0
.LBB22_794:
	s_andn2_b64 vcc, exec, s[0:1]
	s_cbranch_vccnz .LBB22_800
; %bb.795:
	global_load_ubyte v1, v[2:3], off
	s_movk_i32 s0, 0x7f
	s_mov_b64 s[40:41], 0
	s_waitcnt vmcnt(0)
	v_cmp_lt_i16_e32 vcc, s0, v1
	s_and_saveexec_b64 s[0:1], vcc
	s_xor_b64 s[0:1], exec, s[0:1]
	s_cbranch_execz .LBB22_812
; %bb.796:
	s_movk_i32 s40, 0x80
	v_cmp_ne_u16_e32 vcc, s40, v1
	s_and_b64 s[40:41], vcc, exec
	s_andn2_saveexec_b64 s[0:1], s[0:1]
	s_cbranch_execnz .LBB22_813
.LBB22_797:
	s_or_b64 exec, exec, s[0:1]
	v_mov_b32_e32 v0, 0
	s_and_saveexec_b64 s[0:1], s[40:41]
	s_cbranch_execz .LBB22_799
.LBB22_798:
	v_lshlrev_b32_e32 v0, 24, v1
	v_and_b32_e32 v1, 0xffff, v1
	v_and_b32_e32 v4, 7, v1
	v_ffbh_u32_e32 v6, v4
	v_min_u32_e32 v6, 32, v6
	v_subrev_u32_e32 v7, 28, v6
	v_bfe_u32 v5, v1, 3, 4
	v_lshlrev_b32_e32 v1, v7, v1
	v_sub_u32_e32 v6, 29, v6
	v_and_b32_e32 v1, 7, v1
	v_cmp_eq_u32_e32 vcc, 0, v5
	v_cndmask_b32_e32 v5, v5, v6, vcc
	v_cndmask_b32_e32 v1, v4, v1, vcc
	v_mov_b32_e32 v4, 0x3b800000
	v_lshlrev_b32_e32 v1, 20, v1
	v_and_b32_e32 v0, 0x80000000, v0
	v_lshl_add_u32 v4, v5, 23, v4
	v_or3_b32 v0, v0, v4, v1
	v_trunc_f32_e32 v0, v0
	s_mov_b32 s40, 0x2f800000
	v_mul_f32_e64 v1, |v0|, s40
	v_floor_f32_e32 v1, v1
	s_mov_b32 s40, 0xcf800000
	v_fma_f32 v1, v1, s40, |v0|
	v_cvt_u32_f32_e32 v1, v1
	v_ashrrev_i32_e32 v0, 31, v0
	v_xor_b32_e32 v1, v1, v0
	v_sub_u32_e32 v0, v1, v0
.LBB22_799:
	s_or_b64 exec, exec, s[0:1]
.LBB22_800:
	s_mov_b64 s[0:1], -1
.LBB22_801:
	s_mov_b64 s[40:41], 0
.LBB22_802:
	s_and_b64 vcc, exec, s[40:41]
	s_cbranch_vccz .LBB22_835
; %bb.803:
	s_cmp_gt_i32 s42, 22
	s_cbranch_scc0 .LBB22_811
; %bb.804:
	s_cmp_lt_i32 s42, 24
	s_cbranch_scc1 .LBB22_814
; %bb.805:
	s_cmp_gt_i32 s42, 24
	s_cbranch_scc0 .LBB22_815
; %bb.806:
	global_load_ubyte v1, v[2:3], off
	s_movk_i32 s0, 0x7f
	s_mov_b64 s[40:41], 0
	s_waitcnt vmcnt(0)
	v_cmp_lt_i16_e32 vcc, s0, v1
	s_and_saveexec_b64 s[0:1], vcc
	s_xor_b64 s[0:1], exec, s[0:1]
	s_cbranch_execz .LBB22_827
; %bb.807:
	s_movk_i32 s40, 0x80
	v_cmp_ne_u16_e32 vcc, s40, v1
	s_and_b64 s[40:41], vcc, exec
	s_andn2_saveexec_b64 s[0:1], s[0:1]
	s_cbranch_execnz .LBB22_828
.LBB22_808:
	s_or_b64 exec, exec, s[0:1]
	v_mov_b32_e32 v0, 0
	s_and_saveexec_b64 s[0:1], s[40:41]
	s_cbranch_execz .LBB22_810
.LBB22_809:
	v_lshlrev_b32_e32 v0, 24, v1
	v_and_b32_e32 v1, 0xffff, v1
	v_and_b32_e32 v4, 3, v1
	v_ffbh_u32_e32 v6, v4
	v_min_u32_e32 v6, 32, v6
	v_subrev_u32_e32 v7, 29, v6
	v_bfe_u32 v5, v1, 2, 5
	v_lshlrev_b32_e32 v1, v7, v1
	v_sub_u32_e32 v6, 30, v6
	v_and_b32_e32 v1, 3, v1
	v_cmp_eq_u32_e32 vcc, 0, v5
	v_cndmask_b32_e32 v5, v5, v6, vcc
	v_cndmask_b32_e32 v1, v4, v1, vcc
	v_mov_b32_e32 v4, 0x37800000
	v_lshlrev_b32_e32 v1, 21, v1
	v_and_b32_e32 v0, 0x80000000, v0
	v_lshl_add_u32 v4, v5, 23, v4
	v_or3_b32 v0, v0, v4, v1
	v_trunc_f32_e32 v0, v0
	s_mov_b32 s40, 0x2f800000
	v_mul_f32_e64 v1, |v0|, s40
	v_floor_f32_e32 v1, v1
	s_mov_b32 s40, 0xcf800000
	v_fma_f32 v1, v1, s40, |v0|
	v_cvt_u32_f32_e32 v1, v1
	v_ashrrev_i32_e32 v0, 31, v0
	v_xor_b32_e32 v1, v1, v0
	v_sub_u32_e32 v0, v1, v0
.LBB22_810:
	s_or_b64 exec, exec, s[0:1]
	s_mov_b64 s[0:1], 0
	s_branch .LBB22_816
.LBB22_811:
	s_mov_b64 s[40:41], -1
                                        ; implicit-def: $vgpr0
	s_branch .LBB22_822
.LBB22_812:
	s_andn2_saveexec_b64 s[0:1], s[0:1]
	s_cbranch_execz .LBB22_797
.LBB22_813:
	v_cmp_ne_u16_e32 vcc, 0, v1
	s_andn2_b64 s[40:41], s[40:41], exec
	s_and_b64 s[44:45], vcc, exec
	s_or_b64 s[40:41], s[40:41], s[44:45]
	s_or_b64 exec, exec, s[0:1]
	v_mov_b32_e32 v0, 0
	s_and_saveexec_b64 s[0:1], s[40:41]
	s_cbranch_execnz .LBB22_798
	s_branch .LBB22_799
.LBB22_814:
	s_mov_b64 s[0:1], -1
                                        ; implicit-def: $vgpr0
	s_branch .LBB22_819
.LBB22_815:
	s_mov_b64 s[0:1], -1
                                        ; implicit-def: $vgpr0
.LBB22_816:
	s_and_b64 vcc, exec, s[0:1]
	s_cbranch_vccz .LBB22_818
; %bb.817:
	global_load_ubyte v0, v[2:3], off
	s_mov_b32 s0, 0x7f800000
	s_brev_b32 s1, 1
	s_mov_b32 s40, 0x2f800000
	s_waitcnt vmcnt(0)
	v_lshlrev_b32_e32 v0, 24, v0
	v_and_b32_e32 v1, 0x7f000000, v0
	v_ffbh_u32_e32 v4, v1
	v_min_u32_e32 v4, 32, v4
	v_sub_u32_e64 v4, v4, 4 clamp
	v_lshlrev_b32_e32 v6, v4, v1
	v_lshlrev_b32_e32 v4, 23, v4
	v_lshrrev_b32_e32 v6, 4, v6
	v_add_u32_e32 v5, 0x1000000, v1
	v_sub_u32_e32 v4, v6, v4
	v_ashrrev_i32_e32 v5, 8, v5
	v_add_u32_e32 v4, 0x3c000000, v4
	v_and_or_b32 v4, v5, s0, v4
	v_cmp_ne_u32_e32 vcc, 0, v1
	v_cndmask_b32_e32 v1, 0, v4, vcc
	v_and_or_b32 v0, v0, s1, v1
	v_trunc_f32_e32 v0, v0
	v_mul_f32_e64 v1, |v0|, s40
	v_floor_f32_e32 v1, v1
	s_mov_b32 s0, 0xcf800000
	v_fma_f32 v1, v1, s0, |v0|
	v_cvt_u32_f32_e32 v1, v1
	v_ashrrev_i32_e32 v0, 31, v0
	v_xor_b32_e32 v1, v1, v0
	v_sub_u32_e32 v0, v1, v0
.LBB22_818:
	s_mov_b64 s[0:1], 0
.LBB22_819:
	s_andn2_b64 vcc, exec, s[0:1]
	s_cbranch_vccnz .LBB22_821
; %bb.820:
	global_load_ubyte v0, v[2:3], off
	s_movk_i32 s0, 0x7f00
	s_brev_b32 s1, 16
	s_brev_b32 s40, 1
	s_mov_b32 s41, 0x2f800000
	s_waitcnt vmcnt(0)
	v_lshlrev_b16_e32 v1, 8, v0
	v_lshlrev_b32_e32 v0, 25, v0
	v_lshrrev_b32_e32 v4, 4, v0
	v_and_or_b32 v5, v1, s0, 0.5
	v_or_b32_e32 v4, 0x70000000, v4
	v_add_f32_e32 v5, -0.5, v5
	v_mul_f32_e32 v4, 0x7800000, v4
	v_cmp_gt_u32_e32 vcc, s1, v0
	v_bfe_i32 v1, v1, 0, 16
	v_cndmask_b32_e32 v0, v4, v5, vcc
	v_and_or_b32 v0, v1, s40, v0
	v_trunc_f32_e32 v0, v0
	v_mul_f32_e64 v1, |v0|, s41
	v_floor_f32_e32 v1, v1
	s_mov_b32 s0, 0xcf800000
	v_fma_f32 v1, v1, s0, |v0|
	v_cvt_u32_f32_e32 v1, v1
	v_ashrrev_i32_e32 v0, 31, v0
	v_xor_b32_e32 v1, v1, v0
	v_sub_u32_e32 v0, v1, v0
.LBB22_821:
	s_mov_b64 s[40:41], 0
	s_mov_b64 s[0:1], -1
.LBB22_822:
	s_andn2_b64 vcc, exec, s[40:41]
	s_cbranch_vccnz .LBB22_835
; %bb.823:
	s_cmp_gt_i32 s42, 14
	s_cbranch_scc0 .LBB22_826
; %bb.824:
	s_cmp_eq_u32 s42, 15
	s_cbranch_scc0 .LBB22_829
; %bb.825:
	global_load_ushort v0, v[2:3], off
	s_mov_b32 s0, 0x2f800000
	s_mov_b32 s1, 0xcf800000
	s_mov_b64 s[38:39], 0
	s_waitcnt vmcnt(0)
	v_lshlrev_b32_e32 v0, 16, v0
	v_trunc_f32_e32 v0, v0
	v_mul_f32_e64 v1, |v0|, s0
	v_floor_f32_e32 v1, v1
	v_fma_f32 v1, v1, s1, |v0|
	v_cvt_u32_f32_e32 v1, v1
	v_ashrrev_i32_e32 v0, 31, v0
	s_mov_b64 s[0:1], -1
	v_xor_b32_e32 v1, v1, v0
	v_sub_u32_e32 v0, v1, v0
	s_branch .LBB22_830
.LBB22_826:
	s_mov_b64 s[40:41], -1
                                        ; implicit-def: $vgpr0
	s_branch .LBB22_831
.LBB22_827:
	s_andn2_saveexec_b64 s[0:1], s[0:1]
	s_cbranch_execz .LBB22_808
.LBB22_828:
	v_cmp_ne_u16_e32 vcc, 0, v1
	s_andn2_b64 s[40:41], s[40:41], exec
	s_and_b64 s[44:45], vcc, exec
	s_or_b64 s[40:41], s[40:41], s[44:45]
	s_or_b64 exec, exec, s[0:1]
	v_mov_b32_e32 v0, 0
	s_and_saveexec_b64 s[0:1], s[40:41]
	s_cbranch_execnz .LBB22_809
	s_branch .LBB22_810
.LBB22_829:
	s_mov_b64 s[38:39], -1
                                        ; implicit-def: $vgpr0
.LBB22_830:
	s_mov_b64 s[40:41], 0
.LBB22_831:
	s_and_b64 vcc, exec, s[40:41]
	s_cbranch_vccz .LBB22_835
; %bb.832:
	s_cmp_eq_u32 s42, 11
	s_cbranch_scc0 .LBB22_834
; %bb.833:
	global_load_ubyte v0, v[2:3], off
	s_mov_b64 s[0:1], -1
	s_mov_b64 s[38:39], 0
	s_waitcnt vmcnt(0)
	v_cmp_ne_u16_e32 vcc, 0, v0
	v_cndmask_b32_e64 v0, 0, 1, vcc
	s_branch .LBB22_835
.LBB22_834:
	s_mov_b64 s[38:39], -1
                                        ; implicit-def: $vgpr0
.LBB22_835:
	s_mov_b64 s[40:41], 0
.LBB22_836:
	s_and_b64 vcc, exec, s[40:41]
	s_cbranch_vccz .LBB22_885
; %bb.837:
	s_cmp_lt_i32 s42, 5
	s_cbranch_scc1 .LBB22_842
; %bb.838:
	s_cmp_lt_i32 s42, 8
	s_cbranch_scc1 .LBB22_843
	;; [unrolled: 3-line block ×3, first 2 shown]
; %bb.840:
	s_cmp_gt_i32 s42, 9
	s_cbranch_scc0 .LBB22_845
; %bb.841:
	global_load_dwordx2 v[0:1], v[2:3], off
	s_movk_i32 s0, 0xffe0
	s_waitcnt vmcnt(0)
	v_trunc_f64_e32 v[0:1], v[0:1]
	v_ldexp_f64 v[4:5], v[0:1], s0
	s_mov_b32 s0, 0
	s_mov_b32 s1, 0xc1f00000
	v_floor_f64_e32 v[4:5], v[4:5]
	v_fma_f64 v[0:1], v[4:5], s[0:1], v[0:1]
	s_mov_b64 s[0:1], 0
	v_cvt_u32_f64_e32 v0, v[0:1]
	s_branch .LBB22_846
.LBB22_842:
	s_mov_b64 s[0:1], -1
                                        ; implicit-def: $vgpr0
	s_branch .LBB22_864
.LBB22_843:
	s_mov_b64 s[0:1], -1
                                        ; implicit-def: $vgpr0
	s_branch .LBB22_852
.LBB22_844:
	s_mov_b64 s[0:1], -1
                                        ; implicit-def: $vgpr0
	s_branch .LBB22_849
.LBB22_845:
	s_mov_b64 s[0:1], -1
                                        ; implicit-def: $vgpr0
.LBB22_846:
	s_andn2_b64 vcc, exec, s[0:1]
	s_cbranch_vccnz .LBB22_848
; %bb.847:
	global_load_dword v0, v[2:3], off
	s_mov_b32 s0, 0x2f800000
	s_waitcnt vmcnt(0)
	v_trunc_f32_e32 v0, v0
	v_mul_f32_e64 v1, |v0|, s0
	v_floor_f32_e32 v1, v1
	s_mov_b32 s0, 0xcf800000
	v_fma_f32 v1, v1, s0, |v0|
	v_cvt_u32_f32_e32 v1, v1
	v_ashrrev_i32_e32 v0, 31, v0
	v_xor_b32_e32 v1, v1, v0
	v_sub_u32_e32 v0, v1, v0
.LBB22_848:
	s_mov_b64 s[0:1], 0
.LBB22_849:
	s_andn2_b64 vcc, exec, s[0:1]
	s_cbranch_vccnz .LBB22_851
; %bb.850:
	global_load_dword v0, v[2:3], off
	s_waitcnt vmcnt(0)
	v_cvt_f32_f16_e32 v0, v0
	v_cvt_i32_f32_e32 v0, v0
.LBB22_851:
	s_mov_b64 s[0:1], 0
.LBB22_852:
	s_andn2_b64 vcc, exec, s[0:1]
	s_cbranch_vccnz .LBB22_863
; %bb.853:
	s_cmp_lt_i32 s42, 6
	s_cbranch_scc1 .LBB22_856
; %bb.854:
	s_cmp_gt_i32 s42, 6
	s_cbranch_scc0 .LBB22_857
; %bb.855:
	global_load_dwordx2 v[0:1], v[2:3], off
	s_movk_i32 s0, 0xffe0
	s_waitcnt vmcnt(0)
	v_trunc_f64_e32 v[0:1], v[0:1]
	v_ldexp_f64 v[4:5], v[0:1], s0
	s_mov_b32 s0, 0
	s_mov_b32 s1, 0xc1f00000
	v_floor_f64_e32 v[4:5], v[4:5]
	v_fma_f64 v[0:1], v[4:5], s[0:1], v[0:1]
	s_mov_b64 s[0:1], 0
	v_cvt_u32_f64_e32 v0, v[0:1]
	s_branch .LBB22_858
.LBB22_856:
	s_mov_b64 s[0:1], -1
                                        ; implicit-def: $vgpr0
	s_branch .LBB22_861
.LBB22_857:
	s_mov_b64 s[0:1], -1
                                        ; implicit-def: $vgpr0
.LBB22_858:
	s_andn2_b64 vcc, exec, s[0:1]
	s_cbranch_vccnz .LBB22_860
; %bb.859:
	global_load_dword v0, v[2:3], off
	s_mov_b32 s0, 0x2f800000
	s_waitcnt vmcnt(0)
	v_trunc_f32_e32 v0, v0
	v_mul_f32_e64 v1, |v0|, s0
	v_floor_f32_e32 v1, v1
	s_mov_b32 s0, 0xcf800000
	v_fma_f32 v1, v1, s0, |v0|
	v_cvt_u32_f32_e32 v1, v1
	v_ashrrev_i32_e32 v0, 31, v0
	v_xor_b32_e32 v1, v1, v0
	v_sub_u32_e32 v0, v1, v0
.LBB22_860:
	s_mov_b64 s[0:1], 0
.LBB22_861:
	s_andn2_b64 vcc, exec, s[0:1]
	s_cbranch_vccnz .LBB22_863
; %bb.862:
	global_load_ushort v0, v[2:3], off
	s_waitcnt vmcnt(0)
	v_cvt_f32_f16_e32 v0, v0
	v_cvt_i32_f32_e32 v0, v0
.LBB22_863:
	s_mov_b64 s[0:1], 0
.LBB22_864:
	s_andn2_b64 vcc, exec, s[0:1]
	s_cbranch_vccnz .LBB22_884
; %bb.865:
	s_cmp_lt_i32 s42, 2
	s_cbranch_scc1 .LBB22_869
; %bb.866:
	s_cmp_lt_i32 s42, 3
	s_cbranch_scc1 .LBB22_870
; %bb.867:
	s_cmp_gt_i32 s42, 3
	s_cbranch_scc0 .LBB22_871
; %bb.868:
	global_load_dwordx2 v[0:1], v[2:3], off
	s_mov_b64 s[0:1], 0
	s_branch .LBB22_872
.LBB22_869:
	s_mov_b64 s[0:1], -1
                                        ; implicit-def: $vgpr0
	s_branch .LBB22_878
.LBB22_870:
	s_mov_b64 s[0:1], -1
                                        ; implicit-def: $vgpr0
	s_branch .LBB22_875
.LBB22_871:
	s_mov_b64 s[0:1], -1
                                        ; implicit-def: $vgpr0
.LBB22_872:
	s_andn2_b64 vcc, exec, s[0:1]
	s_cbranch_vccnz .LBB22_874
; %bb.873:
	global_load_dword v0, v[2:3], off
.LBB22_874:
	s_mov_b64 s[0:1], 0
.LBB22_875:
	s_andn2_b64 vcc, exec, s[0:1]
	s_cbranch_vccnz .LBB22_877
; %bb.876:
	global_load_ushort v0, v[2:3], off
.LBB22_877:
	s_mov_b64 s[0:1], 0
.LBB22_878:
	s_andn2_b64 vcc, exec, s[0:1]
	s_cbranch_vccnz .LBB22_884
; %bb.879:
	s_cmp_gt_i32 s42, 0
	s_cbranch_scc0 .LBB22_881
; %bb.880:
	global_load_ubyte v0, v[2:3], off
	s_mov_b64 s[0:1], 0
	s_branch .LBB22_882
.LBB22_881:
	s_mov_b64 s[0:1], -1
                                        ; implicit-def: $vgpr0
.LBB22_882:
	s_andn2_b64 vcc, exec, s[0:1]
	s_cbranch_vccnz .LBB22_884
; %bb.883:
	global_load_ubyte v0, v[2:3], off
.LBB22_884:
	s_mov_b64 s[0:1], -1
.LBB22_885:
	s_andn2_b64 vcc, exec, s[0:1]
	s_cbranch_vccnz .LBB22_893
; %bb.886:
	s_waitcnt vmcnt(0)
	v_mul_lo_u32 v1, v11, s14
	v_mov_b32_e32 v2, s17
	s_and_b32 s44, s15, 0xff
	s_cmp_lt_i32 s44, 11
	v_ashrrev_i32_e32 v3, 31, v1
	v_add_co_u32_e32 v1, vcc, s16, v1
	v_addc_co_u32_e32 v2, vcc, v2, v3, vcc
	s_cbranch_scc1 .LBB22_895
; %bb.887:
	s_and_b32 s45, 0xffff, s44
	s_cmp_gt_i32 s45, 25
	s_cbranch_scc0 .LBB22_896
; %bb.888:
	s_cmp_gt_i32 s45, 28
	s_cbranch_scc0 .LBB22_897
; %bb.889:
	;; [unrolled: 3-line block ×4, first 2 shown]
	s_cmp_eq_u32 s45, 46
	s_mov_b64 s[42:43], 0
	s_cbranch_scc0 .LBB22_902
; %bb.892:
	global_load_dword v3, v[1:2], off
	s_mov_b32 s0, 0x2f800000
	s_mov_b32 s1, 0xcf800000
	s_mov_b64 s[40:41], 0
	s_waitcnt vmcnt(0)
	v_lshlrev_b32_e32 v3, 16, v3
	v_trunc_f32_e32 v3, v3
	v_mul_f32_e64 v4, |v3|, s0
	v_floor_f32_e32 v4, v4
	v_fma_f32 v4, v4, s1, |v3|
	v_cvt_u32_f32_e32 v4, v4
	v_ashrrev_i32_e32 v3, 31, v3
	s_mov_b64 s[0:1], -1
	v_xor_b32_e32 v4, v4, v3
	v_sub_u32_e32 v3, v4, v3
	s_branch .LBB22_903
.LBB22_893:
	s_mov_b64 s[44:45], 0
	s_mov_b64 s[0:1], s[30:31]
	;; [unrolled: 1-line block ×3, first 2 shown]
.LBB22_894:
                                        ; implicit-def: $vgpr11
	s_branch .LBB22_1137
.LBB22_895:
	s_mov_b64 s[42:43], -1
	s_mov_b64 s[0:1], 0
                                        ; implicit-def: $vgpr3
	s_mov_b64 s[40:41], s[28:29]
	s_branch .LBB22_964
.LBB22_896:
	s_mov_b64 s[42:43], -1
	s_mov_b64 s[0:1], 0
	s_mov_b64 s[40:41], s[28:29]
                                        ; implicit-def: $vgpr3
	s_branch .LBB22_930
.LBB22_897:
	s_mov_b64 s[42:43], -1
	s_mov_b64 s[0:1], 0
	s_mov_b64 s[40:41], s[28:29]
                                        ; implicit-def: $vgpr3
	s_branch .LBB22_913
.LBB22_898:
	s_mov_b64 s[42:43], -1
	s_mov_b64 s[0:1], 0
	s_mov_b64 s[40:41], s[28:29]
                                        ; implicit-def: $vgpr3
	s_branch .LBB22_908
.LBB22_899:
	s_mov_b64 s[42:43], -1
	s_mov_b64 s[0:1], 0
	s_mov_b64 s[40:41], s[28:29]
                                        ; implicit-def: $vgpr3
	s_branch .LBB22_903
.LBB22_900:
	s_andn2_saveexec_b64 s[38:39], s[38:39]
	s_cbranch_execz .LBB22_680
.LBB22_901:
	v_add_f32_e32 v3, 0x42800000, v4
	v_and_b32_e32 v3, 0xff, v3
	v_cmp_ne_u32_e32 vcc, 0, v3
	s_andn2_b64 s[36:37], s[36:37], exec
	s_and_b64 s[42:43], vcc, exec
	s_or_b64 s[36:37], s[36:37], s[42:43]
	s_or_b64 exec, exec, s[38:39]
	v_mov_b32_e32 v5, 0
	s_and_saveexec_b64 s[38:39], s[36:37]
	s_cbranch_execnz .LBB22_681
	s_branch .LBB22_682
.LBB22_902:
	s_mov_b64 s[40:41], -1
                                        ; implicit-def: $vgpr3
	s_mov_b64 s[0:1], 0
.LBB22_903:
	s_and_b64 vcc, exec, s[42:43]
	s_cbranch_vccz .LBB22_907
; %bb.904:
	s_cmp_eq_u32 s45, 44
	s_cbranch_scc0 .LBB22_906
; %bb.905:
	global_load_ubyte v3, v[1:2], off
	s_mov_b32 s0, 0x2f800000
	s_mov_b32 s1, 0xcf800000
	s_mov_b64 s[40:41], 0
	s_waitcnt vmcnt(0)
	v_lshlrev_b32_e32 v4, 23, v3
	v_trunc_f32_e32 v4, v4
	v_mul_f32_e64 v5, |v4|, s0
	v_floor_f32_e32 v5, v5
	v_fma_f32 v5, v5, s1, |v4|
	v_cvt_u32_f32_e32 v5, v5
	v_ashrrev_i32_e32 v4, 31, v4
	v_cmp_ne_u32_e32 vcc, 0, v3
	s_mov_b64 s[0:1], -1
	v_xor_b32_e32 v5, v5, v4
	v_sub_u32_e32 v4, v5, v4
	v_cndmask_b32_e32 v3, 0, v4, vcc
	s_branch .LBB22_907
.LBB22_906:
	s_mov_b64 s[40:41], -1
                                        ; implicit-def: $vgpr3
.LBB22_907:
	s_mov_b64 s[42:43], 0
.LBB22_908:
	s_and_b64 vcc, exec, s[42:43]
	s_cbranch_vccz .LBB22_912
; %bb.909:
	s_cmp_eq_u32 s45, 29
	s_cbranch_scc0 .LBB22_911
; %bb.910:
	global_load_dwordx2 v[3:4], v[1:2], off
	s_mov_b64 s[0:1], -1
	s_mov_b64 s[40:41], 0
	s_branch .LBB22_912
.LBB22_911:
	s_mov_b64 s[40:41], -1
                                        ; implicit-def: $vgpr3
.LBB22_912:
	s_mov_b64 s[42:43], 0
.LBB22_913:
	s_and_b64 vcc, exec, s[42:43]
	s_cbranch_vccz .LBB22_929
; %bb.914:
	s_cmp_lt_i32 s45, 27
	s_cbranch_scc1 .LBB22_917
; %bb.915:
	s_cmp_gt_i32 s45, 27
	s_cbranch_scc0 .LBB22_918
; %bb.916:
	global_load_dword v3, v[1:2], off
	s_mov_b64 s[0:1], 0
	s_branch .LBB22_919
.LBB22_917:
	s_mov_b64 s[0:1], -1
                                        ; implicit-def: $vgpr3
	s_branch .LBB22_922
.LBB22_918:
	s_mov_b64 s[0:1], -1
                                        ; implicit-def: $vgpr3
.LBB22_919:
	s_andn2_b64 vcc, exec, s[0:1]
	s_cbranch_vccnz .LBB22_921
; %bb.920:
	global_load_ushort v3, v[1:2], off
.LBB22_921:
	s_mov_b64 s[0:1], 0
.LBB22_922:
	s_andn2_b64 vcc, exec, s[0:1]
	s_cbranch_vccnz .LBB22_928
; %bb.923:
	global_load_ubyte v4, v[1:2], off
	s_movk_i32 s0, 0x7f
	s_mov_b64 s[42:43], 0
	s_waitcnt vmcnt(0)
	v_cmp_lt_i16_e32 vcc, s0, v4
	s_and_saveexec_b64 s[0:1], vcc
	s_xor_b64 s[0:1], exec, s[0:1]
	s_cbranch_execz .LBB22_940
; %bb.924:
	s_movk_i32 s42, 0x80
	v_cmp_ne_u16_e32 vcc, s42, v4
	s_and_b64 s[42:43], vcc, exec
	s_andn2_saveexec_b64 s[0:1], s[0:1]
	s_cbranch_execnz .LBB22_941
.LBB22_925:
	s_or_b64 exec, exec, s[0:1]
	v_mov_b32_e32 v3, 0
	s_and_saveexec_b64 s[0:1], s[42:43]
	s_cbranch_execz .LBB22_927
.LBB22_926:
	v_lshlrev_b32_e32 v3, 24, v4
	v_and_b32_e32 v4, 0xffff, v4
	v_and_b32_e32 v5, 7, v4
	v_ffbh_u32_e32 v7, v5
	v_min_u32_e32 v7, 32, v7
	v_subrev_u32_e32 v8, 28, v7
	v_bfe_u32 v6, v4, 3, 4
	v_lshlrev_b32_e32 v4, v8, v4
	v_sub_u32_e32 v7, 29, v7
	v_and_b32_e32 v4, 7, v4
	v_cmp_eq_u32_e32 vcc, 0, v6
	v_cndmask_b32_e32 v6, v6, v7, vcc
	v_cndmask_b32_e32 v4, v5, v4, vcc
	v_mov_b32_e32 v5, 0x3b800000
	v_lshlrev_b32_e32 v4, 20, v4
	v_and_b32_e32 v3, 0x80000000, v3
	v_lshl_add_u32 v5, v6, 23, v5
	v_or3_b32 v3, v3, v5, v4
	v_trunc_f32_e32 v3, v3
	s_mov_b32 s42, 0x2f800000
	v_mul_f32_e64 v4, |v3|, s42
	v_floor_f32_e32 v4, v4
	s_mov_b32 s42, 0xcf800000
	v_fma_f32 v4, v4, s42, |v3|
	v_cvt_u32_f32_e32 v4, v4
	v_ashrrev_i32_e32 v3, 31, v3
	v_xor_b32_e32 v4, v4, v3
	v_sub_u32_e32 v3, v4, v3
.LBB22_927:
	s_or_b64 exec, exec, s[0:1]
.LBB22_928:
	s_mov_b64 s[0:1], -1
.LBB22_929:
	s_mov_b64 s[42:43], 0
.LBB22_930:
	s_and_b64 vcc, exec, s[42:43]
	s_cbranch_vccz .LBB22_963
; %bb.931:
	s_cmp_gt_i32 s45, 22
	s_cbranch_scc0 .LBB22_939
; %bb.932:
	s_cmp_lt_i32 s45, 24
	s_cbranch_scc1 .LBB22_942
; %bb.933:
	s_cmp_gt_i32 s45, 24
	s_cbranch_scc0 .LBB22_943
; %bb.934:
	global_load_ubyte v4, v[1:2], off
	s_movk_i32 s0, 0x7f
	s_mov_b64 s[42:43], 0
	s_waitcnt vmcnt(0)
	v_cmp_lt_i16_e32 vcc, s0, v4
	s_and_saveexec_b64 s[0:1], vcc
	s_xor_b64 s[0:1], exec, s[0:1]
	s_cbranch_execz .LBB22_955
; %bb.935:
	s_movk_i32 s42, 0x80
	v_cmp_ne_u16_e32 vcc, s42, v4
	s_and_b64 s[42:43], vcc, exec
	s_andn2_saveexec_b64 s[0:1], s[0:1]
	s_cbranch_execnz .LBB22_956
.LBB22_936:
	s_or_b64 exec, exec, s[0:1]
	v_mov_b32_e32 v3, 0
	s_and_saveexec_b64 s[0:1], s[42:43]
	s_cbranch_execz .LBB22_938
.LBB22_937:
	v_lshlrev_b32_e32 v3, 24, v4
	v_and_b32_e32 v4, 0xffff, v4
	v_and_b32_e32 v5, 3, v4
	v_ffbh_u32_e32 v7, v5
	v_min_u32_e32 v7, 32, v7
	v_subrev_u32_e32 v8, 29, v7
	v_bfe_u32 v6, v4, 2, 5
	v_lshlrev_b32_e32 v4, v8, v4
	v_sub_u32_e32 v7, 30, v7
	v_and_b32_e32 v4, 3, v4
	v_cmp_eq_u32_e32 vcc, 0, v6
	v_cndmask_b32_e32 v6, v6, v7, vcc
	v_cndmask_b32_e32 v4, v5, v4, vcc
	v_mov_b32_e32 v5, 0x37800000
	v_lshlrev_b32_e32 v4, 21, v4
	v_and_b32_e32 v3, 0x80000000, v3
	v_lshl_add_u32 v5, v6, 23, v5
	v_or3_b32 v3, v3, v5, v4
	v_trunc_f32_e32 v3, v3
	s_mov_b32 s42, 0x2f800000
	v_mul_f32_e64 v4, |v3|, s42
	v_floor_f32_e32 v4, v4
	s_mov_b32 s42, 0xcf800000
	v_fma_f32 v4, v4, s42, |v3|
	v_cvt_u32_f32_e32 v4, v4
	v_ashrrev_i32_e32 v3, 31, v3
	v_xor_b32_e32 v4, v4, v3
	v_sub_u32_e32 v3, v4, v3
.LBB22_938:
	s_or_b64 exec, exec, s[0:1]
	s_mov_b64 s[0:1], 0
	s_branch .LBB22_944
.LBB22_939:
	s_mov_b64 s[42:43], -1
                                        ; implicit-def: $vgpr3
	s_branch .LBB22_950
.LBB22_940:
	s_andn2_saveexec_b64 s[0:1], s[0:1]
	s_cbranch_execz .LBB22_925
.LBB22_941:
	v_cmp_ne_u16_e32 vcc, 0, v4
	s_andn2_b64 s[42:43], s[42:43], exec
	s_and_b64 s[46:47], vcc, exec
	s_or_b64 s[42:43], s[42:43], s[46:47]
	s_or_b64 exec, exec, s[0:1]
	v_mov_b32_e32 v3, 0
	s_and_saveexec_b64 s[0:1], s[42:43]
	s_cbranch_execnz .LBB22_926
	s_branch .LBB22_927
.LBB22_942:
	s_mov_b64 s[0:1], -1
                                        ; implicit-def: $vgpr3
	s_branch .LBB22_947
.LBB22_943:
	s_mov_b64 s[0:1], -1
                                        ; implicit-def: $vgpr3
.LBB22_944:
	s_and_b64 vcc, exec, s[0:1]
	s_cbranch_vccz .LBB22_946
; %bb.945:
	global_load_ubyte v3, v[1:2], off
	s_mov_b32 s0, 0x7f800000
	s_brev_b32 s1, 1
	s_mov_b32 s42, 0x2f800000
	s_waitcnt vmcnt(0)
	v_lshlrev_b32_e32 v3, 24, v3
	v_and_b32_e32 v4, 0x7f000000, v3
	v_ffbh_u32_e32 v5, v4
	v_min_u32_e32 v5, 32, v5
	v_sub_u32_e64 v5, v5, 4 clamp
	v_lshlrev_b32_e32 v7, v5, v4
	v_lshlrev_b32_e32 v5, 23, v5
	v_lshrrev_b32_e32 v7, 4, v7
	v_add_u32_e32 v6, 0x1000000, v4
	v_sub_u32_e32 v5, v7, v5
	v_ashrrev_i32_e32 v6, 8, v6
	v_add_u32_e32 v5, 0x3c000000, v5
	v_and_or_b32 v5, v6, s0, v5
	v_cmp_ne_u32_e32 vcc, 0, v4
	v_cndmask_b32_e32 v4, 0, v5, vcc
	v_and_or_b32 v3, v3, s1, v4
	v_trunc_f32_e32 v3, v3
	v_mul_f32_e64 v4, |v3|, s42
	v_floor_f32_e32 v4, v4
	s_mov_b32 s0, 0xcf800000
	v_fma_f32 v4, v4, s0, |v3|
	v_cvt_u32_f32_e32 v4, v4
	v_ashrrev_i32_e32 v3, 31, v3
	v_xor_b32_e32 v4, v4, v3
	v_sub_u32_e32 v3, v4, v3
.LBB22_946:
	s_mov_b64 s[0:1], 0
.LBB22_947:
	s_andn2_b64 vcc, exec, s[0:1]
	s_cbranch_vccnz .LBB22_949
; %bb.948:
	global_load_ubyte v3, v[1:2], off
	s_movk_i32 s0, 0x7f00
	s_brev_b32 s1, 16
	s_brev_b32 s42, 1
	s_mov_b32 s43, 0x2f800000
	s_waitcnt vmcnt(0)
	v_lshlrev_b16_e32 v4, 8, v3
	v_lshlrev_b32_e32 v3, 25, v3
	v_lshrrev_b32_e32 v5, 4, v3
	v_and_or_b32 v6, v4, s0, 0.5
	v_or_b32_e32 v5, 0x70000000, v5
	v_add_f32_e32 v6, -0.5, v6
	v_mul_f32_e32 v5, 0x7800000, v5
	v_cmp_gt_u32_e32 vcc, s1, v3
	v_bfe_i32 v4, v4, 0, 16
	v_cndmask_b32_e32 v3, v5, v6, vcc
	v_and_or_b32 v3, v4, s42, v3
	v_trunc_f32_e32 v3, v3
	v_mul_f32_e64 v4, |v3|, s43
	v_floor_f32_e32 v4, v4
	s_mov_b32 s0, 0xcf800000
	v_fma_f32 v4, v4, s0, |v3|
	v_cvt_u32_f32_e32 v4, v4
	v_ashrrev_i32_e32 v3, 31, v3
	v_xor_b32_e32 v4, v4, v3
	v_sub_u32_e32 v3, v4, v3
.LBB22_949:
	s_mov_b64 s[42:43], 0
	s_mov_b64 s[0:1], -1
.LBB22_950:
	s_andn2_b64 vcc, exec, s[42:43]
	s_cbranch_vccnz .LBB22_963
; %bb.951:
	s_cmp_gt_i32 s45, 14
	s_cbranch_scc0 .LBB22_954
; %bb.952:
	s_cmp_eq_u32 s45, 15
	s_cbranch_scc0 .LBB22_957
; %bb.953:
	global_load_ushort v3, v[1:2], off
	s_mov_b32 s0, 0x2f800000
	s_mov_b32 s1, 0xcf800000
	s_mov_b64 s[40:41], 0
	s_waitcnt vmcnt(0)
	v_lshlrev_b32_e32 v3, 16, v3
	v_trunc_f32_e32 v3, v3
	v_mul_f32_e64 v4, |v3|, s0
	v_floor_f32_e32 v4, v4
	v_fma_f32 v4, v4, s1, |v3|
	v_cvt_u32_f32_e32 v4, v4
	v_ashrrev_i32_e32 v3, 31, v3
	s_mov_b64 s[0:1], -1
	v_xor_b32_e32 v4, v4, v3
	v_sub_u32_e32 v3, v4, v3
	s_branch .LBB22_958
.LBB22_954:
	s_mov_b64 s[42:43], -1
                                        ; implicit-def: $vgpr3
	s_branch .LBB22_959
.LBB22_955:
	s_andn2_saveexec_b64 s[0:1], s[0:1]
	s_cbranch_execz .LBB22_936
.LBB22_956:
	v_cmp_ne_u16_e32 vcc, 0, v4
	s_andn2_b64 s[42:43], s[42:43], exec
	s_and_b64 s[46:47], vcc, exec
	s_or_b64 s[42:43], s[42:43], s[46:47]
	s_or_b64 exec, exec, s[0:1]
	v_mov_b32_e32 v3, 0
	s_and_saveexec_b64 s[0:1], s[42:43]
	s_cbranch_execnz .LBB22_937
	s_branch .LBB22_938
.LBB22_957:
	s_mov_b64 s[40:41], -1
                                        ; implicit-def: $vgpr3
.LBB22_958:
	s_mov_b64 s[42:43], 0
.LBB22_959:
	s_and_b64 vcc, exec, s[42:43]
	s_cbranch_vccz .LBB22_963
; %bb.960:
	s_cmp_eq_u32 s45, 11
	s_cbranch_scc0 .LBB22_962
; %bb.961:
	global_load_ubyte v3, v[1:2], off
	s_mov_b64 s[0:1], -1
	s_mov_b64 s[40:41], 0
	s_waitcnt vmcnt(0)
	v_cmp_ne_u16_e32 vcc, 0, v3
	v_cndmask_b32_e64 v3, 0, 1, vcc
	s_branch .LBB22_963
.LBB22_962:
	s_mov_b64 s[40:41], -1
                                        ; implicit-def: $vgpr3
.LBB22_963:
	s_mov_b64 s[42:43], 0
.LBB22_964:
	s_and_b64 vcc, exec, s[42:43]
	s_cbranch_vccz .LBB22_1013
; %bb.965:
	s_and_b32 s42, 0xffff, s44
	s_cmp_lt_i32 s42, 5
	s_cbranch_scc1 .LBB22_970
; %bb.966:
	s_cmp_lt_i32 s42, 8
	s_cbranch_scc1 .LBB22_971
; %bb.967:
	;; [unrolled: 3-line block ×3, first 2 shown]
	s_cmp_gt_i32 s42, 9
	s_cbranch_scc0 .LBB22_973
; %bb.969:
	global_load_dwordx2 v[3:4], v[1:2], off
	s_movk_i32 s0, 0xffe0
	s_waitcnt vmcnt(0)
	v_trunc_f64_e32 v[3:4], v[3:4]
	v_ldexp_f64 v[5:6], v[3:4], s0
	s_mov_b32 s0, 0
	s_mov_b32 s1, 0xc1f00000
	v_floor_f64_e32 v[5:6], v[5:6]
	v_fma_f64 v[3:4], v[5:6], s[0:1], v[3:4]
	s_mov_b64 s[0:1], 0
	v_cvt_u32_f64_e32 v3, v[3:4]
	s_branch .LBB22_974
.LBB22_970:
	s_mov_b64 s[0:1], -1
                                        ; implicit-def: $vgpr3
	s_branch .LBB22_992
.LBB22_971:
	s_mov_b64 s[0:1], -1
                                        ; implicit-def: $vgpr3
	s_branch .LBB22_980
.LBB22_972:
	s_mov_b64 s[0:1], -1
                                        ; implicit-def: $vgpr3
	s_branch .LBB22_977
.LBB22_973:
	s_mov_b64 s[0:1], -1
                                        ; implicit-def: $vgpr3
.LBB22_974:
	s_andn2_b64 vcc, exec, s[0:1]
	s_cbranch_vccnz .LBB22_976
; %bb.975:
	global_load_dword v3, v[1:2], off
	s_mov_b32 s0, 0x2f800000
	s_waitcnt vmcnt(0)
	v_trunc_f32_e32 v3, v3
	v_mul_f32_e64 v4, |v3|, s0
	v_floor_f32_e32 v4, v4
	s_mov_b32 s0, 0xcf800000
	v_fma_f32 v4, v4, s0, |v3|
	v_cvt_u32_f32_e32 v4, v4
	v_ashrrev_i32_e32 v3, 31, v3
	v_xor_b32_e32 v4, v4, v3
	v_sub_u32_e32 v3, v4, v3
.LBB22_976:
	s_mov_b64 s[0:1], 0
.LBB22_977:
	s_andn2_b64 vcc, exec, s[0:1]
	s_cbranch_vccnz .LBB22_979
; %bb.978:
	global_load_dword v3, v[1:2], off
	s_waitcnt vmcnt(0)
	v_cvt_f32_f16_e32 v3, v3
	v_cvt_i32_f32_e32 v3, v3
.LBB22_979:
	s_mov_b64 s[0:1], 0
.LBB22_980:
	s_andn2_b64 vcc, exec, s[0:1]
	s_cbranch_vccnz .LBB22_991
; %bb.981:
	s_cmp_lt_i32 s42, 6
	s_cbranch_scc1 .LBB22_984
; %bb.982:
	s_cmp_gt_i32 s42, 6
	s_cbranch_scc0 .LBB22_985
; %bb.983:
	global_load_dwordx2 v[3:4], v[1:2], off
	s_movk_i32 s0, 0xffe0
	s_waitcnt vmcnt(0)
	v_trunc_f64_e32 v[3:4], v[3:4]
	v_ldexp_f64 v[5:6], v[3:4], s0
	s_mov_b32 s0, 0
	s_mov_b32 s1, 0xc1f00000
	v_floor_f64_e32 v[5:6], v[5:6]
	v_fma_f64 v[3:4], v[5:6], s[0:1], v[3:4]
	s_mov_b64 s[0:1], 0
	v_cvt_u32_f64_e32 v3, v[3:4]
	s_branch .LBB22_986
.LBB22_984:
	s_mov_b64 s[0:1], -1
                                        ; implicit-def: $vgpr3
	s_branch .LBB22_989
.LBB22_985:
	s_mov_b64 s[0:1], -1
                                        ; implicit-def: $vgpr3
.LBB22_986:
	s_andn2_b64 vcc, exec, s[0:1]
	s_cbranch_vccnz .LBB22_988
; %bb.987:
	global_load_dword v3, v[1:2], off
	s_mov_b32 s0, 0x2f800000
	s_waitcnt vmcnt(0)
	v_trunc_f32_e32 v3, v3
	v_mul_f32_e64 v4, |v3|, s0
	v_floor_f32_e32 v4, v4
	s_mov_b32 s0, 0xcf800000
	v_fma_f32 v4, v4, s0, |v3|
	v_cvt_u32_f32_e32 v4, v4
	v_ashrrev_i32_e32 v3, 31, v3
	v_xor_b32_e32 v4, v4, v3
	v_sub_u32_e32 v3, v4, v3
.LBB22_988:
	s_mov_b64 s[0:1], 0
.LBB22_989:
	s_andn2_b64 vcc, exec, s[0:1]
	s_cbranch_vccnz .LBB22_991
; %bb.990:
	global_load_ushort v3, v[1:2], off
	s_waitcnt vmcnt(0)
	v_cvt_f32_f16_e32 v3, v3
	v_cvt_i32_f32_e32 v3, v3
.LBB22_991:
	s_mov_b64 s[0:1], 0
.LBB22_992:
	s_andn2_b64 vcc, exec, s[0:1]
	s_cbranch_vccnz .LBB22_1012
; %bb.993:
	s_cmp_lt_i32 s42, 2
	s_cbranch_scc1 .LBB22_997
; %bb.994:
	s_cmp_lt_i32 s42, 3
	s_cbranch_scc1 .LBB22_998
; %bb.995:
	s_cmp_gt_i32 s42, 3
	s_cbranch_scc0 .LBB22_999
; %bb.996:
	global_load_dwordx2 v[3:4], v[1:2], off
	s_mov_b64 s[0:1], 0
	s_branch .LBB22_1000
.LBB22_997:
	s_mov_b64 s[0:1], -1
                                        ; implicit-def: $vgpr3
	s_branch .LBB22_1006
.LBB22_998:
	s_mov_b64 s[0:1], -1
                                        ; implicit-def: $vgpr3
	s_branch .LBB22_1003
.LBB22_999:
	s_mov_b64 s[0:1], -1
                                        ; implicit-def: $vgpr3
.LBB22_1000:
	s_andn2_b64 vcc, exec, s[0:1]
	s_cbranch_vccnz .LBB22_1002
; %bb.1001:
	global_load_dword v3, v[1:2], off
.LBB22_1002:
	s_mov_b64 s[0:1], 0
.LBB22_1003:
	s_andn2_b64 vcc, exec, s[0:1]
	s_cbranch_vccnz .LBB22_1005
; %bb.1004:
	global_load_ushort v3, v[1:2], off
.LBB22_1005:
	s_mov_b64 s[0:1], 0
.LBB22_1006:
	s_andn2_b64 vcc, exec, s[0:1]
	s_cbranch_vccnz .LBB22_1012
; %bb.1007:
	s_cmp_gt_i32 s42, 0
	s_cbranch_scc0 .LBB22_1009
; %bb.1008:
	global_load_ubyte v3, v[1:2], off
	s_mov_b64 s[0:1], 0
	s_branch .LBB22_1010
.LBB22_1009:
	s_mov_b64 s[0:1], -1
                                        ; implicit-def: $vgpr3
.LBB22_1010:
	s_andn2_b64 vcc, exec, s[0:1]
	s_cbranch_vccnz .LBB22_1012
; %bb.1011:
	global_load_ubyte v3, v[1:2], off
.LBB22_1012:
	s_mov_b64 s[0:1], -1
.LBB22_1013:
	s_andn2_b64 vcc, exec, s[0:1]
	s_cbranch_vccnz .LBB22_1021
; %bb.1014:
	v_mul_lo_u32 v1, v11, s12
	s_and_b32 s0, s2, 0xff
	v_mov_b32_e32 v2, s33
	v_cmp_gt_u16_sdwa vcc, v0, s0 src0_sel:BYTE_0 src1_sel:DWORD
	s_waitcnt vmcnt(0)
	v_cndmask_b32_e32 v2, v2, v3, vcc
	v_ashrrev_i32_e32 v3, 31, v1
	v_mov_b32_e32 v4, s9
	s_and_b32 s48, s3, 0xff
	v_add_co_u32_e32 v0, vcc, s8, v1
	s_cmp_lt_i32 s48, 11
	v_addc_co_u32_e32 v1, vcc, v4, v3, vcc
	s_cbranch_scc1 .LBB22_1022
; %bb.1015:
	s_and_b32 s49, 0xffff, s48
	s_cmp_gt_i32 s49, 25
	s_cbranch_scc0 .LBB22_1023
; %bb.1016:
	s_cmp_gt_i32 s49, 28
	s_cbranch_scc0 .LBB22_1024
; %bb.1017:
	;; [unrolled: 3-line block ×4, first 2 shown]
	s_mov_b64 s[44:45], 0
	s_mov_b64 s[0:1], -1
	s_cmp_eq_u32 s49, 46
	s_mov_b64 s[42:43], 0
	s_cbranch_scc0 .LBB22_1027
; %bb.1020:
	v_cvt_f32_ubyte0_e32 v3, v2
	v_bfe_u32 v4, v3, 16, 1
	s_movk_i32 s0, 0x7fff
	v_add3_u32 v3, v3, v4, s0
	v_lshrrev_b32_e32 v3, 16, v3
	global_store_dword v[0:1], v3, off
	s_mov_b64 s[42:43], -1
	s_mov_b64 s[0:1], 0
	s_branch .LBB22_1027
.LBB22_1021:
	s_mov_b64 s[44:45], 0
                                        ; implicit-def: $vgpr11
	s_mov_b64 s[0:1], s[30:31]
	s_branch .LBB22_1137
.LBB22_1022:
	s_mov_b64 s[44:45], -1
	s_mov_b64 s[42:43], 0
	s_mov_b64 s[0:1], s[30:31]
	s_branch .LBB22_1096
.LBB22_1023:
	s_mov_b64 s[44:45], -1
	s_mov_b64 s[42:43], 0
	s_mov_b64 s[0:1], s[30:31]
	s_branch .LBB22_1054
.LBB22_1024:
	s_mov_b64 s[44:45], -1
	s_mov_b64 s[42:43], 0
	s_mov_b64 s[0:1], s[30:31]
	s_branch .LBB22_1037
.LBB22_1025:
	s_mov_b64 s[44:45], -1
	s_mov_b64 s[42:43], 0
	s_mov_b64 s[0:1], s[30:31]
	s_branch .LBB22_1033
.LBB22_1026:
	s_mov_b64 s[44:45], -1
	s_mov_b64 s[42:43], 0
	s_mov_b64 s[0:1], s[30:31]
.LBB22_1027:
	s_and_b64 vcc, exec, s[44:45]
	s_cbranch_vccz .LBB22_1032
; %bb.1028:
	s_cmp_eq_u32 s49, 44
	s_mov_b64 s[0:1], -1
	s_cbranch_scc0 .LBB22_1032
; %bb.1029:
	v_cvt_f32_ubyte0_e32 v4, v2
	v_lshrrev_b32_e32 v3, 23, v4
	s_movk_i32 s0, 0xff
	v_cmp_ne_u32_e32 vcc, s0, v3
	v_mov_b32_e32 v5, 0xff
	s_and_saveexec_b64 s[42:43], vcc
; %bb.1030:
	s_mov_b32 s0, 0x3fffff
	v_and_b32_e32 v5, 0x400000, v4
	v_and_or_b32 v4, v4, s0, v3
	v_cmp_ne_u32_e32 vcc, 0, v5
	v_cmp_ne_u32_e64 s[0:1], 0, v4
	s_and_b64 s[0:1], vcc, s[0:1]
	v_cndmask_b32_e64 v4, 0, 1, s[0:1]
	v_add_u32_e32 v5, v3, v4
; %bb.1031:
	s_or_b64 exec, exec, s[42:43]
	s_mov_b64 s[42:43], -1
	s_mov_b64 s[0:1], 0
	global_store_byte v[0:1], v5, off
.LBB22_1032:
	s_mov_b64 s[44:45], 0
.LBB22_1033:
	s_and_b64 vcc, exec, s[44:45]
	s_cbranch_vccz .LBB22_1036
; %bb.1034:
	s_cmp_eq_u32 s49, 29
	s_mov_b64 s[0:1], -1
	s_cbranch_scc0 .LBB22_1036
; %bb.1035:
	v_and_b32_e32 v3, 0xff, v2
	v_mov_b32_e32 v4, 0
	global_store_dwordx2 v[0:1], v[3:4], off
	s_mov_b64 s[42:43], -1
	s_mov_b64 s[0:1], 0
.LBB22_1036:
	s_mov_b64 s[44:45], 0
.LBB22_1037:
	s_and_b64 vcc, exec, s[44:45]
	s_cbranch_vccz .LBB22_1053
; %bb.1038:
	s_cmp_lt_i32 s49, 27
	s_mov_b64 s[42:43], -1
	s_cbranch_scc1 .LBB22_1044
; %bb.1039:
	s_cmp_gt_i32 s49, 27
	s_cbranch_scc0 .LBB22_1041
; %bb.1040:
	v_and_b32_e32 v3, 0xff, v2
	s_mov_b64 s[42:43], 0
	global_store_dword v[0:1], v3, off
.LBB22_1041:
	s_andn2_b64 vcc, exec, s[42:43]
	s_cbranch_vccnz .LBB22_1043
; %bb.1042:
	v_and_b32_e32 v3, 0xff, v2
	global_store_short v[0:1], v3, off
.LBB22_1043:
	s_mov_b64 s[42:43], 0
.LBB22_1044:
	s_andn2_b64 vcc, exec, s[42:43]
	s_cbranch_vccnz .LBB22_1052
; %bb.1045:
	v_cvt_f32_ubyte0_e32 v4, v2
	s_mov_b32 s42, 0x43800000
	v_cmp_gt_u32_e32 vcc, s42, v4
	v_mov_b32_e32 v5, 0x80
	s_and_saveexec_b64 s[42:43], vcc
	s_cbranch_execz .LBB22_1051
; %bb.1046:
	s_mov_b32 s44, 0x3bffffff
	v_cmp_lt_u32_e32 vcc, s44, v4
	s_mov_b64 s[44:45], 0
                                        ; implicit-def: $vgpr3
	s_and_saveexec_b64 s[46:47], vcc
	s_xor_b64 s[46:47], exec, s[46:47]
	s_cbranch_execz .LBB22_1153
; %bb.1047:
	v_bfe_u32 v3, v4, 20, 1
	s_mov_b32 s51, 0x487ffff
	v_add3_u32 v3, v4, v3, s51
	s_mov_b64 s[44:45], exec
	v_lshrrev_b32_e32 v3, 20, v3
                                        ; implicit-def: $vgpr4
	s_andn2_saveexec_b64 s[46:47], s[46:47]
	s_cbranch_execnz .LBB22_1154
.LBB22_1048:
	s_or_b64 exec, exec, s[46:47]
	v_mov_b32_e32 v5, 0
	s_and_saveexec_b64 s[46:47], s[44:45]
.LBB22_1049:
	v_mov_b32_e32 v5, v3
.LBB22_1050:
	s_or_b64 exec, exec, s[46:47]
.LBB22_1051:
	s_or_b64 exec, exec, s[42:43]
	global_store_byte v[0:1], v5, off
.LBB22_1052:
	s_mov_b64 s[42:43], -1
.LBB22_1053:
	s_mov_b64 s[44:45], 0
.LBB22_1054:
	s_and_b64 vcc, exec, s[44:45]
	s_cbranch_vccz .LBB22_1095
; %bb.1055:
	s_cmp_gt_i32 s49, 22
	s_mov_b64 s[44:45], -1
	s_cbranch_scc0 .LBB22_1087
; %bb.1056:
	s_cmp_lt_i32 s49, 24
	s_mov_b64 s[42:43], -1
	s_cbranch_scc1 .LBB22_1076
; %bb.1057:
	s_cmp_gt_i32 s49, 24
	s_cbranch_scc0 .LBB22_1065
; %bb.1058:
	v_cvt_f32_ubyte0_e32 v4, v2
	s_mov_b32 s42, 0x47800000
	v_cmp_gt_u32_e32 vcc, s42, v4
	v_mov_b32_e32 v5, 0x80
	s_and_saveexec_b64 s[42:43], vcc
	s_cbranch_execz .LBB22_1064
; %bb.1059:
	s_mov_b32 s44, 0x37ffffff
	v_cmp_lt_u32_e32 vcc, s44, v4
	s_mov_b64 s[44:45], 0
                                        ; implicit-def: $vgpr3
	s_and_saveexec_b64 s[46:47], vcc
	s_xor_b64 s[46:47], exec, s[46:47]
	s_cbranch_execz .LBB22_2147
; %bb.1060:
	v_bfe_u32 v3, v4, 21, 1
	s_mov_b32 s51, 0x88fffff
	v_add3_u32 v3, v4, v3, s51
	s_mov_b64 s[44:45], exec
	v_lshrrev_b32_e32 v3, 21, v3
                                        ; implicit-def: $vgpr4
	s_andn2_saveexec_b64 s[46:47], s[46:47]
	s_cbranch_execnz .LBB22_2148
.LBB22_1061:
	s_or_b64 exec, exec, s[46:47]
	v_mov_b32_e32 v5, 0
	s_and_saveexec_b64 s[46:47], s[44:45]
.LBB22_1062:
	v_mov_b32_e32 v5, v3
.LBB22_1063:
	s_or_b64 exec, exec, s[46:47]
.LBB22_1064:
	s_or_b64 exec, exec, s[42:43]
	s_mov_b64 s[42:43], 0
	global_store_byte v[0:1], v5, off
.LBB22_1065:
	s_and_b64 vcc, exec, s[42:43]
	s_cbranch_vccz .LBB22_1075
; %bb.1066:
	v_cvt_f32_ubyte0_e32 v3, v2
	s_mov_b32 s42, 0x43f00000
	v_cmp_gt_u32_e32 vcc, s42, v3
                                        ; implicit-def: $vgpr4
	s_and_saveexec_b64 s[42:43], vcc
	s_xor_b64 s[42:43], exec, s[42:43]
	s_cbranch_execz .LBB22_1072
; %bb.1067:
	s_mov_b32 s44, 0x3c7fffff
	v_cmp_lt_u32_e32 vcc, s44, v3
                                        ; implicit-def: $vgpr4
	s_and_saveexec_b64 s[44:45], vcc
	s_xor_b64 s[44:45], exec, s[44:45]
; %bb.1068:
	v_bfe_u32 v4, v3, 20, 1
	s_mov_b32 s46, 0x407ffff
	v_add3_u32 v3, v3, v4, s46
	v_lshrrev_b32_e32 v4, 20, v3
	v_and_b32_e32 v3, 0xff00000, v3
	s_mov_b32 s46, 0x7f00000
	v_mov_b32_e32 v5, 0x7e
	v_cmp_ne_u32_e32 vcc, s46, v3
	v_cndmask_b32_e32 v4, v5, v4, vcc
                                        ; implicit-def: $vgpr3
; %bb.1069:
	s_andn2_saveexec_b64 s[44:45], s[44:45]
; %bb.1070:
	v_add_f32_e32 v4, 0x46800000, v3
; %bb.1071:
	s_or_b64 exec, exec, s[44:45]
                                        ; implicit-def: $vgpr3
.LBB22_1072:
	s_andn2_saveexec_b64 s[42:43], s[42:43]
; %bb.1073:
	s_mov_b32 s44, 0x7f800000
	v_mov_b32_e32 v4, 0x7e
	v_mov_b32_e32 v5, 0x7f
	v_cmp_lt_u32_e32 vcc, s44, v3
	v_cndmask_b32_e32 v4, v4, v5, vcc
; %bb.1074:
	s_or_b64 exec, exec, s[42:43]
	global_store_byte v[0:1], v4, off
.LBB22_1075:
	s_mov_b64 s[42:43], 0
.LBB22_1076:
	s_andn2_b64 vcc, exec, s[42:43]
	s_cbranch_vccnz .LBB22_1086
; %bb.1077:
	v_cvt_f32_ubyte0_e32 v3, v2
	s_mov_b32 s42, 0x47800000
	v_cmp_gt_u32_e32 vcc, s42, v3
                                        ; implicit-def: $vgpr4
	s_and_saveexec_b64 s[42:43], vcc
	s_xor_b64 s[42:43], exec, s[42:43]
	s_cbranch_execz .LBB22_1083
; %bb.1078:
	s_mov_b32 s44, 0x387fffff
	v_cmp_lt_u32_e32 vcc, s44, v3
                                        ; implicit-def: $vgpr4
	s_and_saveexec_b64 s[44:45], vcc
	s_xor_b64 s[44:45], exec, s[44:45]
; %bb.1079:
	v_bfe_u32 v4, v3, 21, 1
	s_mov_b32 s46, 0x80fffff
	v_add3_u32 v3, v3, v4, s46
	v_lshrrev_b32_e32 v4, 21, v3
                                        ; implicit-def: $vgpr3
; %bb.1080:
	s_andn2_saveexec_b64 s[44:45], s[44:45]
; %bb.1081:
	v_add_f32_e32 v4, 0x43000000, v3
; %bb.1082:
	s_or_b64 exec, exec, s[44:45]
                                        ; implicit-def: $vgpr3
.LBB22_1083:
	s_andn2_saveexec_b64 s[42:43], s[42:43]
; %bb.1084:
	s_mov_b32 s44, 0x7f800000
	v_mov_b32_e32 v4, 0x7c
	v_mov_b32_e32 v5, 0x7f
	v_cmp_lt_u32_e32 vcc, s44, v3
	v_cndmask_b32_e32 v4, v4, v5, vcc
; %bb.1085:
	s_or_b64 exec, exec, s[42:43]
	global_store_byte v[0:1], v4, off
.LBB22_1086:
	s_mov_b64 s[44:45], 0
	s_mov_b64 s[42:43], -1
.LBB22_1087:
	s_andn2_b64 vcc, exec, s[44:45]
	s_cbranch_vccnz .LBB22_1095
; %bb.1088:
	s_cmp_gt_i32 s49, 14
	s_mov_b64 s[44:45], -1
	s_cbranch_scc0 .LBB22_1092
; %bb.1089:
	s_cmp_eq_u32 s49, 15
	s_mov_b64 s[0:1], -1
	s_cbranch_scc0 .LBB22_1091
; %bb.1090:
	v_cvt_f32_ubyte0_e32 v3, v2
	v_bfe_u32 v4, v3, 16, 1
	s_movk_i32 s0, 0x7fff
	v_add3_u32 v3, v3, v4, s0
	global_store_short_d16_hi v[0:1], v3, off
	s_mov_b64 s[42:43], -1
	s_mov_b64 s[0:1], 0
.LBB22_1091:
	s_mov_b64 s[44:45], 0
.LBB22_1092:
	s_and_b64 vcc, exec, s[44:45]
	s_cbranch_vccz .LBB22_1095
; %bb.1093:
	s_cmp_eq_u32 s49, 11
	s_mov_b64 s[0:1], -1
	s_cbranch_scc0 .LBB22_1095
; %bb.1094:
	v_mov_b32_e32 v3, 0
	v_cmp_ne_u16_sdwa s[0:1], v2, v3 src0_sel:BYTE_0 src1_sel:DWORD
	v_cndmask_b32_e64 v3, 0, 1, s[0:1]
	s_mov_b64 s[42:43], -1
	s_mov_b64 s[0:1], 0
	global_store_byte v[0:1], v3, off
.LBB22_1095:
	s_mov_b64 s[44:45], 0
.LBB22_1096:
	s_and_b64 vcc, exec, s[44:45]
	s_cbranch_vccz .LBB22_1135
; %bb.1097:
	s_and_b32 s44, 0xffff, s48
	s_cmp_lt_i32 s44, 5
	s_mov_b64 s[42:43], -1
	s_cbranch_scc1 .LBB22_1118
; %bb.1098:
	s_cmp_lt_i32 s44, 8
	s_cbranch_scc1 .LBB22_1108
; %bb.1099:
	s_cmp_lt_i32 s44, 9
	s_cbranch_scc1 .LBB22_1105
; %bb.1100:
	s_cmp_gt_i32 s44, 9
	s_cbranch_scc0 .LBB22_1102
; %bb.1101:
	s_mov_b32 s42, 0xffff
	v_and_b32_sdwa v3, s42, v2 dst_sel:DWORD dst_unused:UNUSED_PAD src0_sel:DWORD src1_sel:BYTE_0
	v_cvt_f64_u32_e32 v[3:4], v3
	v_mov_b32_e32 v5, 0
	v_mov_b32_e32 v6, v5
	s_mov_b64 s[42:43], 0
	global_store_dwordx4 v[0:1], v[3:6], off
.LBB22_1102:
	s_andn2_b64 vcc, exec, s[42:43]
	s_cbranch_vccnz .LBB22_1104
; %bb.1103:
	v_cvt_f32_ubyte0_e32 v3, v2
	v_mov_b32_e32 v4, 0
	global_store_dwordx2 v[0:1], v[3:4], off
.LBB22_1104:
	s_mov_b64 s[42:43], 0
.LBB22_1105:
	s_andn2_b64 vcc, exec, s[42:43]
	s_cbranch_vccnz .LBB22_1107
; %bb.1106:
	v_cvt_f16_u16_sdwa v3, v2 dst_sel:DWORD dst_unused:UNUSED_PAD src0_sel:BYTE_0
	global_store_dword v[0:1], v3, off
.LBB22_1107:
	s_mov_b64 s[42:43], 0
.LBB22_1108:
	s_andn2_b64 vcc, exec, s[42:43]
	s_cbranch_vccnz .LBB22_1117
; %bb.1109:
	s_cmp_lt_i32 s44, 6
	s_mov_b64 s[42:43], -1
	s_cbranch_scc1 .LBB22_1115
; %bb.1110:
	s_cmp_gt_i32 s44, 6
	s_cbranch_scc0 .LBB22_1112
; %bb.1111:
	s_mov_b32 s42, 0xffff
	v_and_b32_sdwa v3, s42, v2 dst_sel:DWORD dst_unused:UNUSED_PAD src0_sel:DWORD src1_sel:BYTE_0
	v_cvt_f64_u32_e32 v[3:4], v3
	s_mov_b64 s[42:43], 0
	global_store_dwordx2 v[0:1], v[3:4], off
.LBB22_1112:
	s_andn2_b64 vcc, exec, s[42:43]
	s_cbranch_vccnz .LBB22_1114
; %bb.1113:
	v_cvt_f32_ubyte0_e32 v3, v2
	global_store_dword v[0:1], v3, off
.LBB22_1114:
	s_mov_b64 s[42:43], 0
.LBB22_1115:
	s_andn2_b64 vcc, exec, s[42:43]
	s_cbranch_vccnz .LBB22_1117
; %bb.1116:
	v_cvt_f16_u16_sdwa v3, v2 dst_sel:DWORD dst_unused:UNUSED_PAD src0_sel:BYTE_0
	global_store_short v[0:1], v3, off
.LBB22_1117:
	s_mov_b64 s[42:43], 0
.LBB22_1118:
	s_andn2_b64 vcc, exec, s[42:43]
	s_cbranch_vccnz .LBB22_1134
; %bb.1119:
	s_cmp_lt_i32 s44, 2
	s_mov_b64 s[42:43], -1
	s_cbranch_scc1 .LBB22_1129
; %bb.1120:
	s_cmp_lt_i32 s44, 3
	s_cbranch_scc1 .LBB22_1126
; %bb.1121:
	s_cmp_gt_i32 s44, 3
	s_cbranch_scc0 .LBB22_1123
; %bb.1122:
	v_and_b32_e32 v3, 0xff, v2
	v_mov_b32_e32 v4, 0
	s_mov_b64 s[42:43], 0
	global_store_dwordx2 v[0:1], v[3:4], off
.LBB22_1123:
	s_andn2_b64 vcc, exec, s[42:43]
	s_cbranch_vccnz .LBB22_1125
; %bb.1124:
	v_and_b32_e32 v3, 0xff, v2
	global_store_dword v[0:1], v3, off
.LBB22_1125:
	s_mov_b64 s[42:43], 0
.LBB22_1126:
	s_andn2_b64 vcc, exec, s[42:43]
	s_cbranch_vccnz .LBB22_1128
; %bb.1127:
	v_and_b32_e32 v3, 0xff, v2
	global_store_short v[0:1], v3, off
.LBB22_1128:
	s_mov_b64 s[42:43], 0
.LBB22_1129:
	s_andn2_b64 vcc, exec, s[42:43]
	s_cbranch_vccnz .LBB22_1134
; %bb.1130:
	s_cmp_gt_i32 s44, 0
	s_mov_b64 s[42:43], -1
	s_cbranch_scc0 .LBB22_1132
; %bb.1131:
	s_mov_b64 s[42:43], 0
	global_store_byte v[0:1], v2, off
.LBB22_1132:
	s_andn2_b64 vcc, exec, s[42:43]
	s_cbranch_vccnz .LBB22_1134
; %bb.1133:
	global_store_byte v[0:1], v2, off
.LBB22_1134:
	s_mov_b64 s[42:43], -1
.LBB22_1135:
	s_andn2_b64 vcc, exec, s[42:43]
	s_cbranch_vccnz .LBB22_1148
; %bb.1136:
	v_add_u32_e32 v11, 0x80, v11
	s_mov_b64 s[44:45], -1
.LBB22_1137:
	s_andn2_b64 s[42:43], s[30:31], exec
	s_and_b64 s[0:1], s[0:1], exec
	s_or_b64 s[42:43], s[42:43], s[0:1]
	s_andn2_b64 s[0:1], s[28:29], exec
	s_and_b64 s[40:41], s[40:41], exec
	s_or_b64 s[40:41], s[0:1], s[40:41]
	;; [unrolled: 3-line block ×3, first 2 shown]
	s_orn2_b64 s[48:49], s[44:45], exec
.LBB22_1138:
	s_or_b64 exec, exec, s[36:37]
	s_mov_b64 s[44:45], 0
	s_mov_b64 s[38:39], 0
	;; [unrolled: 1-line block ×3, first 2 shown]
                                        ; implicit-def: $vgpr2_vgpr3
                                        ; implicit-def: $vgpr0
	s_and_saveexec_b64 s[36:37], s[48:49]
	s_cbranch_execz .LBB22_1218
; %bb.1139:
	v_cmp_gt_i32_e32 vcc, s50, v11
	s_mov_b64 s[48:49], 0
	s_mov_b64 s[50:51], s[0:1]
	;; [unrolled: 1-line block ×4, first 2 shown]
                                        ; implicit-def: $vgpr2_vgpr3
                                        ; implicit-def: $vgpr0
	s_and_saveexec_b64 s[38:39], vcc
	s_cbranch_execz .LBB22_1217
; %bb.1140:
	s_waitcnt vmcnt(0)
	v_mul_lo_u32 v0, v11, s13
	v_mov_b32_e32 v1, s11
	s_and_b32 s52, 0xffff, s56
	s_cmp_lt_i32 s52, 11
	v_ashrrev_i32_e32 v3, 31, v0
	v_add_co_u32_e32 v2, vcc, s10, v0
	v_addc_co_u32_e32 v3, vcc, v1, v3, vcc
	s_cbranch_scc1 .LBB22_1147
; %bb.1141:
	s_cmp_gt_i32 s52, 25
	s_cbranch_scc0 .LBB22_1149
; %bb.1142:
	s_cmp_gt_i32 s52, 28
	s_cbranch_scc0 .LBB22_1150
	;; [unrolled: 3-line block ×4, first 2 shown]
; %bb.1145:
	s_cmp_eq_u32 s52, 46
	s_mov_b64 s[50:51], 0
	s_cbranch_scc0 .LBB22_1155
; %bb.1146:
	global_load_dword v0, v[2:3], off
	s_mov_b32 s44, 0x2f800000
	s_mov_b32 s45, 0xcf800000
	s_mov_b64 s[48:49], -1
	s_waitcnt vmcnt(0)
	v_lshlrev_b32_e32 v0, 16, v0
	v_trunc_f32_e32 v0, v0
	v_mul_f32_e64 v1, |v0|, s44
	v_floor_f32_e32 v1, v1
	v_fma_f32 v1, v1, s45, |v0|
	v_cvt_u32_f32_e32 v1, v1
	v_ashrrev_i32_e32 v0, 31, v0
	s_mov_b64 s[44:45], 0
	v_xor_b32_e32 v1, v1, v0
	v_sub_u32_e32 v0, v1, v0
	s_branch .LBB22_1157
.LBB22_1147:
	s_mov_b64 s[50:51], -1
                                        ; implicit-def: $vgpr0
	s_mov_b64 s[44:45], s[0:1]
	s_branch .LBB22_1216
.LBB22_1148:
	s_mov_b64 s[44:45], 0
	s_branch .LBB22_894
.LBB22_1149:
	s_mov_b64 s[50:51], -1
	s_mov_b64 s[44:45], s[0:1]
                                        ; implicit-def: $vgpr0
	s_branch .LBB22_1184
.LBB22_1150:
	s_mov_b64 s[50:51], -1
	s_mov_b64 s[44:45], s[0:1]
                                        ; implicit-def: $vgpr0
	s_branch .LBB22_1167
.LBB22_1151:
	s_mov_b64 s[50:51], -1
	s_mov_b64 s[44:45], s[0:1]
                                        ; implicit-def: $vgpr0
	s_branch .LBB22_1162
.LBB22_1152:
	s_mov_b64 s[50:51], -1
	s_mov_b64 s[44:45], s[0:1]
	s_branch .LBB22_1156
.LBB22_1153:
	s_andn2_saveexec_b64 s[46:47], s[46:47]
	s_cbranch_execz .LBB22_1048
.LBB22_1154:
	v_add_f32_e32 v3, 0x46000000, v4
	v_and_b32_e32 v3, 0xff, v3
	v_cmp_ne_u32_e32 vcc, 0, v3
	s_andn2_b64 s[44:45], s[44:45], exec
	s_and_b64 s[52:53], vcc, exec
	s_or_b64 s[44:45], s[44:45], s[52:53]
	s_or_b64 exec, exec, s[46:47]
	v_mov_b32_e32 v5, 0
	s_and_saveexec_b64 s[46:47], s[44:45]
	s_cbranch_execnz .LBB22_1049
	s_branch .LBB22_1050
.LBB22_1155:
	s_mov_b64 s[44:45], -1
.LBB22_1156:
                                        ; implicit-def: $vgpr0
.LBB22_1157:
	s_and_b64 vcc, exec, s[50:51]
	s_cbranch_vccz .LBB22_1161
; %bb.1158:
	s_cmp_eq_u32 s52, 44
	s_cbranch_scc0 .LBB22_1160
; %bb.1159:
	global_load_ubyte v0, v[2:3], off
	s_mov_b32 s44, 0x2f800000
	s_mov_b32 s45, 0xcf800000
	s_mov_b64 s[48:49], -1
	s_waitcnt vmcnt(0)
	v_lshlrev_b32_e32 v1, 23, v0
	v_trunc_f32_e32 v1, v1
	v_mul_f32_e64 v4, |v1|, s44
	v_floor_f32_e32 v4, v4
	v_fma_f32 v4, v4, s45, |v1|
	v_cvt_u32_f32_e32 v4, v4
	v_ashrrev_i32_e32 v1, 31, v1
	v_cmp_ne_u32_e32 vcc, 0, v0
	s_mov_b64 s[44:45], 0
	v_xor_b32_e32 v4, v4, v1
	v_sub_u32_e32 v1, v4, v1
	v_cndmask_b32_e32 v0, 0, v1, vcc
	s_branch .LBB22_1161
.LBB22_1160:
	s_mov_b64 s[44:45], -1
                                        ; implicit-def: $vgpr0
.LBB22_1161:
	s_mov_b64 s[50:51], 0
.LBB22_1162:
	s_and_b64 vcc, exec, s[50:51]
	s_cbranch_vccz .LBB22_1166
; %bb.1163:
	s_cmp_eq_u32 s52, 29
	s_cbranch_scc0 .LBB22_1165
; %bb.1164:
	global_load_dwordx2 v[0:1], v[2:3], off
	s_mov_b64 s[44:45], 0
	s_mov_b64 s[48:49], -1
	s_branch .LBB22_1166
.LBB22_1165:
	s_mov_b64 s[44:45], -1
                                        ; implicit-def: $vgpr0
.LBB22_1166:
	s_mov_b64 s[50:51], 0
.LBB22_1167:
	s_and_b64 vcc, exec, s[50:51]
	s_cbranch_vccz .LBB22_1183
; %bb.1168:
	s_cmp_lt_i32 s52, 27
	s_cbranch_scc1 .LBB22_1171
; %bb.1169:
	s_cmp_gt_i32 s52, 27
	s_cbranch_scc0 .LBB22_1172
; %bb.1170:
	global_load_dword v0, v[2:3], off
	s_mov_b64 s[48:49], 0
	s_branch .LBB22_1173
.LBB22_1171:
	s_mov_b64 s[48:49], -1
                                        ; implicit-def: $vgpr0
	s_branch .LBB22_1176
.LBB22_1172:
	s_mov_b64 s[48:49], -1
                                        ; implicit-def: $vgpr0
.LBB22_1173:
	s_andn2_b64 vcc, exec, s[48:49]
	s_cbranch_vccnz .LBB22_1175
; %bb.1174:
	global_load_ushort v0, v[2:3], off
.LBB22_1175:
	s_mov_b64 s[48:49], 0
.LBB22_1176:
	s_andn2_b64 vcc, exec, s[48:49]
	s_cbranch_vccnz .LBB22_1182
; %bb.1177:
	global_load_ubyte v1, v[2:3], off
	s_movk_i32 s48, 0x7f
	s_mov_b64 s[50:51], 0
	s_waitcnt vmcnt(0)
	v_cmp_lt_i16_e32 vcc, s48, v1
	s_and_saveexec_b64 s[48:49], vcc
	s_xor_b64 s[48:49], exec, s[48:49]
	s_cbranch_execz .LBB22_1194
; %bb.1178:
	s_movk_i32 s50, 0x80
	v_cmp_ne_u16_e32 vcc, s50, v1
	s_and_b64 s[50:51], vcc, exec
	s_andn2_saveexec_b64 s[48:49], s[48:49]
	s_cbranch_execnz .LBB22_1195
.LBB22_1179:
	s_or_b64 exec, exec, s[48:49]
	v_mov_b32_e32 v0, 0
	s_and_saveexec_b64 s[48:49], s[50:51]
	s_cbranch_execz .LBB22_1181
.LBB22_1180:
	v_lshlrev_b32_e32 v0, 24, v1
	v_and_b32_e32 v1, 0xffff, v1
	v_and_b32_e32 v4, 7, v1
	v_ffbh_u32_e32 v6, v4
	v_min_u32_e32 v6, 32, v6
	v_subrev_u32_e32 v7, 28, v6
	v_bfe_u32 v5, v1, 3, 4
	v_lshlrev_b32_e32 v1, v7, v1
	v_sub_u32_e32 v6, 29, v6
	v_and_b32_e32 v1, 7, v1
	v_cmp_eq_u32_e32 vcc, 0, v5
	v_cndmask_b32_e32 v5, v5, v6, vcc
	v_cndmask_b32_e32 v1, v4, v1, vcc
	v_mov_b32_e32 v4, 0x3b800000
	v_lshlrev_b32_e32 v1, 20, v1
	v_and_b32_e32 v0, 0x80000000, v0
	v_lshl_add_u32 v4, v5, 23, v4
	v_or3_b32 v0, v0, v4, v1
	v_trunc_f32_e32 v0, v0
	s_mov_b32 s50, 0x2f800000
	v_mul_f32_e64 v1, |v0|, s50
	v_floor_f32_e32 v1, v1
	s_mov_b32 s50, 0xcf800000
	v_fma_f32 v1, v1, s50, |v0|
	v_cvt_u32_f32_e32 v1, v1
	v_ashrrev_i32_e32 v0, 31, v0
	v_xor_b32_e32 v1, v1, v0
	v_sub_u32_e32 v0, v1, v0
.LBB22_1181:
	s_or_b64 exec, exec, s[48:49]
.LBB22_1182:
	s_mov_b64 s[48:49], -1
.LBB22_1183:
	s_mov_b64 s[50:51], 0
.LBB22_1184:
	s_and_b64 vcc, exec, s[50:51]
	s_cbranch_vccz .LBB22_1215
; %bb.1185:
	s_cmp_gt_i32 s52, 22
	s_cbranch_scc0 .LBB22_1193
; %bb.1186:
	s_cmp_lt_i32 s52, 24
	s_cbranch_scc1 .LBB22_1196
; %bb.1187:
	s_cmp_gt_i32 s52, 24
	s_cbranch_scc0 .LBB22_1197
; %bb.1188:
	global_load_ubyte v1, v[2:3], off
	s_movk_i32 s46, 0x7f
	s_mov_b64 s[48:49], 0
	s_waitcnt vmcnt(0)
	v_cmp_lt_i16_e32 vcc, s46, v1
	s_and_saveexec_b64 s[46:47], vcc
	s_xor_b64 s[46:47], exec, s[46:47]
	s_cbranch_execz .LBB22_1209
; %bb.1189:
	s_movk_i32 s48, 0x80
	v_cmp_ne_u16_e32 vcc, s48, v1
	s_and_b64 s[48:49], vcc, exec
	s_andn2_saveexec_b64 s[46:47], s[46:47]
	s_cbranch_execnz .LBB22_1210
.LBB22_1190:
	s_or_b64 exec, exec, s[46:47]
	v_mov_b32_e32 v0, 0
	s_and_saveexec_b64 s[46:47], s[48:49]
	s_cbranch_execz .LBB22_1192
.LBB22_1191:
	v_lshlrev_b32_e32 v0, 24, v1
	v_and_b32_e32 v1, 0xffff, v1
	v_and_b32_e32 v4, 3, v1
	v_ffbh_u32_e32 v6, v4
	v_min_u32_e32 v6, 32, v6
	v_subrev_u32_e32 v7, 29, v6
	v_bfe_u32 v5, v1, 2, 5
	v_lshlrev_b32_e32 v1, v7, v1
	v_sub_u32_e32 v6, 30, v6
	v_and_b32_e32 v1, 3, v1
	v_cmp_eq_u32_e32 vcc, 0, v5
	v_cndmask_b32_e32 v5, v5, v6, vcc
	v_cndmask_b32_e32 v1, v4, v1, vcc
	v_mov_b32_e32 v4, 0x37800000
	v_lshlrev_b32_e32 v1, 21, v1
	v_and_b32_e32 v0, 0x80000000, v0
	v_lshl_add_u32 v4, v5, 23, v4
	v_or3_b32 v0, v0, v4, v1
	v_trunc_f32_e32 v0, v0
	s_mov_b32 s48, 0x2f800000
	v_mul_f32_e64 v1, |v0|, s48
	v_floor_f32_e32 v1, v1
	s_mov_b32 s48, 0xcf800000
	v_fma_f32 v1, v1, s48, |v0|
	v_cvt_u32_f32_e32 v1, v1
	v_ashrrev_i32_e32 v0, 31, v0
	v_xor_b32_e32 v1, v1, v0
	v_sub_u32_e32 v0, v1, v0
.LBB22_1192:
	s_or_b64 exec, exec, s[46:47]
	s_mov_b64 s[46:47], 0
	s_branch .LBB22_1198
.LBB22_1193:
	s_mov_b64 s[46:47], -1
                                        ; implicit-def: $vgpr0
	s_branch .LBB22_1204
.LBB22_1194:
	s_andn2_saveexec_b64 s[48:49], s[48:49]
	s_cbranch_execz .LBB22_1179
.LBB22_1195:
	v_cmp_ne_u16_e32 vcc, 0, v1
	s_andn2_b64 s[50:51], s[50:51], exec
	s_and_b64 s[54:55], vcc, exec
	s_or_b64 s[50:51], s[50:51], s[54:55]
	s_or_b64 exec, exec, s[48:49]
	v_mov_b32_e32 v0, 0
	s_and_saveexec_b64 s[48:49], s[50:51]
	s_cbranch_execnz .LBB22_1180
	s_branch .LBB22_1181
.LBB22_1196:
	s_mov_b64 s[46:47], -1
                                        ; implicit-def: $vgpr0
	s_branch .LBB22_1201
.LBB22_1197:
	s_mov_b64 s[46:47], -1
                                        ; implicit-def: $vgpr0
.LBB22_1198:
	s_and_b64 vcc, exec, s[46:47]
	s_cbranch_vccz .LBB22_1200
; %bb.1199:
	global_load_ubyte v0, v[2:3], off
	s_mov_b32 s46, 0x7f800000
	s_brev_b32 s47, 1
	s_mov_b32 s48, 0x2f800000
	s_waitcnt vmcnt(0)
	v_lshlrev_b32_e32 v0, 24, v0
	v_and_b32_e32 v1, 0x7f000000, v0
	v_ffbh_u32_e32 v4, v1
	v_min_u32_e32 v4, 32, v4
	v_sub_u32_e64 v4, v4, 4 clamp
	v_lshlrev_b32_e32 v6, v4, v1
	v_lshlrev_b32_e32 v4, 23, v4
	v_lshrrev_b32_e32 v6, 4, v6
	v_add_u32_e32 v5, 0x1000000, v1
	v_sub_u32_e32 v4, v6, v4
	v_ashrrev_i32_e32 v5, 8, v5
	v_add_u32_e32 v4, 0x3c000000, v4
	v_and_or_b32 v4, v5, s46, v4
	v_cmp_ne_u32_e32 vcc, 0, v1
	v_cndmask_b32_e32 v1, 0, v4, vcc
	v_and_or_b32 v0, v0, s47, v1
	v_trunc_f32_e32 v0, v0
	v_mul_f32_e64 v1, |v0|, s48
	v_floor_f32_e32 v1, v1
	s_mov_b32 s46, 0xcf800000
	v_fma_f32 v1, v1, s46, |v0|
	v_cvt_u32_f32_e32 v1, v1
	v_ashrrev_i32_e32 v0, 31, v0
	v_xor_b32_e32 v1, v1, v0
	v_sub_u32_e32 v0, v1, v0
.LBB22_1200:
	s_mov_b64 s[46:47], 0
.LBB22_1201:
	s_andn2_b64 vcc, exec, s[46:47]
	s_cbranch_vccnz .LBB22_1203
; %bb.1202:
	global_load_ubyte v0, v[2:3], off
	s_movk_i32 s46, 0x7f00
	s_brev_b32 s47, 16
	s_brev_b32 s48, 1
	s_mov_b32 s49, 0x2f800000
	s_waitcnt vmcnt(0)
	v_lshlrev_b16_e32 v1, 8, v0
	v_lshlrev_b32_e32 v0, 25, v0
	v_lshrrev_b32_e32 v4, 4, v0
	v_and_or_b32 v5, v1, s46, 0.5
	v_or_b32_e32 v4, 0x70000000, v4
	v_add_f32_e32 v5, -0.5, v5
	v_mul_f32_e32 v4, 0x7800000, v4
	v_cmp_gt_u32_e32 vcc, s47, v0
	v_bfe_i32 v1, v1, 0, 16
	v_cndmask_b32_e32 v0, v4, v5, vcc
	v_and_or_b32 v0, v1, s48, v0
	v_trunc_f32_e32 v0, v0
	v_mul_f32_e64 v1, |v0|, s49
	v_floor_f32_e32 v1, v1
	s_mov_b32 s46, 0xcf800000
	v_fma_f32 v1, v1, s46, |v0|
	v_cvt_u32_f32_e32 v1, v1
	v_ashrrev_i32_e32 v0, 31, v0
	v_xor_b32_e32 v1, v1, v0
	v_sub_u32_e32 v0, v1, v0
.LBB22_1203:
	s_mov_b64 s[46:47], 0
	s_mov_b64 s[48:49], -1
.LBB22_1204:
	s_andn2_b64 vcc, exec, s[46:47]
	s_mov_b64 s[46:47], 0
	s_cbranch_vccnz .LBB22_1215
; %bb.1205:
	s_cmp_gt_i32 s52, 14
	s_cbranch_scc0 .LBB22_1208
; %bb.1206:
	s_cmp_eq_u32 s52, 15
	s_cbranch_scc0 .LBB22_1211
; %bb.1207:
	global_load_ushort v0, v[2:3], off
	s_mov_b32 s44, 0x2f800000
	s_mov_b32 s45, 0xcf800000
	s_mov_b64 s[48:49], -1
	s_waitcnt vmcnt(0)
	v_lshlrev_b32_e32 v0, 16, v0
	v_trunc_f32_e32 v0, v0
	v_mul_f32_e64 v1, |v0|, s44
	v_floor_f32_e32 v1, v1
	v_fma_f32 v1, v1, s45, |v0|
	v_cvt_u32_f32_e32 v1, v1
	v_ashrrev_i32_e32 v0, 31, v0
	s_mov_b64 s[44:45], 0
	v_xor_b32_e32 v1, v1, v0
	v_sub_u32_e32 v0, v1, v0
	s_branch .LBB22_1212
.LBB22_1208:
	s_mov_b64 s[50:51], -1
                                        ; implicit-def: $vgpr0
	s_branch .LBB22_1213
.LBB22_1209:
	s_andn2_saveexec_b64 s[46:47], s[46:47]
	s_cbranch_execz .LBB22_1190
.LBB22_1210:
	v_cmp_ne_u16_e32 vcc, 0, v1
	s_andn2_b64 s[48:49], s[48:49], exec
	s_and_b64 s[50:51], vcc, exec
	s_or_b64 s[48:49], s[48:49], s[50:51]
	s_or_b64 exec, exec, s[46:47]
	v_mov_b32_e32 v0, 0
	s_and_saveexec_b64 s[46:47], s[48:49]
	s_cbranch_execnz .LBB22_1191
	s_branch .LBB22_1192
.LBB22_1211:
	s_mov_b64 s[44:45], -1
                                        ; implicit-def: $vgpr0
.LBB22_1212:
	s_mov_b64 s[50:51], 0
.LBB22_1213:
	s_and_b64 vcc, exec, s[50:51]
	s_cbranch_vccz .LBB22_1215
; %bb.1214:
	s_cmp_lg_u32 s52, 11
	s_cselect_b64 s[50:51], -1, 0
	s_andn2_b64 s[44:45], s[44:45], exec
	s_and_b64 s[50:51], s[50:51], exec
	s_mov_b64 s[46:47], -1
	s_or_b64 s[44:45], s[44:45], s[50:51]
.LBB22_1215:
	s_mov_b64 s[50:51], 0
.LBB22_1216:
	s_and_b64 s[54:55], s[48:49], exec
	s_and_b64 s[48:49], s[46:47], exec
	s_andn2_b64 s[46:47], s[0:1], exec
	s_and_b64 s[44:45], s[44:45], exec
	s_and_b64 s[52:53], s[50:51], exec
	s_or_b64 s[50:51], s[46:47], s[44:45]
.LBB22_1217:
	s_or_b64 exec, exec, s[38:39]
	s_and_b64 s[44:45], s[48:49], exec
	s_andn2_b64 s[0:1], s[0:1], exec
	s_and_b64 s[48:49], s[50:51], exec
	s_and_b64 s[46:47], s[54:55], exec
	;; [unrolled: 1-line block ×3, first 2 shown]
	s_or_b64 s[0:1], s[0:1], s[48:49]
.LBB22_1218:
	s_or_b64 exec, exec, s[36:37]
	s_andn2_b64 s[30:31], s[30:31], exec
	s_and_b64 s[36:37], s[42:43], exec
	s_or_b64 s[30:31], s[30:31], s[36:37]
	s_andn2_b64 s[28:29], s[28:29], exec
	s_and_b64 s[36:37], s[40:41], exec
	s_andn2_b64 s[26:27], s[26:27], exec
	s_and_b64 s[0:1], s[0:1], exec
	s_or_b64 s[28:29], s[28:29], s[36:37]
	s_and_b64 s[40:41], s[46:47], exec
	s_and_b64 s[38:39], s[38:39], exec
	;; [unrolled: 1-line block ×3, first 2 shown]
	s_or_b64 s[26:27], s[26:27], s[0:1]
.LBB22_1219:
	s_or_b64 exec, exec, s[34:35]
	s_andn2_b64 s[0:1], s[18:19], exec
	s_and_b64 s[18:19], s[30:31], exec
	s_or_b64 s[18:19], s[0:1], s[18:19]
	s_andn2_b64 s[0:1], s[20:21], exec
	s_and_b64 s[20:21], s[28:29], exec
	s_or_b64 s[20:21], s[0:1], s[20:21]
	s_andn2_b64 s[0:1], s[22:23], exec
	s_and_b64 s[22:23], s[26:27], exec
	s_and_b64 s[30:31], s[40:41], exec
	;; [unrolled: 1-line block ×4, first 2 shown]
	s_or_b64 s[22:23], s[0:1], s[22:23]
	s_or_b64 exec, exec, s[24:25]
	s_mov_b64 s[24:25], 0
	s_and_saveexec_b64 s[0:1], s[22:23]
	s_cbranch_execz .LBB22_385
.LBB22_1220:
	s_mov_b64 s[24:25], exec
	s_andn2_b64 s[28:29], s[28:29], exec
	s_trap 2
	s_or_b64 exec, exec, s[0:1]
	s_and_saveexec_b64 s[0:1], s[28:29]
	s_xor_b64 s[0:1], exec, s[0:1]
	s_cbranch_execnz .LBB22_386
.LBB22_1221:
	s_or_b64 exec, exec, s[0:1]
	s_and_saveexec_b64 s[0:1], s[34:35]
	s_cbranch_execz .LBB22_1267
.LBB22_1222:
	s_sext_i32_i16 s22, s56
	s_cmp_lt_i32 s22, 5
	s_cbranch_scc1 .LBB22_1227
; %bb.1223:
	s_cmp_lt_i32 s22, 8
	s_cbranch_scc1 .LBB22_1228
; %bb.1224:
	;; [unrolled: 3-line block ×3, first 2 shown]
	s_cmp_gt_i32 s22, 9
	s_cbranch_scc0 .LBB22_1230
; %bb.1226:
	s_waitcnt vmcnt(0)
	global_load_dwordx2 v[0:1], v[2:3], off
	s_movk_i32 s22, 0xffe0
	s_waitcnt vmcnt(0)
	v_trunc_f64_e32 v[0:1], v[0:1]
	v_ldexp_f64 v[4:5], v[0:1], s22
	s_mov_b32 s22, 0
	s_mov_b32 s23, 0xc1f00000
	v_floor_f64_e32 v[4:5], v[4:5]
	v_fma_f64 v[0:1], v[4:5], s[22:23], v[0:1]
	s_mov_b64 s[22:23], 0
	v_cvt_u32_f64_e32 v0, v[0:1]
	s_branch .LBB22_1231
.LBB22_1227:
                                        ; implicit-def: $vgpr0
	s_branch .LBB22_1248
.LBB22_1228:
                                        ; implicit-def: $vgpr0
	s_branch .LBB22_1237
.LBB22_1229:
	s_mov_b64 s[22:23], -1
                                        ; implicit-def: $vgpr0
	s_branch .LBB22_1234
.LBB22_1230:
	s_mov_b64 s[22:23], -1
                                        ; implicit-def: $vgpr0
.LBB22_1231:
	s_andn2_b64 vcc, exec, s[22:23]
	s_cbranch_vccnz .LBB22_1233
; %bb.1232:
	s_waitcnt vmcnt(0)
	global_load_dword v0, v[2:3], off
	s_mov_b32 s22, 0x2f800000
	s_waitcnt vmcnt(0)
	v_trunc_f32_e32 v0, v0
	v_mul_f32_e64 v1, |v0|, s22
	v_floor_f32_e32 v1, v1
	s_mov_b32 s22, 0xcf800000
	v_fma_f32 v1, v1, s22, |v0|
	v_cvt_u32_f32_e32 v1, v1
	v_ashrrev_i32_e32 v0, 31, v0
	v_xor_b32_e32 v1, v1, v0
	v_sub_u32_e32 v0, v1, v0
.LBB22_1233:
	s_mov_b64 s[22:23], 0
.LBB22_1234:
	s_andn2_b64 vcc, exec, s[22:23]
	s_cbranch_vccnz .LBB22_1236
; %bb.1235:
	s_waitcnt vmcnt(0)
	global_load_dword v0, v[2:3], off
	s_waitcnt vmcnt(0)
	v_cvt_f32_f16_e32 v0, v0
	v_cvt_i32_f32_e32 v0, v0
.LBB22_1236:
	s_cbranch_execnz .LBB22_1247
.LBB22_1237:
	s_sext_i32_i16 s22, s56
	s_cmp_lt_i32 s22, 6
	s_cbranch_scc1 .LBB22_1240
; %bb.1238:
	s_cmp_gt_i32 s22, 6
	s_cbranch_scc0 .LBB22_1241
; %bb.1239:
	s_waitcnt vmcnt(0)
	global_load_dwordx2 v[0:1], v[2:3], off
	s_movk_i32 s22, 0xffe0
	s_waitcnt vmcnt(0)
	v_trunc_f64_e32 v[0:1], v[0:1]
	v_ldexp_f64 v[4:5], v[0:1], s22
	s_mov_b32 s22, 0
	s_mov_b32 s23, 0xc1f00000
	v_floor_f64_e32 v[4:5], v[4:5]
	v_fma_f64 v[0:1], v[4:5], s[22:23], v[0:1]
	s_mov_b64 s[22:23], 0
	v_cvt_u32_f64_e32 v0, v[0:1]
	s_branch .LBB22_1242
.LBB22_1240:
	s_mov_b64 s[22:23], -1
                                        ; implicit-def: $vgpr0
	s_branch .LBB22_1245
.LBB22_1241:
	s_mov_b64 s[22:23], -1
                                        ; implicit-def: $vgpr0
.LBB22_1242:
	s_andn2_b64 vcc, exec, s[22:23]
	s_cbranch_vccnz .LBB22_1244
; %bb.1243:
	s_waitcnt vmcnt(0)
	global_load_dword v0, v[2:3], off
	s_mov_b32 s22, 0x2f800000
	s_waitcnt vmcnt(0)
	v_trunc_f32_e32 v0, v0
	v_mul_f32_e64 v1, |v0|, s22
	v_floor_f32_e32 v1, v1
	s_mov_b32 s22, 0xcf800000
	v_fma_f32 v1, v1, s22, |v0|
	v_cvt_u32_f32_e32 v1, v1
	v_ashrrev_i32_e32 v0, 31, v0
	v_xor_b32_e32 v1, v1, v0
	v_sub_u32_e32 v0, v1, v0
.LBB22_1244:
	s_mov_b64 s[22:23], 0
.LBB22_1245:
	s_andn2_b64 vcc, exec, s[22:23]
	s_cbranch_vccnz .LBB22_1247
; %bb.1246:
	s_waitcnt vmcnt(0)
	global_load_ushort v0, v[2:3], off
	s_waitcnt vmcnt(0)
	v_cvt_f32_f16_e32 v0, v0
	v_cvt_i32_f32_e32 v0, v0
.LBB22_1247:
	s_cbranch_execnz .LBB22_1266
.LBB22_1248:
	s_sext_i32_i16 s22, s56
	s_cmp_lt_i32 s22, 2
	s_cbranch_scc1 .LBB22_1252
; %bb.1249:
	s_cmp_lt_i32 s22, 3
	s_cbranch_scc1 .LBB22_1253
; %bb.1250:
	s_cmp_gt_i32 s22, 3
	s_cbranch_scc0 .LBB22_1254
; %bb.1251:
	s_waitcnt vmcnt(0)
	global_load_dwordx2 v[0:1], v[2:3], off
	s_mov_b64 s[22:23], 0
	s_branch .LBB22_1255
.LBB22_1252:
                                        ; implicit-def: $vgpr0
	s_branch .LBB22_1261
.LBB22_1253:
	s_mov_b64 s[22:23], -1
                                        ; implicit-def: $vgpr0
	s_branch .LBB22_1258
.LBB22_1254:
	s_mov_b64 s[22:23], -1
                                        ; implicit-def: $vgpr0
.LBB22_1255:
	s_andn2_b64 vcc, exec, s[22:23]
	s_cbranch_vccnz .LBB22_1257
; %bb.1256:
	s_waitcnt vmcnt(0)
	global_load_dword v0, v[2:3], off
.LBB22_1257:
	s_mov_b64 s[22:23], 0
.LBB22_1258:
	s_andn2_b64 vcc, exec, s[22:23]
	s_cbranch_vccnz .LBB22_1260
; %bb.1259:
	s_waitcnt vmcnt(0)
	global_load_ushort v0, v[2:3], off
.LBB22_1260:
	s_cbranch_execnz .LBB22_1266
.LBB22_1261:
	s_sext_i32_i16 s22, s56
	s_cmp_gt_i32 s22, 0
	s_cbranch_scc0 .LBB22_1263
; %bb.1262:
	s_waitcnt vmcnt(0)
	global_load_ubyte v0, v[2:3], off
	s_mov_b64 s[22:23], 0
	s_branch .LBB22_1264
.LBB22_1263:
	s_mov_b64 s[22:23], -1
                                        ; implicit-def: $vgpr0
.LBB22_1264:
	s_andn2_b64 vcc, exec, s[22:23]
	s_cbranch_vccnz .LBB22_1266
; %bb.1265:
	s_waitcnt vmcnt(0)
	global_load_ubyte v0, v[2:3], off
.LBB22_1266:
	s_or_b64 s[30:31], s[30:31], exec
.LBB22_1267:
	s_or_b64 exec, exec, s[0:1]
	s_mov_b64 s[28:29], 0
	s_mov_b64 s[34:35], 0
	;; [unrolled: 1-line block ×3, first 2 shown]
                                        ; implicit-def: $sgpr36
                                        ; implicit-def: $vgpr1_vgpr2
                                        ; implicit-def: $vgpr3
	s_and_saveexec_b64 s[0:1], s[30:31]
	s_cbranch_execz .LBB22_1275
; %bb.1268:
	s_waitcnt vmcnt(0)
	v_mul_lo_u32 v1, v11, s14
	v_mov_b32_e32 v2, s17
	s_and_b32 s36, s15, 0xff
	s_cmp_lt_i32 s36, 11
	v_ashrrev_i32_e32 v3, 31, v1
	v_add_co_u32_e32 v1, vcc, s16, v1
	v_addc_co_u32_e32 v2, vcc, v2, v3, vcc
	s_cbranch_scc1 .LBB22_1278
; %bb.1269:
	s_and_b32 s34, 0xffff, s36
	s_cmp_gt_i32 s34, 25
	s_cbranch_scc0 .LBB22_1279
; %bb.1270:
	s_cmp_gt_i32 s34, 28
	s_cbranch_scc0 .LBB22_1280
; %bb.1271:
	;; [unrolled: 3-line block ×4, first 2 shown]
	s_cmp_eq_u32 s34, 46
	s_mov_b64 s[30:31], 0
	s_cbranch_scc0 .LBB22_1283
; %bb.1274:
	global_load_dword v3, v[1:2], off
	s_mov_b32 s22, 0x2f800000
	s_mov_b32 s23, 0xcf800000
	s_mov_b64 s[26:27], -1
	s_waitcnt vmcnt(0)
	v_lshlrev_b32_e32 v3, 16, v3
	v_trunc_f32_e32 v3, v3
	v_mul_f32_e64 v4, |v3|, s22
	v_floor_f32_e32 v4, v4
	v_fma_f32 v4, v4, s23, |v3|
	v_cvt_u32_f32_e32 v4, v4
	v_ashrrev_i32_e32 v3, 31, v3
	s_mov_b64 s[22:23], 0
	v_xor_b32_e32 v4, v4, v3
	v_sub_u32_e32 v3, v4, v3
	s_branch .LBB22_1285
.LBB22_1275:
	s_or_b64 exec, exec, s[0:1]
	s_and_saveexec_b64 s[0:1], s[20:21]
	s_cbranch_execnz .LBB22_1344
.LBB22_1276:
	s_or_b64 exec, exec, s[0:1]
	s_and_saveexec_b64 s[0:1], s[28:29]
	s_xor_b64 s[0:1], exec, s[0:1]
	s_cbranch_execz .LBB22_1345
.LBB22_1277:
	s_waitcnt vmcnt(0)
	global_load_ubyte v3, v[1:2], off
	s_or_b64 s[26:27], s[26:27], exec
	s_waitcnt vmcnt(0)
	v_cmp_ne_u16_e32 vcc, 0, v3
	v_cndmask_b32_e64 v3, 0, 1, vcc
	s_or_b64 exec, exec, s[0:1]
	s_and_saveexec_b64 s[0:1], s[34:35]
	s_cbranch_execz .LBB22_1391
	s_branch .LBB22_1346
.LBB22_1278:
	s_mov_b64 s[30:31], -1
                                        ; implicit-def: $vgpr3
	s_mov_b64 s[22:23], s[20:21]
	s_branch .LBB22_1343
.LBB22_1279:
	s_mov_b64 s[22:23], s[20:21]
                                        ; implicit-def: $vgpr3
	s_cbranch_execnz .LBB22_1312
	s_branch .LBB22_1342
.LBB22_1280:
	s_mov_b64 s[30:31], -1
	s_mov_b64 s[22:23], s[20:21]
                                        ; implicit-def: $vgpr3
	s_branch .LBB22_1295
.LBB22_1281:
	s_mov_b64 s[30:31], -1
	s_mov_b64 s[22:23], s[20:21]
                                        ; implicit-def: $vgpr3
	s_branch .LBB22_1290
.LBB22_1282:
	s_mov_b64 s[30:31], -1
	s_mov_b64 s[22:23], s[20:21]
	s_branch .LBB22_1284
.LBB22_1283:
	s_mov_b64 s[22:23], -1
.LBB22_1284:
                                        ; implicit-def: $vgpr3
.LBB22_1285:
	s_and_b64 vcc, exec, s[30:31]
	s_cbranch_vccz .LBB22_1289
; %bb.1286:
	s_cmp_eq_u32 s34, 44
	s_cbranch_scc0 .LBB22_1288
; %bb.1287:
	global_load_ubyte v3, v[1:2], off
	s_mov_b32 s22, 0x2f800000
	s_mov_b32 s23, 0xcf800000
	s_mov_b64 s[26:27], -1
	s_waitcnt vmcnt(0)
	v_lshlrev_b32_e32 v4, 23, v3
	v_trunc_f32_e32 v4, v4
	v_mul_f32_e64 v5, |v4|, s22
	v_floor_f32_e32 v5, v5
	v_fma_f32 v5, v5, s23, |v4|
	v_cvt_u32_f32_e32 v5, v5
	v_ashrrev_i32_e32 v4, 31, v4
	v_cmp_ne_u32_e32 vcc, 0, v3
	s_mov_b64 s[22:23], 0
	v_xor_b32_e32 v5, v5, v4
	v_sub_u32_e32 v4, v5, v4
	v_cndmask_b32_e32 v3, 0, v4, vcc
	s_branch .LBB22_1289
.LBB22_1288:
	s_mov_b64 s[22:23], -1
                                        ; implicit-def: $vgpr3
.LBB22_1289:
	s_mov_b64 s[30:31], 0
.LBB22_1290:
	s_and_b64 vcc, exec, s[30:31]
	s_cbranch_vccz .LBB22_1294
; %bb.1291:
	s_cmp_eq_u32 s34, 29
	s_cbranch_scc0 .LBB22_1293
; %bb.1292:
	global_load_dwordx2 v[3:4], v[1:2], off
	s_mov_b64 s[22:23], 0
	s_mov_b64 s[26:27], -1
	s_branch .LBB22_1294
.LBB22_1293:
	s_mov_b64 s[22:23], -1
                                        ; implicit-def: $vgpr3
.LBB22_1294:
	s_mov_b64 s[30:31], 0
.LBB22_1295:
	s_and_b64 vcc, exec, s[30:31]
	s_cbranch_vccz .LBB22_1311
; %bb.1296:
	s_cmp_lt_i32 s34, 27
	s_cbranch_scc1 .LBB22_1299
; %bb.1297:
	s_cmp_gt_i32 s34, 27
	s_cbranch_scc0 .LBB22_1300
; %bb.1298:
	global_load_dword v3, v[1:2], off
	s_mov_b64 s[26:27], 0
	s_branch .LBB22_1301
.LBB22_1299:
	s_mov_b64 s[26:27], -1
                                        ; implicit-def: $vgpr3
	s_branch .LBB22_1304
.LBB22_1300:
	s_mov_b64 s[26:27], -1
                                        ; implicit-def: $vgpr3
.LBB22_1301:
	s_andn2_b64 vcc, exec, s[26:27]
	s_cbranch_vccnz .LBB22_1303
; %bb.1302:
	global_load_ushort v3, v[1:2], off
.LBB22_1303:
	s_mov_b64 s[26:27], 0
.LBB22_1304:
	s_andn2_b64 vcc, exec, s[26:27]
	s_cbranch_vccnz .LBB22_1310
; %bb.1305:
	global_load_ubyte v4, v[1:2], off
	s_movk_i32 s26, 0x7f
	s_mov_b64 s[30:31], 0
	s_waitcnt vmcnt(0)
	v_cmp_lt_i16_e32 vcc, s26, v4
	s_and_saveexec_b64 s[26:27], vcc
	s_xor_b64 s[26:27], exec, s[26:27]
	s_cbranch_execz .LBB22_1321
; %bb.1306:
	s_movk_i32 s30, 0x80
	v_cmp_ne_u16_e32 vcc, s30, v4
	s_and_b64 s[30:31], vcc, exec
	s_andn2_saveexec_b64 s[26:27], s[26:27]
	s_cbranch_execnz .LBB22_1322
.LBB22_1307:
	s_or_b64 exec, exec, s[26:27]
	v_mov_b32_e32 v3, 0
	s_and_saveexec_b64 s[26:27], s[30:31]
	s_cbranch_execz .LBB22_1309
.LBB22_1308:
	v_lshlrev_b32_e32 v3, 24, v4
	v_and_b32_e32 v4, 0xffff, v4
	v_and_b32_e32 v5, 7, v4
	v_ffbh_u32_e32 v7, v5
	v_min_u32_e32 v7, 32, v7
	v_subrev_u32_e32 v8, 28, v7
	v_bfe_u32 v6, v4, 3, 4
	v_lshlrev_b32_e32 v4, v8, v4
	v_sub_u32_e32 v7, 29, v7
	v_and_b32_e32 v4, 7, v4
	v_cmp_eq_u32_e32 vcc, 0, v6
	v_cndmask_b32_e32 v6, v6, v7, vcc
	v_cndmask_b32_e32 v4, v5, v4, vcc
	v_mov_b32_e32 v5, 0x3b800000
	v_lshlrev_b32_e32 v4, 20, v4
	v_and_b32_e32 v3, 0x80000000, v3
	v_lshl_add_u32 v5, v6, 23, v5
	v_or3_b32 v3, v3, v5, v4
	v_trunc_f32_e32 v3, v3
	s_mov_b32 s30, 0x2f800000
	v_mul_f32_e64 v4, |v3|, s30
	v_floor_f32_e32 v4, v4
	s_mov_b32 s30, 0xcf800000
	v_fma_f32 v4, v4, s30, |v3|
	v_cvt_u32_f32_e32 v4, v4
	v_ashrrev_i32_e32 v3, 31, v3
	v_xor_b32_e32 v4, v4, v3
	v_sub_u32_e32 v3, v4, v3
.LBB22_1309:
	s_or_b64 exec, exec, s[26:27]
.LBB22_1310:
	s_mov_b64 s[26:27], -1
.LBB22_1311:
	s_branch .LBB22_1342
.LBB22_1312:
	s_cmp_gt_i32 s34, 22
	s_cbranch_scc0 .LBB22_1320
; %bb.1313:
	s_cmp_lt_i32 s34, 24
	s_cbranch_scc1 .LBB22_1323
; %bb.1314:
	s_cmp_gt_i32 s34, 24
	s_cbranch_scc0 .LBB22_1324
; %bb.1315:
	global_load_ubyte v4, v[1:2], off
	s_movk_i32 s26, 0x7f
	s_waitcnt vmcnt(0)
	v_cmp_lt_i16_e32 vcc, s26, v4
	s_and_saveexec_b64 s[26:27], vcc
	s_xor_b64 s[26:27], exec, s[26:27]
	s_cbranch_execz .LBB22_1336
; %bb.1316:
	s_movk_i32 s28, 0x80
	v_cmp_ne_u16_e32 vcc, s28, v4
	s_and_b64 s[28:29], vcc, exec
	s_andn2_saveexec_b64 s[26:27], s[26:27]
	s_cbranch_execnz .LBB22_1337
.LBB22_1317:
	s_or_b64 exec, exec, s[26:27]
	v_mov_b32_e32 v3, 0
	s_and_saveexec_b64 s[26:27], s[28:29]
	s_cbranch_execz .LBB22_1319
.LBB22_1318:
	v_lshlrev_b32_e32 v3, 24, v4
	v_and_b32_e32 v4, 0xffff, v4
	v_and_b32_e32 v5, 3, v4
	v_ffbh_u32_e32 v7, v5
	v_min_u32_e32 v7, 32, v7
	v_subrev_u32_e32 v8, 29, v7
	v_bfe_u32 v6, v4, 2, 5
	v_lshlrev_b32_e32 v4, v8, v4
	v_sub_u32_e32 v7, 30, v7
	v_and_b32_e32 v4, 3, v4
	v_cmp_eq_u32_e32 vcc, 0, v6
	v_cndmask_b32_e32 v6, v6, v7, vcc
	v_cndmask_b32_e32 v4, v5, v4, vcc
	v_mov_b32_e32 v5, 0x37800000
	v_lshlrev_b32_e32 v4, 21, v4
	v_and_b32_e32 v3, 0x80000000, v3
	v_lshl_add_u32 v5, v6, 23, v5
	v_or3_b32 v3, v3, v5, v4
	v_trunc_f32_e32 v3, v3
	s_mov_b32 s28, 0x2f800000
	v_mul_f32_e64 v4, |v3|, s28
	v_floor_f32_e32 v4, v4
	s_mov_b32 s28, 0xcf800000
	v_fma_f32 v4, v4, s28, |v3|
	v_cvt_u32_f32_e32 v4, v4
	v_ashrrev_i32_e32 v3, 31, v3
	v_xor_b32_e32 v4, v4, v3
	v_sub_u32_e32 v3, v4, v3
.LBB22_1319:
	s_or_b64 exec, exec, s[26:27]
	s_mov_b64 s[26:27], 0
	s_branch .LBB22_1325
.LBB22_1320:
	s_mov_b64 s[28:29], -1
                                        ; implicit-def: $vgpr3
	s_branch .LBB22_1331
.LBB22_1321:
	s_andn2_saveexec_b64 s[26:27], s[26:27]
	s_cbranch_execz .LBB22_1307
.LBB22_1322:
	v_cmp_ne_u16_e32 vcc, 0, v4
	s_andn2_b64 s[30:31], s[30:31], exec
	s_and_b64 s[38:39], vcc, exec
	s_or_b64 s[30:31], s[30:31], s[38:39]
	s_or_b64 exec, exec, s[26:27]
	v_mov_b32_e32 v3, 0
	s_and_saveexec_b64 s[26:27], s[30:31]
	s_cbranch_execnz .LBB22_1308
	s_branch .LBB22_1309
.LBB22_1323:
	s_mov_b64 s[26:27], -1
                                        ; implicit-def: $vgpr3
	s_branch .LBB22_1328
.LBB22_1324:
	s_mov_b64 s[26:27], -1
                                        ; implicit-def: $vgpr3
.LBB22_1325:
	s_and_b64 vcc, exec, s[26:27]
	s_cbranch_vccz .LBB22_1327
; %bb.1326:
	global_load_ubyte v3, v[1:2], off
	s_mov_b32 s26, 0x7f800000
	s_brev_b32 s27, 1
	s_mov_b32 s28, 0x2f800000
	s_waitcnt vmcnt(0)
	v_lshlrev_b32_e32 v3, 24, v3
	v_and_b32_e32 v4, 0x7f000000, v3
	v_ffbh_u32_e32 v5, v4
	v_min_u32_e32 v5, 32, v5
	v_sub_u32_e64 v5, v5, 4 clamp
	v_lshlrev_b32_e32 v7, v5, v4
	v_lshlrev_b32_e32 v5, 23, v5
	v_lshrrev_b32_e32 v7, 4, v7
	v_add_u32_e32 v6, 0x1000000, v4
	v_sub_u32_e32 v5, v7, v5
	v_ashrrev_i32_e32 v6, 8, v6
	v_add_u32_e32 v5, 0x3c000000, v5
	v_and_or_b32 v5, v6, s26, v5
	v_cmp_ne_u32_e32 vcc, 0, v4
	v_cndmask_b32_e32 v4, 0, v5, vcc
	v_and_or_b32 v3, v3, s27, v4
	v_trunc_f32_e32 v3, v3
	v_mul_f32_e64 v4, |v3|, s28
	v_floor_f32_e32 v4, v4
	s_mov_b32 s26, 0xcf800000
	v_fma_f32 v4, v4, s26, |v3|
	v_cvt_u32_f32_e32 v4, v4
	v_ashrrev_i32_e32 v3, 31, v3
	v_xor_b32_e32 v4, v4, v3
	v_sub_u32_e32 v3, v4, v3
.LBB22_1327:
	s_mov_b64 s[26:27], 0
.LBB22_1328:
	s_andn2_b64 vcc, exec, s[26:27]
	s_cbranch_vccnz .LBB22_1330
; %bb.1329:
	global_load_ubyte v3, v[1:2], off
	s_movk_i32 s26, 0x7f00
	s_brev_b32 s27, 16
	s_brev_b32 s28, 1
	s_mov_b32 s29, 0x2f800000
	s_waitcnt vmcnt(0)
	v_lshlrev_b16_e32 v4, 8, v3
	v_lshlrev_b32_e32 v3, 25, v3
	v_lshrrev_b32_e32 v5, 4, v3
	v_and_or_b32 v6, v4, s26, 0.5
	v_or_b32_e32 v5, 0x70000000, v5
	v_add_f32_e32 v6, -0.5, v6
	v_mul_f32_e32 v5, 0x7800000, v5
	v_cmp_gt_u32_e32 vcc, s27, v3
	v_bfe_i32 v4, v4, 0, 16
	v_cndmask_b32_e32 v3, v5, v6, vcc
	v_and_or_b32 v3, v4, s28, v3
	v_trunc_f32_e32 v3, v3
	v_mul_f32_e64 v4, |v3|, s29
	v_floor_f32_e32 v4, v4
	s_mov_b32 s26, 0xcf800000
	v_fma_f32 v4, v4, s26, |v3|
	v_cvt_u32_f32_e32 v4, v4
	v_ashrrev_i32_e32 v3, 31, v3
	v_xor_b32_e32 v4, v4, v3
	v_sub_u32_e32 v3, v4, v3
.LBB22_1330:
	s_mov_b64 s[28:29], 0
	s_mov_b64 s[26:27], -1
.LBB22_1331:
	s_andn2_b64 vcc, exec, s[28:29]
	s_mov_b64 s[28:29], 0
	s_cbranch_vccnz .LBB22_1342
; %bb.1332:
	s_cmp_gt_i32 s34, 14
	s_cbranch_scc0 .LBB22_1335
; %bb.1333:
	s_cmp_eq_u32 s34, 15
	s_cbranch_scc0 .LBB22_1338
; %bb.1334:
	global_load_ushort v3, v[1:2], off
	s_mov_b32 s22, 0x2f800000
	s_mov_b32 s23, 0xcf800000
	s_mov_b64 s[26:27], -1
	s_waitcnt vmcnt(0)
	v_lshlrev_b32_e32 v3, 16, v3
	v_trunc_f32_e32 v3, v3
	v_mul_f32_e64 v4, |v3|, s22
	v_floor_f32_e32 v4, v4
	v_fma_f32 v4, v4, s23, |v3|
	v_cvt_u32_f32_e32 v4, v4
	v_ashrrev_i32_e32 v3, 31, v3
	s_mov_b64 s[22:23], 0
	v_xor_b32_e32 v4, v4, v3
	v_sub_u32_e32 v3, v4, v3
	s_branch .LBB22_1339
.LBB22_1335:
	s_mov_b64 s[30:31], -1
                                        ; implicit-def: $vgpr3
	s_branch .LBB22_1340
.LBB22_1336:
	s_andn2_saveexec_b64 s[26:27], s[26:27]
	s_cbranch_execz .LBB22_1317
.LBB22_1337:
	v_cmp_ne_u16_e32 vcc, 0, v4
	s_andn2_b64 s[28:29], s[28:29], exec
	s_and_b64 s[30:31], vcc, exec
	s_or_b64 s[28:29], s[28:29], s[30:31]
	s_or_b64 exec, exec, s[26:27]
	v_mov_b32_e32 v3, 0
	s_and_saveexec_b64 s[26:27], s[28:29]
	s_cbranch_execnz .LBB22_1318
	s_branch .LBB22_1319
.LBB22_1338:
	s_mov_b64 s[22:23], -1
                                        ; implicit-def: $vgpr3
.LBB22_1339:
	s_mov_b64 s[30:31], 0
.LBB22_1340:
	s_and_b64 vcc, exec, s[30:31]
	s_cbranch_vccz .LBB22_1342
; %bb.1341:
	s_cmp_lg_u32 s34, 11
	s_cselect_b64 s[30:31], -1, 0
	s_andn2_b64 s[22:23], s[22:23], exec
	s_and_b64 s[30:31], s[30:31], exec
	s_mov_b64 s[28:29], -1
	s_or_b64 s[22:23], s[22:23], s[30:31]
.LBB22_1342:
	s_mov_b64 s[30:31], 0
.LBB22_1343:
	s_andn2_b64 s[20:21], s[20:21], exec
	s_and_b64 s[22:23], s[22:23], exec
	s_and_b64 s[26:27], s[26:27], exec
	;; [unrolled: 1-line block ×4, first 2 shown]
	s_or_b64 s[20:21], s[20:21], s[22:23]
	s_or_b64 exec, exec, s[0:1]
	s_and_saveexec_b64 s[0:1], s[20:21]
	s_cbranch_execz .LBB22_1276
.LBB22_1344:
	s_or_b64 s[24:25], s[24:25], exec
	s_andn2_b64 s[28:29], s[28:29], exec
	s_trap 2
	s_or_b64 exec, exec, s[0:1]
	s_and_saveexec_b64 s[0:1], s[28:29]
	s_xor_b64 s[0:1], exec, s[0:1]
	s_cbranch_execnz .LBB22_1277
.LBB22_1345:
	s_or_b64 exec, exec, s[0:1]
	s_and_saveexec_b64 s[0:1], s[34:35]
	s_cbranch_execz .LBB22_1391
.LBB22_1346:
	s_sext_i32_i16 s20, s36
	s_cmp_lt_i32 s20, 5
	s_cbranch_scc1 .LBB22_1351
; %bb.1347:
	s_cmp_lt_i32 s20, 8
	s_cbranch_scc1 .LBB22_1352
; %bb.1348:
	;; [unrolled: 3-line block ×3, first 2 shown]
	s_cmp_gt_i32 s20, 9
	s_cbranch_scc0 .LBB22_1354
; %bb.1350:
	s_waitcnt vmcnt(0)
	global_load_dwordx2 v[3:4], v[1:2], off
	s_movk_i32 s20, 0xffe0
	s_waitcnt vmcnt(0)
	v_trunc_f64_e32 v[3:4], v[3:4]
	v_ldexp_f64 v[5:6], v[3:4], s20
	s_mov_b32 s20, 0
	s_mov_b32 s21, 0xc1f00000
	v_floor_f64_e32 v[5:6], v[5:6]
	v_fma_f64 v[3:4], v[5:6], s[20:21], v[3:4]
	s_mov_b64 s[20:21], 0
	v_cvt_u32_f64_e32 v3, v[3:4]
	s_branch .LBB22_1355
.LBB22_1351:
                                        ; implicit-def: $vgpr3
	s_branch .LBB22_1372
.LBB22_1352:
                                        ; implicit-def: $vgpr3
	s_branch .LBB22_1361
.LBB22_1353:
	s_mov_b64 s[20:21], -1
                                        ; implicit-def: $vgpr3
	s_branch .LBB22_1358
.LBB22_1354:
	s_mov_b64 s[20:21], -1
                                        ; implicit-def: $vgpr3
.LBB22_1355:
	s_andn2_b64 vcc, exec, s[20:21]
	s_cbranch_vccnz .LBB22_1357
; %bb.1356:
	s_waitcnt vmcnt(0)
	global_load_dword v3, v[1:2], off
	s_mov_b32 s20, 0x2f800000
	s_waitcnt vmcnt(0)
	v_trunc_f32_e32 v3, v3
	v_mul_f32_e64 v4, |v3|, s20
	v_floor_f32_e32 v4, v4
	s_mov_b32 s20, 0xcf800000
	v_fma_f32 v4, v4, s20, |v3|
	v_cvt_u32_f32_e32 v4, v4
	v_ashrrev_i32_e32 v3, 31, v3
	v_xor_b32_e32 v4, v4, v3
	v_sub_u32_e32 v3, v4, v3
.LBB22_1357:
	s_mov_b64 s[20:21], 0
.LBB22_1358:
	s_andn2_b64 vcc, exec, s[20:21]
	s_cbranch_vccnz .LBB22_1360
; %bb.1359:
	s_waitcnt vmcnt(0)
	global_load_dword v3, v[1:2], off
	s_waitcnt vmcnt(0)
	v_cvt_f32_f16_e32 v3, v3
	v_cvt_i32_f32_e32 v3, v3
.LBB22_1360:
	s_cbranch_execnz .LBB22_1371
.LBB22_1361:
	s_sext_i32_i16 s20, s36
	s_cmp_lt_i32 s20, 6
	s_cbranch_scc1 .LBB22_1364
; %bb.1362:
	s_cmp_gt_i32 s20, 6
	s_cbranch_scc0 .LBB22_1365
; %bb.1363:
	s_waitcnt vmcnt(0)
	global_load_dwordx2 v[3:4], v[1:2], off
	s_movk_i32 s20, 0xffe0
	s_waitcnt vmcnt(0)
	v_trunc_f64_e32 v[3:4], v[3:4]
	v_ldexp_f64 v[5:6], v[3:4], s20
	s_mov_b32 s20, 0
	s_mov_b32 s21, 0xc1f00000
	v_floor_f64_e32 v[5:6], v[5:6]
	v_fma_f64 v[3:4], v[5:6], s[20:21], v[3:4]
	s_mov_b64 s[20:21], 0
	v_cvt_u32_f64_e32 v3, v[3:4]
	s_branch .LBB22_1366
.LBB22_1364:
	s_mov_b64 s[20:21], -1
                                        ; implicit-def: $vgpr3
	s_branch .LBB22_1369
.LBB22_1365:
	s_mov_b64 s[20:21], -1
                                        ; implicit-def: $vgpr3
.LBB22_1366:
	s_andn2_b64 vcc, exec, s[20:21]
	s_cbranch_vccnz .LBB22_1368
; %bb.1367:
	s_waitcnt vmcnt(0)
	global_load_dword v3, v[1:2], off
	s_mov_b32 s20, 0x2f800000
	s_waitcnt vmcnt(0)
	v_trunc_f32_e32 v3, v3
	v_mul_f32_e64 v4, |v3|, s20
	v_floor_f32_e32 v4, v4
	s_mov_b32 s20, 0xcf800000
	v_fma_f32 v4, v4, s20, |v3|
	v_cvt_u32_f32_e32 v4, v4
	v_ashrrev_i32_e32 v3, 31, v3
	v_xor_b32_e32 v4, v4, v3
	v_sub_u32_e32 v3, v4, v3
.LBB22_1368:
	s_mov_b64 s[20:21], 0
.LBB22_1369:
	s_andn2_b64 vcc, exec, s[20:21]
	s_cbranch_vccnz .LBB22_1371
; %bb.1370:
	s_waitcnt vmcnt(0)
	global_load_ushort v3, v[1:2], off
	s_waitcnt vmcnt(0)
	v_cvt_f32_f16_e32 v3, v3
	v_cvt_i32_f32_e32 v3, v3
.LBB22_1371:
	s_cbranch_execnz .LBB22_1390
.LBB22_1372:
	s_sext_i32_i16 s20, s36
	s_cmp_lt_i32 s20, 2
	s_cbranch_scc1 .LBB22_1376
; %bb.1373:
	s_cmp_lt_i32 s20, 3
	s_cbranch_scc1 .LBB22_1377
; %bb.1374:
	s_cmp_gt_i32 s20, 3
	s_cbranch_scc0 .LBB22_1378
; %bb.1375:
	s_waitcnt vmcnt(0)
	global_load_dwordx2 v[3:4], v[1:2], off
	s_mov_b64 s[20:21], 0
	s_branch .LBB22_1379
.LBB22_1376:
                                        ; implicit-def: $vgpr3
	s_branch .LBB22_1385
.LBB22_1377:
	s_mov_b64 s[20:21], -1
                                        ; implicit-def: $vgpr3
	s_branch .LBB22_1382
.LBB22_1378:
	s_mov_b64 s[20:21], -1
                                        ; implicit-def: $vgpr3
.LBB22_1379:
	s_andn2_b64 vcc, exec, s[20:21]
	s_cbranch_vccnz .LBB22_1381
; %bb.1380:
	s_waitcnt vmcnt(0)
	global_load_dword v3, v[1:2], off
.LBB22_1381:
	s_mov_b64 s[20:21], 0
.LBB22_1382:
	s_andn2_b64 vcc, exec, s[20:21]
	s_cbranch_vccnz .LBB22_1384
; %bb.1383:
	s_waitcnt vmcnt(0)
	global_load_ushort v3, v[1:2], off
.LBB22_1384:
	s_cbranch_execnz .LBB22_1390
.LBB22_1385:
	s_sext_i32_i16 s20, s36
	s_cmp_gt_i32 s20, 0
	s_cbranch_scc0 .LBB22_1387
; %bb.1386:
	s_waitcnt vmcnt(0)
	global_load_ubyte v3, v[1:2], off
	s_mov_b64 s[20:21], 0
	s_branch .LBB22_1388
.LBB22_1387:
	s_mov_b64 s[20:21], -1
                                        ; implicit-def: $vgpr3
.LBB22_1388:
	s_andn2_b64 vcc, exec, s[20:21]
	s_cbranch_vccnz .LBB22_1390
; %bb.1389:
	s_waitcnt vmcnt(0)
	global_load_ubyte v3, v[1:2], off
.LBB22_1390:
	s_or_b64 s[26:27], s[26:27], exec
.LBB22_1391:
	s_or_b64 exec, exec, s[0:1]
	s_mov_b64 s[28:29], 0
	s_mov_b64 s[22:23], 0
                                        ; implicit-def: $sgpr34
                                        ; implicit-def: $vgpr1_vgpr2
                                        ; implicit-def: $vgpr4
	s_and_saveexec_b64 s[20:21], s[26:27]
	s_cbranch_execz .LBB22_1466
; %bb.1392:
	s_waitcnt vmcnt(0)
	v_mul_lo_u32 v1, v11, s12
	s_and_b32 s0, s2, 0xff
	v_mov_b32_e32 v2, s33
	v_cmp_gt_u16_sdwa vcc, v0, s0 src0_sel:BYTE_0 src1_sel:DWORD
	v_cndmask_b32_e32 v4, v2, v3, vcc
	v_ashrrev_i32_e32 v0, 31, v1
	v_mov_b32_e32 v2, s9
	s_and_b32 s34, s3, 0xff
	v_add_co_u32_e32 v1, vcc, s8, v1
	s_cmp_lt_i32 s34, 11
	v_addc_co_u32_e32 v2, vcc, v2, v0, vcc
	s_cbranch_scc1 .LBB22_1469
; %bb.1393:
	s_and_b32 s35, 0xffff, s34
	s_mov_b64 s[26:27], -1
	s_cmp_gt_i32 s35, 25
	s_mov_b64 s[0:1], s[18:19]
	s_cbranch_scc0 .LBB22_1426
; %bb.1394:
	s_mov_b64 s[22:23], -1
	s_cmp_gt_i32 s35, 28
	s_mov_b64 s[0:1], s[18:19]
	s_cbranch_scc0 .LBB22_1410
; %bb.1395:
	s_cmp_gt_i32 s35, 43
	s_mov_b64 s[0:1], s[18:19]
	s_cbranch_scc0 .LBB22_1406
; %bb.1396:
	;; [unrolled: 4-line block ×3, first 2 shown]
	s_cmp_eq_u32 s35, 46
	s_mov_b64 s[0:1], -1
	s_cbranch_scc0 .LBB22_1399
; %bb.1398:
	v_cvt_f32_ubyte0_e32 v0, v4
	v_bfe_u32 v3, v0, 16, 1
	s_movk_i32 s0, 0x7fff
	v_add3_u32 v0, v0, v3, s0
	v_lshrrev_b32_e32 v0, 16, v0
	global_store_dword v[1:2], v0, off
	s_mov_b64 s[0:1], 0
.LBB22_1399:
	s_mov_b64 s[22:23], 0
.LBB22_1400:
	s_and_b64 vcc, exec, s[22:23]
	s_cbranch_vccz .LBB22_1405
; %bb.1401:
	s_cmp_eq_u32 s35, 44
	s_mov_b64 s[0:1], -1
	s_cbranch_scc0 .LBB22_1405
; %bb.1402:
	v_cvt_f32_ubyte0_e32 v3, v4
	v_lshrrev_b32_e32 v0, 23, v3
	s_movk_i32 s0, 0xff
	v_cmp_ne_u32_e32 vcc, s0, v0
	v_mov_b32_e32 v5, 0xff
	s_and_saveexec_b64 s[22:23], vcc
; %bb.1403:
	s_mov_b32 s0, 0x3fffff
	v_and_b32_e32 v5, 0x400000, v3
	v_and_or_b32 v3, v3, s0, v0
	v_cmp_ne_u32_e32 vcc, 0, v5
	v_cmp_ne_u32_e64 s[0:1], 0, v3
	s_and_b64 s[0:1], vcc, s[0:1]
	v_cndmask_b32_e64 v3, 0, 1, s[0:1]
	v_add_u32_e32 v5, v0, v3
; %bb.1404:
	s_or_b64 exec, exec, s[22:23]
	s_mov_b64 s[0:1], 0
	global_store_byte v[1:2], v5, off
.LBB22_1405:
	s_mov_b64 s[22:23], 0
.LBB22_1406:
	s_and_b64 vcc, exec, s[22:23]
	s_cbranch_vccz .LBB22_1409
; %bb.1407:
	s_cmp_eq_u32 s35, 29
	s_mov_b64 s[0:1], -1
	s_cbranch_scc0 .LBB22_1409
; %bb.1408:
	v_and_b32_e32 v5, 0xff, v4
	v_mov_b32_e32 v6, 0
	global_store_dwordx2 v[1:2], v[5:6], off
	s_mov_b64 s[0:1], 0
.LBB22_1409:
	s_mov_b64 s[22:23], 0
.LBB22_1410:
	s_and_b64 vcc, exec, s[22:23]
	s_cbranch_vccz .LBB22_1425
; %bb.1411:
	s_cmp_lt_i32 s35, 27
	s_mov_b64 s[22:23], -1
	s_cbranch_scc1 .LBB22_1417
; %bb.1412:
	s_cmp_gt_i32 s35, 27
	s_cbranch_scc0 .LBB22_1414
; %bb.1413:
	v_and_b32_e32 v0, 0xff, v4
	s_mov_b64 s[22:23], 0
	global_store_dword v[1:2], v0, off
.LBB22_1414:
	s_andn2_b64 vcc, exec, s[22:23]
	s_cbranch_vccnz .LBB22_1416
; %bb.1415:
	v_and_b32_e32 v0, 0xff, v4
	global_store_short v[1:2], v0, off
.LBB22_1416:
	s_mov_b64 s[22:23], 0
.LBB22_1417:
	s_andn2_b64 vcc, exec, s[22:23]
	s_cbranch_vccnz .LBB22_1425
; %bb.1418:
	v_cvt_f32_ubyte0_e32 v3, v4
	s_mov_b32 s22, 0x43800000
	v_cmp_gt_u32_e32 vcc, s22, v3
	v_mov_b32_e32 v5, 0x80
	s_and_saveexec_b64 s[22:23], vcc
	s_cbranch_execz .LBB22_1424
; %bb.1419:
	s_mov_b32 s26, 0x3bffffff
	v_cmp_lt_u32_e32 vcc, s26, v3
	s_mov_b64 s[26:27], 0
                                        ; implicit-def: $vgpr0
	s_and_saveexec_b64 s[28:29], vcc
	s_xor_b64 s[28:29], exec, s[28:29]
	s_cbranch_execz .LBB22_1526
; %bb.1420:
	v_bfe_u32 v0, v3, 20, 1
	s_mov_b32 s30, 0x487ffff
	v_add3_u32 v0, v3, v0, s30
	s_mov_b64 s[26:27], exec
	v_lshrrev_b32_e32 v0, 20, v0
                                        ; implicit-def: $vgpr3
	s_andn2_saveexec_b64 s[28:29], s[28:29]
	s_cbranch_execnz .LBB22_1527
.LBB22_1421:
	s_or_b64 exec, exec, s[28:29]
	v_mov_b32_e32 v5, 0
	s_and_saveexec_b64 s[28:29], s[26:27]
.LBB22_1422:
	v_mov_b32_e32 v5, v0
.LBB22_1423:
	s_or_b64 exec, exec, s[28:29]
.LBB22_1424:
	s_or_b64 exec, exec, s[22:23]
	global_store_byte v[1:2], v5, off
.LBB22_1425:
	s_mov_b64 s[26:27], 0
.LBB22_1426:
	s_mov_b64 s[22:23], 0
	s_and_b64 vcc, exec, s[26:27]
	s_cbranch_vccz .LBB22_1470
; %bb.1427:
	s_cmp_gt_i32 s35, 22
	s_mov_b64 s[26:27], -1
	s_cbranch_scc0 .LBB22_1459
; %bb.1428:
	s_cmp_lt_i32 s35, 24
	s_cbranch_scc1 .LBB22_1448
; %bb.1429:
	s_cmp_gt_i32 s35, 24
	s_cbranch_scc0 .LBB22_1437
; %bb.1430:
	v_cvt_f32_ubyte0_e32 v3, v4
	s_mov_b32 s26, 0x47800000
	v_cmp_gt_u32_e32 vcc, s26, v3
	v_mov_b32_e32 v5, 0x80
	s_and_saveexec_b64 s[26:27], vcc
	s_cbranch_execz .LBB22_1436
; %bb.1431:
	s_mov_b32 s28, 0x37ffffff
	v_cmp_lt_u32_e32 vcc, s28, v3
	s_mov_b64 s[28:29], 0
                                        ; implicit-def: $vgpr0
	s_and_saveexec_b64 s[30:31], vcc
	s_xor_b64 s[30:31], exec, s[30:31]
	s_cbranch_execz .LBB22_1646
; %bb.1432:
	v_bfe_u32 v0, v3, 21, 1
	s_mov_b32 s36, 0x88fffff
	v_add3_u32 v0, v3, v0, s36
	s_mov_b64 s[28:29], exec
	v_lshrrev_b32_e32 v0, 21, v0
                                        ; implicit-def: $vgpr3
	s_andn2_saveexec_b64 s[30:31], s[30:31]
	s_cbranch_execnz .LBB22_1647
.LBB22_1433:
	s_or_b64 exec, exec, s[30:31]
	v_mov_b32_e32 v5, 0
	s_and_saveexec_b64 s[30:31], s[28:29]
.LBB22_1434:
	v_mov_b32_e32 v5, v0
.LBB22_1435:
	s_or_b64 exec, exec, s[30:31]
.LBB22_1436:
	s_or_b64 exec, exec, s[26:27]
	s_mov_b64 s[26:27], 0
	global_store_byte v[1:2], v5, off
.LBB22_1437:
	s_and_b64 vcc, exec, s[26:27]
	s_cbranch_vccz .LBB22_1447
; %bb.1438:
	v_cvt_f32_ubyte0_e32 v0, v4
	s_mov_b32 s26, 0x43f00000
	v_cmp_gt_u32_e32 vcc, s26, v0
                                        ; implicit-def: $vgpr3
	s_and_saveexec_b64 s[26:27], vcc
	s_xor_b64 s[26:27], exec, s[26:27]
	s_cbranch_execz .LBB22_1444
; %bb.1439:
	s_mov_b32 s28, 0x3c7fffff
	v_cmp_lt_u32_e32 vcc, s28, v0
                                        ; implicit-def: $vgpr3
	s_and_saveexec_b64 s[28:29], vcc
	s_xor_b64 s[28:29], exec, s[28:29]
; %bb.1440:
	v_bfe_u32 v3, v0, 20, 1
	s_mov_b32 s30, 0x407ffff
	v_add3_u32 v0, v0, v3, s30
	v_lshrrev_b32_e32 v3, 20, v0
	v_and_b32_e32 v0, 0xff00000, v0
	s_mov_b32 s30, 0x7f00000
	v_mov_b32_e32 v5, 0x7e
	v_cmp_ne_u32_e32 vcc, s30, v0
	v_cndmask_b32_e32 v3, v5, v3, vcc
                                        ; implicit-def: $vgpr0
; %bb.1441:
	s_andn2_saveexec_b64 s[28:29], s[28:29]
; %bb.1442:
	v_add_f32_e32 v3, 0x46800000, v0
; %bb.1443:
	s_or_b64 exec, exec, s[28:29]
                                        ; implicit-def: $vgpr0
.LBB22_1444:
	s_andn2_saveexec_b64 s[26:27], s[26:27]
; %bb.1445:
	s_mov_b32 s28, 0x7f800000
	v_mov_b32_e32 v3, 0x7e
	v_mov_b32_e32 v5, 0x7f
	v_cmp_lt_u32_e32 vcc, s28, v0
	v_cndmask_b32_e32 v3, v3, v5, vcc
; %bb.1446:
	s_or_b64 exec, exec, s[26:27]
	global_store_byte v[1:2], v3, off
.LBB22_1447:
	s_mov_b64 s[26:27], 0
.LBB22_1448:
	s_andn2_b64 vcc, exec, s[26:27]
	s_cbranch_vccnz .LBB22_1458
; %bb.1449:
	v_cvt_f32_ubyte0_e32 v0, v4
	s_mov_b32 s26, 0x47800000
	v_cmp_gt_u32_e32 vcc, s26, v0
                                        ; implicit-def: $vgpr3
	s_and_saveexec_b64 s[26:27], vcc
	s_xor_b64 s[26:27], exec, s[26:27]
	s_cbranch_execz .LBB22_1455
; %bb.1450:
	s_mov_b32 s28, 0x387fffff
	v_cmp_lt_u32_e32 vcc, s28, v0
                                        ; implicit-def: $vgpr3
	s_and_saveexec_b64 s[28:29], vcc
	s_xor_b64 s[28:29], exec, s[28:29]
; %bb.1451:
	v_bfe_u32 v3, v0, 21, 1
	s_mov_b32 s30, 0x80fffff
	v_add3_u32 v0, v0, v3, s30
	v_lshrrev_b32_e32 v3, 21, v0
                                        ; implicit-def: $vgpr0
; %bb.1452:
	s_andn2_saveexec_b64 s[28:29], s[28:29]
; %bb.1453:
	v_add_f32_e32 v3, 0x43000000, v0
; %bb.1454:
	s_or_b64 exec, exec, s[28:29]
                                        ; implicit-def: $vgpr0
.LBB22_1455:
	s_andn2_saveexec_b64 s[26:27], s[26:27]
; %bb.1456:
	s_mov_b32 s28, 0x7f800000
	v_mov_b32_e32 v3, 0x7c
	v_mov_b32_e32 v5, 0x7f
	v_cmp_lt_u32_e32 vcc, s28, v0
	v_cndmask_b32_e32 v3, v3, v5, vcc
; %bb.1457:
	s_or_b64 exec, exec, s[26:27]
	global_store_byte v[1:2], v3, off
.LBB22_1458:
	s_mov_b64 s[26:27], 0
.LBB22_1459:
	s_andn2_b64 vcc, exec, s[26:27]
	s_mov_b64 s[26:27], 0
	s_cbranch_vccnz .LBB22_1471
; %bb.1460:
	s_cmp_gt_i32 s35, 14
	s_mov_b64 s[28:29], -1
	s_cbranch_scc0 .LBB22_1464
; %bb.1461:
	s_cmp_eq_u32 s35, 15
	s_mov_b64 s[0:1], -1
	s_cbranch_scc0 .LBB22_1463
; %bb.1462:
	v_cvt_f32_ubyte0_e32 v0, v4
	v_bfe_u32 v3, v0, 16, 1
	s_movk_i32 s0, 0x7fff
	v_add3_u32 v0, v0, v3, s0
	global_store_short_d16_hi v[1:2], v0, off
	s_mov_b64 s[0:1], 0
.LBB22_1463:
	s_mov_b64 s[28:29], 0
.LBB22_1464:
	s_and_b64 vcc, exec, s[28:29]
	s_cbranch_vccz .LBB22_1471
; %bb.1465:
	s_cmp_lg_u32 s35, 11
	s_cselect_b64 s[28:29], -1, 0
	s_andn2_b64 s[0:1], s[0:1], exec
	s_and_b64 s[28:29], s[28:29], exec
	s_mov_b64 s[26:27], -1
	s_or_b64 s[0:1], s[0:1], s[28:29]
	s_branch .LBB22_1471
.LBB22_1466:
	s_or_b64 exec, exec, s[20:21]
	s_and_saveexec_b64 s[0:1], s[18:19]
	s_cbranch_execnz .LBB22_1472
.LBB22_1467:
	s_or_b64 exec, exec, s[0:1]
	s_and_saveexec_b64 s[0:1], s[28:29]
	s_xor_b64 s[0:1], exec, s[0:1]
	s_cbranch_execz .LBB22_1473
.LBB22_1468:
	s_waitcnt vmcnt(0)
	v_mov_b32_e32 v0, 0
	v_cmp_ne_u16_sdwa s[18:19], v4, v0 src0_sel:BYTE_0 src1_sel:DWORD
	v_cndmask_b32_e64 v0, 0, 1, s[18:19]
	global_store_byte v[1:2], v0, off
	s_or_b64 exec, exec, s[0:1]
	s_and_saveexec_b64 s[0:1], s[22:23]
	s_xor_b64 s[0:1], exec, s[0:1]
	s_cbranch_execz .LBB22_1511
	s_branch .LBB22_1474
.LBB22_1469:
	s_mov_b64 s[26:27], 0
	s_mov_b64 s[22:23], -1
	s_mov_b64 s[0:1], s[18:19]
	s_branch .LBB22_1471
.LBB22_1470:
	s_mov_b64 s[26:27], 0
.LBB22_1471:
	s_andn2_b64 s[18:19], s[18:19], exec
	s_and_b64 s[0:1], s[0:1], exec
	s_and_b64 s[22:23], s[22:23], exec
	;; [unrolled: 1-line block ×3, first 2 shown]
	s_or_b64 s[18:19], s[18:19], s[0:1]
	s_or_b64 exec, exec, s[20:21]
	s_and_saveexec_b64 s[0:1], s[18:19]
	s_cbranch_execz .LBB22_1467
.LBB22_1472:
	s_or_b64 s[24:25], s[24:25], exec
	s_andn2_b64 s[28:29], s[28:29], exec
	s_trap 2
	s_or_b64 exec, exec, s[0:1]
	s_and_saveexec_b64 s[0:1], s[28:29]
	s_xor_b64 s[0:1], exec, s[0:1]
	s_cbranch_execnz .LBB22_1468
.LBB22_1473:
	s_or_b64 exec, exec, s[0:1]
	s_and_saveexec_b64 s[0:1], s[22:23]
	s_xor_b64 s[0:1], exec, s[0:1]
	s_cbranch_execz .LBB22_1511
.LBB22_1474:
	s_sext_i32_i16 s20, s34
	s_cmp_lt_i32 s20, 5
	s_mov_b64 s[18:19], -1
	s_cbranch_scc1 .LBB22_1495
; %bb.1475:
	s_cmp_lt_i32 s20, 8
	s_cbranch_scc1 .LBB22_1485
; %bb.1476:
	s_cmp_lt_i32 s20, 9
	s_cbranch_scc1 .LBB22_1482
; %bb.1477:
	s_cmp_gt_i32 s20, 9
	s_cbranch_scc0 .LBB22_1479
; %bb.1478:
	s_mov_b32 s18, 0xffff
	s_waitcnt vmcnt(0)
	v_and_b32_sdwa v0, s18, v4 dst_sel:DWORD dst_unused:UNUSED_PAD src0_sel:DWORD src1_sel:BYTE_0
	v_cvt_f64_u32_e32 v[5:6], v0
	v_mov_b32_e32 v7, 0
	v_mov_b32_e32 v8, v7
	s_mov_b64 s[18:19], 0
	global_store_dwordx4 v[1:2], v[5:8], off
.LBB22_1479:
	s_andn2_b64 vcc, exec, s[18:19]
	s_cbranch_vccnz .LBB22_1481
; %bb.1480:
	s_waitcnt vmcnt(0)
	v_cvt_f32_ubyte0_e32 v5, v4
	v_mov_b32_e32 v6, 0
	global_store_dwordx2 v[1:2], v[5:6], off
.LBB22_1481:
	s_mov_b64 s[18:19], 0
.LBB22_1482:
	s_andn2_b64 vcc, exec, s[18:19]
	s_cbranch_vccnz .LBB22_1484
; %bb.1483:
	s_waitcnt vmcnt(0)
	v_cvt_f16_u16_sdwa v0, v4 dst_sel:DWORD dst_unused:UNUSED_PAD src0_sel:BYTE_0
	global_store_dword v[1:2], v0, off
.LBB22_1484:
	s_mov_b64 s[18:19], 0
.LBB22_1485:
	s_andn2_b64 vcc, exec, s[18:19]
	s_cbranch_vccnz .LBB22_1494
; %bb.1486:
	s_sext_i32_i16 s20, s34
	s_cmp_lt_i32 s20, 6
	s_mov_b64 s[18:19], -1
	s_cbranch_scc1 .LBB22_1492
; %bb.1487:
	s_cmp_gt_i32 s20, 6
	s_cbranch_scc0 .LBB22_1489
; %bb.1488:
	s_mov_b32 s18, 0xffff
	s_waitcnt vmcnt(0)
	v_and_b32_sdwa v0, s18, v4 dst_sel:DWORD dst_unused:UNUSED_PAD src0_sel:DWORD src1_sel:BYTE_0
	v_cvt_f64_u32_e32 v[5:6], v0
	s_mov_b64 s[18:19], 0
	global_store_dwordx2 v[1:2], v[5:6], off
.LBB22_1489:
	s_andn2_b64 vcc, exec, s[18:19]
	s_cbranch_vccnz .LBB22_1491
; %bb.1490:
	s_waitcnt vmcnt(0)
	v_cvt_f32_ubyte0_e32 v0, v4
	global_store_dword v[1:2], v0, off
.LBB22_1491:
	s_mov_b64 s[18:19], 0
.LBB22_1492:
	s_andn2_b64 vcc, exec, s[18:19]
	s_cbranch_vccnz .LBB22_1494
; %bb.1493:
	s_waitcnt vmcnt(0)
	v_cvt_f16_u16_sdwa v0, v4 dst_sel:DWORD dst_unused:UNUSED_PAD src0_sel:BYTE_0
	global_store_short v[1:2], v0, off
.LBB22_1494:
	s_mov_b64 s[18:19], 0
.LBB22_1495:
	s_andn2_b64 vcc, exec, s[18:19]
	s_cbranch_vccnz .LBB22_1511
; %bb.1496:
	s_sext_i32_i16 s20, s34
	s_cmp_lt_i32 s20, 2
	s_mov_b64 s[18:19], -1
	s_cbranch_scc1 .LBB22_1506
; %bb.1497:
	s_cmp_lt_i32 s20, 3
	s_cbranch_scc1 .LBB22_1503
; %bb.1498:
	s_cmp_gt_i32 s20, 3
	s_cbranch_scc0 .LBB22_1500
; %bb.1499:
	s_waitcnt vmcnt(0)
	v_and_b32_e32 v5, 0xff, v4
	v_mov_b32_e32 v6, 0
	s_mov_b64 s[18:19], 0
	global_store_dwordx2 v[1:2], v[5:6], off
.LBB22_1500:
	s_andn2_b64 vcc, exec, s[18:19]
	s_cbranch_vccnz .LBB22_1502
; %bb.1501:
	s_waitcnt vmcnt(0)
	v_and_b32_e32 v0, 0xff, v4
	global_store_dword v[1:2], v0, off
.LBB22_1502:
	s_mov_b64 s[18:19], 0
.LBB22_1503:
	s_andn2_b64 vcc, exec, s[18:19]
	s_cbranch_vccnz .LBB22_1505
; %bb.1504:
	s_waitcnt vmcnt(0)
	v_and_b32_e32 v0, 0xff, v4
	global_store_short v[1:2], v0, off
.LBB22_1505:
	s_mov_b64 s[18:19], 0
.LBB22_1506:
	s_andn2_b64 vcc, exec, s[18:19]
	s_cbranch_vccnz .LBB22_1511
; %bb.1507:
	s_sext_i32_i16 s18, s34
	s_cmp_gt_i32 s18, 0
	s_mov_b64 s[18:19], -1
	s_cbranch_scc0 .LBB22_1509
; %bb.1508:
	s_mov_b64 s[18:19], 0
	s_waitcnt vmcnt(0)
	global_store_byte v[1:2], v4, off
.LBB22_1509:
	s_andn2_b64 vcc, exec, s[18:19]
	s_cbranch_vccnz .LBB22_1511
; %bb.1510:
	s_waitcnt vmcnt(0)
	global_store_byte v[1:2], v4, off
.LBB22_1511:
	s_or_b64 exec, exec, s[0:1]
	s_and_b64 s[18:19], s[24:25], exec
                                        ; implicit-def: $vgpr11
.LBB22_1512:
	s_or_saveexec_b64 s[6:7], s[6:7]
	s_mov_b64 s[0:1], 0
                                        ; implicit-def: $sgpr22
                                        ; implicit-def: $vgpr0_vgpr1
                                        ; implicit-def: $vgpr2
	s_xor_b64 exec, exec, s[6:7]
	s_cbranch_execz .LBB22_2949
; %bb.1513:
	v_mul_lo_u32 v5, s13, v11
	s_waitcnt vmcnt(0)
	v_mov_b32_e32 v0, s11
	s_and_b32 s26, 0xffff, s56
	s_cmp_lt_i32 s26, 11
	v_ashrrev_i32_e32 v1, 31, v5
	v_add_co_u32_e32 v2, vcc, s10, v5
	v_addc_co_u32_e32 v3, vcc, v0, v1, vcc
	s_cbranch_scc1 .LBB22_1520
; %bb.1514:
	s_cmp_gt_i32 s26, 25
	s_cbranch_scc0 .LBB22_1522
; %bb.1515:
	s_cmp_gt_i32 s26, 28
	s_cbranch_scc0 .LBB22_1523
	;; [unrolled: 3-line block ×4, first 2 shown]
; %bb.1518:
	s_cmp_eq_u32 s26, 46
	s_mov_b64 s[20:21], 0
	s_cbranch_scc0 .LBB22_1528
; %bb.1519:
	global_load_dword v0, v[2:3], off
	s_mov_b32 s0, 0x2f800000
	s_mov_b32 s1, 0xcf800000
	s_mov_b64 s[22:23], -1
	s_waitcnt vmcnt(0)
	v_lshlrev_b32_e32 v0, 16, v0
	v_trunc_f32_e32 v0, v0
	v_mul_f32_e64 v1, |v0|, s0
	v_floor_f32_e32 v1, v1
	v_fma_f32 v1, v1, s1, |v0|
	v_cvt_u32_f32_e32 v1, v1
	v_ashrrev_i32_e32 v0, 31, v0
	s_mov_b64 s[0:1], 0
	v_xor_b32_e32 v1, v1, v0
	v_sub_u32_e32 v0, v1, v0
	s_branch .LBB22_1529
.LBB22_1520:
	s_mov_b64 s[22:23], 0
                                        ; implicit-def: $vgpr0
	s_mov_b64 s[20:21], s[18:19]
	s_cbranch_execnz .LBB22_1587
.LBB22_1521:
	s_andn2_b64 vcc, exec, s[22:23]
	s_cbranch_vccz .LBB22_1632
	s_branch .LBB22_2947
.LBB22_1522:
	s_mov_b64 s[22:23], 0
                                        ; implicit-def: $vgpr0
	s_cbranch_execnz .LBB22_1554
	s_branch .LBB22_1583
.LBB22_1523:
	s_mov_b64 s[22:23], 0
                                        ; implicit-def: $vgpr0
	s_cbranch_execz .LBB22_1553
	s_branch .LBB22_1538
.LBB22_1524:
	s_mov_b64 s[22:23], 0
                                        ; implicit-def: $vgpr0
	s_cbranch_execnz .LBB22_1534
	s_branch .LBB22_1537
.LBB22_1525:
	s_mov_b64 s[20:21], -1
	s_mov_b64 s[22:23], 0
                                        ; implicit-def: $vgpr0
	s_branch .LBB22_1529
.LBB22_1526:
	s_andn2_saveexec_b64 s[28:29], s[28:29]
	s_cbranch_execz .LBB22_1421
.LBB22_1527:
	v_add_f32_e32 v0, 0x46000000, v3
	v_and_b32_e32 v0, 0xff, v0
	v_cmp_ne_u32_e32 vcc, 0, v0
	s_andn2_b64 s[26:27], s[26:27], exec
	s_and_b64 s[30:31], vcc, exec
	s_or_b64 s[26:27], s[26:27], s[30:31]
	s_or_b64 exec, exec, s[28:29]
	v_mov_b32_e32 v5, 0
	s_and_saveexec_b64 s[28:29], s[26:27]
	s_cbranch_execnz .LBB22_1422
	s_branch .LBB22_1423
.LBB22_1528:
	s_mov_b64 s[0:1], -1
                                        ; implicit-def: $vgpr0
	s_mov_b64 s[22:23], 0
.LBB22_1529:
	s_and_b64 vcc, exec, s[20:21]
	s_cbranch_vccz .LBB22_1532
; %bb.1530:
	s_cmp_eq_u32 s26, 44
	s_cbranch_scc0 .LBB22_1533
; %bb.1531:
	global_load_ubyte v0, v[2:3], off
	s_mov_b32 s0, 0x2f800000
	s_mov_b32 s1, 0xcf800000
	s_mov_b64 s[22:23], -1
	s_waitcnt vmcnt(0)
	v_lshlrev_b32_e32 v1, 23, v0
	v_trunc_f32_e32 v1, v1
	v_mul_f32_e64 v4, |v1|, s0
	v_floor_f32_e32 v4, v4
	v_fma_f32 v4, v4, s1, |v1|
	v_cvt_u32_f32_e32 v4, v4
	v_ashrrev_i32_e32 v1, 31, v1
	v_cmp_ne_u32_e32 vcc, 0, v0
	s_mov_b64 s[0:1], 0
	v_xor_b32_e32 v4, v4, v1
	v_sub_u32_e32 v1, v4, v1
	v_cndmask_b32_e32 v0, 0, v1, vcc
.LBB22_1532:
	s_branch .LBB22_1537
.LBB22_1533:
	s_mov_b64 s[0:1], -1
                                        ; implicit-def: $vgpr0
	s_branch .LBB22_1537
.LBB22_1534:
	s_cmp_eq_u32 s26, 29
	s_cbranch_scc0 .LBB22_1536
; %bb.1535:
	global_load_dwordx2 v[0:1], v[2:3], off
	s_mov_b64 s[0:1], 0
	s_mov_b64 s[22:23], -1
	s_branch .LBB22_1537
.LBB22_1536:
	s_mov_b64 s[0:1], -1
                                        ; implicit-def: $vgpr0
.LBB22_1537:
	s_branch .LBB22_1553
.LBB22_1538:
	s_cmp_lt_i32 s26, 27
	s_cbranch_scc1 .LBB22_1541
; %bb.1539:
	s_cmp_gt_i32 s26, 27
	s_cbranch_scc0 .LBB22_1542
; %bb.1540:
	global_load_dword v0, v[2:3], off
	s_mov_b64 s[20:21], 0
	s_branch .LBB22_1543
.LBB22_1541:
	s_mov_b64 s[20:21], -1
                                        ; implicit-def: $vgpr0
	s_branch .LBB22_1546
.LBB22_1542:
	s_mov_b64 s[20:21], -1
                                        ; implicit-def: $vgpr0
.LBB22_1543:
	s_andn2_b64 vcc, exec, s[20:21]
	s_cbranch_vccnz .LBB22_1545
; %bb.1544:
	global_load_ushort v0, v[2:3], off
.LBB22_1545:
	s_mov_b64 s[20:21], 0
.LBB22_1546:
	s_andn2_b64 vcc, exec, s[20:21]
	s_cbranch_vccnz .LBB22_1552
; %bb.1547:
	global_load_ubyte v1, v[2:3], off
	s_movk_i32 s20, 0x7f
	s_mov_b64 s[22:23], 0
	s_waitcnt vmcnt(0)
	v_cmp_lt_i16_e32 vcc, s20, v1
	s_and_saveexec_b64 s[20:21], vcc
	s_xor_b64 s[20:21], exec, s[20:21]
	s_cbranch_execz .LBB22_1563
; %bb.1548:
	s_movk_i32 s22, 0x80
	v_cmp_ne_u16_e32 vcc, s22, v1
	s_and_b64 s[22:23], vcc, exec
	s_andn2_saveexec_b64 s[20:21], s[20:21]
	s_cbranch_execnz .LBB22_1564
.LBB22_1549:
	s_or_b64 exec, exec, s[20:21]
	v_mov_b32_e32 v0, 0
	s_and_saveexec_b64 s[20:21], s[22:23]
	s_cbranch_execz .LBB22_1551
.LBB22_1550:
	v_lshlrev_b32_e32 v0, 24, v1
	v_and_b32_e32 v1, 0xffff, v1
	v_and_b32_e32 v4, 7, v1
	v_ffbh_u32_e32 v7, v4
	v_min_u32_e32 v7, 32, v7
	v_subrev_u32_e32 v8, 28, v7
	v_bfe_u32 v6, v1, 3, 4
	v_lshlrev_b32_e32 v1, v8, v1
	v_sub_u32_e32 v7, 29, v7
	v_and_b32_e32 v1, 7, v1
	v_cmp_eq_u32_e32 vcc, 0, v6
	v_cndmask_b32_e32 v6, v6, v7, vcc
	v_cndmask_b32_e32 v1, v4, v1, vcc
	v_mov_b32_e32 v4, 0x3b800000
	v_lshlrev_b32_e32 v1, 20, v1
	v_and_b32_e32 v0, 0x80000000, v0
	v_lshl_add_u32 v4, v6, 23, v4
	v_or3_b32 v0, v0, v4, v1
	v_trunc_f32_e32 v0, v0
	s_mov_b32 s22, 0x2f800000
	v_mul_f32_e64 v1, |v0|, s22
	v_floor_f32_e32 v1, v1
	s_mov_b32 s22, 0xcf800000
	v_fma_f32 v1, v1, s22, |v0|
	v_cvt_u32_f32_e32 v1, v1
	v_ashrrev_i32_e32 v0, 31, v0
	v_xor_b32_e32 v1, v1, v0
	v_sub_u32_e32 v0, v1, v0
.LBB22_1551:
	s_or_b64 exec, exec, s[20:21]
.LBB22_1552:
	s_mov_b64 s[22:23], -1
.LBB22_1553:
	s_branch .LBB22_1583
.LBB22_1554:
	s_cmp_gt_i32 s26, 22
	s_cbranch_scc0 .LBB22_1562
; %bb.1555:
	s_cmp_lt_i32 s26, 24
	s_cbranch_scc1 .LBB22_1565
; %bb.1556:
	s_cmp_gt_i32 s26, 24
	s_cbranch_scc0 .LBB22_1566
; %bb.1557:
	global_load_ubyte v1, v[2:3], off
	s_movk_i32 s4, 0x7f
	s_mov_b64 s[20:21], 0
	s_waitcnt vmcnt(0)
	v_cmp_lt_i16_e32 vcc, s4, v1
	s_and_saveexec_b64 s[4:5], vcc
	s_xor_b64 s[4:5], exec, s[4:5]
	s_cbranch_execz .LBB22_1577
; %bb.1558:
	s_movk_i32 s20, 0x80
	v_cmp_ne_u16_e32 vcc, s20, v1
	s_and_b64 s[20:21], vcc, exec
	s_andn2_saveexec_b64 s[4:5], s[4:5]
	s_cbranch_execnz .LBB22_1578
.LBB22_1559:
	s_or_b64 exec, exec, s[4:5]
	v_mov_b32_e32 v0, 0
	s_and_saveexec_b64 s[4:5], s[20:21]
	s_cbranch_execz .LBB22_1561
.LBB22_1560:
	v_lshlrev_b32_e32 v0, 24, v1
	v_and_b32_e32 v1, 0xffff, v1
	v_and_b32_e32 v4, 3, v1
	v_ffbh_u32_e32 v7, v4
	v_min_u32_e32 v7, 32, v7
	v_subrev_u32_e32 v8, 29, v7
	v_bfe_u32 v6, v1, 2, 5
	v_lshlrev_b32_e32 v1, v8, v1
	v_sub_u32_e32 v7, 30, v7
	v_and_b32_e32 v1, 3, v1
	v_cmp_eq_u32_e32 vcc, 0, v6
	v_cndmask_b32_e32 v6, v6, v7, vcc
	v_cndmask_b32_e32 v1, v4, v1, vcc
	v_mov_b32_e32 v4, 0x37800000
	v_lshlrev_b32_e32 v1, 21, v1
	v_and_b32_e32 v0, 0x80000000, v0
	v_lshl_add_u32 v4, v6, 23, v4
	v_or3_b32 v0, v0, v4, v1
	v_trunc_f32_e32 v0, v0
	s_mov_b32 s20, 0x2f800000
	v_mul_f32_e64 v1, |v0|, s20
	v_floor_f32_e32 v1, v1
	s_mov_b32 s20, 0xcf800000
	v_fma_f32 v1, v1, s20, |v0|
	v_cvt_u32_f32_e32 v1, v1
	v_ashrrev_i32_e32 v0, 31, v0
	v_xor_b32_e32 v1, v1, v0
	v_sub_u32_e32 v0, v1, v0
.LBB22_1561:
	s_or_b64 exec, exec, s[4:5]
	s_mov_b64 s[4:5], 0
	s_branch .LBB22_1567
.LBB22_1562:
                                        ; implicit-def: $vgpr0
	s_mov_b64 s[4:5], 0
	s_branch .LBB22_1573
.LBB22_1563:
	s_andn2_saveexec_b64 s[20:21], s[20:21]
	s_cbranch_execz .LBB22_1549
.LBB22_1564:
	v_cmp_ne_u16_e32 vcc, 0, v1
	s_andn2_b64 s[22:23], s[22:23], exec
	s_and_b64 s[24:25], vcc, exec
	s_or_b64 s[22:23], s[22:23], s[24:25]
	s_or_b64 exec, exec, s[20:21]
	v_mov_b32_e32 v0, 0
	s_and_saveexec_b64 s[20:21], s[22:23]
	s_cbranch_execnz .LBB22_1550
	s_branch .LBB22_1551
.LBB22_1565:
	s_mov_b64 s[4:5], -1
                                        ; implicit-def: $vgpr0
	s_branch .LBB22_1570
.LBB22_1566:
	s_mov_b64 s[4:5], -1
                                        ; implicit-def: $vgpr0
.LBB22_1567:
	s_and_b64 vcc, exec, s[4:5]
	s_cbranch_vccz .LBB22_1569
; %bb.1568:
	global_load_ubyte v0, v[2:3], off
	s_mov_b32 s4, 0x7f800000
	s_brev_b32 s5, 1
	s_mov_b32 s20, 0x2f800000
	s_waitcnt vmcnt(0)
	v_lshlrev_b32_e32 v0, 24, v0
	v_and_b32_e32 v1, 0x7f000000, v0
	v_ffbh_u32_e32 v4, v1
	v_min_u32_e32 v4, 32, v4
	v_sub_u32_e64 v4, v4, 4 clamp
	v_lshlrev_b32_e32 v7, v4, v1
	v_lshlrev_b32_e32 v4, 23, v4
	v_lshrrev_b32_e32 v7, 4, v7
	v_add_u32_e32 v6, 0x1000000, v1
	v_sub_u32_e32 v4, v7, v4
	v_ashrrev_i32_e32 v6, 8, v6
	v_add_u32_e32 v4, 0x3c000000, v4
	v_and_or_b32 v4, v6, s4, v4
	v_cmp_ne_u32_e32 vcc, 0, v1
	v_cndmask_b32_e32 v1, 0, v4, vcc
	v_and_or_b32 v0, v0, s5, v1
	v_trunc_f32_e32 v0, v0
	v_mul_f32_e64 v1, |v0|, s20
	v_floor_f32_e32 v1, v1
	s_mov_b32 s4, 0xcf800000
	v_fma_f32 v1, v1, s4, |v0|
	v_cvt_u32_f32_e32 v1, v1
	v_ashrrev_i32_e32 v0, 31, v0
	v_xor_b32_e32 v1, v1, v0
	v_sub_u32_e32 v0, v1, v0
.LBB22_1569:
	s_mov_b64 s[4:5], 0
.LBB22_1570:
	s_andn2_b64 vcc, exec, s[4:5]
	s_cbranch_vccnz .LBB22_1572
; %bb.1571:
	global_load_ubyte v0, v[2:3], off
	s_movk_i32 s4, 0x7f00
	s_brev_b32 s5, 16
	s_brev_b32 s20, 1
	s_mov_b32 s21, 0x2f800000
	s_waitcnt vmcnt(0)
	v_lshlrev_b16_e32 v1, 8, v0
	v_lshlrev_b32_e32 v0, 25, v0
	v_lshrrev_b32_e32 v4, 4, v0
	v_and_or_b32 v6, v1, s4, 0.5
	v_or_b32_e32 v4, 0x70000000, v4
	v_add_f32_e32 v6, -0.5, v6
	v_mul_f32_e32 v4, 0x7800000, v4
	v_cmp_gt_u32_e32 vcc, s5, v0
	v_bfe_i32 v1, v1, 0, 16
	v_cndmask_b32_e32 v0, v4, v6, vcc
	v_and_or_b32 v0, v1, s20, v0
	v_trunc_f32_e32 v0, v0
	v_mul_f32_e64 v1, |v0|, s21
	v_floor_f32_e32 v1, v1
	s_mov_b32 s4, 0xcf800000
	v_fma_f32 v1, v1, s4, |v0|
	v_cvt_u32_f32_e32 v1, v1
	v_ashrrev_i32_e32 v0, 31, v0
	v_xor_b32_e32 v1, v1, v0
	v_sub_u32_e32 v0, v1, v0
.LBB22_1572:
	s_mov_b64 s[22:23], -1
	s_mov_b64 s[4:5], 0
	s_cbranch_execnz .LBB22_1583
.LBB22_1573:
	s_cmp_gt_i32 s26, 14
	s_cbranch_scc0 .LBB22_1576
; %bb.1574:
	s_cmp_eq_u32 s26, 15
	s_cbranch_scc0 .LBB22_1579
; %bb.1575:
	global_load_ushort v0, v[2:3], off
	s_mov_b32 s0, 0x2f800000
	s_mov_b32 s1, 0xcf800000
	s_mov_b64 s[22:23], -1
	s_waitcnt vmcnt(0)
	v_lshlrev_b32_e32 v0, 16, v0
	v_trunc_f32_e32 v0, v0
	v_mul_f32_e64 v1, |v0|, s0
	v_floor_f32_e32 v1, v1
	v_fma_f32 v1, v1, s1, |v0|
	v_cvt_u32_f32_e32 v1, v1
	v_ashrrev_i32_e32 v0, 31, v0
	s_mov_b64 s[0:1], 0
	v_xor_b32_e32 v1, v1, v0
	v_sub_u32_e32 v0, v1, v0
	s_branch .LBB22_1580
.LBB22_1576:
	s_mov_b64 s[20:21], -1
                                        ; implicit-def: $vgpr0
	s_branch .LBB22_1581
.LBB22_1577:
	s_andn2_saveexec_b64 s[4:5], s[4:5]
	s_cbranch_execz .LBB22_1559
.LBB22_1578:
	v_cmp_ne_u16_e32 vcc, 0, v1
	s_andn2_b64 s[20:21], s[20:21], exec
	s_and_b64 s[22:23], vcc, exec
	s_or_b64 s[20:21], s[20:21], s[22:23]
	s_or_b64 exec, exec, s[4:5]
	v_mov_b32_e32 v0, 0
	s_and_saveexec_b64 s[4:5], s[20:21]
	s_cbranch_execnz .LBB22_1560
	s_branch .LBB22_1561
.LBB22_1579:
	s_mov_b64 s[0:1], -1
                                        ; implicit-def: $vgpr0
.LBB22_1580:
	s_mov_b64 s[20:21], 0
.LBB22_1581:
	s_and_b64 vcc, exec, s[20:21]
	s_cbranch_vccz .LBB22_1583
; %bb.1582:
	s_cmp_lg_u32 s26, 11
	s_mov_b64 s[4:5], -1
	s_cselect_b64 s[0:1], -1, 0
.LBB22_1583:
	s_and_b64 vcc, exec, s[0:1]
	s_mov_b64 s[20:21], s[18:19]
	s_cbranch_vccnz .LBB22_1644
; %bb.1584:
	s_andn2_b64 vcc, exec, s[4:5]
	s_cbranch_vccnz .LBB22_1586
.LBB22_1585:
	global_load_ubyte v0, v[2:3], off
	s_mov_b64 s[22:23], -1
	s_waitcnt vmcnt(0)
	v_cmp_ne_u16_e32 vcc, 0, v0
	v_cndmask_b32_e64 v0, 0, 1, vcc
.LBB22_1586:
	s_branch .LBB22_1521
.LBB22_1587:
	s_cmp_lt_i32 s26, 5
	s_cbranch_scc1 .LBB22_1592
; %bb.1588:
	s_cmp_lt_i32 s26, 8
	s_cbranch_scc1 .LBB22_1593
; %bb.1589:
	;; [unrolled: 3-line block ×3, first 2 shown]
	s_cmp_gt_i32 s26, 9
	s_cbranch_scc0 .LBB22_1595
; %bb.1591:
	global_load_dwordx2 v[0:1], v[2:3], off
	s_movk_i32 s0, 0xffe0
	s_waitcnt vmcnt(0)
	v_trunc_f64_e32 v[0:1], v[0:1]
	v_ldexp_f64 v[6:7], v[0:1], s0
	s_mov_b32 s0, 0
	s_mov_b32 s1, 0xc1f00000
	v_floor_f64_e32 v[6:7], v[6:7]
	v_fma_f64 v[0:1], v[6:7], s[0:1], v[0:1]
	s_mov_b64 s[0:1], 0
	v_cvt_u32_f64_e32 v0, v[0:1]
	s_branch .LBB22_1596
.LBB22_1592:
                                        ; implicit-def: $vgpr0
	s_branch .LBB22_1613
.LBB22_1593:
                                        ; implicit-def: $vgpr0
	s_branch .LBB22_1602
.LBB22_1594:
	s_mov_b64 s[0:1], -1
                                        ; implicit-def: $vgpr0
	s_branch .LBB22_1599
.LBB22_1595:
	s_mov_b64 s[0:1], -1
                                        ; implicit-def: $vgpr0
.LBB22_1596:
	s_andn2_b64 vcc, exec, s[0:1]
	s_cbranch_vccnz .LBB22_1598
; %bb.1597:
	global_load_dword v0, v[2:3], off
	s_mov_b32 s0, 0x2f800000
	s_waitcnt vmcnt(0)
	v_trunc_f32_e32 v0, v0
	v_mul_f32_e64 v1, |v0|, s0
	v_floor_f32_e32 v1, v1
	s_mov_b32 s0, 0xcf800000
	v_fma_f32 v1, v1, s0, |v0|
	v_cvt_u32_f32_e32 v1, v1
	v_ashrrev_i32_e32 v0, 31, v0
	v_xor_b32_e32 v1, v1, v0
	v_sub_u32_e32 v0, v1, v0
.LBB22_1598:
	s_mov_b64 s[0:1], 0
.LBB22_1599:
	s_andn2_b64 vcc, exec, s[0:1]
	s_cbranch_vccnz .LBB22_1601
; %bb.1600:
	global_load_dword v0, v[2:3], off
	s_waitcnt vmcnt(0)
	v_cvt_f32_f16_e32 v0, v0
	v_cvt_i32_f32_e32 v0, v0
.LBB22_1601:
	s_cbranch_execnz .LBB22_1612
.LBB22_1602:
	s_cmp_lt_i32 s26, 6
	s_cbranch_scc1 .LBB22_1605
; %bb.1603:
	s_cmp_gt_i32 s26, 6
	s_cbranch_scc0 .LBB22_1606
; %bb.1604:
	global_load_dwordx2 v[0:1], v[2:3], off
	s_movk_i32 s0, 0xffe0
	s_waitcnt vmcnt(0)
	v_trunc_f64_e32 v[0:1], v[0:1]
	v_ldexp_f64 v[6:7], v[0:1], s0
	s_mov_b32 s0, 0
	s_mov_b32 s1, 0xc1f00000
	v_floor_f64_e32 v[6:7], v[6:7]
	v_fma_f64 v[0:1], v[6:7], s[0:1], v[0:1]
	s_mov_b64 s[0:1], 0
	v_cvt_u32_f64_e32 v0, v[0:1]
	s_branch .LBB22_1607
.LBB22_1605:
	s_mov_b64 s[0:1], -1
                                        ; implicit-def: $vgpr0
	s_branch .LBB22_1610
.LBB22_1606:
	s_mov_b64 s[0:1], -1
                                        ; implicit-def: $vgpr0
.LBB22_1607:
	s_andn2_b64 vcc, exec, s[0:1]
	s_cbranch_vccnz .LBB22_1609
; %bb.1608:
	global_load_dword v0, v[2:3], off
	s_mov_b32 s0, 0x2f800000
	s_waitcnt vmcnt(0)
	v_trunc_f32_e32 v0, v0
	v_mul_f32_e64 v1, |v0|, s0
	v_floor_f32_e32 v1, v1
	s_mov_b32 s0, 0xcf800000
	v_fma_f32 v1, v1, s0, |v0|
	v_cvt_u32_f32_e32 v1, v1
	v_ashrrev_i32_e32 v0, 31, v0
	v_xor_b32_e32 v1, v1, v0
	v_sub_u32_e32 v0, v1, v0
.LBB22_1609:
	s_mov_b64 s[0:1], 0
.LBB22_1610:
	s_andn2_b64 vcc, exec, s[0:1]
	s_cbranch_vccnz .LBB22_1612
; %bb.1611:
	global_load_ushort v0, v[2:3], off
	s_waitcnt vmcnt(0)
	v_cvt_f32_f16_e32 v0, v0
	v_cvt_i32_f32_e32 v0, v0
.LBB22_1612:
	s_cbranch_execnz .LBB22_1631
.LBB22_1613:
	s_cmp_lt_i32 s26, 2
	s_cbranch_scc1 .LBB22_1617
; %bb.1614:
	s_cmp_lt_i32 s26, 3
	s_cbranch_scc1 .LBB22_1618
; %bb.1615:
	s_cmp_gt_i32 s26, 3
	s_cbranch_scc0 .LBB22_1619
; %bb.1616:
	global_load_dwordx2 v[0:1], v[2:3], off
	s_mov_b64 s[0:1], 0
	s_branch .LBB22_1620
.LBB22_1617:
                                        ; implicit-def: $vgpr0
	s_branch .LBB22_1626
.LBB22_1618:
	s_mov_b64 s[0:1], -1
                                        ; implicit-def: $vgpr0
	s_branch .LBB22_1623
.LBB22_1619:
	s_mov_b64 s[0:1], -1
                                        ; implicit-def: $vgpr0
.LBB22_1620:
	s_andn2_b64 vcc, exec, s[0:1]
	s_cbranch_vccnz .LBB22_1622
; %bb.1621:
	global_load_dword v0, v[2:3], off
.LBB22_1622:
	s_mov_b64 s[0:1], 0
.LBB22_1623:
	s_andn2_b64 vcc, exec, s[0:1]
	s_cbranch_vccnz .LBB22_1625
; %bb.1624:
	global_load_ushort v0, v[2:3], off
.LBB22_1625:
	s_cbranch_execnz .LBB22_1631
.LBB22_1626:
	s_cmp_gt_i32 s26, 0
	s_cbranch_scc0 .LBB22_1628
; %bb.1627:
	global_load_ubyte v0, v[2:3], off
	s_mov_b64 s[0:1], 0
	s_branch .LBB22_1629
.LBB22_1628:
	s_mov_b64 s[0:1], -1
                                        ; implicit-def: $vgpr0
.LBB22_1629:
	s_andn2_b64 vcc, exec, s[0:1]
	s_cbranch_vccnz .LBB22_1631
; %bb.1630:
	global_load_ubyte v0, v[2:3], off
.LBB22_1631:
.LBB22_1632:
	v_mul_lo_u32 v6, s14, v11
	s_waitcnt vmcnt(0)
	v_mov_b32_e32 v1, s17
	s_and_b32 s27, s15, 0xff
	s_cmp_lt_i32 s27, 11
	v_ashrrev_i32_e32 v2, 31, v6
	v_add_co_u32_e32 v3, vcc, s16, v6
	v_addc_co_u32_e32 v4, vcc, v1, v2, vcc
	s_cbranch_scc1 .LBB22_1639
; %bb.1633:
	s_and_b32 s15, 0xffff, s27
	s_cmp_gt_i32 s15, 25
	s_mov_b64 s[4:5], 0
	s_cbranch_scc0 .LBB22_1641
; %bb.1634:
	s_cmp_gt_i32 s15, 28
	s_cbranch_scc0 .LBB22_1642
; %bb.1635:
	s_cmp_gt_i32 s15, 43
	s_cbranch_scc0 .LBB22_1643
; %bb.1636:
	s_cmp_gt_i32 s15, 45
	s_cbranch_scc0 .LBB22_1645
; %bb.1637:
	s_cmp_eq_u32 s15, 46
	s_mov_b64 s[24:25], 0
	s_cbranch_scc0 .LBB22_1648
; %bb.1638:
	global_load_dword v1, v[3:4], off
	s_mov_b32 s0, 0x2f800000
	s_mov_b32 s1, 0xcf800000
	s_mov_b64 s[22:23], -1
	s_waitcnt vmcnt(0)
	v_lshlrev_b32_e32 v1, 16, v1
	v_trunc_f32_e32 v1, v1
	v_mul_f32_e64 v2, |v1|, s0
	v_floor_f32_e32 v2, v2
	v_fma_f32 v2, v2, s1, |v1|
	v_cvt_u32_f32_e32 v2, v2
	v_ashrrev_i32_e32 v1, 31, v1
	s_mov_b64 s[0:1], 0
	v_xor_b32_e32 v2, v2, v1
	v_sub_u32_e32 v1, v2, v1
	s_branch .LBB22_1649
.LBB22_1639:
	s_mov_b64 s[22:23], 0
                                        ; implicit-def: $vgpr1
	s_cbranch_execnz .LBB22_1710
.LBB22_1640:
	s_andn2_b64 vcc, exec, s[22:23]
	s_cbranch_vccnz .LBB22_2947
	s_branch .LBB22_1757
.LBB22_1641:
	s_mov_b64 s[22:23], 0
	s_mov_b64 s[0:1], 0
                                        ; implicit-def: $vgpr1
	s_cbranch_execnz .LBB22_1676
	s_branch .LBB22_1706
.LBB22_1642:
	s_mov_b64 s[24:25], -1
	s_mov_b64 s[22:23], 0
	s_mov_b64 s[0:1], 0
                                        ; implicit-def: $vgpr1
	s_branch .LBB22_1659
.LBB22_1643:
	s_mov_b64 s[24:25], -1
	s_mov_b64 s[22:23], 0
	s_mov_b64 s[0:1], 0
                                        ; implicit-def: $vgpr1
	s_branch .LBB22_1654
.LBB22_1644:
	s_or_b64 s[20:21], s[18:19], exec
	s_trap 2
	s_cbranch_execz .LBB22_1585
	s_branch .LBB22_1586
.LBB22_1645:
	s_mov_b64 s[24:25], -1
	s_mov_b64 s[22:23], 0
	s_mov_b64 s[0:1], 0
                                        ; implicit-def: $vgpr1
	s_branch .LBB22_1649
.LBB22_1646:
	s_andn2_saveexec_b64 s[30:31], s[30:31]
	s_cbranch_execz .LBB22_1433
.LBB22_1647:
	v_add_f32_e32 v0, 0x42800000, v3
	v_and_b32_e32 v0, 0xff, v0
	v_cmp_ne_u32_e32 vcc, 0, v0
	s_andn2_b64 s[28:29], s[28:29], exec
	s_and_b64 s[36:37], vcc, exec
	s_or_b64 s[28:29], s[28:29], s[36:37]
	s_or_b64 exec, exec, s[30:31]
	v_mov_b32_e32 v5, 0
	s_and_saveexec_b64 s[30:31], s[28:29]
	s_cbranch_execnz .LBB22_1434
	s_branch .LBB22_1435
.LBB22_1648:
	s_mov_b64 s[0:1], -1
                                        ; implicit-def: $vgpr1
	s_mov_b64 s[22:23], 0
.LBB22_1649:
	s_and_b64 vcc, exec, s[24:25]
	s_cbranch_vccz .LBB22_1653
; %bb.1650:
	s_cmp_eq_u32 s15, 44
	s_cbranch_scc0 .LBB22_1652
; %bb.1651:
	global_load_ubyte v1, v[3:4], off
	s_mov_b32 s0, 0x2f800000
	s_mov_b32 s1, 0xcf800000
	s_mov_b64 s[22:23], -1
	s_waitcnt vmcnt(0)
	v_lshlrev_b32_e32 v2, 23, v1
	v_trunc_f32_e32 v2, v2
	v_mul_f32_e64 v7, |v2|, s0
	v_floor_f32_e32 v7, v7
	v_fma_f32 v7, v7, s1, |v2|
	v_cvt_u32_f32_e32 v7, v7
	v_ashrrev_i32_e32 v2, 31, v2
	v_cmp_ne_u32_e32 vcc, 0, v1
	s_mov_b64 s[0:1], 0
	v_xor_b32_e32 v7, v7, v2
	v_sub_u32_e32 v2, v7, v2
	v_cndmask_b32_e32 v1, 0, v2, vcc
	s_branch .LBB22_1653
.LBB22_1652:
	s_mov_b64 s[0:1], -1
                                        ; implicit-def: $vgpr1
.LBB22_1653:
	s_mov_b64 s[24:25], 0
.LBB22_1654:
	s_and_b64 vcc, exec, s[24:25]
	s_cbranch_vccz .LBB22_1658
; %bb.1655:
	s_cmp_eq_u32 s15, 29
	s_cbranch_scc0 .LBB22_1657
; %bb.1656:
	global_load_dwordx2 v[1:2], v[3:4], off
	s_mov_b64 s[0:1], 0
	s_mov_b64 s[22:23], -1
	s_branch .LBB22_1658
.LBB22_1657:
	s_mov_b64 s[0:1], -1
                                        ; implicit-def: $vgpr1
.LBB22_1658:
	s_mov_b64 s[24:25], 0
.LBB22_1659:
	s_and_b64 vcc, exec, s[24:25]
	s_cbranch_vccz .LBB22_1675
; %bb.1660:
	s_cmp_lt_i32 s15, 27
	s_cbranch_scc1 .LBB22_1663
; %bb.1661:
	s_cmp_gt_i32 s15, 27
	s_cbranch_scc0 .LBB22_1664
; %bb.1662:
	global_load_dword v1, v[3:4], off
	s_mov_b64 s[22:23], 0
	s_branch .LBB22_1665
.LBB22_1663:
	s_mov_b64 s[22:23], -1
                                        ; implicit-def: $vgpr1
	s_branch .LBB22_1668
.LBB22_1664:
	s_mov_b64 s[22:23], -1
                                        ; implicit-def: $vgpr1
.LBB22_1665:
	s_andn2_b64 vcc, exec, s[22:23]
	s_cbranch_vccnz .LBB22_1667
; %bb.1666:
	global_load_ushort v1, v[3:4], off
.LBB22_1667:
	s_mov_b64 s[22:23], 0
.LBB22_1668:
	s_andn2_b64 vcc, exec, s[22:23]
	s_cbranch_vccnz .LBB22_1674
; %bb.1669:
	global_load_ubyte v2, v[3:4], off
	s_movk_i32 s22, 0x7f
	s_mov_b64 s[24:25], 0
	s_waitcnt vmcnt(0)
	v_cmp_lt_i16_e32 vcc, s22, v2
	s_and_saveexec_b64 s[22:23], vcc
	s_xor_b64 s[22:23], exec, s[22:23]
	s_cbranch_execz .LBB22_1685
; %bb.1670:
	s_movk_i32 s24, 0x80
	v_cmp_ne_u16_e32 vcc, s24, v2
	s_and_b64 s[24:25], vcc, exec
	s_andn2_saveexec_b64 s[22:23], s[22:23]
	s_cbranch_execnz .LBB22_1686
.LBB22_1671:
	s_or_b64 exec, exec, s[22:23]
	v_mov_b32_e32 v1, 0
	s_and_saveexec_b64 s[22:23], s[24:25]
	s_cbranch_execz .LBB22_1673
.LBB22_1672:
	v_lshlrev_b32_e32 v1, 24, v2
	v_and_b32_e32 v2, 0xffff, v2
	v_and_b32_e32 v7, 7, v2
	v_ffbh_u32_e32 v9, v7
	v_min_u32_e32 v9, 32, v9
	v_subrev_u32_e32 v10, 28, v9
	v_bfe_u32 v8, v2, 3, 4
	v_lshlrev_b32_e32 v2, v10, v2
	v_sub_u32_e32 v9, 29, v9
	v_and_b32_e32 v2, 7, v2
	v_cmp_eq_u32_e32 vcc, 0, v8
	v_cndmask_b32_e32 v8, v8, v9, vcc
	v_cndmask_b32_e32 v2, v7, v2, vcc
	v_mov_b32_e32 v7, 0x3b800000
	v_lshlrev_b32_e32 v2, 20, v2
	v_and_b32_e32 v1, 0x80000000, v1
	v_lshl_add_u32 v7, v8, 23, v7
	v_or3_b32 v1, v1, v7, v2
	v_trunc_f32_e32 v1, v1
	s_mov_b32 s24, 0x2f800000
	v_mul_f32_e64 v2, |v1|, s24
	v_floor_f32_e32 v2, v2
	s_mov_b32 s24, 0xcf800000
	v_fma_f32 v2, v2, s24, |v1|
	v_cvt_u32_f32_e32 v2, v2
	v_ashrrev_i32_e32 v1, 31, v1
	v_xor_b32_e32 v2, v2, v1
	v_sub_u32_e32 v1, v2, v1
.LBB22_1673:
	s_or_b64 exec, exec, s[22:23]
.LBB22_1674:
	s_mov_b64 s[22:23], -1
.LBB22_1675:
	s_branch .LBB22_1706
.LBB22_1676:
	s_cmp_gt_i32 s15, 22
	s_cbranch_scc0 .LBB22_1684
; %bb.1677:
	s_cmp_lt_i32 s15, 24
	s_cbranch_scc1 .LBB22_1687
; %bb.1678:
	s_cmp_gt_i32 s15, 24
	s_cbranch_scc0 .LBB22_1688
; %bb.1679:
	global_load_ubyte v2, v[3:4], off
	s_movk_i32 s4, 0x7f
	s_mov_b64 s[22:23], 0
	s_waitcnt vmcnt(0)
	v_cmp_lt_i16_e32 vcc, s4, v2
	s_and_saveexec_b64 s[4:5], vcc
	s_xor_b64 s[4:5], exec, s[4:5]
	s_cbranch_execz .LBB22_1700
; %bb.1680:
	s_movk_i32 s22, 0x80
	v_cmp_ne_u16_e32 vcc, s22, v2
	s_and_b64 s[22:23], vcc, exec
	s_andn2_saveexec_b64 s[4:5], s[4:5]
	s_cbranch_execnz .LBB22_1701
.LBB22_1681:
	s_or_b64 exec, exec, s[4:5]
	v_mov_b32_e32 v1, 0
	s_and_saveexec_b64 s[4:5], s[22:23]
	s_cbranch_execz .LBB22_1683
.LBB22_1682:
	v_lshlrev_b32_e32 v1, 24, v2
	v_and_b32_e32 v2, 0xffff, v2
	v_and_b32_e32 v7, 3, v2
	v_ffbh_u32_e32 v9, v7
	v_min_u32_e32 v9, 32, v9
	v_subrev_u32_e32 v10, 29, v9
	v_bfe_u32 v8, v2, 2, 5
	v_lshlrev_b32_e32 v2, v10, v2
	v_sub_u32_e32 v9, 30, v9
	v_and_b32_e32 v2, 3, v2
	v_cmp_eq_u32_e32 vcc, 0, v8
	v_cndmask_b32_e32 v8, v8, v9, vcc
	v_cndmask_b32_e32 v2, v7, v2, vcc
	v_mov_b32_e32 v7, 0x37800000
	v_lshlrev_b32_e32 v2, 21, v2
	v_and_b32_e32 v1, 0x80000000, v1
	v_lshl_add_u32 v7, v8, 23, v7
	v_or3_b32 v1, v1, v7, v2
	v_trunc_f32_e32 v1, v1
	s_mov_b32 s22, 0x2f800000
	v_mul_f32_e64 v2, |v1|, s22
	v_floor_f32_e32 v2, v2
	s_mov_b32 s22, 0xcf800000
	v_fma_f32 v2, v2, s22, |v1|
	v_cvt_u32_f32_e32 v2, v2
	v_ashrrev_i32_e32 v1, 31, v1
	v_xor_b32_e32 v2, v2, v1
	v_sub_u32_e32 v1, v2, v1
.LBB22_1683:
	s_or_b64 exec, exec, s[4:5]
	s_mov_b64 s[4:5], 0
	s_branch .LBB22_1689
.LBB22_1684:
	s_mov_b64 s[4:5], -1
                                        ; implicit-def: $vgpr1
	s_branch .LBB22_1695
.LBB22_1685:
	s_andn2_saveexec_b64 s[22:23], s[22:23]
	s_cbranch_execz .LBB22_1671
.LBB22_1686:
	v_cmp_ne_u16_e32 vcc, 0, v2
	s_andn2_b64 s[24:25], s[24:25], exec
	s_and_b64 s[28:29], vcc, exec
	s_or_b64 s[24:25], s[24:25], s[28:29]
	s_or_b64 exec, exec, s[22:23]
	v_mov_b32_e32 v1, 0
	s_and_saveexec_b64 s[22:23], s[24:25]
	s_cbranch_execnz .LBB22_1672
	s_branch .LBB22_1673
.LBB22_1687:
	s_mov_b64 s[4:5], -1
                                        ; implicit-def: $vgpr1
	s_branch .LBB22_1692
.LBB22_1688:
	s_mov_b64 s[4:5], -1
                                        ; implicit-def: $vgpr1
.LBB22_1689:
	s_and_b64 vcc, exec, s[4:5]
	s_cbranch_vccz .LBB22_1691
; %bb.1690:
	global_load_ubyte v1, v[3:4], off
	s_mov_b32 s4, 0x7f800000
	s_brev_b32 s5, 1
	s_mov_b32 s22, 0x2f800000
	s_waitcnt vmcnt(0)
	v_lshlrev_b32_e32 v1, 24, v1
	v_and_b32_e32 v2, 0x7f000000, v1
	v_ffbh_u32_e32 v7, v2
	v_min_u32_e32 v7, 32, v7
	v_sub_u32_e64 v7, v7, 4 clamp
	v_lshlrev_b32_e32 v9, v7, v2
	v_lshlrev_b32_e32 v7, 23, v7
	v_lshrrev_b32_e32 v9, 4, v9
	v_add_u32_e32 v8, 0x1000000, v2
	v_sub_u32_e32 v7, v9, v7
	v_ashrrev_i32_e32 v8, 8, v8
	v_add_u32_e32 v7, 0x3c000000, v7
	v_and_or_b32 v7, v8, s4, v7
	v_cmp_ne_u32_e32 vcc, 0, v2
	v_cndmask_b32_e32 v2, 0, v7, vcc
	v_and_or_b32 v1, v1, s5, v2
	v_trunc_f32_e32 v1, v1
	v_mul_f32_e64 v2, |v1|, s22
	v_floor_f32_e32 v2, v2
	s_mov_b32 s4, 0xcf800000
	v_fma_f32 v2, v2, s4, |v1|
	v_cvt_u32_f32_e32 v2, v2
	v_ashrrev_i32_e32 v1, 31, v1
	v_xor_b32_e32 v2, v2, v1
	v_sub_u32_e32 v1, v2, v1
.LBB22_1691:
	s_mov_b64 s[4:5], 0
.LBB22_1692:
	s_andn2_b64 vcc, exec, s[4:5]
	s_cbranch_vccnz .LBB22_1694
; %bb.1693:
	global_load_ubyte v1, v[3:4], off
	s_movk_i32 s4, 0x7f00
	s_brev_b32 s5, 16
	s_brev_b32 s22, 1
	s_mov_b32 s23, 0x2f800000
	s_waitcnt vmcnt(0)
	v_lshlrev_b16_e32 v2, 8, v1
	v_lshlrev_b32_e32 v1, 25, v1
	v_lshrrev_b32_e32 v7, 4, v1
	v_and_or_b32 v8, v2, s4, 0.5
	v_or_b32_e32 v7, 0x70000000, v7
	v_add_f32_e32 v8, -0.5, v8
	v_mul_f32_e32 v7, 0x7800000, v7
	v_cmp_gt_u32_e32 vcc, s5, v1
	v_bfe_i32 v2, v2, 0, 16
	v_cndmask_b32_e32 v1, v7, v8, vcc
	v_and_or_b32 v1, v2, s22, v1
	v_trunc_f32_e32 v1, v1
	v_mul_f32_e64 v2, |v1|, s23
	v_floor_f32_e32 v2, v2
	s_mov_b32 s4, 0xcf800000
	v_fma_f32 v2, v2, s4, |v1|
	v_cvt_u32_f32_e32 v2, v2
	v_ashrrev_i32_e32 v1, 31, v1
	v_xor_b32_e32 v2, v2, v1
	v_sub_u32_e32 v1, v2, v1
.LBB22_1694:
	s_mov_b64 s[4:5], 0
	s_mov_b64 s[22:23], -1
.LBB22_1695:
	s_andn2_b64 vcc, exec, s[4:5]
	s_mov_b64 s[4:5], 0
	s_cbranch_vccnz .LBB22_1706
; %bb.1696:
	s_cmp_gt_i32 s15, 14
	s_cbranch_scc0 .LBB22_1699
; %bb.1697:
	s_cmp_eq_u32 s15, 15
	s_cbranch_scc0 .LBB22_1702
; %bb.1698:
	global_load_ushort v1, v[3:4], off
	s_mov_b32 s0, 0x2f800000
	s_mov_b32 s1, 0xcf800000
	s_mov_b64 s[22:23], -1
	s_waitcnt vmcnt(0)
	v_lshlrev_b32_e32 v1, 16, v1
	v_trunc_f32_e32 v1, v1
	v_mul_f32_e64 v2, |v1|, s0
	v_floor_f32_e32 v2, v2
	v_fma_f32 v2, v2, s1, |v1|
	v_cvt_u32_f32_e32 v2, v2
	v_ashrrev_i32_e32 v1, 31, v1
	s_mov_b64 s[0:1], 0
	v_xor_b32_e32 v2, v2, v1
	v_sub_u32_e32 v1, v2, v1
	s_branch .LBB22_1703
.LBB22_1699:
	s_mov_b64 s[24:25], -1
                                        ; implicit-def: $vgpr1
	s_branch .LBB22_1704
.LBB22_1700:
	s_andn2_saveexec_b64 s[4:5], s[4:5]
	s_cbranch_execz .LBB22_1681
.LBB22_1701:
	v_cmp_ne_u16_e32 vcc, 0, v2
	s_andn2_b64 s[22:23], s[22:23], exec
	s_and_b64 s[24:25], vcc, exec
	s_or_b64 s[22:23], s[22:23], s[24:25]
	s_or_b64 exec, exec, s[4:5]
	v_mov_b32_e32 v1, 0
	s_and_saveexec_b64 s[4:5], s[22:23]
	s_cbranch_execnz .LBB22_1682
	s_branch .LBB22_1683
.LBB22_1702:
	s_mov_b64 s[0:1], -1
                                        ; implicit-def: $vgpr1
.LBB22_1703:
	s_mov_b64 s[24:25], 0
.LBB22_1704:
	s_and_b64 vcc, exec, s[24:25]
	s_cbranch_vccz .LBB22_1706
; %bb.1705:
	s_cmp_lg_u32 s15, 11
	s_mov_b64 s[4:5], -1
	s_cselect_b64 s[0:1], -1, 0
.LBB22_1706:
	s_and_b64 vcc, exec, s[0:1]
	s_cbranch_vccnz .LBB22_1769
; %bb.1707:
	s_andn2_b64 vcc, exec, s[4:5]
	s_cbranch_vccnz .LBB22_1709
.LBB22_1708:
	global_load_ubyte v1, v[3:4], off
	s_mov_b64 s[22:23], -1
	s_waitcnt vmcnt(0)
	v_cmp_ne_u16_e32 vcc, 0, v1
	v_cndmask_b32_e64 v1, 0, 1, vcc
.LBB22_1709:
	s_branch .LBB22_1640
.LBB22_1710:
	s_and_b32 s4, 0xffff, s27
	s_cmp_lt_i32 s4, 5
	s_cbranch_scc1 .LBB22_1715
; %bb.1711:
	s_cmp_lt_i32 s4, 8
	s_cbranch_scc1 .LBB22_1716
; %bb.1712:
	;; [unrolled: 3-line block ×3, first 2 shown]
	s_cmp_gt_i32 s4, 9
	s_cbranch_scc0 .LBB22_1718
; %bb.1714:
	global_load_dwordx2 v[1:2], v[3:4], off
	s_movk_i32 s0, 0xffe0
	s_waitcnt vmcnt(0)
	v_trunc_f64_e32 v[1:2], v[1:2]
	v_ldexp_f64 v[7:8], v[1:2], s0
	s_mov_b32 s0, 0
	s_mov_b32 s1, 0xc1f00000
	v_floor_f64_e32 v[7:8], v[7:8]
	v_fma_f64 v[1:2], v[7:8], s[0:1], v[1:2]
	s_mov_b64 s[0:1], 0
	v_cvt_u32_f64_e32 v1, v[1:2]
	s_branch .LBB22_1719
.LBB22_1715:
                                        ; implicit-def: $vgpr1
	s_branch .LBB22_1737
.LBB22_1716:
	s_mov_b64 s[0:1], -1
                                        ; implicit-def: $vgpr1
	s_branch .LBB22_1725
.LBB22_1717:
	s_mov_b64 s[0:1], -1
                                        ; implicit-def: $vgpr1
	s_branch .LBB22_1722
.LBB22_1718:
	s_mov_b64 s[0:1], -1
                                        ; implicit-def: $vgpr1
.LBB22_1719:
	s_andn2_b64 vcc, exec, s[0:1]
	s_cbranch_vccnz .LBB22_1721
; %bb.1720:
	global_load_dword v1, v[3:4], off
	s_mov_b32 s0, 0x2f800000
	s_waitcnt vmcnt(0)
	v_trunc_f32_e32 v1, v1
	v_mul_f32_e64 v2, |v1|, s0
	v_floor_f32_e32 v2, v2
	s_mov_b32 s0, 0xcf800000
	v_fma_f32 v2, v2, s0, |v1|
	v_cvt_u32_f32_e32 v2, v2
	v_ashrrev_i32_e32 v1, 31, v1
	v_xor_b32_e32 v2, v2, v1
	v_sub_u32_e32 v1, v2, v1
.LBB22_1721:
	s_mov_b64 s[0:1], 0
.LBB22_1722:
	s_andn2_b64 vcc, exec, s[0:1]
	s_cbranch_vccnz .LBB22_1724
; %bb.1723:
	global_load_dword v1, v[3:4], off
	s_waitcnt vmcnt(0)
	v_cvt_f32_f16_e32 v1, v1
	v_cvt_i32_f32_e32 v1, v1
.LBB22_1724:
	s_mov_b64 s[0:1], 0
.LBB22_1725:
	s_andn2_b64 vcc, exec, s[0:1]
	s_cbranch_vccnz .LBB22_1736
; %bb.1726:
	s_cmp_lt_i32 s4, 6
	s_cbranch_scc1 .LBB22_1729
; %bb.1727:
	s_cmp_gt_i32 s4, 6
	s_cbranch_scc0 .LBB22_1730
; %bb.1728:
	global_load_dwordx2 v[1:2], v[3:4], off
	s_movk_i32 s0, 0xffe0
	s_waitcnt vmcnt(0)
	v_trunc_f64_e32 v[1:2], v[1:2]
	v_ldexp_f64 v[7:8], v[1:2], s0
	s_mov_b32 s0, 0
	s_mov_b32 s1, 0xc1f00000
	v_floor_f64_e32 v[7:8], v[7:8]
	v_fma_f64 v[1:2], v[7:8], s[0:1], v[1:2]
	s_mov_b64 s[0:1], 0
	v_cvt_u32_f64_e32 v1, v[1:2]
	s_branch .LBB22_1731
.LBB22_1729:
	s_mov_b64 s[0:1], -1
                                        ; implicit-def: $vgpr1
	s_branch .LBB22_1734
.LBB22_1730:
	s_mov_b64 s[0:1], -1
                                        ; implicit-def: $vgpr1
.LBB22_1731:
	s_andn2_b64 vcc, exec, s[0:1]
	s_cbranch_vccnz .LBB22_1733
; %bb.1732:
	global_load_dword v1, v[3:4], off
	s_mov_b32 s0, 0x2f800000
	s_waitcnt vmcnt(0)
	v_trunc_f32_e32 v1, v1
	v_mul_f32_e64 v2, |v1|, s0
	v_floor_f32_e32 v2, v2
	s_mov_b32 s0, 0xcf800000
	v_fma_f32 v2, v2, s0, |v1|
	v_cvt_u32_f32_e32 v2, v2
	v_ashrrev_i32_e32 v1, 31, v1
	v_xor_b32_e32 v2, v2, v1
	v_sub_u32_e32 v1, v2, v1
.LBB22_1733:
	s_mov_b64 s[0:1], 0
.LBB22_1734:
	s_andn2_b64 vcc, exec, s[0:1]
	s_cbranch_vccnz .LBB22_1736
; %bb.1735:
	global_load_ushort v1, v[3:4], off
	s_waitcnt vmcnt(0)
	v_cvt_f32_f16_e32 v1, v1
	v_cvt_i32_f32_e32 v1, v1
.LBB22_1736:
	s_cbranch_execnz .LBB22_1756
.LBB22_1737:
	s_cmp_lt_i32 s4, 2
	s_cbranch_scc1 .LBB22_1741
; %bb.1738:
	s_cmp_lt_i32 s4, 3
	s_cbranch_scc1 .LBB22_1742
; %bb.1739:
	s_cmp_gt_i32 s4, 3
	s_cbranch_scc0 .LBB22_1743
; %bb.1740:
	global_load_dwordx2 v[1:2], v[3:4], off
	s_mov_b64 s[0:1], 0
	s_branch .LBB22_1744
.LBB22_1741:
	s_mov_b64 s[0:1], -1
                                        ; implicit-def: $vgpr1
	s_branch .LBB22_1750
.LBB22_1742:
	s_mov_b64 s[0:1], -1
                                        ; implicit-def: $vgpr1
	s_branch .LBB22_1747
.LBB22_1743:
	s_mov_b64 s[0:1], -1
                                        ; implicit-def: $vgpr1
.LBB22_1744:
	s_andn2_b64 vcc, exec, s[0:1]
	s_cbranch_vccnz .LBB22_1746
; %bb.1745:
	global_load_dword v1, v[3:4], off
.LBB22_1746:
	s_mov_b64 s[0:1], 0
.LBB22_1747:
	s_andn2_b64 vcc, exec, s[0:1]
	s_cbranch_vccnz .LBB22_1749
; %bb.1748:
	global_load_ushort v1, v[3:4], off
.LBB22_1749:
	s_mov_b64 s[0:1], 0
.LBB22_1750:
	s_andn2_b64 vcc, exec, s[0:1]
	s_cbranch_vccnz .LBB22_1756
; %bb.1751:
	s_cmp_gt_i32 s4, 0
	s_cbranch_scc0 .LBB22_1753
; %bb.1752:
	global_load_ubyte v1, v[3:4], off
	s_mov_b64 s[0:1], 0
	s_branch .LBB22_1754
.LBB22_1753:
	s_mov_b64 s[0:1], -1
                                        ; implicit-def: $vgpr1
.LBB22_1754:
	s_andn2_b64 vcc, exec, s[0:1]
	s_cbranch_vccnz .LBB22_1756
; %bb.1755:
	global_load_ubyte v1, v[3:4], off
.LBB22_1756:
.LBB22_1757:
	s_lshl_b32 s13, s13, 7
	v_add_u32_e32 v7, s13, v5
	s_waitcnt vmcnt(0)
	v_ashrrev_i32_e32 v2, 31, v7
	v_mov_b32_e32 v3, s11
	v_add_co_u32_e32 v4, vcc, s10, v7
	s_cmp_lt_i32 s26, 11
	v_addc_co_u32_e32 v5, vcc, v3, v2, vcc
	s_cbranch_scc1 .LBB22_1764
; %bb.1758:
	s_cmp_gt_i32 s26, 25
	s_mov_b64 s[4:5], 0
	s_cbranch_scc0 .LBB22_1766
; %bb.1759:
	s_cmp_gt_i32 s26, 28
	s_cbranch_scc0 .LBB22_1767
; %bb.1760:
	s_cmp_gt_i32 s26, 43
	;; [unrolled: 3-line block ×3, first 2 shown]
	s_cbranch_scc0 .LBB22_1770
; %bb.1762:
	s_cmp_eq_u32 s26, 46
	s_mov_b64 s[24:25], 0
	s_cbranch_scc0 .LBB22_1771
; %bb.1763:
	global_load_dword v2, v[4:5], off
	s_mov_b32 s0, 0x2f800000
	s_mov_b32 s1, 0xcf800000
	s_mov_b64 s[22:23], -1
	s_waitcnt vmcnt(0)
	v_lshlrev_b32_e32 v2, 16, v2
	v_trunc_f32_e32 v2, v2
	v_mul_f32_e64 v3, |v2|, s0
	v_floor_f32_e32 v3, v3
	v_fma_f32 v3, v3, s1, |v2|
	v_cvt_u32_f32_e32 v3, v3
	v_ashrrev_i32_e32 v2, 31, v2
	s_mov_b64 s[0:1], 0
	v_xor_b32_e32 v3, v3, v2
	v_sub_u32_e32 v2, v3, v2
	s_branch .LBB22_1772
.LBB22_1764:
	s_mov_b64 s[22:23], 0
                                        ; implicit-def: $vgpr2
	s_cbranch_execnz .LBB22_1834
.LBB22_1765:
	s_andn2_b64 vcc, exec, s[22:23]
	s_cbranch_vccnz .LBB22_2947
	s_branch .LBB22_1882
.LBB22_1766:
	s_mov_b64 s[24:25], -1
	s_mov_b64 s[22:23], 0
	s_mov_b64 s[0:1], 0
                                        ; implicit-def: $vgpr2
	s_branch .LBB22_1799
.LBB22_1767:
	s_mov_b64 s[24:25], -1
	s_mov_b64 s[22:23], 0
	s_mov_b64 s[0:1], 0
                                        ; implicit-def: $vgpr2
	s_branch .LBB22_1782
.LBB22_1768:
	s_mov_b64 s[24:25], -1
	s_mov_b64 s[22:23], 0
	s_mov_b64 s[0:1], 0
                                        ; implicit-def: $vgpr2
	s_branch .LBB22_1777
.LBB22_1769:
	s_trap 2
	s_or_b64 s[20:21], s[20:21], exec
	s_cbranch_execz .LBB22_1708
	s_branch .LBB22_1709
.LBB22_1770:
	s_mov_b64 s[24:25], -1
	s_mov_b64 s[22:23], 0
	s_mov_b64 s[0:1], 0
                                        ; implicit-def: $vgpr2
	s_branch .LBB22_1772
.LBB22_1771:
	s_mov_b64 s[0:1], -1
                                        ; implicit-def: $vgpr2
	s_mov_b64 s[22:23], 0
.LBB22_1772:
	s_and_b64 vcc, exec, s[24:25]
	s_cbranch_vccz .LBB22_1776
; %bb.1773:
	s_cmp_eq_u32 s26, 44
	s_cbranch_scc0 .LBB22_1775
; %bb.1774:
	global_load_ubyte v2, v[4:5], off
	s_mov_b32 s0, 0x2f800000
	s_mov_b32 s1, 0xcf800000
	s_mov_b64 s[22:23], -1
	s_waitcnt vmcnt(0)
	v_lshlrev_b32_e32 v3, 23, v2
	v_trunc_f32_e32 v3, v3
	v_mul_f32_e64 v8, |v3|, s0
	v_floor_f32_e32 v8, v8
	v_fma_f32 v8, v8, s1, |v3|
	v_cvt_u32_f32_e32 v8, v8
	v_ashrrev_i32_e32 v3, 31, v3
	v_cmp_ne_u32_e32 vcc, 0, v2
	s_mov_b64 s[0:1], 0
	v_xor_b32_e32 v8, v8, v3
	v_sub_u32_e32 v3, v8, v3
	v_cndmask_b32_e32 v2, 0, v3, vcc
	s_branch .LBB22_1776
.LBB22_1775:
	s_mov_b64 s[0:1], -1
                                        ; implicit-def: $vgpr2
.LBB22_1776:
	s_mov_b64 s[24:25], 0
.LBB22_1777:
	s_and_b64 vcc, exec, s[24:25]
	s_cbranch_vccz .LBB22_1781
; %bb.1778:
	s_cmp_eq_u32 s26, 29
	s_cbranch_scc0 .LBB22_1780
; %bb.1779:
	global_load_dwordx2 v[2:3], v[4:5], off
	s_mov_b64 s[0:1], 0
	s_mov_b64 s[22:23], -1
	s_branch .LBB22_1781
.LBB22_1780:
	s_mov_b64 s[0:1], -1
                                        ; implicit-def: $vgpr2
.LBB22_1781:
	s_mov_b64 s[24:25], 0
.LBB22_1782:
	s_and_b64 vcc, exec, s[24:25]
	s_cbranch_vccz .LBB22_1798
; %bb.1783:
	s_cmp_lt_i32 s26, 27
	s_cbranch_scc1 .LBB22_1786
; %bb.1784:
	s_cmp_gt_i32 s26, 27
	s_cbranch_scc0 .LBB22_1787
; %bb.1785:
	global_load_dword v2, v[4:5], off
	s_mov_b64 s[22:23], 0
	s_branch .LBB22_1788
.LBB22_1786:
	s_mov_b64 s[22:23], -1
                                        ; implicit-def: $vgpr2
	s_branch .LBB22_1791
.LBB22_1787:
	s_mov_b64 s[22:23], -1
                                        ; implicit-def: $vgpr2
.LBB22_1788:
	s_andn2_b64 vcc, exec, s[22:23]
	s_cbranch_vccnz .LBB22_1790
; %bb.1789:
	global_load_ushort v2, v[4:5], off
.LBB22_1790:
	s_mov_b64 s[22:23], 0
.LBB22_1791:
	s_andn2_b64 vcc, exec, s[22:23]
	s_cbranch_vccnz .LBB22_1797
; %bb.1792:
	global_load_ubyte v3, v[4:5], off
	s_movk_i32 s15, 0x7f
	s_mov_b64 s[24:25], 0
	s_waitcnt vmcnt(0)
	v_cmp_lt_i16_e32 vcc, s15, v3
	s_and_saveexec_b64 s[22:23], vcc
	s_xor_b64 s[22:23], exec, s[22:23]
	s_cbranch_execz .LBB22_1809
; %bb.1793:
	s_movk_i32 s15, 0x80
	v_cmp_ne_u16_e32 vcc, s15, v3
	s_and_b64 s[24:25], vcc, exec
	s_andn2_saveexec_b64 s[22:23], s[22:23]
	s_cbranch_execnz .LBB22_1810
.LBB22_1794:
	s_or_b64 exec, exec, s[22:23]
	v_mov_b32_e32 v2, 0
	s_and_saveexec_b64 s[22:23], s[24:25]
	s_cbranch_execz .LBB22_1796
.LBB22_1795:
	v_lshlrev_b32_e32 v2, 24, v3
	v_and_b32_e32 v3, 0xffff, v3
	v_and_b32_e32 v8, 7, v3
	v_ffbh_u32_e32 v10, v8
	v_min_u32_e32 v10, 32, v10
	v_subrev_u32_e32 v12, 28, v10
	v_bfe_u32 v9, v3, 3, 4
	v_lshlrev_b32_e32 v3, v12, v3
	v_sub_u32_e32 v10, 29, v10
	v_and_b32_e32 v3, 7, v3
	v_cmp_eq_u32_e32 vcc, 0, v9
	v_cndmask_b32_e32 v9, v9, v10, vcc
	v_cndmask_b32_e32 v3, v8, v3, vcc
	v_mov_b32_e32 v8, 0x3b800000
	v_lshlrev_b32_e32 v3, 20, v3
	v_and_b32_e32 v2, 0x80000000, v2
	v_lshl_add_u32 v8, v9, 23, v8
	v_or3_b32 v2, v2, v8, v3
	v_trunc_f32_e32 v2, v2
	s_mov_b32 s15, 0x2f800000
	v_mul_f32_e64 v3, |v2|, s15
	v_floor_f32_e32 v3, v3
	s_mov_b32 s15, 0xcf800000
	v_fma_f32 v3, v3, s15, |v2|
	v_cvt_u32_f32_e32 v3, v3
	v_ashrrev_i32_e32 v2, 31, v2
	v_xor_b32_e32 v3, v3, v2
	v_sub_u32_e32 v2, v3, v2
.LBB22_1796:
	s_or_b64 exec, exec, s[22:23]
.LBB22_1797:
	s_mov_b64 s[22:23], -1
.LBB22_1798:
	s_mov_b64 s[24:25], 0
.LBB22_1799:
	s_and_b64 vcc, exec, s[24:25]
	s_cbranch_vccz .LBB22_1830
; %bb.1800:
	s_cmp_gt_i32 s26, 22
	s_cbranch_scc0 .LBB22_1808
; %bb.1801:
	s_cmp_lt_i32 s26, 24
	s_cbranch_scc1 .LBB22_1811
; %bb.1802:
	s_cmp_gt_i32 s26, 24
	s_cbranch_scc0 .LBB22_1812
; %bb.1803:
	global_load_ubyte v3, v[4:5], off
	s_movk_i32 s4, 0x7f
	s_mov_b64 s[22:23], 0
	s_waitcnt vmcnt(0)
	v_cmp_lt_i16_e32 vcc, s4, v3
	s_and_saveexec_b64 s[4:5], vcc
	s_xor_b64 s[4:5], exec, s[4:5]
	s_cbranch_execz .LBB22_1824
; %bb.1804:
	s_movk_i32 s15, 0x80
	v_cmp_ne_u16_e32 vcc, s15, v3
	s_and_b64 s[22:23], vcc, exec
	s_andn2_saveexec_b64 s[4:5], s[4:5]
	s_cbranch_execnz .LBB22_1825
.LBB22_1805:
	s_or_b64 exec, exec, s[4:5]
	v_mov_b32_e32 v2, 0
	s_and_saveexec_b64 s[4:5], s[22:23]
	s_cbranch_execz .LBB22_1807
.LBB22_1806:
	v_lshlrev_b32_e32 v2, 24, v3
	v_and_b32_e32 v3, 0xffff, v3
	v_and_b32_e32 v8, 3, v3
	v_ffbh_u32_e32 v10, v8
	v_min_u32_e32 v10, 32, v10
	v_subrev_u32_e32 v12, 29, v10
	v_bfe_u32 v9, v3, 2, 5
	v_lshlrev_b32_e32 v3, v12, v3
	v_sub_u32_e32 v10, 30, v10
	v_and_b32_e32 v3, 3, v3
	v_cmp_eq_u32_e32 vcc, 0, v9
	v_cndmask_b32_e32 v9, v9, v10, vcc
	v_cndmask_b32_e32 v3, v8, v3, vcc
	v_mov_b32_e32 v8, 0x37800000
	v_lshlrev_b32_e32 v3, 21, v3
	v_and_b32_e32 v2, 0x80000000, v2
	v_lshl_add_u32 v8, v9, 23, v8
	v_or3_b32 v2, v2, v8, v3
	v_trunc_f32_e32 v2, v2
	s_mov_b32 s15, 0x2f800000
	v_mul_f32_e64 v3, |v2|, s15
	v_floor_f32_e32 v3, v3
	s_mov_b32 s15, 0xcf800000
	v_fma_f32 v3, v3, s15, |v2|
	v_cvt_u32_f32_e32 v3, v3
	v_ashrrev_i32_e32 v2, 31, v2
	v_xor_b32_e32 v3, v3, v2
	v_sub_u32_e32 v2, v3, v2
.LBB22_1807:
	s_or_b64 exec, exec, s[4:5]
	s_mov_b64 s[4:5], 0
	s_branch .LBB22_1813
.LBB22_1808:
	s_mov_b64 s[4:5], -1
                                        ; implicit-def: $vgpr2
	s_branch .LBB22_1819
.LBB22_1809:
	s_andn2_saveexec_b64 s[22:23], s[22:23]
	s_cbranch_execz .LBB22_1794
.LBB22_1810:
	v_cmp_ne_u16_e32 vcc, 0, v3
	s_andn2_b64 s[24:25], s[24:25], exec
	s_and_b64 s[28:29], vcc, exec
	s_or_b64 s[24:25], s[24:25], s[28:29]
	s_or_b64 exec, exec, s[22:23]
	v_mov_b32_e32 v2, 0
	s_and_saveexec_b64 s[22:23], s[24:25]
	s_cbranch_execnz .LBB22_1795
	s_branch .LBB22_1796
.LBB22_1811:
	s_mov_b64 s[4:5], -1
                                        ; implicit-def: $vgpr2
	s_branch .LBB22_1816
.LBB22_1812:
	s_mov_b64 s[4:5], -1
                                        ; implicit-def: $vgpr2
.LBB22_1813:
	s_and_b64 vcc, exec, s[4:5]
	s_cbranch_vccz .LBB22_1815
; %bb.1814:
	global_load_ubyte v2, v[4:5], off
	s_mov_b32 s4, 0x7f800000
	s_brev_b32 s5, 1
	s_mov_b32 s15, 0x2f800000
	s_waitcnt vmcnt(0)
	v_lshlrev_b32_e32 v2, 24, v2
	v_and_b32_e32 v3, 0x7f000000, v2
	v_ffbh_u32_e32 v8, v3
	v_min_u32_e32 v8, 32, v8
	v_sub_u32_e64 v8, v8, 4 clamp
	v_lshlrev_b32_e32 v10, v8, v3
	v_lshlrev_b32_e32 v8, 23, v8
	v_lshrrev_b32_e32 v10, 4, v10
	v_add_u32_e32 v9, 0x1000000, v3
	v_sub_u32_e32 v8, v10, v8
	v_ashrrev_i32_e32 v9, 8, v9
	v_add_u32_e32 v8, 0x3c000000, v8
	v_and_or_b32 v8, v9, s4, v8
	v_cmp_ne_u32_e32 vcc, 0, v3
	v_cndmask_b32_e32 v3, 0, v8, vcc
	v_and_or_b32 v2, v2, s5, v3
	v_trunc_f32_e32 v2, v2
	v_mul_f32_e64 v3, |v2|, s15
	v_floor_f32_e32 v3, v3
	s_mov_b32 s4, 0xcf800000
	v_fma_f32 v3, v3, s4, |v2|
	v_cvt_u32_f32_e32 v3, v3
	v_ashrrev_i32_e32 v2, 31, v2
	v_xor_b32_e32 v3, v3, v2
	v_sub_u32_e32 v2, v3, v2
.LBB22_1815:
	s_mov_b64 s[4:5], 0
.LBB22_1816:
	s_andn2_b64 vcc, exec, s[4:5]
	s_cbranch_vccnz .LBB22_1818
; %bb.1817:
	global_load_ubyte v2, v[4:5], off
	s_movk_i32 s4, 0x7f00
	s_brev_b32 s5, 16
	s_brev_b32 s15, 1
	s_mov_b32 s22, 0x2f800000
	s_waitcnt vmcnt(0)
	v_lshlrev_b16_e32 v3, 8, v2
	v_lshlrev_b32_e32 v2, 25, v2
	v_lshrrev_b32_e32 v8, 4, v2
	v_and_or_b32 v9, v3, s4, 0.5
	v_or_b32_e32 v8, 0x70000000, v8
	v_add_f32_e32 v9, -0.5, v9
	v_mul_f32_e32 v8, 0x7800000, v8
	v_cmp_gt_u32_e32 vcc, s5, v2
	v_bfe_i32 v3, v3, 0, 16
	v_cndmask_b32_e32 v2, v8, v9, vcc
	v_and_or_b32 v2, v3, s15, v2
	v_trunc_f32_e32 v2, v2
	v_mul_f32_e64 v3, |v2|, s22
	v_floor_f32_e32 v3, v3
	s_mov_b32 s4, 0xcf800000
	v_fma_f32 v3, v3, s4, |v2|
	v_cvt_u32_f32_e32 v3, v3
	v_ashrrev_i32_e32 v2, 31, v2
	v_xor_b32_e32 v3, v3, v2
	v_sub_u32_e32 v2, v3, v2
.LBB22_1818:
	s_mov_b64 s[4:5], 0
	s_mov_b64 s[22:23], -1
.LBB22_1819:
	s_andn2_b64 vcc, exec, s[4:5]
	s_mov_b64 s[4:5], 0
	s_cbranch_vccnz .LBB22_1830
; %bb.1820:
	s_cmp_gt_i32 s26, 14
	s_cbranch_scc0 .LBB22_1823
; %bb.1821:
	s_cmp_eq_u32 s26, 15
	s_cbranch_scc0 .LBB22_1826
; %bb.1822:
	global_load_ushort v2, v[4:5], off
	s_mov_b32 s0, 0x2f800000
	s_mov_b32 s1, 0xcf800000
	s_mov_b64 s[22:23], -1
	s_waitcnt vmcnt(0)
	v_lshlrev_b32_e32 v2, 16, v2
	v_trunc_f32_e32 v2, v2
	v_mul_f32_e64 v3, |v2|, s0
	v_floor_f32_e32 v3, v3
	v_fma_f32 v3, v3, s1, |v2|
	v_cvt_u32_f32_e32 v3, v3
	v_ashrrev_i32_e32 v2, 31, v2
	s_mov_b64 s[0:1], 0
	v_xor_b32_e32 v3, v3, v2
	v_sub_u32_e32 v2, v3, v2
	s_branch .LBB22_1827
.LBB22_1823:
	s_mov_b64 s[24:25], -1
                                        ; implicit-def: $vgpr2
	s_branch .LBB22_1828
.LBB22_1824:
	s_andn2_saveexec_b64 s[4:5], s[4:5]
	s_cbranch_execz .LBB22_1805
.LBB22_1825:
	v_cmp_ne_u16_e32 vcc, 0, v3
	s_andn2_b64 s[22:23], s[22:23], exec
	s_and_b64 s[24:25], vcc, exec
	s_or_b64 s[22:23], s[22:23], s[24:25]
	s_or_b64 exec, exec, s[4:5]
	v_mov_b32_e32 v2, 0
	s_and_saveexec_b64 s[4:5], s[22:23]
	s_cbranch_execnz .LBB22_1806
	s_branch .LBB22_1807
.LBB22_1826:
	s_mov_b64 s[0:1], -1
                                        ; implicit-def: $vgpr2
.LBB22_1827:
	s_mov_b64 s[24:25], 0
.LBB22_1828:
	s_and_b64 vcc, exec, s[24:25]
	s_cbranch_vccz .LBB22_1830
; %bb.1829:
	s_cmp_lg_u32 s26, 11
	s_mov_b64 s[4:5], -1
	s_cselect_b64 s[0:1], -1, 0
.LBB22_1830:
	s_and_b64 vcc, exec, s[0:1]
	s_cbranch_vccnz .LBB22_1893
; %bb.1831:
	s_andn2_b64 vcc, exec, s[4:5]
	s_cbranch_vccnz .LBB22_1833
.LBB22_1832:
	global_load_ubyte v2, v[4:5], off
	s_mov_b64 s[22:23], -1
	s_waitcnt vmcnt(0)
	v_cmp_ne_u16_e32 vcc, 0, v2
	v_cndmask_b32_e64 v2, 0, 1, vcc
.LBB22_1833:
	s_branch .LBB22_1765
.LBB22_1834:
	s_cmp_lt_i32 s26, 5
	s_cbranch_scc1 .LBB22_1839
; %bb.1835:
	s_cmp_lt_i32 s26, 8
	s_cbranch_scc1 .LBB22_1840
; %bb.1836:
	;; [unrolled: 3-line block ×3, first 2 shown]
	s_cmp_gt_i32 s26, 9
	s_cbranch_scc0 .LBB22_1842
; %bb.1838:
	global_load_dwordx2 v[2:3], v[4:5], off
	s_movk_i32 s0, 0xffe0
	s_waitcnt vmcnt(0)
	v_trunc_f64_e32 v[2:3], v[2:3]
	v_ldexp_f64 v[8:9], v[2:3], s0
	s_mov_b32 s0, 0
	s_mov_b32 s1, 0xc1f00000
	v_floor_f64_e32 v[8:9], v[8:9]
	v_fma_f64 v[2:3], v[8:9], s[0:1], v[2:3]
	s_mov_b64 s[0:1], 0
	v_cvt_u32_f64_e32 v2, v[2:3]
	s_branch .LBB22_1843
.LBB22_1839:
	s_mov_b64 s[0:1], -1
                                        ; implicit-def: $vgpr2
	s_branch .LBB22_1861
.LBB22_1840:
	s_mov_b64 s[0:1], -1
                                        ; implicit-def: $vgpr2
	s_branch .LBB22_1849
.LBB22_1841:
	s_mov_b64 s[0:1], -1
                                        ; implicit-def: $vgpr2
	s_branch .LBB22_1846
.LBB22_1842:
	s_mov_b64 s[0:1], -1
                                        ; implicit-def: $vgpr2
.LBB22_1843:
	s_andn2_b64 vcc, exec, s[0:1]
	s_cbranch_vccnz .LBB22_1845
; %bb.1844:
	global_load_dword v2, v[4:5], off
	s_mov_b32 s0, 0x2f800000
	s_waitcnt vmcnt(0)
	v_trunc_f32_e32 v2, v2
	v_mul_f32_e64 v3, |v2|, s0
	v_floor_f32_e32 v3, v3
	s_mov_b32 s0, 0xcf800000
	v_fma_f32 v3, v3, s0, |v2|
	v_cvt_u32_f32_e32 v3, v3
	v_ashrrev_i32_e32 v2, 31, v2
	v_xor_b32_e32 v3, v3, v2
	v_sub_u32_e32 v2, v3, v2
.LBB22_1845:
	s_mov_b64 s[0:1], 0
.LBB22_1846:
	s_andn2_b64 vcc, exec, s[0:1]
	s_cbranch_vccnz .LBB22_1848
; %bb.1847:
	global_load_dword v2, v[4:5], off
	s_waitcnt vmcnt(0)
	v_cvt_f32_f16_e32 v2, v2
	v_cvt_i32_f32_e32 v2, v2
.LBB22_1848:
	s_mov_b64 s[0:1], 0
.LBB22_1849:
	s_andn2_b64 vcc, exec, s[0:1]
	s_cbranch_vccnz .LBB22_1860
; %bb.1850:
	s_cmp_lt_i32 s26, 6
	s_cbranch_scc1 .LBB22_1853
; %bb.1851:
	s_cmp_gt_i32 s26, 6
	s_cbranch_scc0 .LBB22_1854
; %bb.1852:
	global_load_dwordx2 v[2:3], v[4:5], off
	s_movk_i32 s0, 0xffe0
	s_waitcnt vmcnt(0)
	v_trunc_f64_e32 v[2:3], v[2:3]
	v_ldexp_f64 v[8:9], v[2:3], s0
	s_mov_b32 s0, 0
	s_mov_b32 s1, 0xc1f00000
	v_floor_f64_e32 v[8:9], v[8:9]
	v_fma_f64 v[2:3], v[8:9], s[0:1], v[2:3]
	s_mov_b64 s[0:1], 0
	v_cvt_u32_f64_e32 v2, v[2:3]
	s_branch .LBB22_1855
.LBB22_1853:
	s_mov_b64 s[0:1], -1
                                        ; implicit-def: $vgpr2
	s_branch .LBB22_1858
.LBB22_1854:
	s_mov_b64 s[0:1], -1
                                        ; implicit-def: $vgpr2
.LBB22_1855:
	s_andn2_b64 vcc, exec, s[0:1]
	s_cbranch_vccnz .LBB22_1857
; %bb.1856:
	global_load_dword v2, v[4:5], off
	s_mov_b32 s0, 0x2f800000
	s_waitcnt vmcnt(0)
	v_trunc_f32_e32 v2, v2
	v_mul_f32_e64 v3, |v2|, s0
	v_floor_f32_e32 v3, v3
	s_mov_b32 s0, 0xcf800000
	v_fma_f32 v3, v3, s0, |v2|
	v_cvt_u32_f32_e32 v3, v3
	v_ashrrev_i32_e32 v2, 31, v2
	v_xor_b32_e32 v3, v3, v2
	v_sub_u32_e32 v2, v3, v2
.LBB22_1857:
	s_mov_b64 s[0:1], 0
.LBB22_1858:
	s_andn2_b64 vcc, exec, s[0:1]
	s_cbranch_vccnz .LBB22_1860
; %bb.1859:
	global_load_ushort v2, v[4:5], off
	s_waitcnt vmcnt(0)
	v_cvt_f32_f16_e32 v2, v2
	v_cvt_i32_f32_e32 v2, v2
.LBB22_1860:
	s_mov_b64 s[0:1], 0
.LBB22_1861:
	s_andn2_b64 vcc, exec, s[0:1]
	s_cbranch_vccnz .LBB22_1881
; %bb.1862:
	s_cmp_lt_i32 s26, 2
	s_cbranch_scc1 .LBB22_1866
; %bb.1863:
	s_cmp_lt_i32 s26, 3
	s_cbranch_scc1 .LBB22_1867
; %bb.1864:
	s_cmp_gt_i32 s26, 3
	s_cbranch_scc0 .LBB22_1868
; %bb.1865:
	global_load_dwordx2 v[2:3], v[4:5], off
	s_mov_b64 s[0:1], 0
	s_branch .LBB22_1869
.LBB22_1866:
	s_mov_b64 s[0:1], -1
                                        ; implicit-def: $vgpr2
	s_branch .LBB22_1875
.LBB22_1867:
	s_mov_b64 s[0:1], -1
                                        ; implicit-def: $vgpr2
	s_branch .LBB22_1872
.LBB22_1868:
	s_mov_b64 s[0:1], -1
                                        ; implicit-def: $vgpr2
.LBB22_1869:
	s_andn2_b64 vcc, exec, s[0:1]
	s_cbranch_vccnz .LBB22_1871
; %bb.1870:
	global_load_dword v2, v[4:5], off
.LBB22_1871:
	s_mov_b64 s[0:1], 0
.LBB22_1872:
	s_andn2_b64 vcc, exec, s[0:1]
	s_cbranch_vccnz .LBB22_1874
; %bb.1873:
	global_load_ushort v2, v[4:5], off
.LBB22_1874:
	s_mov_b64 s[0:1], 0
.LBB22_1875:
	s_andn2_b64 vcc, exec, s[0:1]
	s_cbranch_vccnz .LBB22_1881
; %bb.1876:
	s_cmp_gt_i32 s26, 0
	s_cbranch_scc0 .LBB22_1878
; %bb.1877:
	global_load_ubyte v2, v[4:5], off
	s_mov_b64 s[0:1], 0
	s_branch .LBB22_1879
.LBB22_1878:
	s_mov_b64 s[0:1], -1
                                        ; implicit-def: $vgpr2
.LBB22_1879:
	s_andn2_b64 vcc, exec, s[0:1]
	s_cbranch_vccnz .LBB22_1881
; %bb.1880:
	global_load_ubyte v2, v[4:5], off
.LBB22_1881:
.LBB22_1882:
	s_lshl_b32 s24, s14, 7
	v_add_u32_e32 v8, s24, v6
	s_waitcnt vmcnt(0)
	v_ashrrev_i32_e32 v3, 31, v8
	v_mov_b32_e32 v4, s17
	v_add_co_u32_e32 v5, vcc, s16, v8
	s_cmp_lt_i32 s27, 11
	v_addc_co_u32_e32 v6, vcc, v4, v3, vcc
	s_cbranch_scc1 .LBB22_1889
; %bb.1883:
	s_and_b32 s25, 0xffff, s27
	s_cmp_gt_i32 s25, 25
	s_mov_b64 s[4:5], 0
	s_cbranch_scc0 .LBB22_1890
; %bb.1884:
	s_cmp_gt_i32 s25, 28
	s_cbranch_scc0 .LBB22_1891
; %bb.1885:
	s_cmp_gt_i32 s25, 43
	;; [unrolled: 3-line block ×3, first 2 shown]
	s_cbranch_scc0 .LBB22_1894
; %bb.1887:
	s_cmp_eq_u32 s25, 46
	s_mov_b64 s[22:23], 0
	s_cbranch_scc0 .LBB22_1895
; %bb.1888:
	global_load_dword v3, v[5:6], off
	s_mov_b32 s0, 0x2f800000
	s_mov_b32 s1, 0xcf800000
	s_mov_b64 s[14:15], -1
	s_waitcnt vmcnt(0)
	v_lshlrev_b32_e32 v3, 16, v3
	v_trunc_f32_e32 v3, v3
	v_mul_f32_e64 v4, |v3|, s0
	v_floor_f32_e32 v4, v4
	v_fma_f32 v4, v4, s1, |v3|
	v_cvt_u32_f32_e32 v4, v4
	v_ashrrev_i32_e32 v3, 31, v3
	s_mov_b64 s[0:1], 0
	v_xor_b32_e32 v4, v4, v3
	v_sub_u32_e32 v3, v4, v3
	s_branch .LBB22_1896
.LBB22_1889:
	s_mov_b64 s[0:1], -1
	s_mov_b64 s[14:15], 0
                                        ; implicit-def: $vgpr3
	s_branch .LBB22_1958
.LBB22_1890:
	s_mov_b64 s[22:23], -1
	s_mov_b64 s[14:15], 0
	s_mov_b64 s[0:1], 0
                                        ; implicit-def: $vgpr3
	s_branch .LBB22_1923
.LBB22_1891:
	s_mov_b64 s[22:23], -1
	s_mov_b64 s[14:15], 0
	s_mov_b64 s[0:1], 0
                                        ; implicit-def: $vgpr3
	s_branch .LBB22_1906
.LBB22_1892:
	s_mov_b64 s[22:23], -1
	s_mov_b64 s[14:15], 0
	s_mov_b64 s[0:1], 0
                                        ; implicit-def: $vgpr3
	s_branch .LBB22_1901
.LBB22_1893:
	s_trap 2
	s_or_b64 s[20:21], s[20:21], exec
	s_cbranch_execz .LBB22_1832
	s_branch .LBB22_1833
.LBB22_1894:
	s_mov_b64 s[22:23], -1
	s_mov_b64 s[14:15], 0
	s_mov_b64 s[0:1], 0
                                        ; implicit-def: $vgpr3
	s_branch .LBB22_1896
.LBB22_1895:
	s_mov_b64 s[0:1], -1
                                        ; implicit-def: $vgpr3
	s_mov_b64 s[14:15], 0
.LBB22_1896:
	s_and_b64 vcc, exec, s[22:23]
	s_cbranch_vccz .LBB22_1900
; %bb.1897:
	s_cmp_eq_u32 s25, 44
	s_cbranch_scc0 .LBB22_1899
; %bb.1898:
	global_load_ubyte v3, v[5:6], off
	s_mov_b32 s0, 0x2f800000
	s_mov_b32 s1, 0xcf800000
	s_mov_b64 s[14:15], -1
	s_waitcnt vmcnt(0)
	v_lshlrev_b32_e32 v4, 23, v3
	v_trunc_f32_e32 v4, v4
	v_mul_f32_e64 v9, |v4|, s0
	v_floor_f32_e32 v9, v9
	v_fma_f32 v9, v9, s1, |v4|
	v_cvt_u32_f32_e32 v9, v9
	v_ashrrev_i32_e32 v4, 31, v4
	v_cmp_ne_u32_e32 vcc, 0, v3
	s_mov_b64 s[0:1], 0
	v_xor_b32_e32 v9, v9, v4
	v_sub_u32_e32 v4, v9, v4
	v_cndmask_b32_e32 v3, 0, v4, vcc
	s_branch .LBB22_1900
.LBB22_1899:
	s_mov_b64 s[0:1], -1
                                        ; implicit-def: $vgpr3
.LBB22_1900:
	s_mov_b64 s[22:23], 0
.LBB22_1901:
	s_and_b64 vcc, exec, s[22:23]
	s_cbranch_vccz .LBB22_1905
; %bb.1902:
	s_cmp_eq_u32 s25, 29
	s_cbranch_scc0 .LBB22_1904
; %bb.1903:
	global_load_dwordx2 v[3:4], v[5:6], off
	s_mov_b64 s[0:1], 0
	s_mov_b64 s[14:15], -1
	s_branch .LBB22_1905
.LBB22_1904:
	s_mov_b64 s[0:1], -1
                                        ; implicit-def: $vgpr3
.LBB22_1905:
	s_mov_b64 s[22:23], 0
.LBB22_1906:
	s_and_b64 vcc, exec, s[22:23]
	s_cbranch_vccz .LBB22_1922
; %bb.1907:
	s_cmp_lt_i32 s25, 27
	s_cbranch_scc1 .LBB22_1910
; %bb.1908:
	s_cmp_gt_i32 s25, 27
	s_cbranch_scc0 .LBB22_1911
; %bb.1909:
	global_load_dword v3, v[5:6], off
	s_mov_b64 s[14:15], 0
	s_branch .LBB22_1912
.LBB22_1910:
	s_mov_b64 s[14:15], -1
                                        ; implicit-def: $vgpr3
	s_branch .LBB22_1915
.LBB22_1911:
	s_mov_b64 s[14:15], -1
                                        ; implicit-def: $vgpr3
.LBB22_1912:
	s_andn2_b64 vcc, exec, s[14:15]
	s_cbranch_vccnz .LBB22_1914
; %bb.1913:
	global_load_ushort v3, v[5:6], off
.LBB22_1914:
	s_mov_b64 s[14:15], 0
.LBB22_1915:
	s_andn2_b64 vcc, exec, s[14:15]
	s_cbranch_vccnz .LBB22_1921
; %bb.1916:
	global_load_ubyte v4, v[5:6], off
	s_movk_i32 s14, 0x7f
	s_mov_b64 s[22:23], 0
	s_waitcnt vmcnt(0)
	v_cmp_lt_i16_e32 vcc, s14, v4
	s_and_saveexec_b64 s[14:15], vcc
	s_xor_b64 s[14:15], exec, s[14:15]
	s_cbranch_execz .LBB22_1933
; %bb.1917:
	s_movk_i32 s22, 0x80
	v_cmp_ne_u16_e32 vcc, s22, v4
	s_and_b64 s[22:23], vcc, exec
	s_andn2_saveexec_b64 s[14:15], s[14:15]
	s_cbranch_execnz .LBB22_1934
.LBB22_1918:
	s_or_b64 exec, exec, s[14:15]
	v_mov_b32_e32 v3, 0
	s_and_saveexec_b64 s[14:15], s[22:23]
	s_cbranch_execz .LBB22_1920
.LBB22_1919:
	v_lshlrev_b32_e32 v3, 24, v4
	v_and_b32_e32 v4, 0xffff, v4
	v_and_b32_e32 v9, 7, v4
	v_ffbh_u32_e32 v12, v9
	v_min_u32_e32 v12, 32, v12
	v_subrev_u32_e32 v13, 28, v12
	v_bfe_u32 v10, v4, 3, 4
	v_lshlrev_b32_e32 v4, v13, v4
	v_sub_u32_e32 v12, 29, v12
	v_and_b32_e32 v4, 7, v4
	v_cmp_eq_u32_e32 vcc, 0, v10
	v_cndmask_b32_e32 v10, v10, v12, vcc
	v_cndmask_b32_e32 v4, v9, v4, vcc
	v_mov_b32_e32 v9, 0x3b800000
	v_lshlrev_b32_e32 v4, 20, v4
	v_and_b32_e32 v3, 0x80000000, v3
	v_lshl_add_u32 v9, v10, 23, v9
	v_or3_b32 v3, v3, v9, v4
	v_trunc_f32_e32 v3, v3
	s_mov_b32 s22, 0x2f800000
	v_mul_f32_e64 v4, |v3|, s22
	v_floor_f32_e32 v4, v4
	s_mov_b32 s22, 0xcf800000
	v_fma_f32 v4, v4, s22, |v3|
	v_cvt_u32_f32_e32 v4, v4
	v_ashrrev_i32_e32 v3, 31, v3
	v_xor_b32_e32 v4, v4, v3
	v_sub_u32_e32 v3, v4, v3
.LBB22_1920:
	s_or_b64 exec, exec, s[14:15]
.LBB22_1921:
	s_mov_b64 s[14:15], -1
.LBB22_1922:
	s_mov_b64 s[22:23], 0
.LBB22_1923:
	s_and_b64 vcc, exec, s[22:23]
	s_cbranch_vccz .LBB22_1954
; %bb.1924:
	s_cmp_gt_i32 s25, 22
	s_cbranch_scc0 .LBB22_1932
; %bb.1925:
	s_cmp_lt_i32 s25, 24
	s_cbranch_scc1 .LBB22_1935
; %bb.1926:
	s_cmp_gt_i32 s25, 24
	s_cbranch_scc0 .LBB22_1936
; %bb.1927:
	global_load_ubyte v4, v[5:6], off
	s_movk_i32 s4, 0x7f
	s_mov_b64 s[14:15], 0
	s_waitcnt vmcnt(0)
	v_cmp_lt_i16_e32 vcc, s4, v4
	s_and_saveexec_b64 s[4:5], vcc
	s_xor_b64 s[4:5], exec, s[4:5]
	s_cbranch_execz .LBB22_1948
; %bb.1928:
	s_movk_i32 s14, 0x80
	v_cmp_ne_u16_e32 vcc, s14, v4
	s_and_b64 s[14:15], vcc, exec
	s_andn2_saveexec_b64 s[4:5], s[4:5]
	s_cbranch_execnz .LBB22_1949
.LBB22_1929:
	s_or_b64 exec, exec, s[4:5]
	v_mov_b32_e32 v3, 0
	s_and_saveexec_b64 s[4:5], s[14:15]
	s_cbranch_execz .LBB22_1931
.LBB22_1930:
	v_lshlrev_b32_e32 v3, 24, v4
	v_and_b32_e32 v4, 0xffff, v4
	v_and_b32_e32 v9, 3, v4
	v_ffbh_u32_e32 v12, v9
	v_min_u32_e32 v12, 32, v12
	v_subrev_u32_e32 v13, 29, v12
	v_bfe_u32 v10, v4, 2, 5
	v_lshlrev_b32_e32 v4, v13, v4
	v_sub_u32_e32 v12, 30, v12
	v_and_b32_e32 v4, 3, v4
	v_cmp_eq_u32_e32 vcc, 0, v10
	v_cndmask_b32_e32 v10, v10, v12, vcc
	v_cndmask_b32_e32 v4, v9, v4, vcc
	v_mov_b32_e32 v9, 0x37800000
	v_lshlrev_b32_e32 v4, 21, v4
	v_and_b32_e32 v3, 0x80000000, v3
	v_lshl_add_u32 v9, v10, 23, v9
	v_or3_b32 v3, v3, v9, v4
	v_trunc_f32_e32 v3, v3
	s_mov_b32 s14, 0x2f800000
	v_mul_f32_e64 v4, |v3|, s14
	v_floor_f32_e32 v4, v4
	s_mov_b32 s14, 0xcf800000
	v_fma_f32 v4, v4, s14, |v3|
	v_cvt_u32_f32_e32 v4, v4
	v_ashrrev_i32_e32 v3, 31, v3
	v_xor_b32_e32 v4, v4, v3
	v_sub_u32_e32 v3, v4, v3
.LBB22_1931:
	s_or_b64 exec, exec, s[4:5]
	s_mov_b64 s[4:5], 0
	s_branch .LBB22_1937
.LBB22_1932:
	s_mov_b64 s[4:5], -1
                                        ; implicit-def: $vgpr3
	s_branch .LBB22_1943
.LBB22_1933:
	s_andn2_saveexec_b64 s[14:15], s[14:15]
	s_cbranch_execz .LBB22_1918
.LBB22_1934:
	v_cmp_ne_u16_e32 vcc, 0, v4
	s_andn2_b64 s[22:23], s[22:23], exec
	s_and_b64 s[28:29], vcc, exec
	s_or_b64 s[22:23], s[22:23], s[28:29]
	s_or_b64 exec, exec, s[14:15]
	v_mov_b32_e32 v3, 0
	s_and_saveexec_b64 s[14:15], s[22:23]
	s_cbranch_execnz .LBB22_1919
	s_branch .LBB22_1920
.LBB22_1935:
	s_mov_b64 s[4:5], -1
                                        ; implicit-def: $vgpr3
	s_branch .LBB22_1940
.LBB22_1936:
	s_mov_b64 s[4:5], -1
                                        ; implicit-def: $vgpr3
.LBB22_1937:
	s_and_b64 vcc, exec, s[4:5]
	s_cbranch_vccz .LBB22_1939
; %bb.1938:
	global_load_ubyte v3, v[5:6], off
	s_mov_b32 s4, 0x7f800000
	s_brev_b32 s5, 1
	s_mov_b32 s14, 0x2f800000
	s_waitcnt vmcnt(0)
	v_lshlrev_b32_e32 v3, 24, v3
	v_and_b32_e32 v4, 0x7f000000, v3
	v_ffbh_u32_e32 v9, v4
	v_min_u32_e32 v9, 32, v9
	v_sub_u32_e64 v9, v9, 4 clamp
	v_lshlrev_b32_e32 v12, v9, v4
	v_lshlrev_b32_e32 v9, 23, v9
	v_lshrrev_b32_e32 v12, 4, v12
	v_add_u32_e32 v10, 0x1000000, v4
	v_sub_u32_e32 v9, v12, v9
	v_ashrrev_i32_e32 v10, 8, v10
	v_add_u32_e32 v9, 0x3c000000, v9
	v_and_or_b32 v9, v10, s4, v9
	v_cmp_ne_u32_e32 vcc, 0, v4
	v_cndmask_b32_e32 v4, 0, v9, vcc
	v_and_or_b32 v3, v3, s5, v4
	v_trunc_f32_e32 v3, v3
	v_mul_f32_e64 v4, |v3|, s14
	v_floor_f32_e32 v4, v4
	s_mov_b32 s4, 0xcf800000
	v_fma_f32 v4, v4, s4, |v3|
	v_cvt_u32_f32_e32 v4, v4
	v_ashrrev_i32_e32 v3, 31, v3
	v_xor_b32_e32 v4, v4, v3
	v_sub_u32_e32 v3, v4, v3
.LBB22_1939:
	s_mov_b64 s[4:5], 0
.LBB22_1940:
	s_andn2_b64 vcc, exec, s[4:5]
	s_cbranch_vccnz .LBB22_1942
; %bb.1941:
	global_load_ubyte v3, v[5:6], off
	s_movk_i32 s4, 0x7f00
	s_brev_b32 s5, 16
	s_brev_b32 s14, 1
	s_mov_b32 s15, 0x2f800000
	s_waitcnt vmcnt(0)
	v_lshlrev_b16_e32 v4, 8, v3
	v_lshlrev_b32_e32 v3, 25, v3
	v_lshrrev_b32_e32 v9, 4, v3
	v_and_or_b32 v10, v4, s4, 0.5
	v_or_b32_e32 v9, 0x70000000, v9
	v_add_f32_e32 v10, -0.5, v10
	v_mul_f32_e32 v9, 0x7800000, v9
	v_cmp_gt_u32_e32 vcc, s5, v3
	v_bfe_i32 v4, v4, 0, 16
	v_cndmask_b32_e32 v3, v9, v10, vcc
	v_and_or_b32 v3, v4, s14, v3
	v_trunc_f32_e32 v3, v3
	v_mul_f32_e64 v4, |v3|, s15
	v_floor_f32_e32 v4, v4
	s_mov_b32 s4, 0xcf800000
	v_fma_f32 v4, v4, s4, |v3|
	v_cvt_u32_f32_e32 v4, v4
	v_ashrrev_i32_e32 v3, 31, v3
	v_xor_b32_e32 v4, v4, v3
	v_sub_u32_e32 v3, v4, v3
.LBB22_1942:
	s_mov_b64 s[4:5], 0
	s_mov_b64 s[14:15], -1
.LBB22_1943:
	s_andn2_b64 vcc, exec, s[4:5]
	s_mov_b64 s[4:5], 0
	s_cbranch_vccnz .LBB22_1954
; %bb.1944:
	s_cmp_gt_i32 s25, 14
	s_cbranch_scc0 .LBB22_1947
; %bb.1945:
	s_cmp_eq_u32 s25, 15
	s_cbranch_scc0 .LBB22_1950
; %bb.1946:
	global_load_ushort v3, v[5:6], off
	s_mov_b32 s0, 0x2f800000
	s_mov_b32 s1, 0xcf800000
	s_mov_b64 s[14:15], -1
	s_waitcnt vmcnt(0)
	v_lshlrev_b32_e32 v3, 16, v3
	v_trunc_f32_e32 v3, v3
	v_mul_f32_e64 v4, |v3|, s0
	v_floor_f32_e32 v4, v4
	v_fma_f32 v4, v4, s1, |v3|
	v_cvt_u32_f32_e32 v4, v4
	v_ashrrev_i32_e32 v3, 31, v3
	s_mov_b64 s[0:1], 0
	v_xor_b32_e32 v4, v4, v3
	v_sub_u32_e32 v3, v4, v3
	s_branch .LBB22_1951
.LBB22_1947:
	s_mov_b64 s[22:23], -1
                                        ; implicit-def: $vgpr3
	s_branch .LBB22_1952
.LBB22_1948:
	s_andn2_saveexec_b64 s[4:5], s[4:5]
	s_cbranch_execz .LBB22_1929
.LBB22_1949:
	v_cmp_ne_u16_e32 vcc, 0, v4
	s_andn2_b64 s[14:15], s[14:15], exec
	s_and_b64 s[22:23], vcc, exec
	s_or_b64 s[14:15], s[14:15], s[22:23]
	s_or_b64 exec, exec, s[4:5]
	v_mov_b32_e32 v3, 0
	s_and_saveexec_b64 s[4:5], s[14:15]
	s_cbranch_execnz .LBB22_1930
	s_branch .LBB22_1931
.LBB22_1950:
	s_mov_b64 s[0:1], -1
                                        ; implicit-def: $vgpr3
.LBB22_1951:
	s_mov_b64 s[22:23], 0
.LBB22_1952:
	s_and_b64 vcc, exec, s[22:23]
	s_cbranch_vccz .LBB22_1954
; %bb.1953:
	s_cmp_lg_u32 s25, 11
	s_mov_b64 s[4:5], -1
	s_cselect_b64 s[0:1], -1, 0
.LBB22_1954:
	s_and_b64 vcc, exec, s[0:1]
	s_cbranch_vccnz .LBB22_2019
; %bb.1955:
	s_andn2_b64 vcc, exec, s[4:5]
	s_cbranch_vccnz .LBB22_1957
.LBB22_1956:
	global_load_ubyte v3, v[5:6], off
	s_mov_b64 s[14:15], -1
	s_waitcnt vmcnt(0)
	v_cmp_ne_u16_e32 vcc, 0, v3
	v_cndmask_b32_e64 v3, 0, 1, vcc
.LBB22_1957:
	s_mov_b64 s[0:1], 0
.LBB22_1958:
	s_and_b64 vcc, exec, s[0:1]
	s_cbranch_vccz .LBB22_2007
; %bb.1959:
	s_and_b32 s4, 0xffff, s27
	s_cmp_lt_i32 s4, 5
	s_cbranch_scc1 .LBB22_1964
; %bb.1960:
	s_cmp_lt_i32 s4, 8
	s_cbranch_scc1 .LBB22_1965
; %bb.1961:
	;; [unrolled: 3-line block ×3, first 2 shown]
	s_cmp_gt_i32 s4, 9
	s_cbranch_scc0 .LBB22_1967
; %bb.1963:
	global_load_dwordx2 v[3:4], v[5:6], off
	s_movk_i32 s0, 0xffe0
	s_waitcnt vmcnt(0)
	v_trunc_f64_e32 v[3:4], v[3:4]
	v_ldexp_f64 v[9:10], v[3:4], s0
	s_mov_b32 s0, 0
	s_mov_b32 s1, 0xc1f00000
	v_floor_f64_e32 v[9:10], v[9:10]
	v_fma_f64 v[3:4], v[9:10], s[0:1], v[3:4]
	s_mov_b64 s[0:1], 0
	v_cvt_u32_f64_e32 v3, v[3:4]
	s_branch .LBB22_1968
.LBB22_1964:
	s_mov_b64 s[0:1], -1
                                        ; implicit-def: $vgpr3
	s_branch .LBB22_1986
.LBB22_1965:
	s_mov_b64 s[0:1], -1
                                        ; implicit-def: $vgpr3
	s_branch .LBB22_1974
.LBB22_1966:
	s_mov_b64 s[0:1], -1
                                        ; implicit-def: $vgpr3
	s_branch .LBB22_1971
.LBB22_1967:
	s_mov_b64 s[0:1], -1
                                        ; implicit-def: $vgpr3
.LBB22_1968:
	s_andn2_b64 vcc, exec, s[0:1]
	s_cbranch_vccnz .LBB22_1970
; %bb.1969:
	global_load_dword v3, v[5:6], off
	s_mov_b32 s0, 0x2f800000
	s_waitcnt vmcnt(0)
	v_trunc_f32_e32 v3, v3
	v_mul_f32_e64 v4, |v3|, s0
	v_floor_f32_e32 v4, v4
	s_mov_b32 s0, 0xcf800000
	v_fma_f32 v4, v4, s0, |v3|
	v_cvt_u32_f32_e32 v4, v4
	v_ashrrev_i32_e32 v3, 31, v3
	v_xor_b32_e32 v4, v4, v3
	v_sub_u32_e32 v3, v4, v3
.LBB22_1970:
	s_mov_b64 s[0:1], 0
.LBB22_1971:
	s_andn2_b64 vcc, exec, s[0:1]
	s_cbranch_vccnz .LBB22_1973
; %bb.1972:
	global_load_dword v3, v[5:6], off
	s_waitcnt vmcnt(0)
	v_cvt_f32_f16_e32 v3, v3
	v_cvt_i32_f32_e32 v3, v3
.LBB22_1973:
	s_mov_b64 s[0:1], 0
.LBB22_1974:
	s_andn2_b64 vcc, exec, s[0:1]
	s_cbranch_vccnz .LBB22_1985
; %bb.1975:
	s_cmp_lt_i32 s4, 6
	s_cbranch_scc1 .LBB22_1978
; %bb.1976:
	s_cmp_gt_i32 s4, 6
	s_cbranch_scc0 .LBB22_1979
; %bb.1977:
	global_load_dwordx2 v[3:4], v[5:6], off
	s_movk_i32 s0, 0xffe0
	s_waitcnt vmcnt(0)
	v_trunc_f64_e32 v[3:4], v[3:4]
	v_ldexp_f64 v[9:10], v[3:4], s0
	s_mov_b32 s0, 0
	s_mov_b32 s1, 0xc1f00000
	v_floor_f64_e32 v[9:10], v[9:10]
	v_fma_f64 v[3:4], v[9:10], s[0:1], v[3:4]
	s_mov_b64 s[0:1], 0
	v_cvt_u32_f64_e32 v3, v[3:4]
	s_branch .LBB22_1980
.LBB22_1978:
	s_mov_b64 s[0:1], -1
                                        ; implicit-def: $vgpr3
	s_branch .LBB22_1983
.LBB22_1979:
	s_mov_b64 s[0:1], -1
                                        ; implicit-def: $vgpr3
.LBB22_1980:
	s_andn2_b64 vcc, exec, s[0:1]
	s_cbranch_vccnz .LBB22_1982
; %bb.1981:
	global_load_dword v3, v[5:6], off
	s_mov_b32 s0, 0x2f800000
	s_waitcnt vmcnt(0)
	v_trunc_f32_e32 v3, v3
	v_mul_f32_e64 v4, |v3|, s0
	v_floor_f32_e32 v4, v4
	s_mov_b32 s0, 0xcf800000
	v_fma_f32 v4, v4, s0, |v3|
	v_cvt_u32_f32_e32 v4, v4
	v_ashrrev_i32_e32 v3, 31, v3
	v_xor_b32_e32 v4, v4, v3
	v_sub_u32_e32 v3, v4, v3
.LBB22_1982:
	s_mov_b64 s[0:1], 0
.LBB22_1983:
	s_andn2_b64 vcc, exec, s[0:1]
	s_cbranch_vccnz .LBB22_1985
; %bb.1984:
	global_load_ushort v3, v[5:6], off
	s_waitcnt vmcnt(0)
	v_cvt_f32_f16_e32 v3, v3
	v_cvt_i32_f32_e32 v3, v3
.LBB22_1985:
	s_mov_b64 s[0:1], 0
.LBB22_1986:
	s_andn2_b64 vcc, exec, s[0:1]
	s_cbranch_vccnz .LBB22_2006
; %bb.1987:
	s_cmp_lt_i32 s4, 2
	s_cbranch_scc1 .LBB22_1991
; %bb.1988:
	s_cmp_lt_i32 s4, 3
	s_cbranch_scc1 .LBB22_1992
; %bb.1989:
	s_cmp_gt_i32 s4, 3
	s_cbranch_scc0 .LBB22_1993
; %bb.1990:
	global_load_dwordx2 v[3:4], v[5:6], off
	s_mov_b64 s[0:1], 0
	s_branch .LBB22_1994
.LBB22_1991:
	s_mov_b64 s[0:1], -1
                                        ; implicit-def: $vgpr3
	s_branch .LBB22_2000
.LBB22_1992:
	s_mov_b64 s[0:1], -1
                                        ; implicit-def: $vgpr3
	s_branch .LBB22_1997
.LBB22_1993:
	s_mov_b64 s[0:1], -1
                                        ; implicit-def: $vgpr3
.LBB22_1994:
	s_andn2_b64 vcc, exec, s[0:1]
	s_cbranch_vccnz .LBB22_1996
; %bb.1995:
	global_load_dword v3, v[5:6], off
.LBB22_1996:
	s_mov_b64 s[0:1], 0
.LBB22_1997:
	s_andn2_b64 vcc, exec, s[0:1]
	s_cbranch_vccnz .LBB22_1999
; %bb.1998:
	global_load_ushort v3, v[5:6], off
.LBB22_1999:
	s_mov_b64 s[0:1], 0
.LBB22_2000:
	s_andn2_b64 vcc, exec, s[0:1]
	s_cbranch_vccnz .LBB22_2006
; %bb.2001:
	s_cmp_gt_i32 s4, 0
	s_cbranch_scc0 .LBB22_2003
; %bb.2002:
	global_load_ubyte v3, v[5:6], off
	s_mov_b64 s[0:1], 0
	s_branch .LBB22_2004
.LBB22_2003:
	s_mov_b64 s[0:1], -1
                                        ; implicit-def: $vgpr3
.LBB22_2004:
	s_andn2_b64 vcc, exec, s[0:1]
	s_cbranch_vccnz .LBB22_2006
; %bb.2005:
	global_load_ubyte v3, v[5:6], off
.LBB22_2006:
	s_mov_b64 s[14:15], -1
.LBB22_2007:
	s_andn2_b64 vcc, exec, s[14:15]
	s_cbranch_vccnz .LBB22_2947
; %bb.2008:
	v_add_u32_e32 v9, s13, v7
	s_waitcnt vmcnt(0)
	v_ashrrev_i32_e32 v4, 31, v9
	v_mov_b32_e32 v5, s11
	v_add_co_u32_e32 v6, vcc, s10, v9
	s_cmp_lt_i32 s26, 11
	v_addc_co_u32_e32 v7, vcc, v5, v4, vcc
	s_cbranch_scc1 .LBB22_2015
; %bb.2009:
	s_cmp_gt_i32 s26, 25
	s_mov_b64 s[4:5], 0
	s_cbranch_scc0 .LBB22_2016
; %bb.2010:
	s_cmp_gt_i32 s26, 28
	s_cbranch_scc0 .LBB22_2017
; %bb.2011:
	s_cmp_gt_i32 s26, 43
	;; [unrolled: 3-line block ×3, first 2 shown]
	s_cbranch_scc0 .LBB22_2020
; %bb.2013:
	s_cmp_eq_u32 s26, 46
	s_mov_b64 s[22:23], 0
	s_cbranch_scc0 .LBB22_2021
; %bb.2014:
	global_load_dword v4, v[6:7], off
	s_mov_b32 s0, 0x2f800000
	s_mov_b32 s1, 0xcf800000
	s_mov_b64 s[14:15], -1
	s_waitcnt vmcnt(0)
	v_lshlrev_b32_e32 v4, 16, v4
	v_trunc_f32_e32 v4, v4
	v_mul_f32_e64 v5, |v4|, s0
	v_floor_f32_e32 v5, v5
	v_fma_f32 v5, v5, s1, |v4|
	v_cvt_u32_f32_e32 v5, v5
	v_ashrrev_i32_e32 v4, 31, v4
	s_mov_b64 s[0:1], 0
	v_xor_b32_e32 v5, v5, v4
	v_sub_u32_e32 v4, v5, v4
	s_branch .LBB22_2022
.LBB22_2015:
	s_mov_b64 s[0:1], -1
	s_mov_b64 s[14:15], 0
                                        ; implicit-def: $vgpr4
	s_branch .LBB22_2084
.LBB22_2016:
	s_mov_b64 s[22:23], -1
	s_mov_b64 s[14:15], 0
	s_mov_b64 s[0:1], 0
                                        ; implicit-def: $vgpr4
	s_branch .LBB22_2049
.LBB22_2017:
	s_mov_b64 s[22:23], -1
	s_mov_b64 s[14:15], 0
	s_mov_b64 s[0:1], 0
                                        ; implicit-def: $vgpr4
	s_branch .LBB22_2032
.LBB22_2018:
	s_mov_b64 s[22:23], -1
	s_mov_b64 s[14:15], 0
	s_mov_b64 s[0:1], 0
                                        ; implicit-def: $vgpr4
	s_branch .LBB22_2027
.LBB22_2019:
	s_trap 2
	s_or_b64 s[20:21], s[20:21], exec
	s_cbranch_execz .LBB22_1956
	s_branch .LBB22_1957
.LBB22_2020:
	s_mov_b64 s[22:23], -1
	s_mov_b64 s[14:15], 0
	s_mov_b64 s[0:1], 0
                                        ; implicit-def: $vgpr4
	s_branch .LBB22_2022
.LBB22_2021:
	s_mov_b64 s[0:1], -1
                                        ; implicit-def: $vgpr4
	s_mov_b64 s[14:15], 0
.LBB22_2022:
	s_and_b64 vcc, exec, s[22:23]
	s_cbranch_vccz .LBB22_2026
; %bb.2023:
	s_cmp_eq_u32 s26, 44
	s_cbranch_scc0 .LBB22_2025
; %bb.2024:
	global_load_ubyte v4, v[6:7], off
	s_mov_b32 s0, 0x2f800000
	s_mov_b32 s1, 0xcf800000
	s_mov_b64 s[14:15], -1
	s_waitcnt vmcnt(0)
	v_lshlrev_b32_e32 v5, 23, v4
	v_trunc_f32_e32 v5, v5
	v_mul_f32_e64 v10, |v5|, s0
	v_floor_f32_e32 v10, v10
	v_fma_f32 v10, v10, s1, |v5|
	v_cvt_u32_f32_e32 v10, v10
	v_ashrrev_i32_e32 v5, 31, v5
	v_cmp_ne_u32_e32 vcc, 0, v4
	s_mov_b64 s[0:1], 0
	v_xor_b32_e32 v10, v10, v5
	v_sub_u32_e32 v5, v10, v5
	v_cndmask_b32_e32 v4, 0, v5, vcc
	s_branch .LBB22_2026
.LBB22_2025:
	s_mov_b64 s[0:1], -1
                                        ; implicit-def: $vgpr4
.LBB22_2026:
	s_mov_b64 s[22:23], 0
.LBB22_2027:
	s_and_b64 vcc, exec, s[22:23]
	s_cbranch_vccz .LBB22_2031
; %bb.2028:
	s_cmp_eq_u32 s26, 29
	s_cbranch_scc0 .LBB22_2030
; %bb.2029:
	global_load_dwordx2 v[4:5], v[6:7], off
	s_mov_b64 s[0:1], 0
	s_mov_b64 s[14:15], -1
	s_branch .LBB22_2031
.LBB22_2030:
	s_mov_b64 s[0:1], -1
                                        ; implicit-def: $vgpr4
.LBB22_2031:
	s_mov_b64 s[22:23], 0
.LBB22_2032:
	s_and_b64 vcc, exec, s[22:23]
	s_cbranch_vccz .LBB22_2048
; %bb.2033:
	s_cmp_lt_i32 s26, 27
	s_cbranch_scc1 .LBB22_2036
; %bb.2034:
	s_cmp_gt_i32 s26, 27
	s_cbranch_scc0 .LBB22_2037
; %bb.2035:
	global_load_dword v4, v[6:7], off
	s_mov_b64 s[14:15], 0
	s_branch .LBB22_2038
.LBB22_2036:
	s_mov_b64 s[14:15], -1
                                        ; implicit-def: $vgpr4
	s_branch .LBB22_2041
.LBB22_2037:
	s_mov_b64 s[14:15], -1
                                        ; implicit-def: $vgpr4
.LBB22_2038:
	s_andn2_b64 vcc, exec, s[14:15]
	s_cbranch_vccnz .LBB22_2040
; %bb.2039:
	global_load_ushort v4, v[6:7], off
.LBB22_2040:
	s_mov_b64 s[14:15], 0
.LBB22_2041:
	s_andn2_b64 vcc, exec, s[14:15]
	s_cbranch_vccnz .LBB22_2047
; %bb.2042:
	global_load_ubyte v5, v[6:7], off
	s_movk_i32 s14, 0x7f
	s_mov_b64 s[22:23], 0
	s_waitcnt vmcnt(0)
	v_cmp_lt_i16_e32 vcc, s14, v5
	s_and_saveexec_b64 s[14:15], vcc
	s_xor_b64 s[14:15], exec, s[14:15]
	s_cbranch_execz .LBB22_2059
; %bb.2043:
	s_movk_i32 s22, 0x80
	v_cmp_ne_u16_e32 vcc, s22, v5
	s_and_b64 s[22:23], vcc, exec
	s_andn2_saveexec_b64 s[14:15], s[14:15]
	s_cbranch_execnz .LBB22_2060
.LBB22_2044:
	s_or_b64 exec, exec, s[14:15]
	v_mov_b32_e32 v4, 0
	s_and_saveexec_b64 s[14:15], s[22:23]
	s_cbranch_execz .LBB22_2046
.LBB22_2045:
	v_lshlrev_b32_e32 v4, 24, v5
	v_and_b32_e32 v5, 0xffff, v5
	v_and_b32_e32 v10, 7, v5
	v_ffbh_u32_e32 v13, v10
	v_min_u32_e32 v13, 32, v13
	v_subrev_u32_e32 v14, 28, v13
	v_bfe_u32 v12, v5, 3, 4
	v_lshlrev_b32_e32 v5, v14, v5
	v_sub_u32_e32 v13, 29, v13
	v_and_b32_e32 v5, 7, v5
	v_cmp_eq_u32_e32 vcc, 0, v12
	v_cndmask_b32_e32 v12, v12, v13, vcc
	v_cndmask_b32_e32 v5, v10, v5, vcc
	v_mov_b32_e32 v10, 0x3b800000
	v_lshlrev_b32_e32 v5, 20, v5
	v_and_b32_e32 v4, 0x80000000, v4
	v_lshl_add_u32 v10, v12, 23, v10
	v_or3_b32 v4, v4, v10, v5
	v_trunc_f32_e32 v4, v4
	s_mov_b32 s22, 0x2f800000
	v_mul_f32_e64 v5, |v4|, s22
	v_floor_f32_e32 v5, v5
	s_mov_b32 s22, 0xcf800000
	v_fma_f32 v5, v5, s22, |v4|
	v_cvt_u32_f32_e32 v5, v5
	v_ashrrev_i32_e32 v4, 31, v4
	v_xor_b32_e32 v5, v5, v4
	v_sub_u32_e32 v4, v5, v4
.LBB22_2046:
	s_or_b64 exec, exec, s[14:15]
.LBB22_2047:
	s_mov_b64 s[14:15], -1
.LBB22_2048:
	s_mov_b64 s[22:23], 0
.LBB22_2049:
	s_and_b64 vcc, exec, s[22:23]
	s_cbranch_vccz .LBB22_2080
; %bb.2050:
	s_cmp_gt_i32 s26, 22
	s_cbranch_scc0 .LBB22_2058
; %bb.2051:
	s_cmp_lt_i32 s26, 24
	s_cbranch_scc1 .LBB22_2061
; %bb.2052:
	s_cmp_gt_i32 s26, 24
	s_cbranch_scc0 .LBB22_2062
; %bb.2053:
	global_load_ubyte v5, v[6:7], off
	s_movk_i32 s4, 0x7f
	s_mov_b64 s[14:15], 0
	s_waitcnt vmcnt(0)
	v_cmp_lt_i16_e32 vcc, s4, v5
	s_and_saveexec_b64 s[4:5], vcc
	s_xor_b64 s[4:5], exec, s[4:5]
	s_cbranch_execz .LBB22_2074
; %bb.2054:
	s_movk_i32 s14, 0x80
	v_cmp_ne_u16_e32 vcc, s14, v5
	s_and_b64 s[14:15], vcc, exec
	s_andn2_saveexec_b64 s[4:5], s[4:5]
	s_cbranch_execnz .LBB22_2075
.LBB22_2055:
	s_or_b64 exec, exec, s[4:5]
	v_mov_b32_e32 v4, 0
	s_and_saveexec_b64 s[4:5], s[14:15]
	s_cbranch_execz .LBB22_2057
.LBB22_2056:
	v_lshlrev_b32_e32 v4, 24, v5
	v_and_b32_e32 v5, 0xffff, v5
	v_and_b32_e32 v10, 3, v5
	v_ffbh_u32_e32 v13, v10
	v_min_u32_e32 v13, 32, v13
	v_subrev_u32_e32 v14, 29, v13
	v_bfe_u32 v12, v5, 2, 5
	v_lshlrev_b32_e32 v5, v14, v5
	v_sub_u32_e32 v13, 30, v13
	v_and_b32_e32 v5, 3, v5
	v_cmp_eq_u32_e32 vcc, 0, v12
	v_cndmask_b32_e32 v12, v12, v13, vcc
	v_cndmask_b32_e32 v5, v10, v5, vcc
	v_mov_b32_e32 v10, 0x37800000
	v_lshlrev_b32_e32 v5, 21, v5
	v_and_b32_e32 v4, 0x80000000, v4
	v_lshl_add_u32 v10, v12, 23, v10
	v_or3_b32 v4, v4, v10, v5
	v_trunc_f32_e32 v4, v4
	s_mov_b32 s14, 0x2f800000
	v_mul_f32_e64 v5, |v4|, s14
	v_floor_f32_e32 v5, v5
	s_mov_b32 s14, 0xcf800000
	v_fma_f32 v5, v5, s14, |v4|
	v_cvt_u32_f32_e32 v5, v5
	v_ashrrev_i32_e32 v4, 31, v4
	v_xor_b32_e32 v5, v5, v4
	v_sub_u32_e32 v4, v5, v4
.LBB22_2057:
	s_or_b64 exec, exec, s[4:5]
	s_mov_b64 s[4:5], 0
	s_branch .LBB22_2063
.LBB22_2058:
	s_mov_b64 s[4:5], -1
                                        ; implicit-def: $vgpr4
	s_branch .LBB22_2069
.LBB22_2059:
	s_andn2_saveexec_b64 s[14:15], s[14:15]
	s_cbranch_execz .LBB22_2044
.LBB22_2060:
	v_cmp_ne_u16_e32 vcc, 0, v5
	s_andn2_b64 s[22:23], s[22:23], exec
	s_and_b64 s[28:29], vcc, exec
	s_or_b64 s[22:23], s[22:23], s[28:29]
	s_or_b64 exec, exec, s[14:15]
	v_mov_b32_e32 v4, 0
	s_and_saveexec_b64 s[14:15], s[22:23]
	s_cbranch_execnz .LBB22_2045
	s_branch .LBB22_2046
.LBB22_2061:
	s_mov_b64 s[4:5], -1
                                        ; implicit-def: $vgpr4
	s_branch .LBB22_2066
.LBB22_2062:
	s_mov_b64 s[4:5], -1
                                        ; implicit-def: $vgpr4
.LBB22_2063:
	s_and_b64 vcc, exec, s[4:5]
	s_cbranch_vccz .LBB22_2065
; %bb.2064:
	global_load_ubyte v4, v[6:7], off
	s_mov_b32 s4, 0x7f800000
	s_brev_b32 s5, 1
	s_mov_b32 s14, 0x2f800000
	s_waitcnt vmcnt(0)
	v_lshlrev_b32_e32 v4, 24, v4
	v_and_b32_e32 v5, 0x7f000000, v4
	v_ffbh_u32_e32 v10, v5
	v_min_u32_e32 v10, 32, v10
	v_sub_u32_e64 v10, v10, 4 clamp
	v_lshlrev_b32_e32 v13, v10, v5
	v_lshlrev_b32_e32 v10, 23, v10
	v_lshrrev_b32_e32 v13, 4, v13
	v_add_u32_e32 v12, 0x1000000, v5
	v_sub_u32_e32 v10, v13, v10
	v_ashrrev_i32_e32 v12, 8, v12
	v_add_u32_e32 v10, 0x3c000000, v10
	v_and_or_b32 v10, v12, s4, v10
	v_cmp_ne_u32_e32 vcc, 0, v5
	v_cndmask_b32_e32 v5, 0, v10, vcc
	v_and_or_b32 v4, v4, s5, v5
	v_trunc_f32_e32 v4, v4
	v_mul_f32_e64 v5, |v4|, s14
	v_floor_f32_e32 v5, v5
	s_mov_b32 s4, 0xcf800000
	v_fma_f32 v5, v5, s4, |v4|
	v_cvt_u32_f32_e32 v5, v5
	v_ashrrev_i32_e32 v4, 31, v4
	v_xor_b32_e32 v5, v5, v4
	v_sub_u32_e32 v4, v5, v4
.LBB22_2065:
	s_mov_b64 s[4:5], 0
.LBB22_2066:
	s_andn2_b64 vcc, exec, s[4:5]
	s_cbranch_vccnz .LBB22_2068
; %bb.2067:
	global_load_ubyte v4, v[6:7], off
	s_movk_i32 s4, 0x7f00
	s_brev_b32 s5, 16
	s_brev_b32 s14, 1
	s_mov_b32 s15, 0x2f800000
	s_waitcnt vmcnt(0)
	v_lshlrev_b16_e32 v5, 8, v4
	v_lshlrev_b32_e32 v4, 25, v4
	v_lshrrev_b32_e32 v10, 4, v4
	v_and_or_b32 v12, v5, s4, 0.5
	v_or_b32_e32 v10, 0x70000000, v10
	v_add_f32_e32 v12, -0.5, v12
	v_mul_f32_e32 v10, 0x7800000, v10
	v_cmp_gt_u32_e32 vcc, s5, v4
	v_bfe_i32 v5, v5, 0, 16
	v_cndmask_b32_e32 v4, v10, v12, vcc
	v_and_or_b32 v4, v5, s14, v4
	v_trunc_f32_e32 v4, v4
	v_mul_f32_e64 v5, |v4|, s15
	v_floor_f32_e32 v5, v5
	s_mov_b32 s4, 0xcf800000
	v_fma_f32 v5, v5, s4, |v4|
	v_cvt_u32_f32_e32 v5, v5
	v_ashrrev_i32_e32 v4, 31, v4
	v_xor_b32_e32 v5, v5, v4
	v_sub_u32_e32 v4, v5, v4
.LBB22_2068:
	s_mov_b64 s[4:5], 0
	s_mov_b64 s[14:15], -1
.LBB22_2069:
	s_andn2_b64 vcc, exec, s[4:5]
	s_mov_b64 s[4:5], 0
	s_cbranch_vccnz .LBB22_2080
; %bb.2070:
	s_cmp_gt_i32 s26, 14
	s_cbranch_scc0 .LBB22_2073
; %bb.2071:
	s_cmp_eq_u32 s26, 15
	s_cbranch_scc0 .LBB22_2076
; %bb.2072:
	global_load_ushort v4, v[6:7], off
	s_mov_b32 s0, 0x2f800000
	s_mov_b32 s1, 0xcf800000
	s_mov_b64 s[14:15], -1
	s_waitcnt vmcnt(0)
	v_lshlrev_b32_e32 v4, 16, v4
	v_trunc_f32_e32 v4, v4
	v_mul_f32_e64 v5, |v4|, s0
	v_floor_f32_e32 v5, v5
	v_fma_f32 v5, v5, s1, |v4|
	v_cvt_u32_f32_e32 v5, v5
	v_ashrrev_i32_e32 v4, 31, v4
	s_mov_b64 s[0:1], 0
	v_xor_b32_e32 v5, v5, v4
	v_sub_u32_e32 v4, v5, v4
	s_branch .LBB22_2077
.LBB22_2073:
	s_mov_b64 s[22:23], -1
                                        ; implicit-def: $vgpr4
	s_branch .LBB22_2078
.LBB22_2074:
	s_andn2_saveexec_b64 s[4:5], s[4:5]
	s_cbranch_execz .LBB22_2055
.LBB22_2075:
	v_cmp_ne_u16_e32 vcc, 0, v5
	s_andn2_b64 s[14:15], s[14:15], exec
	s_and_b64 s[22:23], vcc, exec
	s_or_b64 s[14:15], s[14:15], s[22:23]
	s_or_b64 exec, exec, s[4:5]
	v_mov_b32_e32 v4, 0
	s_and_saveexec_b64 s[4:5], s[14:15]
	s_cbranch_execnz .LBB22_2056
	s_branch .LBB22_2057
.LBB22_2076:
	s_mov_b64 s[0:1], -1
                                        ; implicit-def: $vgpr4
.LBB22_2077:
	s_mov_b64 s[22:23], 0
.LBB22_2078:
	s_and_b64 vcc, exec, s[22:23]
	s_cbranch_vccz .LBB22_2080
; %bb.2079:
	s_cmp_lg_u32 s26, 11
	s_mov_b64 s[4:5], -1
	s_cselect_b64 s[0:1], -1, 0
.LBB22_2080:
	s_and_b64 vcc, exec, s[0:1]
	s_cbranch_vccnz .LBB22_2145
; %bb.2081:
	s_andn2_b64 vcc, exec, s[4:5]
	s_cbranch_vccnz .LBB22_2083
.LBB22_2082:
	global_load_ubyte v4, v[6:7], off
	s_mov_b64 s[14:15], -1
	s_waitcnt vmcnt(0)
	v_cmp_ne_u16_e32 vcc, 0, v4
	v_cndmask_b32_e64 v4, 0, 1, vcc
.LBB22_2083:
	s_mov_b64 s[0:1], 0
.LBB22_2084:
	s_and_b64 vcc, exec, s[0:1]
	s_cbranch_vccz .LBB22_2133
; %bb.2085:
	s_cmp_lt_i32 s26, 5
	s_cbranch_scc1 .LBB22_2090
; %bb.2086:
	s_cmp_lt_i32 s26, 8
	s_cbranch_scc1 .LBB22_2091
	;; [unrolled: 3-line block ×3, first 2 shown]
; %bb.2088:
	s_cmp_gt_i32 s26, 9
	s_cbranch_scc0 .LBB22_2093
; %bb.2089:
	global_load_dwordx2 v[4:5], v[6:7], off
	s_movk_i32 s0, 0xffe0
	s_waitcnt vmcnt(0)
	v_trunc_f64_e32 v[4:5], v[4:5]
	v_ldexp_f64 v[12:13], v[4:5], s0
	s_mov_b32 s0, 0
	s_mov_b32 s1, 0xc1f00000
	v_floor_f64_e32 v[12:13], v[12:13]
	v_fma_f64 v[4:5], v[12:13], s[0:1], v[4:5]
	s_mov_b64 s[0:1], 0
	v_cvt_u32_f64_e32 v4, v[4:5]
	s_branch .LBB22_2094
.LBB22_2090:
	s_mov_b64 s[0:1], -1
                                        ; implicit-def: $vgpr4
	s_branch .LBB22_2112
.LBB22_2091:
	s_mov_b64 s[0:1], -1
                                        ; implicit-def: $vgpr4
	s_branch .LBB22_2100
.LBB22_2092:
	s_mov_b64 s[0:1], -1
                                        ; implicit-def: $vgpr4
	s_branch .LBB22_2097
.LBB22_2093:
	s_mov_b64 s[0:1], -1
                                        ; implicit-def: $vgpr4
.LBB22_2094:
	s_andn2_b64 vcc, exec, s[0:1]
	s_cbranch_vccnz .LBB22_2096
; %bb.2095:
	global_load_dword v4, v[6:7], off
	s_mov_b32 s0, 0x2f800000
	s_waitcnt vmcnt(0)
	v_trunc_f32_e32 v4, v4
	v_mul_f32_e64 v5, |v4|, s0
	v_floor_f32_e32 v5, v5
	s_mov_b32 s0, 0xcf800000
	v_fma_f32 v5, v5, s0, |v4|
	v_cvt_u32_f32_e32 v5, v5
	v_ashrrev_i32_e32 v4, 31, v4
	v_xor_b32_e32 v5, v5, v4
	v_sub_u32_e32 v4, v5, v4
.LBB22_2096:
	s_mov_b64 s[0:1], 0
.LBB22_2097:
	s_andn2_b64 vcc, exec, s[0:1]
	s_cbranch_vccnz .LBB22_2099
; %bb.2098:
	global_load_dword v4, v[6:7], off
	s_waitcnt vmcnt(0)
	v_cvt_f32_f16_e32 v4, v4
	v_cvt_i32_f32_e32 v4, v4
.LBB22_2099:
	s_mov_b64 s[0:1], 0
.LBB22_2100:
	s_andn2_b64 vcc, exec, s[0:1]
	s_cbranch_vccnz .LBB22_2111
; %bb.2101:
	s_cmp_lt_i32 s26, 6
	s_cbranch_scc1 .LBB22_2104
; %bb.2102:
	s_cmp_gt_i32 s26, 6
	s_cbranch_scc0 .LBB22_2105
; %bb.2103:
	global_load_dwordx2 v[4:5], v[6:7], off
	s_movk_i32 s0, 0xffe0
	s_waitcnt vmcnt(0)
	v_trunc_f64_e32 v[4:5], v[4:5]
	v_ldexp_f64 v[12:13], v[4:5], s0
	s_mov_b32 s0, 0
	s_mov_b32 s1, 0xc1f00000
	v_floor_f64_e32 v[12:13], v[12:13]
	v_fma_f64 v[4:5], v[12:13], s[0:1], v[4:5]
	s_mov_b64 s[0:1], 0
	v_cvt_u32_f64_e32 v4, v[4:5]
	s_branch .LBB22_2106
.LBB22_2104:
	s_mov_b64 s[0:1], -1
                                        ; implicit-def: $vgpr4
	s_branch .LBB22_2109
.LBB22_2105:
	s_mov_b64 s[0:1], -1
                                        ; implicit-def: $vgpr4
.LBB22_2106:
	s_andn2_b64 vcc, exec, s[0:1]
	s_cbranch_vccnz .LBB22_2108
; %bb.2107:
	global_load_dword v4, v[6:7], off
	s_mov_b32 s0, 0x2f800000
	s_waitcnt vmcnt(0)
	v_trunc_f32_e32 v4, v4
	v_mul_f32_e64 v5, |v4|, s0
	v_floor_f32_e32 v5, v5
	s_mov_b32 s0, 0xcf800000
	v_fma_f32 v5, v5, s0, |v4|
	v_cvt_u32_f32_e32 v5, v5
	v_ashrrev_i32_e32 v4, 31, v4
	v_xor_b32_e32 v5, v5, v4
	v_sub_u32_e32 v4, v5, v4
.LBB22_2108:
	s_mov_b64 s[0:1], 0
.LBB22_2109:
	s_andn2_b64 vcc, exec, s[0:1]
	s_cbranch_vccnz .LBB22_2111
; %bb.2110:
	global_load_ushort v4, v[6:7], off
	s_waitcnt vmcnt(0)
	v_cvt_f32_f16_e32 v4, v4
	v_cvt_i32_f32_e32 v4, v4
.LBB22_2111:
	s_mov_b64 s[0:1], 0
.LBB22_2112:
	s_andn2_b64 vcc, exec, s[0:1]
	s_cbranch_vccnz .LBB22_2132
; %bb.2113:
	s_cmp_lt_i32 s26, 2
	s_cbranch_scc1 .LBB22_2117
; %bb.2114:
	s_cmp_lt_i32 s26, 3
	s_cbranch_scc1 .LBB22_2118
; %bb.2115:
	s_cmp_gt_i32 s26, 3
	s_cbranch_scc0 .LBB22_2119
; %bb.2116:
	global_load_dwordx2 v[4:5], v[6:7], off
	s_mov_b64 s[0:1], 0
	s_branch .LBB22_2120
.LBB22_2117:
	s_mov_b64 s[0:1], -1
                                        ; implicit-def: $vgpr4
	s_branch .LBB22_2126
.LBB22_2118:
	s_mov_b64 s[0:1], -1
                                        ; implicit-def: $vgpr4
	s_branch .LBB22_2123
.LBB22_2119:
	s_mov_b64 s[0:1], -1
                                        ; implicit-def: $vgpr4
.LBB22_2120:
	s_andn2_b64 vcc, exec, s[0:1]
	s_cbranch_vccnz .LBB22_2122
; %bb.2121:
	global_load_dword v4, v[6:7], off
.LBB22_2122:
	s_mov_b64 s[0:1], 0
.LBB22_2123:
	s_andn2_b64 vcc, exec, s[0:1]
	s_cbranch_vccnz .LBB22_2125
; %bb.2124:
	global_load_ushort v4, v[6:7], off
.LBB22_2125:
	s_mov_b64 s[0:1], 0
.LBB22_2126:
	s_andn2_b64 vcc, exec, s[0:1]
	s_cbranch_vccnz .LBB22_2132
; %bb.2127:
	s_cmp_gt_i32 s26, 0
	s_cbranch_scc0 .LBB22_2129
; %bb.2128:
	global_load_ubyte v4, v[6:7], off
	s_mov_b64 s[0:1], 0
	s_branch .LBB22_2130
.LBB22_2129:
	s_mov_b64 s[0:1], -1
                                        ; implicit-def: $vgpr4
.LBB22_2130:
	s_andn2_b64 vcc, exec, s[0:1]
	s_cbranch_vccnz .LBB22_2132
; %bb.2131:
	global_load_ubyte v4, v[6:7], off
.LBB22_2132:
	s_mov_b64 s[14:15], -1
.LBB22_2133:
	s_andn2_b64 vcc, exec, s[14:15]
	s_cbranch_vccnz .LBB22_2947
; %bb.2134:
	v_add_u32_e32 v10, s24, v8
	s_waitcnt vmcnt(0)
	v_ashrrev_i32_e32 v5, 31, v10
	v_mov_b32_e32 v6, s17
	v_add_co_u32_e32 v7, vcc, s16, v10
	s_cmp_lt_i32 s27, 11
	v_addc_co_u32_e32 v8, vcc, v6, v5, vcc
	s_cbranch_scc1 .LBB22_2141
; %bb.2135:
	s_and_b32 s25, 0xffff, s27
	s_cmp_gt_i32 s25, 25
	s_mov_b64 s[4:5], 0
	s_cbranch_scc0 .LBB22_2142
; %bb.2136:
	s_cmp_gt_i32 s25, 28
	s_cbranch_scc0 .LBB22_2143
; %bb.2137:
	s_cmp_gt_i32 s25, 43
	;; [unrolled: 3-line block ×3, first 2 shown]
	s_cbranch_scc0 .LBB22_2146
; %bb.2139:
	s_cmp_eq_u32 s25, 46
	s_mov_b64 s[22:23], 0
	s_cbranch_scc0 .LBB22_2149
; %bb.2140:
	global_load_dword v5, v[7:8], off
	s_mov_b32 s0, 0x2f800000
	s_mov_b32 s1, 0xcf800000
	s_mov_b64 s[14:15], -1
	s_waitcnt vmcnt(0)
	v_lshlrev_b32_e32 v5, 16, v5
	v_trunc_f32_e32 v5, v5
	v_mul_f32_e64 v6, |v5|, s0
	v_floor_f32_e32 v6, v6
	v_fma_f32 v6, v6, s1, |v5|
	v_cvt_u32_f32_e32 v6, v6
	v_ashrrev_i32_e32 v5, 31, v5
	s_mov_b64 s[0:1], 0
	v_xor_b32_e32 v6, v6, v5
	v_sub_u32_e32 v5, v6, v5
	s_branch .LBB22_2150
.LBB22_2141:
	s_mov_b64 s[0:1], -1
	s_mov_b64 s[14:15], 0
                                        ; implicit-def: $vgpr5
	s_branch .LBB22_2212
.LBB22_2142:
	s_mov_b64 s[22:23], -1
	s_mov_b64 s[14:15], 0
	s_mov_b64 s[0:1], 0
                                        ; implicit-def: $vgpr5
	s_branch .LBB22_2177
.LBB22_2143:
	s_mov_b64 s[22:23], -1
	s_mov_b64 s[14:15], 0
	s_mov_b64 s[0:1], 0
                                        ; implicit-def: $vgpr5
	s_branch .LBB22_2160
.LBB22_2144:
	s_mov_b64 s[22:23], -1
	s_mov_b64 s[14:15], 0
	s_mov_b64 s[0:1], 0
                                        ; implicit-def: $vgpr5
	s_branch .LBB22_2155
.LBB22_2145:
	s_trap 2
	s_or_b64 s[20:21], s[20:21], exec
	s_cbranch_execz .LBB22_2082
	s_branch .LBB22_2083
.LBB22_2146:
	s_mov_b64 s[22:23], -1
	s_mov_b64 s[14:15], 0
	s_mov_b64 s[0:1], 0
                                        ; implicit-def: $vgpr5
	s_branch .LBB22_2150
.LBB22_2147:
	s_andn2_saveexec_b64 s[46:47], s[46:47]
	s_cbranch_execz .LBB22_1061
.LBB22_2148:
	v_add_f32_e32 v3, 0x42800000, v4
	v_and_b32_e32 v3, 0xff, v3
	v_cmp_ne_u32_e32 vcc, 0, v3
	s_andn2_b64 s[44:45], s[44:45], exec
	s_and_b64 s[52:53], vcc, exec
	s_or_b64 s[44:45], s[44:45], s[52:53]
	s_or_b64 exec, exec, s[46:47]
	v_mov_b32_e32 v5, 0
	s_and_saveexec_b64 s[46:47], s[44:45]
	s_cbranch_execnz .LBB22_1062
	s_branch .LBB22_1063
.LBB22_2149:
	s_mov_b64 s[0:1], -1
                                        ; implicit-def: $vgpr5
	s_mov_b64 s[14:15], 0
.LBB22_2150:
	s_and_b64 vcc, exec, s[22:23]
	s_cbranch_vccz .LBB22_2154
; %bb.2151:
	s_cmp_eq_u32 s25, 44
	s_cbranch_scc0 .LBB22_2153
; %bb.2152:
	global_load_ubyte v5, v[7:8], off
	s_mov_b32 s0, 0x2f800000
	s_mov_b32 s1, 0xcf800000
	s_mov_b64 s[14:15], -1
	s_waitcnt vmcnt(0)
	v_lshlrev_b32_e32 v6, 23, v5
	v_trunc_f32_e32 v6, v6
	v_mul_f32_e64 v12, |v6|, s0
	v_floor_f32_e32 v12, v12
	v_fma_f32 v12, v12, s1, |v6|
	v_cvt_u32_f32_e32 v12, v12
	v_ashrrev_i32_e32 v6, 31, v6
	v_cmp_ne_u32_e32 vcc, 0, v5
	s_mov_b64 s[0:1], 0
	v_xor_b32_e32 v12, v12, v6
	v_sub_u32_e32 v6, v12, v6
	v_cndmask_b32_e32 v5, 0, v6, vcc
	s_branch .LBB22_2154
.LBB22_2153:
	s_mov_b64 s[0:1], -1
                                        ; implicit-def: $vgpr5
.LBB22_2154:
	s_mov_b64 s[22:23], 0
.LBB22_2155:
	s_and_b64 vcc, exec, s[22:23]
	s_cbranch_vccz .LBB22_2159
; %bb.2156:
	s_cmp_eq_u32 s25, 29
	s_cbranch_scc0 .LBB22_2158
; %bb.2157:
	global_load_dwordx2 v[5:6], v[7:8], off
	s_mov_b64 s[0:1], 0
	s_mov_b64 s[14:15], -1
	s_branch .LBB22_2159
.LBB22_2158:
	s_mov_b64 s[0:1], -1
                                        ; implicit-def: $vgpr5
.LBB22_2159:
	s_mov_b64 s[22:23], 0
.LBB22_2160:
	s_and_b64 vcc, exec, s[22:23]
	s_cbranch_vccz .LBB22_2176
; %bb.2161:
	s_cmp_lt_i32 s25, 27
	s_cbranch_scc1 .LBB22_2164
; %bb.2162:
	s_cmp_gt_i32 s25, 27
	s_cbranch_scc0 .LBB22_2165
; %bb.2163:
	global_load_dword v5, v[7:8], off
	s_mov_b64 s[14:15], 0
	s_branch .LBB22_2166
.LBB22_2164:
	s_mov_b64 s[14:15], -1
                                        ; implicit-def: $vgpr5
	s_branch .LBB22_2169
.LBB22_2165:
	s_mov_b64 s[14:15], -1
                                        ; implicit-def: $vgpr5
.LBB22_2166:
	s_andn2_b64 vcc, exec, s[14:15]
	s_cbranch_vccnz .LBB22_2168
; %bb.2167:
	global_load_ushort v5, v[7:8], off
.LBB22_2168:
	s_mov_b64 s[14:15], 0
.LBB22_2169:
	s_andn2_b64 vcc, exec, s[14:15]
	s_cbranch_vccnz .LBB22_2175
; %bb.2170:
	global_load_ubyte v6, v[7:8], off
	s_movk_i32 s14, 0x7f
	s_mov_b64 s[22:23], 0
	s_waitcnt vmcnt(0)
	v_cmp_lt_i16_e32 vcc, s14, v6
	s_and_saveexec_b64 s[14:15], vcc
	s_xor_b64 s[14:15], exec, s[14:15]
	s_cbranch_execz .LBB22_2187
; %bb.2171:
	s_movk_i32 s22, 0x80
	v_cmp_ne_u16_e32 vcc, s22, v6
	s_and_b64 s[22:23], vcc, exec
	s_andn2_saveexec_b64 s[14:15], s[14:15]
	s_cbranch_execnz .LBB22_2188
.LBB22_2172:
	s_or_b64 exec, exec, s[14:15]
	v_mov_b32_e32 v5, 0
	s_and_saveexec_b64 s[14:15], s[22:23]
	s_cbranch_execz .LBB22_2174
.LBB22_2173:
	v_lshlrev_b32_e32 v5, 24, v6
	v_and_b32_e32 v6, 0xffff, v6
	v_and_b32_e32 v12, 7, v6
	v_ffbh_u32_e32 v14, v12
	v_min_u32_e32 v14, 32, v14
	v_subrev_u32_e32 v15, 28, v14
	v_bfe_u32 v13, v6, 3, 4
	v_lshlrev_b32_e32 v6, v15, v6
	v_sub_u32_e32 v14, 29, v14
	v_and_b32_e32 v6, 7, v6
	v_cmp_eq_u32_e32 vcc, 0, v13
	v_cndmask_b32_e32 v13, v13, v14, vcc
	v_cndmask_b32_e32 v6, v12, v6, vcc
	v_mov_b32_e32 v12, 0x3b800000
	v_lshlrev_b32_e32 v6, 20, v6
	v_and_b32_e32 v5, 0x80000000, v5
	v_lshl_add_u32 v12, v13, 23, v12
	v_or3_b32 v5, v5, v12, v6
	v_trunc_f32_e32 v5, v5
	s_mov_b32 s22, 0x2f800000
	v_mul_f32_e64 v6, |v5|, s22
	v_floor_f32_e32 v6, v6
	s_mov_b32 s22, 0xcf800000
	v_fma_f32 v6, v6, s22, |v5|
	v_cvt_u32_f32_e32 v6, v6
	v_ashrrev_i32_e32 v5, 31, v5
	v_xor_b32_e32 v6, v6, v5
	v_sub_u32_e32 v5, v6, v5
.LBB22_2174:
	s_or_b64 exec, exec, s[14:15]
.LBB22_2175:
	s_mov_b64 s[14:15], -1
.LBB22_2176:
	s_mov_b64 s[22:23], 0
.LBB22_2177:
	s_and_b64 vcc, exec, s[22:23]
	s_cbranch_vccz .LBB22_2208
; %bb.2178:
	s_cmp_gt_i32 s25, 22
	s_cbranch_scc0 .LBB22_2186
; %bb.2179:
	s_cmp_lt_i32 s25, 24
	s_cbranch_scc1 .LBB22_2189
; %bb.2180:
	s_cmp_gt_i32 s25, 24
	s_cbranch_scc0 .LBB22_2190
; %bb.2181:
	global_load_ubyte v6, v[7:8], off
	s_movk_i32 s4, 0x7f
	s_mov_b64 s[14:15], 0
	s_waitcnt vmcnt(0)
	v_cmp_lt_i16_e32 vcc, s4, v6
	s_and_saveexec_b64 s[4:5], vcc
	s_xor_b64 s[4:5], exec, s[4:5]
	s_cbranch_execz .LBB22_2202
; %bb.2182:
	s_movk_i32 s14, 0x80
	v_cmp_ne_u16_e32 vcc, s14, v6
	s_and_b64 s[14:15], vcc, exec
	s_andn2_saveexec_b64 s[4:5], s[4:5]
	s_cbranch_execnz .LBB22_2203
.LBB22_2183:
	s_or_b64 exec, exec, s[4:5]
	v_mov_b32_e32 v5, 0
	s_and_saveexec_b64 s[4:5], s[14:15]
	s_cbranch_execz .LBB22_2185
.LBB22_2184:
	v_lshlrev_b32_e32 v5, 24, v6
	v_and_b32_e32 v6, 0xffff, v6
	v_and_b32_e32 v12, 3, v6
	v_ffbh_u32_e32 v14, v12
	v_min_u32_e32 v14, 32, v14
	v_subrev_u32_e32 v15, 29, v14
	v_bfe_u32 v13, v6, 2, 5
	v_lshlrev_b32_e32 v6, v15, v6
	v_sub_u32_e32 v14, 30, v14
	v_and_b32_e32 v6, 3, v6
	v_cmp_eq_u32_e32 vcc, 0, v13
	v_cndmask_b32_e32 v13, v13, v14, vcc
	v_cndmask_b32_e32 v6, v12, v6, vcc
	v_mov_b32_e32 v12, 0x37800000
	v_lshlrev_b32_e32 v6, 21, v6
	v_and_b32_e32 v5, 0x80000000, v5
	v_lshl_add_u32 v12, v13, 23, v12
	v_or3_b32 v5, v5, v12, v6
	v_trunc_f32_e32 v5, v5
	s_mov_b32 s14, 0x2f800000
	v_mul_f32_e64 v6, |v5|, s14
	v_floor_f32_e32 v6, v6
	s_mov_b32 s14, 0xcf800000
	v_fma_f32 v6, v6, s14, |v5|
	v_cvt_u32_f32_e32 v6, v6
	v_ashrrev_i32_e32 v5, 31, v5
	v_xor_b32_e32 v6, v6, v5
	v_sub_u32_e32 v5, v6, v5
.LBB22_2185:
	s_or_b64 exec, exec, s[4:5]
	s_mov_b64 s[4:5], 0
	s_branch .LBB22_2191
.LBB22_2186:
	s_mov_b64 s[4:5], -1
                                        ; implicit-def: $vgpr5
	s_branch .LBB22_2197
.LBB22_2187:
	s_andn2_saveexec_b64 s[14:15], s[14:15]
	s_cbranch_execz .LBB22_2172
.LBB22_2188:
	v_cmp_ne_u16_e32 vcc, 0, v6
	s_andn2_b64 s[22:23], s[22:23], exec
	s_and_b64 s[28:29], vcc, exec
	s_or_b64 s[22:23], s[22:23], s[28:29]
	s_or_b64 exec, exec, s[14:15]
	v_mov_b32_e32 v5, 0
	s_and_saveexec_b64 s[14:15], s[22:23]
	s_cbranch_execnz .LBB22_2173
	s_branch .LBB22_2174
.LBB22_2189:
	s_mov_b64 s[4:5], -1
                                        ; implicit-def: $vgpr5
	s_branch .LBB22_2194
.LBB22_2190:
	s_mov_b64 s[4:5], -1
                                        ; implicit-def: $vgpr5
.LBB22_2191:
	s_and_b64 vcc, exec, s[4:5]
	s_cbranch_vccz .LBB22_2193
; %bb.2192:
	global_load_ubyte v5, v[7:8], off
	s_mov_b32 s4, 0x7f800000
	s_brev_b32 s5, 1
	s_mov_b32 s14, 0x2f800000
	s_waitcnt vmcnt(0)
	v_lshlrev_b32_e32 v5, 24, v5
	v_and_b32_e32 v6, 0x7f000000, v5
	v_ffbh_u32_e32 v12, v6
	v_min_u32_e32 v12, 32, v12
	v_sub_u32_e64 v12, v12, 4 clamp
	v_lshlrev_b32_e32 v14, v12, v6
	v_lshlrev_b32_e32 v12, 23, v12
	v_lshrrev_b32_e32 v14, 4, v14
	v_add_u32_e32 v13, 0x1000000, v6
	v_sub_u32_e32 v12, v14, v12
	v_ashrrev_i32_e32 v13, 8, v13
	v_add_u32_e32 v12, 0x3c000000, v12
	v_and_or_b32 v12, v13, s4, v12
	v_cmp_ne_u32_e32 vcc, 0, v6
	v_cndmask_b32_e32 v6, 0, v12, vcc
	v_and_or_b32 v5, v5, s5, v6
	v_trunc_f32_e32 v5, v5
	v_mul_f32_e64 v6, |v5|, s14
	v_floor_f32_e32 v6, v6
	s_mov_b32 s4, 0xcf800000
	v_fma_f32 v6, v6, s4, |v5|
	v_cvt_u32_f32_e32 v6, v6
	v_ashrrev_i32_e32 v5, 31, v5
	v_xor_b32_e32 v6, v6, v5
	v_sub_u32_e32 v5, v6, v5
.LBB22_2193:
	s_mov_b64 s[4:5], 0
.LBB22_2194:
	s_andn2_b64 vcc, exec, s[4:5]
	s_cbranch_vccnz .LBB22_2196
; %bb.2195:
	global_load_ubyte v5, v[7:8], off
	s_movk_i32 s4, 0x7f00
	s_brev_b32 s5, 16
	s_brev_b32 s14, 1
	s_mov_b32 s15, 0x2f800000
	s_waitcnt vmcnt(0)
	v_lshlrev_b16_e32 v6, 8, v5
	v_lshlrev_b32_e32 v5, 25, v5
	v_lshrrev_b32_e32 v12, 4, v5
	v_and_or_b32 v13, v6, s4, 0.5
	v_or_b32_e32 v12, 0x70000000, v12
	v_add_f32_e32 v13, -0.5, v13
	v_mul_f32_e32 v12, 0x7800000, v12
	v_cmp_gt_u32_e32 vcc, s5, v5
	v_bfe_i32 v6, v6, 0, 16
	v_cndmask_b32_e32 v5, v12, v13, vcc
	v_and_or_b32 v5, v6, s14, v5
	v_trunc_f32_e32 v5, v5
	v_mul_f32_e64 v6, |v5|, s15
	v_floor_f32_e32 v6, v6
	s_mov_b32 s4, 0xcf800000
	v_fma_f32 v6, v6, s4, |v5|
	v_cvt_u32_f32_e32 v6, v6
	v_ashrrev_i32_e32 v5, 31, v5
	v_xor_b32_e32 v6, v6, v5
	v_sub_u32_e32 v5, v6, v5
.LBB22_2196:
	s_mov_b64 s[4:5], 0
	s_mov_b64 s[14:15], -1
.LBB22_2197:
	s_andn2_b64 vcc, exec, s[4:5]
	s_mov_b64 s[4:5], 0
	s_cbranch_vccnz .LBB22_2208
; %bb.2198:
	s_cmp_gt_i32 s25, 14
	s_cbranch_scc0 .LBB22_2201
; %bb.2199:
	s_cmp_eq_u32 s25, 15
	s_cbranch_scc0 .LBB22_2204
; %bb.2200:
	global_load_ushort v5, v[7:8], off
	s_mov_b32 s0, 0x2f800000
	s_mov_b32 s1, 0xcf800000
	s_mov_b64 s[14:15], -1
	s_waitcnt vmcnt(0)
	v_lshlrev_b32_e32 v5, 16, v5
	v_trunc_f32_e32 v5, v5
	v_mul_f32_e64 v6, |v5|, s0
	v_floor_f32_e32 v6, v6
	v_fma_f32 v6, v6, s1, |v5|
	v_cvt_u32_f32_e32 v6, v6
	v_ashrrev_i32_e32 v5, 31, v5
	s_mov_b64 s[0:1], 0
	v_xor_b32_e32 v6, v6, v5
	v_sub_u32_e32 v5, v6, v5
	s_branch .LBB22_2205
.LBB22_2201:
	s_mov_b64 s[22:23], -1
                                        ; implicit-def: $vgpr5
	s_branch .LBB22_2206
.LBB22_2202:
	s_andn2_saveexec_b64 s[4:5], s[4:5]
	s_cbranch_execz .LBB22_2183
.LBB22_2203:
	v_cmp_ne_u16_e32 vcc, 0, v6
	s_andn2_b64 s[14:15], s[14:15], exec
	s_and_b64 s[22:23], vcc, exec
	s_or_b64 s[14:15], s[14:15], s[22:23]
	s_or_b64 exec, exec, s[4:5]
	v_mov_b32_e32 v5, 0
	s_and_saveexec_b64 s[4:5], s[14:15]
	s_cbranch_execnz .LBB22_2184
	s_branch .LBB22_2185
.LBB22_2204:
	s_mov_b64 s[0:1], -1
                                        ; implicit-def: $vgpr5
.LBB22_2205:
	s_mov_b64 s[22:23], 0
.LBB22_2206:
	s_and_b64 vcc, exec, s[22:23]
	s_cbranch_vccz .LBB22_2208
; %bb.2207:
	s_cmp_lg_u32 s25, 11
	s_mov_b64 s[4:5], -1
	s_cselect_b64 s[0:1], -1, 0
.LBB22_2208:
	s_and_b64 vcc, exec, s[0:1]
	s_cbranch_vccnz .LBB22_2273
; %bb.2209:
	s_andn2_b64 vcc, exec, s[4:5]
	s_cbranch_vccnz .LBB22_2211
.LBB22_2210:
	global_load_ubyte v5, v[7:8], off
	s_mov_b64 s[14:15], -1
	s_waitcnt vmcnt(0)
	v_cmp_ne_u16_e32 vcc, 0, v5
	v_cndmask_b32_e64 v5, 0, 1, vcc
.LBB22_2211:
	s_mov_b64 s[0:1], 0
.LBB22_2212:
	s_and_b64 vcc, exec, s[0:1]
	s_cbranch_vccz .LBB22_2261
; %bb.2213:
	s_and_b32 s4, 0xffff, s27
	s_cmp_lt_i32 s4, 5
	s_cbranch_scc1 .LBB22_2218
; %bb.2214:
	s_cmp_lt_i32 s4, 8
	s_cbranch_scc1 .LBB22_2219
; %bb.2215:
	;; [unrolled: 3-line block ×3, first 2 shown]
	s_cmp_gt_i32 s4, 9
	s_cbranch_scc0 .LBB22_2221
; %bb.2217:
	global_load_dwordx2 v[5:6], v[7:8], off
	s_movk_i32 s0, 0xffe0
	s_waitcnt vmcnt(0)
	v_trunc_f64_e32 v[5:6], v[5:6]
	v_ldexp_f64 v[12:13], v[5:6], s0
	s_mov_b32 s0, 0
	s_mov_b32 s1, 0xc1f00000
	v_floor_f64_e32 v[12:13], v[12:13]
	v_fma_f64 v[5:6], v[12:13], s[0:1], v[5:6]
	s_mov_b64 s[0:1], 0
	v_cvt_u32_f64_e32 v5, v[5:6]
	s_branch .LBB22_2222
.LBB22_2218:
	s_mov_b64 s[0:1], -1
                                        ; implicit-def: $vgpr5
	s_branch .LBB22_2240
.LBB22_2219:
	s_mov_b64 s[0:1], -1
                                        ; implicit-def: $vgpr5
	s_branch .LBB22_2228
.LBB22_2220:
	s_mov_b64 s[0:1], -1
                                        ; implicit-def: $vgpr5
	s_branch .LBB22_2225
.LBB22_2221:
	s_mov_b64 s[0:1], -1
                                        ; implicit-def: $vgpr5
.LBB22_2222:
	s_andn2_b64 vcc, exec, s[0:1]
	s_cbranch_vccnz .LBB22_2224
; %bb.2223:
	global_load_dword v5, v[7:8], off
	s_mov_b32 s0, 0x2f800000
	s_waitcnt vmcnt(0)
	v_trunc_f32_e32 v5, v5
	v_mul_f32_e64 v6, |v5|, s0
	v_floor_f32_e32 v6, v6
	s_mov_b32 s0, 0xcf800000
	v_fma_f32 v6, v6, s0, |v5|
	v_cvt_u32_f32_e32 v6, v6
	v_ashrrev_i32_e32 v5, 31, v5
	v_xor_b32_e32 v6, v6, v5
	v_sub_u32_e32 v5, v6, v5
.LBB22_2224:
	s_mov_b64 s[0:1], 0
.LBB22_2225:
	s_andn2_b64 vcc, exec, s[0:1]
	s_cbranch_vccnz .LBB22_2227
; %bb.2226:
	global_load_dword v5, v[7:8], off
	s_waitcnt vmcnt(0)
	v_cvt_f32_f16_e32 v5, v5
	v_cvt_i32_f32_e32 v5, v5
.LBB22_2227:
	s_mov_b64 s[0:1], 0
.LBB22_2228:
	s_andn2_b64 vcc, exec, s[0:1]
	s_cbranch_vccnz .LBB22_2239
; %bb.2229:
	s_cmp_lt_i32 s4, 6
	s_cbranch_scc1 .LBB22_2232
; %bb.2230:
	s_cmp_gt_i32 s4, 6
	s_cbranch_scc0 .LBB22_2233
; %bb.2231:
	global_load_dwordx2 v[5:6], v[7:8], off
	s_movk_i32 s0, 0xffe0
	s_waitcnt vmcnt(0)
	v_trunc_f64_e32 v[5:6], v[5:6]
	v_ldexp_f64 v[12:13], v[5:6], s0
	s_mov_b32 s0, 0
	s_mov_b32 s1, 0xc1f00000
	v_floor_f64_e32 v[12:13], v[12:13]
	v_fma_f64 v[5:6], v[12:13], s[0:1], v[5:6]
	s_mov_b64 s[0:1], 0
	v_cvt_u32_f64_e32 v5, v[5:6]
	s_branch .LBB22_2234
.LBB22_2232:
	s_mov_b64 s[0:1], -1
                                        ; implicit-def: $vgpr5
	s_branch .LBB22_2237
.LBB22_2233:
	s_mov_b64 s[0:1], -1
                                        ; implicit-def: $vgpr5
.LBB22_2234:
	s_andn2_b64 vcc, exec, s[0:1]
	s_cbranch_vccnz .LBB22_2236
; %bb.2235:
	global_load_dword v5, v[7:8], off
	s_mov_b32 s0, 0x2f800000
	s_waitcnt vmcnt(0)
	v_trunc_f32_e32 v5, v5
	v_mul_f32_e64 v6, |v5|, s0
	v_floor_f32_e32 v6, v6
	s_mov_b32 s0, 0xcf800000
	v_fma_f32 v6, v6, s0, |v5|
	v_cvt_u32_f32_e32 v6, v6
	v_ashrrev_i32_e32 v5, 31, v5
	v_xor_b32_e32 v6, v6, v5
	v_sub_u32_e32 v5, v6, v5
.LBB22_2236:
	s_mov_b64 s[0:1], 0
.LBB22_2237:
	s_andn2_b64 vcc, exec, s[0:1]
	s_cbranch_vccnz .LBB22_2239
; %bb.2238:
	global_load_ushort v5, v[7:8], off
	s_waitcnt vmcnt(0)
	v_cvt_f32_f16_e32 v5, v5
	v_cvt_i32_f32_e32 v5, v5
.LBB22_2239:
	s_mov_b64 s[0:1], 0
.LBB22_2240:
	s_andn2_b64 vcc, exec, s[0:1]
	s_cbranch_vccnz .LBB22_2260
; %bb.2241:
	s_cmp_lt_i32 s4, 2
	s_cbranch_scc1 .LBB22_2245
; %bb.2242:
	s_cmp_lt_i32 s4, 3
	s_cbranch_scc1 .LBB22_2246
; %bb.2243:
	s_cmp_gt_i32 s4, 3
	s_cbranch_scc0 .LBB22_2247
; %bb.2244:
	global_load_dwordx2 v[5:6], v[7:8], off
	s_mov_b64 s[0:1], 0
	s_branch .LBB22_2248
.LBB22_2245:
	s_mov_b64 s[0:1], -1
                                        ; implicit-def: $vgpr5
	s_branch .LBB22_2254
.LBB22_2246:
	s_mov_b64 s[0:1], -1
                                        ; implicit-def: $vgpr5
	s_branch .LBB22_2251
.LBB22_2247:
	s_mov_b64 s[0:1], -1
                                        ; implicit-def: $vgpr5
.LBB22_2248:
	s_andn2_b64 vcc, exec, s[0:1]
	s_cbranch_vccnz .LBB22_2250
; %bb.2249:
	global_load_dword v5, v[7:8], off
.LBB22_2250:
	s_mov_b64 s[0:1], 0
.LBB22_2251:
	s_andn2_b64 vcc, exec, s[0:1]
	s_cbranch_vccnz .LBB22_2253
; %bb.2252:
	global_load_ushort v5, v[7:8], off
.LBB22_2253:
	s_mov_b64 s[0:1], 0
.LBB22_2254:
	s_andn2_b64 vcc, exec, s[0:1]
	s_cbranch_vccnz .LBB22_2260
; %bb.2255:
	s_cmp_gt_i32 s4, 0
	s_cbranch_scc0 .LBB22_2257
; %bb.2256:
	global_load_ubyte v5, v[7:8], off
	s_mov_b64 s[0:1], 0
	s_branch .LBB22_2258
.LBB22_2257:
	s_mov_b64 s[0:1], -1
                                        ; implicit-def: $vgpr5
.LBB22_2258:
	s_andn2_b64 vcc, exec, s[0:1]
	s_cbranch_vccnz .LBB22_2260
; %bb.2259:
	global_load_ubyte v5, v[7:8], off
.LBB22_2260:
	s_mov_b64 s[14:15], -1
.LBB22_2261:
	s_andn2_b64 vcc, exec, s[14:15]
	s_cbranch_vccnz .LBB22_2947
; %bb.2262:
	s_waitcnt vmcnt(0)
	v_add_u32_e32 v6, s13, v9
	v_ashrrev_i32_e32 v7, 31, v6
	v_mov_b32_e32 v9, s11
	v_add_co_u32_e32 v8, vcc, s10, v6
	s_cmp_lt_i32 s26, 11
	v_addc_co_u32_e32 v9, vcc, v9, v7, vcc
	s_cbranch_scc1 .LBB22_2269
; %bb.2263:
	s_cmp_gt_i32 s26, 25
	s_mov_b64 s[4:5], 0
	s_cbranch_scc0 .LBB22_2270
; %bb.2264:
	s_cmp_gt_i32 s26, 28
	s_cbranch_scc0 .LBB22_2271
; %bb.2265:
	s_cmp_gt_i32 s26, 43
	;; [unrolled: 3-line block ×3, first 2 shown]
	s_cbranch_scc0 .LBB22_2274
; %bb.2267:
	s_cmp_eq_u32 s26, 46
	s_mov_b64 s[14:15], 0
	s_cbranch_scc0 .LBB22_2275
; %bb.2268:
	global_load_dword v6, v[8:9], off
	s_mov_b32 s0, 0x2f800000
	s_mov_b32 s1, 0xcf800000
	s_mov_b64 s[10:11], -1
	s_waitcnt vmcnt(0)
	v_lshlrev_b32_e32 v6, 16, v6
	v_trunc_f32_e32 v6, v6
	v_mul_f32_e64 v7, |v6|, s0
	v_floor_f32_e32 v7, v7
	v_fma_f32 v7, v7, s1, |v6|
	v_cvt_u32_f32_e32 v7, v7
	v_ashrrev_i32_e32 v6, 31, v6
	s_mov_b64 s[0:1], 0
	v_xor_b32_e32 v7, v7, v6
	v_sub_u32_e32 v6, v7, v6
	s_branch .LBB22_2276
.LBB22_2269:
	s_mov_b64 s[0:1], -1
	s_mov_b64 s[10:11], 0
                                        ; implicit-def: $vgpr6
	s_branch .LBB22_2338
.LBB22_2270:
	s_mov_b64 s[14:15], -1
	s_mov_b64 s[10:11], 0
	s_mov_b64 s[0:1], 0
                                        ; implicit-def: $vgpr6
	s_branch .LBB22_2303
.LBB22_2271:
	s_mov_b64 s[14:15], -1
	s_mov_b64 s[10:11], 0
	s_mov_b64 s[0:1], 0
                                        ; implicit-def: $vgpr6
	s_branch .LBB22_2286
.LBB22_2272:
	s_mov_b64 s[14:15], -1
	s_mov_b64 s[10:11], 0
	s_mov_b64 s[0:1], 0
                                        ; implicit-def: $vgpr6
	s_branch .LBB22_2281
.LBB22_2273:
	s_trap 2
	s_or_b64 s[20:21], s[20:21], exec
	s_cbranch_execz .LBB22_2210
	s_branch .LBB22_2211
.LBB22_2274:
	s_mov_b64 s[14:15], -1
	s_mov_b64 s[10:11], 0
	s_mov_b64 s[0:1], 0
                                        ; implicit-def: $vgpr6
	s_branch .LBB22_2276
.LBB22_2275:
	s_mov_b64 s[0:1], -1
                                        ; implicit-def: $vgpr6
	s_mov_b64 s[10:11], 0
.LBB22_2276:
	s_and_b64 vcc, exec, s[14:15]
	s_cbranch_vccz .LBB22_2280
; %bb.2277:
	s_cmp_eq_u32 s26, 44
	s_cbranch_scc0 .LBB22_2279
; %bb.2278:
	global_load_ubyte v6, v[8:9], off
	s_mov_b32 s0, 0x2f800000
	s_mov_b32 s1, 0xcf800000
	s_mov_b64 s[10:11], -1
	s_waitcnt vmcnt(0)
	v_lshlrev_b32_e32 v7, 23, v6
	v_trunc_f32_e32 v7, v7
	v_mul_f32_e64 v12, |v7|, s0
	v_floor_f32_e32 v12, v12
	v_fma_f32 v12, v12, s1, |v7|
	v_cvt_u32_f32_e32 v12, v12
	v_ashrrev_i32_e32 v7, 31, v7
	v_cmp_ne_u32_e32 vcc, 0, v6
	s_mov_b64 s[0:1], 0
	v_xor_b32_e32 v12, v12, v7
	v_sub_u32_e32 v7, v12, v7
	v_cndmask_b32_e32 v6, 0, v7, vcc
	s_branch .LBB22_2280
.LBB22_2279:
	s_mov_b64 s[0:1], -1
                                        ; implicit-def: $vgpr6
.LBB22_2280:
	s_mov_b64 s[14:15], 0
.LBB22_2281:
	s_and_b64 vcc, exec, s[14:15]
	s_cbranch_vccz .LBB22_2285
; %bb.2282:
	s_cmp_eq_u32 s26, 29
	s_cbranch_scc0 .LBB22_2284
; %bb.2283:
	global_load_dwordx2 v[6:7], v[8:9], off
	s_mov_b64 s[0:1], 0
	s_mov_b64 s[10:11], -1
	s_branch .LBB22_2285
.LBB22_2284:
	s_mov_b64 s[0:1], -1
                                        ; implicit-def: $vgpr6
.LBB22_2285:
	s_mov_b64 s[14:15], 0
.LBB22_2286:
	s_and_b64 vcc, exec, s[14:15]
	s_cbranch_vccz .LBB22_2302
; %bb.2287:
	s_cmp_lt_i32 s26, 27
	s_cbranch_scc1 .LBB22_2290
; %bb.2288:
	s_cmp_gt_i32 s26, 27
	s_cbranch_scc0 .LBB22_2291
; %bb.2289:
	global_load_dword v6, v[8:9], off
	s_mov_b64 s[10:11], 0
	s_branch .LBB22_2292
.LBB22_2290:
	s_mov_b64 s[10:11], -1
                                        ; implicit-def: $vgpr6
	s_branch .LBB22_2295
.LBB22_2291:
	s_mov_b64 s[10:11], -1
                                        ; implicit-def: $vgpr6
.LBB22_2292:
	s_andn2_b64 vcc, exec, s[10:11]
	s_cbranch_vccnz .LBB22_2294
; %bb.2293:
	global_load_ushort v6, v[8:9], off
.LBB22_2294:
	s_mov_b64 s[10:11], 0
.LBB22_2295:
	s_andn2_b64 vcc, exec, s[10:11]
	s_cbranch_vccnz .LBB22_2301
; %bb.2296:
	global_load_ubyte v7, v[8:9], off
	s_movk_i32 s10, 0x7f
	s_mov_b64 s[14:15], 0
	s_waitcnt vmcnt(0)
	v_cmp_lt_i16_e32 vcc, s10, v7
	s_and_saveexec_b64 s[10:11], vcc
	s_xor_b64 s[10:11], exec, s[10:11]
	s_cbranch_execz .LBB22_2313
; %bb.2297:
	s_movk_i32 s13, 0x80
	v_cmp_ne_u16_e32 vcc, s13, v7
	s_and_b64 s[14:15], vcc, exec
	s_andn2_saveexec_b64 s[10:11], s[10:11]
	s_cbranch_execnz .LBB22_2314
.LBB22_2298:
	s_or_b64 exec, exec, s[10:11]
	v_mov_b32_e32 v6, 0
	s_and_saveexec_b64 s[10:11], s[14:15]
	s_cbranch_execz .LBB22_2300
.LBB22_2299:
	v_lshlrev_b32_e32 v6, 24, v7
	v_and_b32_e32 v7, 0xffff, v7
	v_and_b32_e32 v12, 7, v7
	v_ffbh_u32_e32 v14, v12
	v_min_u32_e32 v14, 32, v14
	v_subrev_u32_e32 v15, 28, v14
	v_bfe_u32 v13, v7, 3, 4
	v_lshlrev_b32_e32 v7, v15, v7
	v_sub_u32_e32 v14, 29, v14
	v_and_b32_e32 v7, 7, v7
	v_cmp_eq_u32_e32 vcc, 0, v13
	v_cndmask_b32_e32 v13, v13, v14, vcc
	v_cndmask_b32_e32 v7, v12, v7, vcc
	v_mov_b32_e32 v12, 0x3b800000
	v_lshlrev_b32_e32 v7, 20, v7
	v_and_b32_e32 v6, 0x80000000, v6
	v_lshl_add_u32 v12, v13, 23, v12
	v_or3_b32 v6, v6, v12, v7
	v_trunc_f32_e32 v6, v6
	s_mov_b32 s13, 0x2f800000
	v_mul_f32_e64 v7, |v6|, s13
	v_floor_f32_e32 v7, v7
	s_mov_b32 s13, 0xcf800000
	v_fma_f32 v7, v7, s13, |v6|
	v_cvt_u32_f32_e32 v7, v7
	v_ashrrev_i32_e32 v6, 31, v6
	v_xor_b32_e32 v7, v7, v6
	v_sub_u32_e32 v6, v7, v6
.LBB22_2300:
	s_or_b64 exec, exec, s[10:11]
.LBB22_2301:
	s_mov_b64 s[10:11], -1
.LBB22_2302:
	s_mov_b64 s[14:15], 0
.LBB22_2303:
	s_and_b64 vcc, exec, s[14:15]
	s_cbranch_vccz .LBB22_2334
; %bb.2304:
	s_cmp_gt_i32 s26, 22
	s_cbranch_scc0 .LBB22_2312
; %bb.2305:
	s_cmp_lt_i32 s26, 24
	s_cbranch_scc1 .LBB22_2315
; %bb.2306:
	s_cmp_gt_i32 s26, 24
	s_cbranch_scc0 .LBB22_2316
; %bb.2307:
	global_load_ubyte v7, v[8:9], off
	s_movk_i32 s4, 0x7f
	s_mov_b64 s[10:11], 0
	s_waitcnt vmcnt(0)
	v_cmp_lt_i16_e32 vcc, s4, v7
	s_and_saveexec_b64 s[4:5], vcc
	s_xor_b64 s[4:5], exec, s[4:5]
	s_cbranch_execz .LBB22_2328
; %bb.2308:
	s_movk_i32 s10, 0x80
	v_cmp_ne_u16_e32 vcc, s10, v7
	s_and_b64 s[10:11], vcc, exec
	s_andn2_saveexec_b64 s[4:5], s[4:5]
	s_cbranch_execnz .LBB22_2329
.LBB22_2309:
	s_or_b64 exec, exec, s[4:5]
	v_mov_b32_e32 v6, 0
	s_and_saveexec_b64 s[4:5], s[10:11]
	s_cbranch_execz .LBB22_2311
.LBB22_2310:
	v_lshlrev_b32_e32 v6, 24, v7
	v_and_b32_e32 v7, 0xffff, v7
	v_and_b32_e32 v12, 3, v7
	v_ffbh_u32_e32 v14, v12
	v_min_u32_e32 v14, 32, v14
	v_subrev_u32_e32 v15, 29, v14
	v_bfe_u32 v13, v7, 2, 5
	v_lshlrev_b32_e32 v7, v15, v7
	v_sub_u32_e32 v14, 30, v14
	v_and_b32_e32 v7, 3, v7
	v_cmp_eq_u32_e32 vcc, 0, v13
	v_cndmask_b32_e32 v13, v13, v14, vcc
	v_cndmask_b32_e32 v7, v12, v7, vcc
	v_mov_b32_e32 v12, 0x37800000
	v_lshlrev_b32_e32 v7, 21, v7
	v_and_b32_e32 v6, 0x80000000, v6
	v_lshl_add_u32 v12, v13, 23, v12
	v_or3_b32 v6, v6, v12, v7
	v_trunc_f32_e32 v6, v6
	s_mov_b32 s10, 0x2f800000
	v_mul_f32_e64 v7, |v6|, s10
	v_floor_f32_e32 v7, v7
	s_mov_b32 s10, 0xcf800000
	v_fma_f32 v7, v7, s10, |v6|
	v_cvt_u32_f32_e32 v7, v7
	v_ashrrev_i32_e32 v6, 31, v6
	v_xor_b32_e32 v7, v7, v6
	v_sub_u32_e32 v6, v7, v6
.LBB22_2311:
	s_or_b64 exec, exec, s[4:5]
	s_mov_b64 s[4:5], 0
	s_branch .LBB22_2317
.LBB22_2312:
	s_mov_b64 s[4:5], -1
                                        ; implicit-def: $vgpr6
	s_branch .LBB22_2323
.LBB22_2313:
	s_andn2_saveexec_b64 s[10:11], s[10:11]
	s_cbranch_execz .LBB22_2298
.LBB22_2314:
	v_cmp_ne_u16_e32 vcc, 0, v7
	s_andn2_b64 s[14:15], s[14:15], exec
	s_and_b64 s[22:23], vcc, exec
	s_or_b64 s[14:15], s[14:15], s[22:23]
	s_or_b64 exec, exec, s[10:11]
	v_mov_b32_e32 v6, 0
	s_and_saveexec_b64 s[10:11], s[14:15]
	s_cbranch_execnz .LBB22_2299
	s_branch .LBB22_2300
.LBB22_2315:
	s_mov_b64 s[4:5], -1
                                        ; implicit-def: $vgpr6
	s_branch .LBB22_2320
.LBB22_2316:
	s_mov_b64 s[4:5], -1
                                        ; implicit-def: $vgpr6
.LBB22_2317:
	s_and_b64 vcc, exec, s[4:5]
	s_cbranch_vccz .LBB22_2319
; %bb.2318:
	global_load_ubyte v6, v[8:9], off
	s_mov_b32 s4, 0x7f800000
	s_brev_b32 s5, 1
	s_mov_b32 s10, 0x2f800000
	s_waitcnt vmcnt(0)
	v_lshlrev_b32_e32 v6, 24, v6
	v_and_b32_e32 v7, 0x7f000000, v6
	v_ffbh_u32_e32 v12, v7
	v_min_u32_e32 v12, 32, v12
	v_sub_u32_e64 v12, v12, 4 clamp
	v_lshlrev_b32_e32 v14, v12, v7
	v_lshlrev_b32_e32 v12, 23, v12
	v_lshrrev_b32_e32 v14, 4, v14
	v_add_u32_e32 v13, 0x1000000, v7
	v_sub_u32_e32 v12, v14, v12
	v_ashrrev_i32_e32 v13, 8, v13
	v_add_u32_e32 v12, 0x3c000000, v12
	v_and_or_b32 v12, v13, s4, v12
	v_cmp_ne_u32_e32 vcc, 0, v7
	v_cndmask_b32_e32 v7, 0, v12, vcc
	v_and_or_b32 v6, v6, s5, v7
	v_trunc_f32_e32 v6, v6
	v_mul_f32_e64 v7, |v6|, s10
	v_floor_f32_e32 v7, v7
	s_mov_b32 s4, 0xcf800000
	v_fma_f32 v7, v7, s4, |v6|
	v_cvt_u32_f32_e32 v7, v7
	v_ashrrev_i32_e32 v6, 31, v6
	v_xor_b32_e32 v7, v7, v6
	v_sub_u32_e32 v6, v7, v6
.LBB22_2319:
	s_mov_b64 s[4:5], 0
.LBB22_2320:
	s_andn2_b64 vcc, exec, s[4:5]
	s_cbranch_vccnz .LBB22_2322
; %bb.2321:
	global_load_ubyte v6, v[8:9], off
	s_movk_i32 s4, 0x7f00
	s_brev_b32 s5, 16
	s_brev_b32 s10, 1
	s_mov_b32 s11, 0x2f800000
	s_waitcnt vmcnt(0)
	v_lshlrev_b16_e32 v7, 8, v6
	v_lshlrev_b32_e32 v6, 25, v6
	v_lshrrev_b32_e32 v12, 4, v6
	v_and_or_b32 v13, v7, s4, 0.5
	v_or_b32_e32 v12, 0x70000000, v12
	v_add_f32_e32 v13, -0.5, v13
	v_mul_f32_e32 v12, 0x7800000, v12
	v_cmp_gt_u32_e32 vcc, s5, v6
	v_bfe_i32 v7, v7, 0, 16
	v_cndmask_b32_e32 v6, v12, v13, vcc
	v_and_or_b32 v6, v7, s10, v6
	v_trunc_f32_e32 v6, v6
	v_mul_f32_e64 v7, |v6|, s11
	v_floor_f32_e32 v7, v7
	s_mov_b32 s4, 0xcf800000
	v_fma_f32 v7, v7, s4, |v6|
	v_cvt_u32_f32_e32 v7, v7
	v_ashrrev_i32_e32 v6, 31, v6
	v_xor_b32_e32 v7, v7, v6
	v_sub_u32_e32 v6, v7, v6
.LBB22_2322:
	s_mov_b64 s[4:5], 0
	s_mov_b64 s[10:11], -1
.LBB22_2323:
	s_andn2_b64 vcc, exec, s[4:5]
	s_mov_b64 s[4:5], 0
	s_cbranch_vccnz .LBB22_2334
; %bb.2324:
	s_cmp_gt_i32 s26, 14
	s_cbranch_scc0 .LBB22_2327
; %bb.2325:
	s_cmp_eq_u32 s26, 15
	s_cbranch_scc0 .LBB22_2330
; %bb.2326:
	global_load_ushort v6, v[8:9], off
	s_mov_b32 s0, 0x2f800000
	s_mov_b32 s1, 0xcf800000
	s_mov_b64 s[10:11], -1
	s_waitcnt vmcnt(0)
	v_lshlrev_b32_e32 v6, 16, v6
	v_trunc_f32_e32 v6, v6
	v_mul_f32_e64 v7, |v6|, s0
	v_floor_f32_e32 v7, v7
	v_fma_f32 v7, v7, s1, |v6|
	v_cvt_u32_f32_e32 v7, v7
	v_ashrrev_i32_e32 v6, 31, v6
	s_mov_b64 s[0:1], 0
	v_xor_b32_e32 v7, v7, v6
	v_sub_u32_e32 v6, v7, v6
	s_branch .LBB22_2331
.LBB22_2327:
	s_mov_b64 s[14:15], -1
                                        ; implicit-def: $vgpr6
	s_branch .LBB22_2332
.LBB22_2328:
	s_andn2_saveexec_b64 s[4:5], s[4:5]
	s_cbranch_execz .LBB22_2309
.LBB22_2329:
	v_cmp_ne_u16_e32 vcc, 0, v7
	s_andn2_b64 s[10:11], s[10:11], exec
	s_and_b64 s[14:15], vcc, exec
	s_or_b64 s[10:11], s[10:11], s[14:15]
	s_or_b64 exec, exec, s[4:5]
	v_mov_b32_e32 v6, 0
	s_and_saveexec_b64 s[4:5], s[10:11]
	s_cbranch_execnz .LBB22_2310
	s_branch .LBB22_2311
.LBB22_2330:
	s_mov_b64 s[0:1], -1
                                        ; implicit-def: $vgpr6
.LBB22_2331:
	s_mov_b64 s[14:15], 0
.LBB22_2332:
	s_and_b64 vcc, exec, s[14:15]
	s_cbranch_vccz .LBB22_2334
; %bb.2333:
	s_cmp_lg_u32 s26, 11
	s_mov_b64 s[4:5], -1
	s_cselect_b64 s[0:1], -1, 0
.LBB22_2334:
	s_and_b64 vcc, exec, s[0:1]
	s_cbranch_vccnz .LBB22_2399
; %bb.2335:
	s_andn2_b64 vcc, exec, s[4:5]
	s_cbranch_vccnz .LBB22_2337
.LBB22_2336:
	global_load_ubyte v6, v[8:9], off
	s_mov_b64 s[10:11], -1
	s_waitcnt vmcnt(0)
	v_cmp_ne_u16_e32 vcc, 0, v6
	v_cndmask_b32_e64 v6, 0, 1, vcc
.LBB22_2337:
	s_mov_b64 s[0:1], 0
.LBB22_2338:
	s_and_b64 vcc, exec, s[0:1]
	s_cbranch_vccz .LBB22_2387
; %bb.2339:
	s_cmp_lt_i32 s26, 5
	s_cbranch_scc1 .LBB22_2344
; %bb.2340:
	s_cmp_lt_i32 s26, 8
	s_cbranch_scc1 .LBB22_2345
	;; [unrolled: 3-line block ×3, first 2 shown]
; %bb.2342:
	s_cmp_gt_i32 s26, 9
	s_cbranch_scc0 .LBB22_2347
; %bb.2343:
	global_load_dwordx2 v[6:7], v[8:9], off
	s_movk_i32 s0, 0xffe0
	s_waitcnt vmcnt(0)
	v_trunc_f64_e32 v[6:7], v[6:7]
	v_ldexp_f64 v[12:13], v[6:7], s0
	s_mov_b32 s0, 0
	s_mov_b32 s1, 0xc1f00000
	v_floor_f64_e32 v[12:13], v[12:13]
	v_fma_f64 v[6:7], v[12:13], s[0:1], v[6:7]
	s_mov_b64 s[0:1], 0
	v_cvt_u32_f64_e32 v6, v[6:7]
	s_branch .LBB22_2348
.LBB22_2344:
	s_mov_b64 s[0:1], -1
                                        ; implicit-def: $vgpr6
	s_branch .LBB22_2366
.LBB22_2345:
	s_mov_b64 s[0:1], -1
                                        ; implicit-def: $vgpr6
	s_branch .LBB22_2354
.LBB22_2346:
	s_mov_b64 s[0:1], -1
                                        ; implicit-def: $vgpr6
	s_branch .LBB22_2351
.LBB22_2347:
	s_mov_b64 s[0:1], -1
                                        ; implicit-def: $vgpr6
.LBB22_2348:
	s_andn2_b64 vcc, exec, s[0:1]
	s_cbranch_vccnz .LBB22_2350
; %bb.2349:
	global_load_dword v6, v[8:9], off
	s_mov_b32 s0, 0x2f800000
	s_waitcnt vmcnt(0)
	v_trunc_f32_e32 v6, v6
	v_mul_f32_e64 v7, |v6|, s0
	v_floor_f32_e32 v7, v7
	s_mov_b32 s0, 0xcf800000
	v_fma_f32 v7, v7, s0, |v6|
	v_cvt_u32_f32_e32 v7, v7
	v_ashrrev_i32_e32 v6, 31, v6
	v_xor_b32_e32 v7, v7, v6
	v_sub_u32_e32 v6, v7, v6
.LBB22_2350:
	s_mov_b64 s[0:1], 0
.LBB22_2351:
	s_andn2_b64 vcc, exec, s[0:1]
	s_cbranch_vccnz .LBB22_2353
; %bb.2352:
	global_load_dword v6, v[8:9], off
	s_waitcnt vmcnt(0)
	v_cvt_f32_f16_e32 v6, v6
	v_cvt_i32_f32_e32 v6, v6
.LBB22_2353:
	s_mov_b64 s[0:1], 0
.LBB22_2354:
	s_andn2_b64 vcc, exec, s[0:1]
	s_cbranch_vccnz .LBB22_2365
; %bb.2355:
	s_cmp_lt_i32 s26, 6
	s_cbranch_scc1 .LBB22_2358
; %bb.2356:
	s_cmp_gt_i32 s26, 6
	s_cbranch_scc0 .LBB22_2359
; %bb.2357:
	global_load_dwordx2 v[6:7], v[8:9], off
	s_movk_i32 s0, 0xffe0
	s_waitcnt vmcnt(0)
	v_trunc_f64_e32 v[6:7], v[6:7]
	v_ldexp_f64 v[12:13], v[6:7], s0
	s_mov_b32 s0, 0
	s_mov_b32 s1, 0xc1f00000
	v_floor_f64_e32 v[12:13], v[12:13]
	v_fma_f64 v[6:7], v[12:13], s[0:1], v[6:7]
	s_mov_b64 s[0:1], 0
	v_cvt_u32_f64_e32 v6, v[6:7]
	s_branch .LBB22_2360
.LBB22_2358:
	s_mov_b64 s[0:1], -1
                                        ; implicit-def: $vgpr6
	s_branch .LBB22_2363
.LBB22_2359:
	s_mov_b64 s[0:1], -1
                                        ; implicit-def: $vgpr6
.LBB22_2360:
	s_andn2_b64 vcc, exec, s[0:1]
	s_cbranch_vccnz .LBB22_2362
; %bb.2361:
	global_load_dword v6, v[8:9], off
	s_mov_b32 s0, 0x2f800000
	s_waitcnt vmcnt(0)
	v_trunc_f32_e32 v6, v6
	v_mul_f32_e64 v7, |v6|, s0
	v_floor_f32_e32 v7, v7
	s_mov_b32 s0, 0xcf800000
	v_fma_f32 v7, v7, s0, |v6|
	v_cvt_u32_f32_e32 v7, v7
	v_ashrrev_i32_e32 v6, 31, v6
	v_xor_b32_e32 v7, v7, v6
	v_sub_u32_e32 v6, v7, v6
.LBB22_2362:
	s_mov_b64 s[0:1], 0
.LBB22_2363:
	s_andn2_b64 vcc, exec, s[0:1]
	s_cbranch_vccnz .LBB22_2365
; %bb.2364:
	global_load_ushort v6, v[8:9], off
	s_waitcnt vmcnt(0)
	v_cvt_f32_f16_e32 v6, v6
	v_cvt_i32_f32_e32 v6, v6
.LBB22_2365:
	s_mov_b64 s[0:1], 0
.LBB22_2366:
	s_andn2_b64 vcc, exec, s[0:1]
	s_cbranch_vccnz .LBB22_2386
; %bb.2367:
	s_cmp_lt_i32 s26, 2
	s_cbranch_scc1 .LBB22_2371
; %bb.2368:
	s_cmp_lt_i32 s26, 3
	s_cbranch_scc1 .LBB22_2372
; %bb.2369:
	s_cmp_gt_i32 s26, 3
	s_cbranch_scc0 .LBB22_2373
; %bb.2370:
	global_load_dwordx2 v[6:7], v[8:9], off
	s_mov_b64 s[0:1], 0
	s_branch .LBB22_2374
.LBB22_2371:
	s_mov_b64 s[0:1], -1
                                        ; implicit-def: $vgpr6
	s_branch .LBB22_2380
.LBB22_2372:
	s_mov_b64 s[0:1], -1
                                        ; implicit-def: $vgpr6
	s_branch .LBB22_2377
.LBB22_2373:
	s_mov_b64 s[0:1], -1
                                        ; implicit-def: $vgpr6
.LBB22_2374:
	s_andn2_b64 vcc, exec, s[0:1]
	s_cbranch_vccnz .LBB22_2376
; %bb.2375:
	global_load_dword v6, v[8:9], off
.LBB22_2376:
	s_mov_b64 s[0:1], 0
.LBB22_2377:
	s_andn2_b64 vcc, exec, s[0:1]
	s_cbranch_vccnz .LBB22_2379
; %bb.2378:
	global_load_ushort v6, v[8:9], off
.LBB22_2379:
	s_mov_b64 s[0:1], 0
.LBB22_2380:
	s_andn2_b64 vcc, exec, s[0:1]
	s_cbranch_vccnz .LBB22_2386
; %bb.2381:
	s_cmp_gt_i32 s26, 0
	s_cbranch_scc0 .LBB22_2383
; %bb.2382:
	global_load_ubyte v6, v[8:9], off
	s_mov_b64 s[0:1], 0
	s_branch .LBB22_2384
.LBB22_2383:
	s_mov_b64 s[0:1], -1
                                        ; implicit-def: $vgpr6
.LBB22_2384:
	s_andn2_b64 vcc, exec, s[0:1]
	s_cbranch_vccnz .LBB22_2386
; %bb.2385:
	global_load_ubyte v6, v[8:9], off
.LBB22_2386:
	s_mov_b64 s[10:11], -1
.LBB22_2387:
	s_andn2_b64 vcc, exec, s[10:11]
	s_cbranch_vccnz .LBB22_2947
; %bb.2388:
	s_waitcnt vmcnt(0)
	v_add_u32_e32 v7, s24, v10
	v_ashrrev_i32_e32 v8, 31, v7
	v_mov_b32_e32 v10, s17
	v_add_co_u32_e32 v9, vcc, s16, v7
	s_cmp_lt_i32 s27, 11
	v_addc_co_u32_e32 v10, vcc, v10, v8, vcc
	s_cbranch_scc1 .LBB22_2395
; %bb.2389:
	s_and_b32 s13, 0xffff, s27
	s_cmp_gt_i32 s13, 25
	s_mov_b64 s[4:5], 0
	s_cbranch_scc0 .LBB22_2396
; %bb.2390:
	s_cmp_gt_i32 s13, 28
	s_cbranch_scc0 .LBB22_2397
; %bb.2391:
	s_cmp_gt_i32 s13, 43
	;; [unrolled: 3-line block ×3, first 2 shown]
	s_cbranch_scc0 .LBB22_2400
; %bb.2393:
	s_cmp_eq_u32 s13, 46
	s_mov_b64 s[14:15], 0
	s_cbranch_scc0 .LBB22_2401
; %bb.2394:
	global_load_dword v7, v[9:10], off
	s_mov_b32 s0, 0x2f800000
	s_mov_b32 s1, 0xcf800000
	s_mov_b64 s[10:11], -1
	s_waitcnt vmcnt(0)
	v_lshlrev_b32_e32 v7, 16, v7
	v_trunc_f32_e32 v7, v7
	v_mul_f32_e64 v8, |v7|, s0
	v_floor_f32_e32 v8, v8
	v_fma_f32 v8, v8, s1, |v7|
	v_cvt_u32_f32_e32 v8, v8
	v_ashrrev_i32_e32 v7, 31, v7
	s_mov_b64 s[0:1], 0
	v_xor_b32_e32 v8, v8, v7
	v_sub_u32_e32 v7, v8, v7
	s_branch .LBB22_2402
.LBB22_2395:
	s_mov_b64 s[0:1], -1
	s_mov_b64 s[10:11], 0
                                        ; implicit-def: $vgpr7
	s_branch .LBB22_2464
.LBB22_2396:
	s_mov_b64 s[14:15], -1
	s_mov_b64 s[10:11], 0
	s_mov_b64 s[0:1], 0
                                        ; implicit-def: $vgpr7
	s_branch .LBB22_2429
.LBB22_2397:
	s_mov_b64 s[14:15], -1
	s_mov_b64 s[10:11], 0
	s_mov_b64 s[0:1], 0
                                        ; implicit-def: $vgpr7
	s_branch .LBB22_2412
.LBB22_2398:
	s_mov_b64 s[14:15], -1
	s_mov_b64 s[10:11], 0
	s_mov_b64 s[0:1], 0
                                        ; implicit-def: $vgpr7
	s_branch .LBB22_2407
.LBB22_2399:
	s_trap 2
	s_or_b64 s[20:21], s[20:21], exec
	s_cbranch_execz .LBB22_2336
	s_branch .LBB22_2337
.LBB22_2400:
	s_mov_b64 s[14:15], -1
	s_mov_b64 s[10:11], 0
	s_mov_b64 s[0:1], 0
                                        ; implicit-def: $vgpr7
	s_branch .LBB22_2402
.LBB22_2401:
	s_mov_b64 s[0:1], -1
                                        ; implicit-def: $vgpr7
	s_mov_b64 s[10:11], 0
.LBB22_2402:
	s_and_b64 vcc, exec, s[14:15]
	s_cbranch_vccz .LBB22_2406
; %bb.2403:
	s_cmp_eq_u32 s13, 44
	s_cbranch_scc0 .LBB22_2405
; %bb.2404:
	global_load_ubyte v7, v[9:10], off
	s_mov_b32 s0, 0x2f800000
	s_mov_b32 s1, 0xcf800000
	s_mov_b64 s[10:11], -1
	s_waitcnt vmcnt(0)
	v_lshlrev_b32_e32 v8, 23, v7
	v_trunc_f32_e32 v8, v8
	v_mul_f32_e64 v12, |v8|, s0
	v_floor_f32_e32 v12, v12
	v_fma_f32 v12, v12, s1, |v8|
	v_cvt_u32_f32_e32 v12, v12
	v_ashrrev_i32_e32 v8, 31, v8
	v_cmp_ne_u32_e32 vcc, 0, v7
	s_mov_b64 s[0:1], 0
	v_xor_b32_e32 v12, v12, v8
	v_sub_u32_e32 v8, v12, v8
	v_cndmask_b32_e32 v7, 0, v8, vcc
	s_branch .LBB22_2406
.LBB22_2405:
	s_mov_b64 s[0:1], -1
                                        ; implicit-def: $vgpr7
.LBB22_2406:
	s_mov_b64 s[14:15], 0
.LBB22_2407:
	s_and_b64 vcc, exec, s[14:15]
	s_cbranch_vccz .LBB22_2411
; %bb.2408:
	s_cmp_eq_u32 s13, 29
	s_cbranch_scc0 .LBB22_2410
; %bb.2409:
	global_load_dwordx2 v[7:8], v[9:10], off
	s_mov_b64 s[0:1], 0
	s_mov_b64 s[10:11], -1
	s_branch .LBB22_2411
.LBB22_2410:
	s_mov_b64 s[0:1], -1
                                        ; implicit-def: $vgpr7
.LBB22_2411:
	s_mov_b64 s[14:15], 0
.LBB22_2412:
	s_and_b64 vcc, exec, s[14:15]
	s_cbranch_vccz .LBB22_2428
; %bb.2413:
	s_cmp_lt_i32 s13, 27
	s_cbranch_scc1 .LBB22_2416
; %bb.2414:
	s_cmp_gt_i32 s13, 27
	s_cbranch_scc0 .LBB22_2417
; %bb.2415:
	global_load_dword v7, v[9:10], off
	s_mov_b64 s[10:11], 0
	s_branch .LBB22_2418
.LBB22_2416:
	s_mov_b64 s[10:11], -1
                                        ; implicit-def: $vgpr7
	s_branch .LBB22_2421
.LBB22_2417:
	s_mov_b64 s[10:11], -1
                                        ; implicit-def: $vgpr7
.LBB22_2418:
	s_andn2_b64 vcc, exec, s[10:11]
	s_cbranch_vccnz .LBB22_2420
; %bb.2419:
	global_load_ushort v7, v[9:10], off
.LBB22_2420:
	s_mov_b64 s[10:11], 0
.LBB22_2421:
	s_andn2_b64 vcc, exec, s[10:11]
	s_cbranch_vccnz .LBB22_2427
; %bb.2422:
	global_load_ubyte v8, v[9:10], off
	s_movk_i32 s10, 0x7f
	s_mov_b64 s[14:15], 0
	s_waitcnt vmcnt(0)
	v_cmp_lt_i16_e32 vcc, s10, v8
	s_and_saveexec_b64 s[10:11], vcc
	s_xor_b64 s[10:11], exec, s[10:11]
	s_cbranch_execz .LBB22_2439
; %bb.2423:
	s_movk_i32 s14, 0x80
	v_cmp_ne_u16_e32 vcc, s14, v8
	s_and_b64 s[14:15], vcc, exec
	s_andn2_saveexec_b64 s[10:11], s[10:11]
	s_cbranch_execnz .LBB22_2440
.LBB22_2424:
	s_or_b64 exec, exec, s[10:11]
	v_mov_b32_e32 v7, 0
	s_and_saveexec_b64 s[10:11], s[14:15]
	s_cbranch_execz .LBB22_2426
.LBB22_2425:
	v_lshlrev_b32_e32 v7, 24, v8
	v_and_b32_e32 v8, 0xffff, v8
	v_and_b32_e32 v12, 7, v8
	v_ffbh_u32_e32 v14, v12
	v_min_u32_e32 v14, 32, v14
	v_subrev_u32_e32 v15, 28, v14
	v_bfe_u32 v13, v8, 3, 4
	v_lshlrev_b32_e32 v8, v15, v8
	v_sub_u32_e32 v14, 29, v14
	v_and_b32_e32 v8, 7, v8
	v_cmp_eq_u32_e32 vcc, 0, v13
	v_cndmask_b32_e32 v13, v13, v14, vcc
	v_cndmask_b32_e32 v8, v12, v8, vcc
	v_mov_b32_e32 v12, 0x3b800000
	v_lshlrev_b32_e32 v8, 20, v8
	v_and_b32_e32 v7, 0x80000000, v7
	v_lshl_add_u32 v12, v13, 23, v12
	v_or3_b32 v7, v7, v12, v8
	v_trunc_f32_e32 v7, v7
	s_mov_b32 s14, 0x2f800000
	v_mul_f32_e64 v8, |v7|, s14
	v_floor_f32_e32 v8, v8
	s_mov_b32 s14, 0xcf800000
	v_fma_f32 v8, v8, s14, |v7|
	v_cvt_u32_f32_e32 v8, v8
	v_ashrrev_i32_e32 v7, 31, v7
	v_xor_b32_e32 v8, v8, v7
	v_sub_u32_e32 v7, v8, v7
.LBB22_2426:
	s_or_b64 exec, exec, s[10:11]
.LBB22_2427:
	s_mov_b64 s[10:11], -1
.LBB22_2428:
	s_mov_b64 s[14:15], 0
.LBB22_2429:
	s_and_b64 vcc, exec, s[14:15]
	s_cbranch_vccz .LBB22_2460
; %bb.2430:
	s_cmp_gt_i32 s13, 22
	s_cbranch_scc0 .LBB22_2438
; %bb.2431:
	s_cmp_lt_i32 s13, 24
	s_cbranch_scc1 .LBB22_2441
; %bb.2432:
	s_cmp_gt_i32 s13, 24
	s_cbranch_scc0 .LBB22_2442
; %bb.2433:
	global_load_ubyte v8, v[9:10], off
	s_movk_i32 s4, 0x7f
	s_mov_b64 s[10:11], 0
	s_waitcnt vmcnt(0)
	v_cmp_lt_i16_e32 vcc, s4, v8
	s_and_saveexec_b64 s[4:5], vcc
	s_xor_b64 s[4:5], exec, s[4:5]
	s_cbranch_execz .LBB22_2454
; %bb.2434:
	s_movk_i32 s10, 0x80
	v_cmp_ne_u16_e32 vcc, s10, v8
	s_and_b64 s[10:11], vcc, exec
	s_andn2_saveexec_b64 s[4:5], s[4:5]
	s_cbranch_execnz .LBB22_2455
.LBB22_2435:
	s_or_b64 exec, exec, s[4:5]
	v_mov_b32_e32 v7, 0
	s_and_saveexec_b64 s[4:5], s[10:11]
	s_cbranch_execz .LBB22_2437
.LBB22_2436:
	v_lshlrev_b32_e32 v7, 24, v8
	v_and_b32_e32 v8, 0xffff, v8
	v_and_b32_e32 v12, 3, v8
	v_ffbh_u32_e32 v14, v12
	v_min_u32_e32 v14, 32, v14
	v_subrev_u32_e32 v15, 29, v14
	v_bfe_u32 v13, v8, 2, 5
	v_lshlrev_b32_e32 v8, v15, v8
	v_sub_u32_e32 v14, 30, v14
	v_and_b32_e32 v8, 3, v8
	v_cmp_eq_u32_e32 vcc, 0, v13
	v_cndmask_b32_e32 v13, v13, v14, vcc
	v_cndmask_b32_e32 v8, v12, v8, vcc
	v_mov_b32_e32 v12, 0x37800000
	v_lshlrev_b32_e32 v8, 21, v8
	v_and_b32_e32 v7, 0x80000000, v7
	v_lshl_add_u32 v12, v13, 23, v12
	v_or3_b32 v7, v7, v12, v8
	v_trunc_f32_e32 v7, v7
	s_mov_b32 s10, 0x2f800000
	v_mul_f32_e64 v8, |v7|, s10
	v_floor_f32_e32 v8, v8
	s_mov_b32 s10, 0xcf800000
	v_fma_f32 v8, v8, s10, |v7|
	v_cvt_u32_f32_e32 v8, v8
	v_ashrrev_i32_e32 v7, 31, v7
	v_xor_b32_e32 v8, v8, v7
	v_sub_u32_e32 v7, v8, v7
.LBB22_2437:
	s_or_b64 exec, exec, s[4:5]
	s_mov_b64 s[4:5], 0
	s_branch .LBB22_2443
.LBB22_2438:
	s_mov_b64 s[4:5], -1
                                        ; implicit-def: $vgpr7
	s_branch .LBB22_2449
.LBB22_2439:
	s_andn2_saveexec_b64 s[10:11], s[10:11]
	s_cbranch_execz .LBB22_2424
.LBB22_2440:
	v_cmp_ne_u16_e32 vcc, 0, v8
	s_andn2_b64 s[14:15], s[14:15], exec
	s_and_b64 s[16:17], vcc, exec
	s_or_b64 s[14:15], s[14:15], s[16:17]
	s_or_b64 exec, exec, s[10:11]
	v_mov_b32_e32 v7, 0
	s_and_saveexec_b64 s[10:11], s[14:15]
	s_cbranch_execnz .LBB22_2425
	s_branch .LBB22_2426
.LBB22_2441:
	s_mov_b64 s[4:5], -1
                                        ; implicit-def: $vgpr7
	s_branch .LBB22_2446
.LBB22_2442:
	s_mov_b64 s[4:5], -1
                                        ; implicit-def: $vgpr7
.LBB22_2443:
	s_and_b64 vcc, exec, s[4:5]
	s_cbranch_vccz .LBB22_2445
; %bb.2444:
	global_load_ubyte v7, v[9:10], off
	s_mov_b32 s4, 0x7f800000
	s_brev_b32 s5, 1
	s_mov_b32 s10, 0x2f800000
	s_waitcnt vmcnt(0)
	v_lshlrev_b32_e32 v7, 24, v7
	v_and_b32_e32 v8, 0x7f000000, v7
	v_ffbh_u32_e32 v12, v8
	v_min_u32_e32 v12, 32, v12
	v_sub_u32_e64 v12, v12, 4 clamp
	v_lshlrev_b32_e32 v14, v12, v8
	v_lshlrev_b32_e32 v12, 23, v12
	v_lshrrev_b32_e32 v14, 4, v14
	v_add_u32_e32 v13, 0x1000000, v8
	v_sub_u32_e32 v12, v14, v12
	v_ashrrev_i32_e32 v13, 8, v13
	v_add_u32_e32 v12, 0x3c000000, v12
	v_and_or_b32 v12, v13, s4, v12
	v_cmp_ne_u32_e32 vcc, 0, v8
	v_cndmask_b32_e32 v8, 0, v12, vcc
	v_and_or_b32 v7, v7, s5, v8
	v_trunc_f32_e32 v7, v7
	v_mul_f32_e64 v8, |v7|, s10
	v_floor_f32_e32 v8, v8
	s_mov_b32 s4, 0xcf800000
	v_fma_f32 v8, v8, s4, |v7|
	v_cvt_u32_f32_e32 v8, v8
	v_ashrrev_i32_e32 v7, 31, v7
	v_xor_b32_e32 v8, v8, v7
	v_sub_u32_e32 v7, v8, v7
.LBB22_2445:
	s_mov_b64 s[4:5], 0
.LBB22_2446:
	s_andn2_b64 vcc, exec, s[4:5]
	s_cbranch_vccnz .LBB22_2448
; %bb.2447:
	global_load_ubyte v7, v[9:10], off
	s_movk_i32 s4, 0x7f00
	s_brev_b32 s5, 16
	s_brev_b32 s10, 1
	s_mov_b32 s11, 0x2f800000
	s_waitcnt vmcnt(0)
	v_lshlrev_b16_e32 v8, 8, v7
	v_lshlrev_b32_e32 v7, 25, v7
	v_lshrrev_b32_e32 v12, 4, v7
	v_and_or_b32 v13, v8, s4, 0.5
	v_or_b32_e32 v12, 0x70000000, v12
	v_add_f32_e32 v13, -0.5, v13
	v_mul_f32_e32 v12, 0x7800000, v12
	v_cmp_gt_u32_e32 vcc, s5, v7
	v_bfe_i32 v8, v8, 0, 16
	v_cndmask_b32_e32 v7, v12, v13, vcc
	v_and_or_b32 v7, v8, s10, v7
	v_trunc_f32_e32 v7, v7
	v_mul_f32_e64 v8, |v7|, s11
	v_floor_f32_e32 v8, v8
	s_mov_b32 s4, 0xcf800000
	v_fma_f32 v8, v8, s4, |v7|
	v_cvt_u32_f32_e32 v8, v8
	v_ashrrev_i32_e32 v7, 31, v7
	v_xor_b32_e32 v8, v8, v7
	v_sub_u32_e32 v7, v8, v7
.LBB22_2448:
	s_mov_b64 s[4:5], 0
	s_mov_b64 s[10:11], -1
.LBB22_2449:
	s_andn2_b64 vcc, exec, s[4:5]
	s_mov_b64 s[4:5], 0
	s_cbranch_vccnz .LBB22_2460
; %bb.2450:
	s_cmp_gt_i32 s13, 14
	s_cbranch_scc0 .LBB22_2453
; %bb.2451:
	s_cmp_eq_u32 s13, 15
	s_cbranch_scc0 .LBB22_2456
; %bb.2452:
	global_load_ushort v7, v[9:10], off
	s_mov_b32 s0, 0x2f800000
	s_mov_b32 s1, 0xcf800000
	s_mov_b64 s[10:11], -1
	s_waitcnt vmcnt(0)
	v_lshlrev_b32_e32 v7, 16, v7
	v_trunc_f32_e32 v7, v7
	v_mul_f32_e64 v8, |v7|, s0
	v_floor_f32_e32 v8, v8
	v_fma_f32 v8, v8, s1, |v7|
	v_cvt_u32_f32_e32 v8, v8
	v_ashrrev_i32_e32 v7, 31, v7
	s_mov_b64 s[0:1], 0
	v_xor_b32_e32 v8, v8, v7
	v_sub_u32_e32 v7, v8, v7
	s_branch .LBB22_2457
.LBB22_2453:
	s_mov_b64 s[14:15], -1
                                        ; implicit-def: $vgpr7
	s_branch .LBB22_2458
.LBB22_2454:
	s_andn2_saveexec_b64 s[4:5], s[4:5]
	s_cbranch_execz .LBB22_2435
.LBB22_2455:
	v_cmp_ne_u16_e32 vcc, 0, v8
	s_andn2_b64 s[10:11], s[10:11], exec
	s_and_b64 s[14:15], vcc, exec
	s_or_b64 s[10:11], s[10:11], s[14:15]
	s_or_b64 exec, exec, s[4:5]
	v_mov_b32_e32 v7, 0
	s_and_saveexec_b64 s[4:5], s[10:11]
	s_cbranch_execnz .LBB22_2436
	s_branch .LBB22_2437
.LBB22_2456:
	s_mov_b64 s[0:1], -1
                                        ; implicit-def: $vgpr7
.LBB22_2457:
	s_mov_b64 s[14:15], 0
.LBB22_2458:
	s_and_b64 vcc, exec, s[14:15]
	s_cbranch_vccz .LBB22_2460
; %bb.2459:
	s_cmp_lg_u32 s13, 11
	s_mov_b64 s[4:5], -1
	s_cselect_b64 s[0:1], -1, 0
.LBB22_2460:
	s_and_b64 vcc, exec, s[0:1]
	s_cbranch_vccnz .LBB22_2993
; %bb.2461:
	s_andn2_b64 vcc, exec, s[4:5]
	s_cbranch_vccnz .LBB22_2463
.LBB22_2462:
	global_load_ubyte v7, v[9:10], off
	s_mov_b64 s[10:11], -1
	s_waitcnt vmcnt(0)
	v_cmp_ne_u16_e32 vcc, 0, v7
	v_cndmask_b32_e64 v7, 0, 1, vcc
.LBB22_2463:
	s_mov_b64 s[0:1], 0
.LBB22_2464:
	s_and_b64 vcc, exec, s[0:1]
	s_cbranch_vccz .LBB22_2513
; %bb.2465:
	s_and_b32 s4, 0xffff, s27
	s_cmp_lt_i32 s4, 5
	s_cbranch_scc1 .LBB22_2470
; %bb.2466:
	s_cmp_lt_i32 s4, 8
	s_cbranch_scc1 .LBB22_2471
; %bb.2467:
	;; [unrolled: 3-line block ×3, first 2 shown]
	s_cmp_gt_i32 s4, 9
	s_cbranch_scc0 .LBB22_2473
; %bb.2469:
	global_load_dwordx2 v[7:8], v[9:10], off
	s_movk_i32 s0, 0xffe0
	s_waitcnt vmcnt(0)
	v_trunc_f64_e32 v[7:8], v[7:8]
	v_ldexp_f64 v[12:13], v[7:8], s0
	s_mov_b32 s0, 0
	s_mov_b32 s1, 0xc1f00000
	v_floor_f64_e32 v[12:13], v[12:13]
	v_fma_f64 v[7:8], v[12:13], s[0:1], v[7:8]
	s_mov_b64 s[0:1], 0
	v_cvt_u32_f64_e32 v7, v[7:8]
	s_branch .LBB22_2474
.LBB22_2470:
	s_mov_b64 s[0:1], -1
                                        ; implicit-def: $vgpr7
	s_branch .LBB22_2492
.LBB22_2471:
	s_mov_b64 s[0:1], -1
                                        ; implicit-def: $vgpr7
	s_branch .LBB22_2480
.LBB22_2472:
	s_mov_b64 s[0:1], -1
                                        ; implicit-def: $vgpr7
	s_branch .LBB22_2477
.LBB22_2473:
	s_mov_b64 s[0:1], -1
                                        ; implicit-def: $vgpr7
.LBB22_2474:
	s_andn2_b64 vcc, exec, s[0:1]
	s_cbranch_vccnz .LBB22_2476
; %bb.2475:
	global_load_dword v7, v[9:10], off
	s_mov_b32 s0, 0x2f800000
	s_waitcnt vmcnt(0)
	v_trunc_f32_e32 v7, v7
	v_mul_f32_e64 v8, |v7|, s0
	v_floor_f32_e32 v8, v8
	s_mov_b32 s0, 0xcf800000
	v_fma_f32 v8, v8, s0, |v7|
	v_cvt_u32_f32_e32 v8, v8
	v_ashrrev_i32_e32 v7, 31, v7
	v_xor_b32_e32 v8, v8, v7
	v_sub_u32_e32 v7, v8, v7
.LBB22_2476:
	s_mov_b64 s[0:1], 0
.LBB22_2477:
	s_andn2_b64 vcc, exec, s[0:1]
	s_cbranch_vccnz .LBB22_2479
; %bb.2478:
	global_load_dword v7, v[9:10], off
	s_waitcnt vmcnt(0)
	v_cvt_f32_f16_e32 v7, v7
	v_cvt_i32_f32_e32 v7, v7
.LBB22_2479:
	s_mov_b64 s[0:1], 0
.LBB22_2480:
	s_andn2_b64 vcc, exec, s[0:1]
	s_cbranch_vccnz .LBB22_2491
; %bb.2481:
	s_cmp_lt_i32 s4, 6
	s_cbranch_scc1 .LBB22_2484
; %bb.2482:
	s_cmp_gt_i32 s4, 6
	s_cbranch_scc0 .LBB22_2485
; %bb.2483:
	global_load_dwordx2 v[7:8], v[9:10], off
	s_movk_i32 s0, 0xffe0
	s_waitcnt vmcnt(0)
	v_trunc_f64_e32 v[7:8], v[7:8]
	v_ldexp_f64 v[12:13], v[7:8], s0
	s_mov_b32 s0, 0
	s_mov_b32 s1, 0xc1f00000
	v_floor_f64_e32 v[12:13], v[12:13]
	v_fma_f64 v[7:8], v[12:13], s[0:1], v[7:8]
	s_mov_b64 s[0:1], 0
	v_cvt_u32_f64_e32 v7, v[7:8]
	s_branch .LBB22_2486
.LBB22_2484:
	s_mov_b64 s[0:1], -1
                                        ; implicit-def: $vgpr7
	s_branch .LBB22_2489
.LBB22_2485:
	s_mov_b64 s[0:1], -1
                                        ; implicit-def: $vgpr7
.LBB22_2486:
	s_andn2_b64 vcc, exec, s[0:1]
	s_cbranch_vccnz .LBB22_2488
; %bb.2487:
	global_load_dword v7, v[9:10], off
	s_mov_b32 s0, 0x2f800000
	s_waitcnt vmcnt(0)
	v_trunc_f32_e32 v7, v7
	v_mul_f32_e64 v8, |v7|, s0
	v_floor_f32_e32 v8, v8
	s_mov_b32 s0, 0xcf800000
	v_fma_f32 v8, v8, s0, |v7|
	v_cvt_u32_f32_e32 v8, v8
	v_ashrrev_i32_e32 v7, 31, v7
	v_xor_b32_e32 v8, v8, v7
	v_sub_u32_e32 v7, v8, v7
.LBB22_2488:
	s_mov_b64 s[0:1], 0
.LBB22_2489:
	s_andn2_b64 vcc, exec, s[0:1]
	s_cbranch_vccnz .LBB22_2491
; %bb.2490:
	global_load_ushort v7, v[9:10], off
	s_waitcnt vmcnt(0)
	v_cvt_f32_f16_e32 v7, v7
	v_cvt_i32_f32_e32 v7, v7
.LBB22_2491:
	s_mov_b64 s[0:1], 0
.LBB22_2492:
	s_andn2_b64 vcc, exec, s[0:1]
	s_cbranch_vccnz .LBB22_2512
; %bb.2493:
	s_cmp_lt_i32 s4, 2
	s_cbranch_scc1 .LBB22_2497
; %bb.2494:
	s_cmp_lt_i32 s4, 3
	s_cbranch_scc1 .LBB22_2498
; %bb.2495:
	s_cmp_gt_i32 s4, 3
	s_cbranch_scc0 .LBB22_2499
; %bb.2496:
	global_load_dwordx2 v[7:8], v[9:10], off
	s_mov_b64 s[0:1], 0
	s_branch .LBB22_2500
.LBB22_2497:
	s_mov_b64 s[0:1], -1
                                        ; implicit-def: $vgpr7
	s_branch .LBB22_2506
.LBB22_2498:
	s_mov_b64 s[0:1], -1
                                        ; implicit-def: $vgpr7
	s_branch .LBB22_2503
.LBB22_2499:
	s_mov_b64 s[0:1], -1
                                        ; implicit-def: $vgpr7
.LBB22_2500:
	s_andn2_b64 vcc, exec, s[0:1]
	s_cbranch_vccnz .LBB22_2502
; %bb.2501:
	global_load_dword v7, v[9:10], off
.LBB22_2502:
	s_mov_b64 s[0:1], 0
.LBB22_2503:
	s_andn2_b64 vcc, exec, s[0:1]
	s_cbranch_vccnz .LBB22_2505
; %bb.2504:
	global_load_ushort v7, v[9:10], off
.LBB22_2505:
	s_mov_b64 s[0:1], 0
.LBB22_2506:
	s_andn2_b64 vcc, exec, s[0:1]
	s_cbranch_vccnz .LBB22_2512
; %bb.2507:
	s_cmp_gt_i32 s4, 0
	s_cbranch_scc0 .LBB22_2509
; %bb.2508:
	global_load_ubyte v7, v[9:10], off
	s_mov_b64 s[0:1], 0
	s_branch .LBB22_2510
.LBB22_2509:
	s_mov_b64 s[0:1], -1
                                        ; implicit-def: $vgpr7
.LBB22_2510:
	s_andn2_b64 vcc, exec, s[0:1]
	s_cbranch_vccnz .LBB22_2512
; %bb.2511:
	global_load_ubyte v7, v[9:10], off
.LBB22_2512:
	s_mov_b64 s[10:11], -1
.LBB22_2513:
	s_andn2_b64 vcc, exec, s[10:11]
	s_cbranch_vccnz .LBB22_2947
; %bb.2514:
	s_waitcnt vmcnt(0)
	v_mul_lo_u32 v8, s12, v11
	s_and_b32 s16, s2, 0xff
	v_mov_b32_e32 v9, s33
	v_cmp_gt_u16_sdwa vcc, v0, s16 src0_sel:BYTE_0 src1_sel:DWORD
	v_cndmask_b32_e32 v9, v9, v1, vcc
	v_ashrrev_i32_e32 v1, 31, v8
	v_mov_b32_e32 v10, s9
	s_and_b32 s22, s3, 0xff
	v_add_co_u32_e32 v0, vcc, s8, v8
	s_cmp_lt_i32 s22, 11
	v_addc_co_u32_e32 v1, vcc, v10, v1, vcc
	s_cbranch_scc1 .LBB22_2592
; %bb.2515:
	s_and_b32 s13, 0xffff, s22
	s_mov_b64 s[10:11], -1
	s_mov_b64 s[2:3], 0
	s_cmp_gt_i32 s13, 25
	s_mov_b64 s[4:5], 0
	s_mov_b64 s[0:1], 0
	s_cbranch_scc0 .LBB22_2548
; %bb.2516:
	s_cmp_gt_i32 s13, 28
	s_cbranch_scc0 .LBB22_2531
; %bb.2517:
	s_cmp_gt_i32 s13, 43
	s_cbranch_scc0 .LBB22_2527
; %bb.2518:
	s_cmp_gt_i32 s13, 45
	s_cbranch_scc0 .LBB22_2521
; %bb.2519:
	s_mov_b64 s[0:1], -1
	s_mov_b64 s[10:11], 0
	s_cmp_eq_u32 s13, 46
	s_cbranch_scc0 .LBB22_2521
; %bb.2520:
	v_cvt_f32_ubyte0_e32 v10, v9
	v_bfe_u32 v11, v10, 16, 1
	s_movk_i32 s0, 0x7fff
	v_add3_u32 v10, v10, v11, s0
	v_lshrrev_b32_e32 v10, 16, v10
	global_store_dword v[0:1], v10, off
	s_mov_b64 s[0:1], 0
	s_mov_b64 s[4:5], -1
.LBB22_2521:
	s_and_b64 vcc, exec, s[10:11]
	s_cbranch_vccz .LBB22_2526
; %bb.2522:
	s_cmp_eq_u32 s13, 44
	s_mov_b64 s[0:1], -1
	s_cbranch_scc0 .LBB22_2526
; %bb.2523:
	v_cvt_f32_ubyte0_e32 v11, v9
	v_lshrrev_b32_e32 v10, 23, v11
	s_movk_i32 s0, 0xff
	v_cmp_ne_u32_e32 vcc, s0, v10
	v_mov_b32_e32 v12, 0xff
	s_and_saveexec_b64 s[4:5], vcc
; %bb.2524:
	s_mov_b32 s0, 0x3fffff
	v_and_b32_e32 v12, 0x400000, v11
	v_and_or_b32 v11, v11, s0, v10
	v_cmp_ne_u32_e32 vcc, 0, v12
	v_cmp_ne_u32_e64 s[0:1], 0, v11
	s_and_b64 s[0:1], vcc, s[0:1]
	v_cndmask_b32_e64 v11, 0, 1, s[0:1]
	v_add_u32_e32 v12, v10, v11
; %bb.2525:
	s_or_b64 exec, exec, s[4:5]
	s_mov_b64 s[0:1], 0
	s_mov_b64 s[4:5], -1
	global_store_byte v[0:1], v12, off
.LBB22_2526:
	s_mov_b64 s[10:11], 0
.LBB22_2527:
	s_and_b64 vcc, exec, s[10:11]
	s_cbranch_vccz .LBB22_2530
; %bb.2528:
	s_cmp_eq_u32 s13, 29
	s_mov_b64 s[0:1], -1
	s_cbranch_scc0 .LBB22_2530
; %bb.2529:
	v_and_b32_e32 v10, 0xff, v9
	v_mov_b32_e32 v11, 0
	global_store_dwordx2 v[0:1], v[10:11], off
	s_mov_b64 s[0:1], 0
	s_mov_b64 s[4:5], -1
.LBB22_2530:
	s_mov_b64 s[10:11], 0
.LBB22_2531:
	s_and_b64 vcc, exec, s[10:11]
	s_cbranch_vccz .LBB22_2547
; %bb.2532:
	s_cmp_lt_i32 s13, 27
	s_mov_b64 s[4:5], -1
	s_cbranch_scc1 .LBB22_2538
; %bb.2533:
	s_cmp_gt_i32 s13, 27
	s_cbranch_scc0 .LBB22_2535
; %bb.2534:
	v_and_b32_e32 v10, 0xff, v9
	s_mov_b64 s[4:5], 0
	global_store_dword v[0:1], v10, off
.LBB22_2535:
	s_andn2_b64 vcc, exec, s[4:5]
	s_cbranch_vccnz .LBB22_2537
; %bb.2536:
	v_and_b32_e32 v10, 0xff, v9
	global_store_short v[0:1], v10, off
.LBB22_2537:
	s_mov_b64 s[4:5], 0
.LBB22_2538:
	s_andn2_b64 vcc, exec, s[4:5]
	s_cbranch_vccnz .LBB22_2546
; %bb.2539:
	v_cvt_f32_ubyte0_e32 v11, v9
	s_mov_b32 s4, 0x43800000
	v_cmp_gt_u32_e32 vcc, s4, v11
	v_mov_b32_e32 v12, 0x80
	s_and_saveexec_b64 s[4:5], vcc
	s_cbranch_execz .LBB22_2545
; %bb.2540:
	s_mov_b32 s10, 0x3bffffff
	v_cmp_lt_u32_e32 vcc, s10, v11
	s_mov_b64 s[10:11], 0
                                        ; implicit-def: $vgpr10
	s_and_saveexec_b64 s[14:15], vcc
	s_xor_b64 s[14:15], exec, s[14:15]
	s_cbranch_execz .LBB22_2994
; %bb.2541:
	v_bfe_u32 v10, v11, 20, 1
	s_mov_b32 s17, 0x487ffff
	v_add3_u32 v10, v11, v10, s17
	s_mov_b64 s[10:11], exec
	v_lshrrev_b32_e32 v10, 20, v10
                                        ; implicit-def: $vgpr11
	s_andn2_saveexec_b64 s[14:15], s[14:15]
	s_cbranch_execnz .LBB22_2995
.LBB22_2542:
	s_or_b64 exec, exec, s[14:15]
	v_mov_b32_e32 v12, 0
	s_and_saveexec_b64 s[14:15], s[10:11]
.LBB22_2543:
	v_mov_b32_e32 v12, v10
.LBB22_2544:
	s_or_b64 exec, exec, s[14:15]
.LBB22_2545:
	s_or_b64 exec, exec, s[4:5]
	global_store_byte v[0:1], v12, off
.LBB22_2546:
	s_mov_b64 s[4:5], -1
.LBB22_2547:
	s_mov_b64 s[10:11], 0
.LBB22_2548:
	s_and_b64 vcc, exec, s[10:11]
	s_cbranch_vccz .LBB22_2588
; %bb.2549:
	s_cmp_gt_i32 s13, 22
	s_mov_b64 s[2:3], -1
	s_cbranch_scc0 .LBB22_2581
; %bb.2550:
	s_cmp_lt_i32 s13, 24
	s_cbranch_scc1 .LBB22_2570
; %bb.2551:
	s_cmp_gt_i32 s13, 24
	s_cbranch_scc0 .LBB22_2559
; %bb.2552:
	v_cvt_f32_ubyte0_e32 v11, v9
	s_mov_b32 s2, 0x47800000
	v_cmp_gt_u32_e32 vcc, s2, v11
	v_mov_b32_e32 v12, 0x80
	s_and_saveexec_b64 s[2:3], vcc
	s_cbranch_execz .LBB22_2558
; %bb.2553:
	s_mov_b32 s4, 0x37ffffff
	v_cmp_lt_u32_e32 vcc, s4, v11
	s_mov_b64 s[4:5], 0
                                        ; implicit-def: $vgpr10
	s_and_saveexec_b64 s[10:11], vcc
	s_xor_b64 s[10:11], exec, s[10:11]
	s_cbranch_execz .LBB22_2997
; %bb.2554:
	v_bfe_u32 v10, v11, 21, 1
	s_mov_b32 s14, 0x88fffff
	v_add3_u32 v10, v11, v10, s14
	s_mov_b64 s[4:5], exec
	v_lshrrev_b32_e32 v10, 21, v10
                                        ; implicit-def: $vgpr11
	s_andn2_saveexec_b64 s[10:11], s[10:11]
	s_cbranch_execnz .LBB22_2998
.LBB22_2555:
	s_or_b64 exec, exec, s[10:11]
	v_mov_b32_e32 v12, 0
	s_and_saveexec_b64 s[10:11], s[4:5]
.LBB22_2556:
	v_mov_b32_e32 v12, v10
.LBB22_2557:
	s_or_b64 exec, exec, s[10:11]
.LBB22_2558:
	s_or_b64 exec, exec, s[2:3]
	s_mov_b64 s[2:3], 0
	global_store_byte v[0:1], v12, off
.LBB22_2559:
	s_and_b64 vcc, exec, s[2:3]
	s_cbranch_vccz .LBB22_2569
; %bb.2560:
	v_cvt_f32_ubyte0_e32 v10, v9
	s_mov_b32 s2, 0x43f00000
	v_cmp_gt_u32_e32 vcc, s2, v10
                                        ; implicit-def: $vgpr11
	s_and_saveexec_b64 s[2:3], vcc
	s_xor_b64 s[2:3], exec, s[2:3]
	s_cbranch_execz .LBB22_2566
; %bb.2561:
	s_mov_b32 s4, 0x3c7fffff
	v_cmp_lt_u32_e32 vcc, s4, v10
                                        ; implicit-def: $vgpr11
	s_and_saveexec_b64 s[4:5], vcc
	s_xor_b64 s[4:5], exec, s[4:5]
; %bb.2562:
	v_bfe_u32 v11, v10, 20, 1
	s_mov_b32 s10, 0x407ffff
	v_add3_u32 v10, v10, v11, s10
	v_lshrrev_b32_e32 v11, 20, v10
	v_and_b32_e32 v10, 0xff00000, v10
	s_mov_b32 s10, 0x7f00000
	v_mov_b32_e32 v12, 0x7e
	v_cmp_ne_u32_e32 vcc, s10, v10
	v_cndmask_b32_e32 v11, v12, v11, vcc
                                        ; implicit-def: $vgpr10
; %bb.2563:
	s_andn2_saveexec_b64 s[4:5], s[4:5]
; %bb.2564:
	v_add_f32_e32 v11, 0x46800000, v10
; %bb.2565:
	s_or_b64 exec, exec, s[4:5]
                                        ; implicit-def: $vgpr10
.LBB22_2566:
	s_andn2_saveexec_b64 s[2:3], s[2:3]
; %bb.2567:
	s_mov_b32 s4, 0x7f800000
	v_mov_b32_e32 v11, 0x7e
	v_mov_b32_e32 v12, 0x7f
	v_cmp_lt_u32_e32 vcc, s4, v10
	v_cndmask_b32_e32 v11, v11, v12, vcc
; %bb.2568:
	s_or_b64 exec, exec, s[2:3]
	global_store_byte v[0:1], v11, off
.LBB22_2569:
	s_mov_b64 s[2:3], 0
.LBB22_2570:
	s_andn2_b64 vcc, exec, s[2:3]
	s_cbranch_vccnz .LBB22_2580
; %bb.2571:
	v_cvt_f32_ubyte0_e32 v10, v9
	s_mov_b32 s2, 0x47800000
	v_cmp_gt_u32_e32 vcc, s2, v10
                                        ; implicit-def: $vgpr11
	s_and_saveexec_b64 s[2:3], vcc
	s_xor_b64 s[2:3], exec, s[2:3]
	s_cbranch_execz .LBB22_2577
; %bb.2572:
	s_mov_b32 s4, 0x387fffff
	v_cmp_lt_u32_e32 vcc, s4, v10
                                        ; implicit-def: $vgpr11
	s_and_saveexec_b64 s[4:5], vcc
	s_xor_b64 s[4:5], exec, s[4:5]
; %bb.2573:
	v_bfe_u32 v11, v10, 21, 1
	s_mov_b32 s10, 0x80fffff
	v_add3_u32 v10, v10, v11, s10
	v_lshrrev_b32_e32 v11, 21, v10
                                        ; implicit-def: $vgpr10
; %bb.2574:
	s_andn2_saveexec_b64 s[4:5], s[4:5]
; %bb.2575:
	v_add_f32_e32 v11, 0x43000000, v10
; %bb.2576:
	s_or_b64 exec, exec, s[4:5]
                                        ; implicit-def: $vgpr10
.LBB22_2577:
	s_andn2_saveexec_b64 s[2:3], s[2:3]
; %bb.2578:
	s_mov_b32 s4, 0x7f800000
	v_mov_b32_e32 v11, 0x7c
	v_mov_b32_e32 v12, 0x7f
	v_cmp_lt_u32_e32 vcc, s4, v10
	v_cndmask_b32_e32 v11, v11, v12, vcc
; %bb.2579:
	s_or_b64 exec, exec, s[2:3]
	global_store_byte v[0:1], v11, off
.LBB22_2580:
	s_mov_b64 s[2:3], 0
	s_mov_b64 s[4:5], -1
.LBB22_2581:
	s_andn2_b64 vcc, exec, s[2:3]
	s_mov_b64 s[2:3], 0
	s_cbranch_vccnz .LBB22_2588
; %bb.2582:
	s_cmp_gt_i32 s13, 14
	s_mov_b64 s[10:11], -1
	s_cbranch_scc0 .LBB22_2586
; %bb.2583:
	s_cmp_eq_u32 s13, 15
	s_mov_b64 s[0:1], -1
	s_cbranch_scc0 .LBB22_2585
; %bb.2584:
	v_cvt_f32_ubyte0_e32 v10, v9
	v_bfe_u32 v11, v10, 16, 1
	s_movk_i32 s0, 0x7fff
	v_add3_u32 v10, v10, v11, s0
	global_store_short_d16_hi v[0:1], v10, off
	s_mov_b64 s[0:1], 0
	s_mov_b64 s[4:5], -1
.LBB22_2585:
	s_mov_b64 s[10:11], 0
.LBB22_2586:
	s_and_b64 vcc, exec, s[10:11]
	s_cbranch_vccz .LBB22_2588
; %bb.2587:
	s_cmp_lg_u32 s13, 11
	s_mov_b64 s[2:3], -1
	s_cselect_b64 s[0:1], -1, 0
.LBB22_2588:
	s_and_b64 vcc, exec, s[0:1]
	s_cbranch_vccnz .LBB22_2996
; %bb.2589:
	s_andn2_b64 vcc, exec, s[2:3]
	s_cbranch_vccnz .LBB22_2591
.LBB22_2590:
	v_mov_b32_e32 v10, 0
	v_cmp_ne_u16_sdwa s[0:1], v9, v10 src0_sel:BYTE_0 src1_sel:DWORD
	v_cndmask_b32_e64 v10, 0, 1, s[0:1]
	s_mov_b64 s[4:5], -1
	global_store_byte v[0:1], v10, off
.LBB22_2591:
	s_mov_b64 s[0:1], 0
	s_branch .LBB22_2593
.LBB22_2592:
	s_mov_b64 s[0:1], -1
	s_mov_b64 s[4:5], 0
.LBB22_2593:
	s_and_b64 vcc, exec, s[0:1]
	s_cbranch_vccz .LBB22_2632
; %bb.2594:
	s_and_b32 s2, 0xffff, s22
	s_cmp_lt_i32 s2, 5
	s_mov_b64 s[0:1], -1
	s_cbranch_scc1 .LBB22_2615
; %bb.2595:
	s_cmp_lt_i32 s2, 8
	s_cbranch_scc1 .LBB22_2605
; %bb.2596:
	s_cmp_lt_i32 s2, 9
	s_cbranch_scc1 .LBB22_2602
; %bb.2597:
	s_cmp_gt_i32 s2, 9
	s_cbranch_scc0 .LBB22_2599
; %bb.2598:
	s_mov_b32 s0, 0xffff
	v_and_b32_sdwa v10, s0, v9 dst_sel:DWORD dst_unused:UNUSED_PAD src0_sel:DWORD src1_sel:BYTE_0
	v_cvt_f64_u32_e32 v[10:11], v10
	v_mov_b32_e32 v12, 0
	v_mov_b32_e32 v13, v12
	s_mov_b64 s[0:1], 0
	global_store_dwordx4 v[0:1], v[10:13], off
.LBB22_2599:
	s_andn2_b64 vcc, exec, s[0:1]
	s_cbranch_vccnz .LBB22_2601
; %bb.2600:
	v_cvt_f32_ubyte0_e32 v10, v9
	v_mov_b32_e32 v11, 0
	global_store_dwordx2 v[0:1], v[10:11], off
.LBB22_2601:
	s_mov_b64 s[0:1], 0
.LBB22_2602:
	s_andn2_b64 vcc, exec, s[0:1]
	s_cbranch_vccnz .LBB22_2604
; %bb.2603:
	v_cvt_f16_u16_sdwa v10, v9 dst_sel:DWORD dst_unused:UNUSED_PAD src0_sel:BYTE_0
	global_store_dword v[0:1], v10, off
.LBB22_2604:
	s_mov_b64 s[0:1], 0
.LBB22_2605:
	s_andn2_b64 vcc, exec, s[0:1]
	s_cbranch_vccnz .LBB22_2614
; %bb.2606:
	s_cmp_lt_i32 s2, 6
	s_mov_b64 s[0:1], -1
	s_cbranch_scc1 .LBB22_2612
; %bb.2607:
	s_cmp_gt_i32 s2, 6
	s_cbranch_scc0 .LBB22_2609
; %bb.2608:
	s_mov_b32 s0, 0xffff
	v_and_b32_sdwa v10, s0, v9 dst_sel:DWORD dst_unused:UNUSED_PAD src0_sel:DWORD src1_sel:BYTE_0
	v_cvt_f64_u32_e32 v[10:11], v10
	s_mov_b64 s[0:1], 0
	global_store_dwordx2 v[0:1], v[10:11], off
.LBB22_2609:
	s_andn2_b64 vcc, exec, s[0:1]
	s_cbranch_vccnz .LBB22_2611
; %bb.2610:
	v_cvt_f32_ubyte0_e32 v10, v9
	global_store_dword v[0:1], v10, off
.LBB22_2611:
	s_mov_b64 s[0:1], 0
.LBB22_2612:
	s_andn2_b64 vcc, exec, s[0:1]
	s_cbranch_vccnz .LBB22_2614
; %bb.2613:
	v_cvt_f16_u16_sdwa v10, v9 dst_sel:DWORD dst_unused:UNUSED_PAD src0_sel:BYTE_0
	global_store_short v[0:1], v10, off
.LBB22_2614:
	s_mov_b64 s[0:1], 0
.LBB22_2615:
	s_andn2_b64 vcc, exec, s[0:1]
	s_cbranch_vccnz .LBB22_2631
; %bb.2616:
	s_cmp_lt_i32 s2, 2
	s_mov_b64 s[0:1], -1
	s_cbranch_scc1 .LBB22_2626
; %bb.2617:
	s_cmp_lt_i32 s2, 3
	s_cbranch_scc1 .LBB22_2623
; %bb.2618:
	s_cmp_gt_i32 s2, 3
	s_cbranch_scc0 .LBB22_2620
; %bb.2619:
	v_and_b32_e32 v10, 0xff, v9
	v_mov_b32_e32 v11, 0
	global_store_dwordx2 v[0:1], v[10:11], off
	s_mov_b64 s[0:1], 0
.LBB22_2620:
	s_andn2_b64 vcc, exec, s[0:1]
	s_cbranch_vccnz .LBB22_2622
; %bb.2621:
	v_and_b32_e32 v10, 0xff, v9
	global_store_dword v[0:1], v10, off
.LBB22_2622:
	s_mov_b64 s[0:1], 0
.LBB22_2623:
	s_andn2_b64 vcc, exec, s[0:1]
	s_cbranch_vccnz .LBB22_2625
; %bb.2624:
	v_and_b32_e32 v10, 0xff, v9
	global_store_short v[0:1], v10, off
.LBB22_2625:
	s_mov_b64 s[0:1], 0
.LBB22_2626:
	s_andn2_b64 vcc, exec, s[0:1]
	s_cbranch_vccnz .LBB22_2631
; %bb.2627:
	s_cmp_gt_i32 s2, 0
	s_mov_b64 s[0:1], -1
	s_cbranch_scc0 .LBB22_2629
; %bb.2628:
	global_store_byte v[0:1], v9, off
	s_mov_b64 s[0:1], 0
.LBB22_2629:
	s_andn2_b64 vcc, exec, s[0:1]
	s_cbranch_vccnz .LBB22_2631
; %bb.2630:
	global_store_byte v[0:1], v9, off
.LBB22_2631:
	s_mov_b64 s[4:5], -1
.LBB22_2632:
	s_andn2_b64 vcc, exec, s[4:5]
	s_cbranch_vccnz .LBB22_2947
; %bb.2633:
	s_lshl_b32 s14, s12, 7
	v_mov_b32_e32 v0, s33
	v_cmp_gt_u16_sdwa vcc, v2, s16 src0_sel:BYTE_0 src1_sel:DWORD
	v_add_u32_e32 v2, s14, v8
	v_cndmask_b32_e32 v3, v0, v3, vcc
	v_ashrrev_i32_e32 v1, 31, v2
	v_mov_b32_e32 v8, s9
	v_add_co_u32_e32 v0, vcc, s8, v2
	s_cmp_lt_i32 s22, 11
	v_addc_co_u32_e32 v1, vcc, v8, v1, vcc
	s_cbranch_scc1 .LBB22_2711
; %bb.2634:
	s_and_b32 s15, 0xffff, s22
	s_mov_b64 s[10:11], -1
	s_mov_b64 s[2:3], 0
	s_cmp_gt_i32 s15, 25
	s_mov_b64 s[4:5], 0
	s_mov_b64 s[0:1], 0
	s_cbranch_scc0 .LBB22_2667
; %bb.2635:
	s_cmp_gt_i32 s15, 28
	s_cbranch_scc0 .LBB22_2650
; %bb.2636:
	s_cmp_gt_i32 s15, 43
	;; [unrolled: 3-line block ×3, first 2 shown]
	s_cbranch_scc0 .LBB22_2640
; %bb.2638:
	s_mov_b64 s[0:1], -1
	s_mov_b64 s[10:11], 0
	s_cmp_eq_u32 s15, 46
	s_cbranch_scc0 .LBB22_2640
; %bb.2639:
	v_cvt_f32_ubyte0_e32 v8, v3
	v_bfe_u32 v9, v8, 16, 1
	s_movk_i32 s0, 0x7fff
	v_add3_u32 v8, v8, v9, s0
	v_lshrrev_b32_e32 v8, 16, v8
	global_store_dword v[0:1], v8, off
	s_mov_b64 s[0:1], 0
	s_mov_b64 s[4:5], -1
.LBB22_2640:
	s_and_b64 vcc, exec, s[10:11]
	s_cbranch_vccz .LBB22_2645
; %bb.2641:
	s_cmp_eq_u32 s15, 44
	s_mov_b64 s[0:1], -1
	s_cbranch_scc0 .LBB22_2645
; %bb.2642:
	v_cvt_f32_ubyte0_e32 v9, v3
	v_lshrrev_b32_e32 v8, 23, v9
	s_movk_i32 s0, 0xff
	v_cmp_ne_u32_e32 vcc, s0, v8
	v_mov_b32_e32 v10, 0xff
	s_and_saveexec_b64 s[4:5], vcc
; %bb.2643:
	s_mov_b32 s0, 0x3fffff
	v_and_b32_e32 v10, 0x400000, v9
	v_and_or_b32 v9, v9, s0, v8
	v_cmp_ne_u32_e32 vcc, 0, v10
	v_cmp_ne_u32_e64 s[0:1], 0, v9
	s_and_b64 s[0:1], vcc, s[0:1]
	v_cndmask_b32_e64 v9, 0, 1, s[0:1]
	v_add_u32_e32 v10, v8, v9
; %bb.2644:
	s_or_b64 exec, exec, s[4:5]
	s_mov_b64 s[0:1], 0
	s_mov_b64 s[4:5], -1
	global_store_byte v[0:1], v10, off
.LBB22_2645:
	s_mov_b64 s[10:11], 0
.LBB22_2646:
	s_and_b64 vcc, exec, s[10:11]
	s_cbranch_vccz .LBB22_2649
; %bb.2647:
	s_cmp_eq_u32 s15, 29
	s_mov_b64 s[0:1], -1
	s_cbranch_scc0 .LBB22_2649
; %bb.2648:
	v_and_b32_e32 v8, 0xff, v3
	v_mov_b32_e32 v9, 0
	global_store_dwordx2 v[0:1], v[8:9], off
	s_mov_b64 s[0:1], 0
	s_mov_b64 s[4:5], -1
.LBB22_2649:
	s_mov_b64 s[10:11], 0
.LBB22_2650:
	s_and_b64 vcc, exec, s[10:11]
	s_cbranch_vccz .LBB22_2666
; %bb.2651:
	s_cmp_lt_i32 s15, 27
	s_mov_b64 s[4:5], -1
	s_cbranch_scc1 .LBB22_2657
; %bb.2652:
	s_cmp_gt_i32 s15, 27
	s_cbranch_scc0 .LBB22_2654
; %bb.2653:
	v_and_b32_e32 v8, 0xff, v3
	s_mov_b64 s[4:5], 0
	global_store_dword v[0:1], v8, off
.LBB22_2654:
	s_andn2_b64 vcc, exec, s[4:5]
	s_cbranch_vccnz .LBB22_2656
; %bb.2655:
	v_and_b32_e32 v8, 0xff, v3
	global_store_short v[0:1], v8, off
.LBB22_2656:
	s_mov_b64 s[4:5], 0
.LBB22_2657:
	s_andn2_b64 vcc, exec, s[4:5]
	s_cbranch_vccnz .LBB22_2665
; %bb.2658:
	v_cvt_f32_ubyte0_e32 v9, v3
	s_mov_b32 s4, 0x43800000
	v_cmp_gt_u32_e32 vcc, s4, v9
	v_mov_b32_e32 v10, 0x80
	s_and_saveexec_b64 s[4:5], vcc
	s_cbranch_execz .LBB22_2664
; %bb.2659:
	s_mov_b32 s10, 0x3bffffff
	v_cmp_lt_u32_e32 vcc, s10, v9
	s_mov_b64 s[10:11], 0
                                        ; implicit-def: $vgpr8
	s_and_saveexec_b64 s[12:13], vcc
	s_xor_b64 s[12:13], exec, s[12:13]
	s_cbranch_execz .LBB22_2999
; %bb.2660:
	v_bfe_u32 v8, v9, 20, 1
	s_mov_b32 s17, 0x487ffff
	v_add3_u32 v8, v9, v8, s17
	s_mov_b64 s[10:11], exec
	v_lshrrev_b32_e32 v8, 20, v8
                                        ; implicit-def: $vgpr9
	s_andn2_saveexec_b64 s[12:13], s[12:13]
	s_cbranch_execnz .LBB22_3000
.LBB22_2661:
	s_or_b64 exec, exec, s[12:13]
	v_mov_b32_e32 v10, 0
	s_and_saveexec_b64 s[12:13], s[10:11]
.LBB22_2662:
	v_mov_b32_e32 v10, v8
.LBB22_2663:
	s_or_b64 exec, exec, s[12:13]
.LBB22_2664:
	s_or_b64 exec, exec, s[4:5]
	global_store_byte v[0:1], v10, off
.LBB22_2665:
	s_mov_b64 s[4:5], -1
.LBB22_2666:
	s_mov_b64 s[10:11], 0
.LBB22_2667:
	s_and_b64 vcc, exec, s[10:11]
	s_cbranch_vccz .LBB22_2707
; %bb.2668:
	s_cmp_gt_i32 s15, 22
	s_mov_b64 s[2:3], -1
	s_cbranch_scc0 .LBB22_2700
; %bb.2669:
	s_cmp_lt_i32 s15, 24
	s_cbranch_scc1 .LBB22_2689
; %bb.2670:
	s_cmp_gt_i32 s15, 24
	s_cbranch_scc0 .LBB22_2678
; %bb.2671:
	v_cvt_f32_ubyte0_e32 v9, v3
	s_mov_b32 s2, 0x47800000
	v_cmp_gt_u32_e32 vcc, s2, v9
	v_mov_b32_e32 v10, 0x80
	s_and_saveexec_b64 s[2:3], vcc
	s_cbranch_execz .LBB22_2677
; %bb.2672:
	s_mov_b32 s4, 0x37ffffff
	v_cmp_lt_u32_e32 vcc, s4, v9
	s_mov_b64 s[4:5], 0
                                        ; implicit-def: $vgpr8
	s_and_saveexec_b64 s[10:11], vcc
	s_xor_b64 s[10:11], exec, s[10:11]
	s_cbranch_execz .LBB22_3002
; %bb.2673:
	v_bfe_u32 v8, v9, 21, 1
	s_mov_b32 s12, 0x88fffff
	v_add3_u32 v8, v9, v8, s12
	s_mov_b64 s[4:5], exec
	v_lshrrev_b32_e32 v8, 21, v8
                                        ; implicit-def: $vgpr9
	s_andn2_saveexec_b64 s[10:11], s[10:11]
	s_cbranch_execnz .LBB22_3003
.LBB22_2674:
	s_or_b64 exec, exec, s[10:11]
	v_mov_b32_e32 v10, 0
	s_and_saveexec_b64 s[10:11], s[4:5]
.LBB22_2675:
	v_mov_b32_e32 v10, v8
.LBB22_2676:
	s_or_b64 exec, exec, s[10:11]
.LBB22_2677:
	s_or_b64 exec, exec, s[2:3]
	s_mov_b64 s[2:3], 0
	global_store_byte v[0:1], v10, off
.LBB22_2678:
	s_and_b64 vcc, exec, s[2:3]
	s_cbranch_vccz .LBB22_2688
; %bb.2679:
	v_cvt_f32_ubyte0_e32 v8, v3
	s_mov_b32 s2, 0x43f00000
	v_cmp_gt_u32_e32 vcc, s2, v8
                                        ; implicit-def: $vgpr9
	s_and_saveexec_b64 s[2:3], vcc
	s_xor_b64 s[2:3], exec, s[2:3]
	s_cbranch_execz .LBB22_2685
; %bb.2680:
	s_mov_b32 s4, 0x3c7fffff
	v_cmp_lt_u32_e32 vcc, s4, v8
                                        ; implicit-def: $vgpr9
	s_and_saveexec_b64 s[4:5], vcc
	s_xor_b64 s[4:5], exec, s[4:5]
; %bb.2681:
	v_bfe_u32 v9, v8, 20, 1
	s_mov_b32 s10, 0x407ffff
	v_add3_u32 v8, v8, v9, s10
	v_lshrrev_b32_e32 v9, 20, v8
	v_and_b32_e32 v8, 0xff00000, v8
	s_mov_b32 s10, 0x7f00000
	v_mov_b32_e32 v10, 0x7e
	v_cmp_ne_u32_e32 vcc, s10, v8
	v_cndmask_b32_e32 v9, v10, v9, vcc
                                        ; implicit-def: $vgpr8
; %bb.2682:
	s_andn2_saveexec_b64 s[4:5], s[4:5]
; %bb.2683:
	v_add_f32_e32 v9, 0x46800000, v8
; %bb.2684:
	s_or_b64 exec, exec, s[4:5]
                                        ; implicit-def: $vgpr8
.LBB22_2685:
	s_andn2_saveexec_b64 s[2:3], s[2:3]
; %bb.2686:
	s_mov_b32 s4, 0x7f800000
	v_mov_b32_e32 v9, 0x7e
	v_mov_b32_e32 v10, 0x7f
	v_cmp_lt_u32_e32 vcc, s4, v8
	v_cndmask_b32_e32 v9, v9, v10, vcc
; %bb.2687:
	s_or_b64 exec, exec, s[2:3]
	global_store_byte v[0:1], v9, off
.LBB22_2688:
	s_mov_b64 s[2:3], 0
.LBB22_2689:
	s_andn2_b64 vcc, exec, s[2:3]
	s_cbranch_vccnz .LBB22_2699
; %bb.2690:
	v_cvt_f32_ubyte0_e32 v8, v3
	s_mov_b32 s2, 0x47800000
	v_cmp_gt_u32_e32 vcc, s2, v8
                                        ; implicit-def: $vgpr9
	s_and_saveexec_b64 s[2:3], vcc
	s_xor_b64 s[2:3], exec, s[2:3]
	s_cbranch_execz .LBB22_2696
; %bb.2691:
	s_mov_b32 s4, 0x387fffff
	v_cmp_lt_u32_e32 vcc, s4, v8
                                        ; implicit-def: $vgpr9
	s_and_saveexec_b64 s[4:5], vcc
	s_xor_b64 s[4:5], exec, s[4:5]
; %bb.2692:
	v_bfe_u32 v9, v8, 21, 1
	s_mov_b32 s10, 0x80fffff
	v_add3_u32 v8, v8, v9, s10
	v_lshrrev_b32_e32 v9, 21, v8
                                        ; implicit-def: $vgpr8
; %bb.2693:
	s_andn2_saveexec_b64 s[4:5], s[4:5]
; %bb.2694:
	v_add_f32_e32 v9, 0x43000000, v8
; %bb.2695:
	s_or_b64 exec, exec, s[4:5]
                                        ; implicit-def: $vgpr8
.LBB22_2696:
	s_andn2_saveexec_b64 s[2:3], s[2:3]
; %bb.2697:
	s_mov_b32 s4, 0x7f800000
	v_mov_b32_e32 v9, 0x7c
	v_mov_b32_e32 v10, 0x7f
	v_cmp_lt_u32_e32 vcc, s4, v8
	v_cndmask_b32_e32 v9, v9, v10, vcc
; %bb.2698:
	s_or_b64 exec, exec, s[2:3]
	global_store_byte v[0:1], v9, off
.LBB22_2699:
	s_mov_b64 s[2:3], 0
	s_mov_b64 s[4:5], -1
.LBB22_2700:
	s_andn2_b64 vcc, exec, s[2:3]
	s_mov_b64 s[2:3], 0
	s_cbranch_vccnz .LBB22_2707
; %bb.2701:
	s_cmp_gt_i32 s15, 14
	s_mov_b64 s[10:11], -1
	s_cbranch_scc0 .LBB22_2705
; %bb.2702:
	s_cmp_eq_u32 s15, 15
	s_mov_b64 s[0:1], -1
	s_cbranch_scc0 .LBB22_2704
; %bb.2703:
	v_cvt_f32_ubyte0_e32 v8, v3
	v_bfe_u32 v9, v8, 16, 1
	s_movk_i32 s0, 0x7fff
	v_add3_u32 v8, v8, v9, s0
	global_store_short_d16_hi v[0:1], v8, off
	s_mov_b64 s[0:1], 0
	s_mov_b64 s[4:5], -1
.LBB22_2704:
	s_mov_b64 s[10:11], 0
.LBB22_2705:
	s_and_b64 vcc, exec, s[10:11]
	s_cbranch_vccz .LBB22_2707
; %bb.2706:
	s_cmp_lg_u32 s15, 11
	s_mov_b64 s[2:3], -1
	s_cselect_b64 s[0:1], -1, 0
.LBB22_2707:
	s_and_b64 vcc, exec, s[0:1]
	s_cbranch_vccnz .LBB22_3001
; %bb.2708:
	s_andn2_b64 vcc, exec, s[2:3]
	s_cbranch_vccnz .LBB22_2710
.LBB22_2709:
	v_mov_b32_e32 v8, 0
	v_cmp_ne_u16_sdwa s[0:1], v3, v8 src0_sel:BYTE_0 src1_sel:DWORD
	v_cndmask_b32_e64 v8, 0, 1, s[0:1]
	s_mov_b64 s[4:5], -1
	global_store_byte v[0:1], v8, off
.LBB22_2710:
	s_mov_b64 s[0:1], 0
	s_branch .LBB22_2712
.LBB22_2711:
	s_mov_b64 s[0:1], -1
	s_mov_b64 s[4:5], 0
.LBB22_2712:
	s_and_b64 vcc, exec, s[0:1]
	s_cbranch_vccz .LBB22_2751
; %bb.2713:
	s_and_b32 s2, 0xffff, s22
	s_cmp_lt_i32 s2, 5
	s_mov_b64 s[0:1], -1
	s_cbranch_scc1 .LBB22_2734
; %bb.2714:
	s_cmp_lt_i32 s2, 8
	s_cbranch_scc1 .LBB22_2724
; %bb.2715:
	s_cmp_lt_i32 s2, 9
	s_cbranch_scc1 .LBB22_2721
; %bb.2716:
	s_cmp_gt_i32 s2, 9
	s_cbranch_scc0 .LBB22_2718
; %bb.2717:
	s_mov_b32 s0, 0xffff
	v_and_b32_sdwa v8, s0, v3 dst_sel:DWORD dst_unused:UNUSED_PAD src0_sel:DWORD src1_sel:BYTE_0
	v_cvt_f64_u32_e32 v[8:9], v8
	v_mov_b32_e32 v10, 0
	v_mov_b32_e32 v11, v10
	s_mov_b64 s[0:1], 0
	global_store_dwordx4 v[0:1], v[8:11], off
.LBB22_2718:
	s_andn2_b64 vcc, exec, s[0:1]
	s_cbranch_vccnz .LBB22_2720
; %bb.2719:
	v_cvt_f32_ubyte0_e32 v8, v3
	v_mov_b32_e32 v9, 0
	global_store_dwordx2 v[0:1], v[8:9], off
.LBB22_2720:
	s_mov_b64 s[0:1], 0
.LBB22_2721:
	s_andn2_b64 vcc, exec, s[0:1]
	s_cbranch_vccnz .LBB22_2723
; %bb.2722:
	v_cvt_f16_u16_sdwa v8, v3 dst_sel:DWORD dst_unused:UNUSED_PAD src0_sel:BYTE_0
	global_store_dword v[0:1], v8, off
.LBB22_2723:
	s_mov_b64 s[0:1], 0
.LBB22_2724:
	s_andn2_b64 vcc, exec, s[0:1]
	s_cbranch_vccnz .LBB22_2733
; %bb.2725:
	s_cmp_lt_i32 s2, 6
	s_mov_b64 s[0:1], -1
	s_cbranch_scc1 .LBB22_2731
; %bb.2726:
	s_cmp_gt_i32 s2, 6
	s_cbranch_scc0 .LBB22_2728
; %bb.2727:
	s_mov_b32 s0, 0xffff
	v_and_b32_sdwa v8, s0, v3 dst_sel:DWORD dst_unused:UNUSED_PAD src0_sel:DWORD src1_sel:BYTE_0
	v_cvt_f64_u32_e32 v[8:9], v8
	s_mov_b64 s[0:1], 0
	global_store_dwordx2 v[0:1], v[8:9], off
.LBB22_2728:
	s_andn2_b64 vcc, exec, s[0:1]
	s_cbranch_vccnz .LBB22_2730
; %bb.2729:
	v_cvt_f32_ubyte0_e32 v8, v3
	global_store_dword v[0:1], v8, off
.LBB22_2730:
	s_mov_b64 s[0:1], 0
.LBB22_2731:
	s_andn2_b64 vcc, exec, s[0:1]
	s_cbranch_vccnz .LBB22_2733
; %bb.2732:
	v_cvt_f16_u16_sdwa v8, v3 dst_sel:DWORD dst_unused:UNUSED_PAD src0_sel:BYTE_0
	global_store_short v[0:1], v8, off
.LBB22_2733:
	s_mov_b64 s[0:1], 0
.LBB22_2734:
	s_andn2_b64 vcc, exec, s[0:1]
	s_cbranch_vccnz .LBB22_2750
; %bb.2735:
	s_cmp_lt_i32 s2, 2
	s_mov_b64 s[0:1], -1
	s_cbranch_scc1 .LBB22_2745
; %bb.2736:
	s_cmp_lt_i32 s2, 3
	s_cbranch_scc1 .LBB22_2742
; %bb.2737:
	s_cmp_gt_i32 s2, 3
	s_cbranch_scc0 .LBB22_2739
; %bb.2738:
	v_and_b32_e32 v8, 0xff, v3
	v_mov_b32_e32 v9, 0
	global_store_dwordx2 v[0:1], v[8:9], off
	s_mov_b64 s[0:1], 0
.LBB22_2739:
	s_andn2_b64 vcc, exec, s[0:1]
	s_cbranch_vccnz .LBB22_2741
; %bb.2740:
	v_and_b32_e32 v8, 0xff, v3
	global_store_dword v[0:1], v8, off
.LBB22_2741:
	s_mov_b64 s[0:1], 0
.LBB22_2742:
	s_andn2_b64 vcc, exec, s[0:1]
	s_cbranch_vccnz .LBB22_2744
; %bb.2743:
	v_and_b32_e32 v8, 0xff, v3
	global_store_short v[0:1], v8, off
.LBB22_2744:
	s_mov_b64 s[0:1], 0
.LBB22_2745:
	s_andn2_b64 vcc, exec, s[0:1]
	s_cbranch_vccnz .LBB22_2750
; %bb.2746:
	s_cmp_gt_i32 s2, 0
	s_mov_b64 s[0:1], -1
	s_cbranch_scc0 .LBB22_2748
; %bb.2747:
	global_store_byte v[0:1], v3, off
	s_mov_b64 s[0:1], 0
.LBB22_2748:
	s_andn2_b64 vcc, exec, s[0:1]
	s_cbranch_vccnz .LBB22_2750
; %bb.2749:
	global_store_byte v[0:1], v3, off
.LBB22_2750:
	s_mov_b64 s[4:5], -1
.LBB22_2751:
	s_andn2_b64 vcc, exec, s[4:5]
	s_cbranch_vccnz .LBB22_2947
; %bb.2752:
	v_mov_b32_e32 v0, s33
	v_cmp_gt_u16_sdwa vcc, v4, s16 src0_sel:BYTE_0 src1_sel:DWORD
	v_add_u32_e32 v3, s14, v2
	v_cndmask_b32_e32 v4, v0, v5, vcc
	v_ashrrev_i32_e32 v1, 31, v3
	v_mov_b32_e32 v2, s9
	v_add_co_u32_e32 v0, vcc, s8, v3
	s_cmp_lt_i32 s22, 11
	v_addc_co_u32_e32 v1, vcc, v2, v1, vcc
	s_cbranch_scc1 .LBB22_2830
; %bb.2753:
	s_and_b32 s15, 0xffff, s22
	s_mov_b64 s[10:11], -1
	s_mov_b64 s[2:3], 0
	s_cmp_gt_i32 s15, 25
	s_mov_b64 s[4:5], 0
	s_mov_b64 s[0:1], 0
	s_cbranch_scc0 .LBB22_2786
; %bb.2754:
	s_cmp_gt_i32 s15, 28
	s_cbranch_scc0 .LBB22_2769
; %bb.2755:
	s_cmp_gt_i32 s15, 43
	;; [unrolled: 3-line block ×3, first 2 shown]
	s_cbranch_scc0 .LBB22_2759
; %bb.2757:
	s_mov_b64 s[0:1], -1
	s_mov_b64 s[10:11], 0
	s_cmp_eq_u32 s15, 46
	s_cbranch_scc0 .LBB22_2759
; %bb.2758:
	v_cvt_f32_ubyte0_e32 v2, v4
	v_bfe_u32 v5, v2, 16, 1
	s_movk_i32 s0, 0x7fff
	v_add3_u32 v2, v2, v5, s0
	v_lshrrev_b32_e32 v2, 16, v2
	global_store_dword v[0:1], v2, off
	s_mov_b64 s[0:1], 0
	s_mov_b64 s[4:5], -1
.LBB22_2759:
	s_and_b64 vcc, exec, s[10:11]
	s_cbranch_vccz .LBB22_2764
; %bb.2760:
	s_cmp_eq_u32 s15, 44
	s_mov_b64 s[0:1], -1
	s_cbranch_scc0 .LBB22_2764
; %bb.2761:
	v_cvt_f32_ubyte0_e32 v5, v4
	v_lshrrev_b32_e32 v2, 23, v5
	s_movk_i32 s0, 0xff
	v_cmp_ne_u32_e32 vcc, s0, v2
	v_mov_b32_e32 v8, 0xff
	s_and_saveexec_b64 s[4:5], vcc
; %bb.2762:
	s_mov_b32 s0, 0x3fffff
	v_and_b32_e32 v8, 0x400000, v5
	v_and_or_b32 v5, v5, s0, v2
	v_cmp_ne_u32_e32 vcc, 0, v8
	v_cmp_ne_u32_e64 s[0:1], 0, v5
	s_and_b64 s[0:1], vcc, s[0:1]
	v_cndmask_b32_e64 v5, 0, 1, s[0:1]
	v_add_u32_e32 v8, v2, v5
; %bb.2763:
	s_or_b64 exec, exec, s[4:5]
	s_mov_b64 s[0:1], 0
	s_mov_b64 s[4:5], -1
	global_store_byte v[0:1], v8, off
.LBB22_2764:
	s_mov_b64 s[10:11], 0
.LBB22_2765:
	s_and_b64 vcc, exec, s[10:11]
	s_cbranch_vccz .LBB22_2768
; %bb.2766:
	s_cmp_eq_u32 s15, 29
	s_mov_b64 s[0:1], -1
	s_cbranch_scc0 .LBB22_2768
; %bb.2767:
	v_and_b32_e32 v8, 0xff, v4
	v_mov_b32_e32 v9, 0
	global_store_dwordx2 v[0:1], v[8:9], off
	s_mov_b64 s[0:1], 0
	s_mov_b64 s[4:5], -1
.LBB22_2768:
	s_mov_b64 s[10:11], 0
.LBB22_2769:
	s_and_b64 vcc, exec, s[10:11]
	s_cbranch_vccz .LBB22_2785
; %bb.2770:
	s_cmp_lt_i32 s15, 27
	s_mov_b64 s[4:5], -1
	s_cbranch_scc1 .LBB22_2776
; %bb.2771:
	s_cmp_gt_i32 s15, 27
	s_cbranch_scc0 .LBB22_2773
; %bb.2772:
	v_and_b32_e32 v2, 0xff, v4
	s_mov_b64 s[4:5], 0
	global_store_dword v[0:1], v2, off
.LBB22_2773:
	s_andn2_b64 vcc, exec, s[4:5]
	s_cbranch_vccnz .LBB22_2775
; %bb.2774:
	v_and_b32_e32 v2, 0xff, v4
	global_store_short v[0:1], v2, off
.LBB22_2775:
	s_mov_b64 s[4:5], 0
.LBB22_2776:
	s_andn2_b64 vcc, exec, s[4:5]
	s_cbranch_vccnz .LBB22_2784
; %bb.2777:
	v_cvt_f32_ubyte0_e32 v5, v4
	s_mov_b32 s4, 0x43800000
	v_cmp_gt_u32_e32 vcc, s4, v5
	v_mov_b32_e32 v8, 0x80
	s_and_saveexec_b64 s[4:5], vcc
	s_cbranch_execz .LBB22_2783
; %bb.2778:
	s_mov_b32 s10, 0x3bffffff
	v_cmp_lt_u32_e32 vcc, s10, v5
	s_mov_b64 s[10:11], 0
                                        ; implicit-def: $vgpr2
	s_and_saveexec_b64 s[12:13], vcc
	s_xor_b64 s[12:13], exec, s[12:13]
	s_cbranch_execz .LBB22_3004
; %bb.2779:
	v_bfe_u32 v2, v5, 20, 1
	s_mov_b32 s17, 0x487ffff
	v_add3_u32 v2, v5, v2, s17
	s_mov_b64 s[10:11], exec
	v_lshrrev_b32_e32 v2, 20, v2
                                        ; implicit-def: $vgpr5
	s_andn2_saveexec_b64 s[12:13], s[12:13]
	s_cbranch_execnz .LBB22_3005
.LBB22_2780:
	s_or_b64 exec, exec, s[12:13]
	v_mov_b32_e32 v8, 0
	s_and_saveexec_b64 s[12:13], s[10:11]
.LBB22_2781:
	v_mov_b32_e32 v8, v2
.LBB22_2782:
	s_or_b64 exec, exec, s[12:13]
.LBB22_2783:
	s_or_b64 exec, exec, s[4:5]
	global_store_byte v[0:1], v8, off
.LBB22_2784:
	s_mov_b64 s[4:5], -1
.LBB22_2785:
	s_mov_b64 s[10:11], 0
.LBB22_2786:
	s_and_b64 vcc, exec, s[10:11]
	s_cbranch_vccz .LBB22_2826
; %bb.2787:
	s_cmp_gt_i32 s15, 22
	s_mov_b64 s[2:3], -1
	s_cbranch_scc0 .LBB22_2819
; %bb.2788:
	s_cmp_lt_i32 s15, 24
	s_cbranch_scc1 .LBB22_2808
; %bb.2789:
	s_cmp_gt_i32 s15, 24
	s_cbranch_scc0 .LBB22_2797
; %bb.2790:
	v_cvt_f32_ubyte0_e32 v5, v4
	s_mov_b32 s2, 0x47800000
	v_cmp_gt_u32_e32 vcc, s2, v5
	v_mov_b32_e32 v8, 0x80
	s_and_saveexec_b64 s[2:3], vcc
	s_cbranch_execz .LBB22_2796
; %bb.2791:
	s_mov_b32 s4, 0x37ffffff
	v_cmp_lt_u32_e32 vcc, s4, v5
	s_mov_b64 s[4:5], 0
                                        ; implicit-def: $vgpr2
	s_and_saveexec_b64 s[10:11], vcc
	s_xor_b64 s[10:11], exec, s[10:11]
	s_cbranch_execz .LBB22_3007
; %bb.2792:
	v_bfe_u32 v2, v5, 21, 1
	s_mov_b32 s12, 0x88fffff
	v_add3_u32 v2, v5, v2, s12
	s_mov_b64 s[4:5], exec
	v_lshrrev_b32_e32 v2, 21, v2
                                        ; implicit-def: $vgpr5
	s_andn2_saveexec_b64 s[10:11], s[10:11]
	s_cbranch_execnz .LBB22_3008
.LBB22_2793:
	s_or_b64 exec, exec, s[10:11]
	v_mov_b32_e32 v8, 0
	s_and_saveexec_b64 s[10:11], s[4:5]
.LBB22_2794:
	v_mov_b32_e32 v8, v2
.LBB22_2795:
	s_or_b64 exec, exec, s[10:11]
.LBB22_2796:
	s_or_b64 exec, exec, s[2:3]
	s_mov_b64 s[2:3], 0
	global_store_byte v[0:1], v8, off
.LBB22_2797:
	s_and_b64 vcc, exec, s[2:3]
	s_cbranch_vccz .LBB22_2807
; %bb.2798:
	v_cvt_f32_ubyte0_e32 v2, v4
	s_mov_b32 s2, 0x43f00000
	v_cmp_gt_u32_e32 vcc, s2, v2
                                        ; implicit-def: $vgpr5
	s_and_saveexec_b64 s[2:3], vcc
	s_xor_b64 s[2:3], exec, s[2:3]
	s_cbranch_execz .LBB22_2804
; %bb.2799:
	s_mov_b32 s4, 0x3c7fffff
	v_cmp_lt_u32_e32 vcc, s4, v2
                                        ; implicit-def: $vgpr5
	s_and_saveexec_b64 s[4:5], vcc
	s_xor_b64 s[4:5], exec, s[4:5]
; %bb.2800:
	v_bfe_u32 v5, v2, 20, 1
	s_mov_b32 s10, 0x407ffff
	v_add3_u32 v2, v2, v5, s10
	v_lshrrev_b32_e32 v5, 20, v2
	v_and_b32_e32 v2, 0xff00000, v2
	s_mov_b32 s10, 0x7f00000
	v_mov_b32_e32 v8, 0x7e
	v_cmp_ne_u32_e32 vcc, s10, v2
	v_cndmask_b32_e32 v5, v8, v5, vcc
                                        ; implicit-def: $vgpr2
; %bb.2801:
	s_andn2_saveexec_b64 s[4:5], s[4:5]
; %bb.2802:
	v_add_f32_e32 v5, 0x46800000, v2
; %bb.2803:
	s_or_b64 exec, exec, s[4:5]
                                        ; implicit-def: $vgpr2
.LBB22_2804:
	s_andn2_saveexec_b64 s[2:3], s[2:3]
; %bb.2805:
	s_mov_b32 s4, 0x7f800000
	v_mov_b32_e32 v5, 0x7e
	v_mov_b32_e32 v8, 0x7f
	v_cmp_lt_u32_e32 vcc, s4, v2
	v_cndmask_b32_e32 v5, v5, v8, vcc
; %bb.2806:
	s_or_b64 exec, exec, s[2:3]
	global_store_byte v[0:1], v5, off
.LBB22_2807:
	s_mov_b64 s[2:3], 0
.LBB22_2808:
	s_andn2_b64 vcc, exec, s[2:3]
	s_cbranch_vccnz .LBB22_2818
; %bb.2809:
	v_cvt_f32_ubyte0_e32 v2, v4
	s_mov_b32 s2, 0x47800000
	v_cmp_gt_u32_e32 vcc, s2, v2
                                        ; implicit-def: $vgpr5
	s_and_saveexec_b64 s[2:3], vcc
	s_xor_b64 s[2:3], exec, s[2:3]
	s_cbranch_execz .LBB22_2815
; %bb.2810:
	s_mov_b32 s4, 0x387fffff
	v_cmp_lt_u32_e32 vcc, s4, v2
                                        ; implicit-def: $vgpr5
	s_and_saveexec_b64 s[4:5], vcc
	s_xor_b64 s[4:5], exec, s[4:5]
; %bb.2811:
	v_bfe_u32 v5, v2, 21, 1
	s_mov_b32 s10, 0x80fffff
	v_add3_u32 v2, v2, v5, s10
	v_lshrrev_b32_e32 v5, 21, v2
                                        ; implicit-def: $vgpr2
; %bb.2812:
	s_andn2_saveexec_b64 s[4:5], s[4:5]
; %bb.2813:
	v_add_f32_e32 v5, 0x43000000, v2
; %bb.2814:
	s_or_b64 exec, exec, s[4:5]
                                        ; implicit-def: $vgpr2
.LBB22_2815:
	s_andn2_saveexec_b64 s[2:3], s[2:3]
; %bb.2816:
	s_mov_b32 s4, 0x7f800000
	v_mov_b32_e32 v5, 0x7c
	v_mov_b32_e32 v8, 0x7f
	v_cmp_lt_u32_e32 vcc, s4, v2
	v_cndmask_b32_e32 v5, v5, v8, vcc
; %bb.2817:
	s_or_b64 exec, exec, s[2:3]
	global_store_byte v[0:1], v5, off
.LBB22_2818:
	s_mov_b64 s[2:3], 0
	s_mov_b64 s[4:5], -1
.LBB22_2819:
	s_andn2_b64 vcc, exec, s[2:3]
	s_mov_b64 s[2:3], 0
	s_cbranch_vccnz .LBB22_2826
; %bb.2820:
	s_cmp_gt_i32 s15, 14
	s_mov_b64 s[10:11], -1
	s_cbranch_scc0 .LBB22_2824
; %bb.2821:
	s_cmp_eq_u32 s15, 15
	s_mov_b64 s[0:1], -1
	s_cbranch_scc0 .LBB22_2823
; %bb.2822:
	v_cvt_f32_ubyte0_e32 v2, v4
	v_bfe_u32 v5, v2, 16, 1
	s_movk_i32 s0, 0x7fff
	v_add3_u32 v2, v2, v5, s0
	global_store_short_d16_hi v[0:1], v2, off
	s_mov_b64 s[0:1], 0
	s_mov_b64 s[4:5], -1
.LBB22_2823:
	s_mov_b64 s[10:11], 0
.LBB22_2824:
	s_and_b64 vcc, exec, s[10:11]
	s_cbranch_vccz .LBB22_2826
; %bb.2825:
	s_cmp_lg_u32 s15, 11
	s_mov_b64 s[2:3], -1
	s_cselect_b64 s[0:1], -1, 0
.LBB22_2826:
	s_and_b64 vcc, exec, s[0:1]
	s_cbranch_vccnz .LBB22_3006
; %bb.2827:
	s_andn2_b64 vcc, exec, s[2:3]
	s_cbranch_vccnz .LBB22_2829
.LBB22_2828:
	v_mov_b32_e32 v2, 0
	v_cmp_ne_u16_sdwa s[0:1], v4, v2 src0_sel:BYTE_0 src1_sel:DWORD
	v_cndmask_b32_e64 v2, 0, 1, s[0:1]
	s_mov_b64 s[4:5], -1
	global_store_byte v[0:1], v2, off
.LBB22_2829:
	s_mov_b64 s[0:1], 0
	s_branch .LBB22_2831
.LBB22_2830:
	s_mov_b64 s[0:1], -1
	s_mov_b64 s[4:5], 0
.LBB22_2831:
	s_and_b64 vcc, exec, s[0:1]
	s_cbranch_vccz .LBB22_2870
; %bb.2832:
	s_and_b32 s2, 0xffff, s22
	s_cmp_lt_i32 s2, 5
	s_mov_b64 s[0:1], -1
	s_cbranch_scc1 .LBB22_2853
; %bb.2833:
	s_cmp_lt_i32 s2, 8
	s_cbranch_scc1 .LBB22_2843
; %bb.2834:
	s_cmp_lt_i32 s2, 9
	s_cbranch_scc1 .LBB22_2840
; %bb.2835:
	s_cmp_gt_i32 s2, 9
	s_cbranch_scc0 .LBB22_2837
; %bb.2836:
	s_mov_b32 s0, 0xffff
	v_and_b32_sdwa v2, s0, v4 dst_sel:DWORD dst_unused:UNUSED_PAD src0_sel:DWORD src1_sel:BYTE_0
	v_cvt_f64_u32_e32 v[8:9], v2
	v_mov_b32_e32 v10, 0
	v_mov_b32_e32 v11, v10
	s_mov_b64 s[0:1], 0
	global_store_dwordx4 v[0:1], v[8:11], off
.LBB22_2837:
	s_andn2_b64 vcc, exec, s[0:1]
	s_cbranch_vccnz .LBB22_2839
; %bb.2838:
	v_cvt_f32_ubyte0_e32 v8, v4
	v_mov_b32_e32 v9, 0
	global_store_dwordx2 v[0:1], v[8:9], off
.LBB22_2839:
	s_mov_b64 s[0:1], 0
.LBB22_2840:
	s_andn2_b64 vcc, exec, s[0:1]
	s_cbranch_vccnz .LBB22_2842
; %bb.2841:
	v_cvt_f16_u16_sdwa v2, v4 dst_sel:DWORD dst_unused:UNUSED_PAD src0_sel:BYTE_0
	global_store_dword v[0:1], v2, off
.LBB22_2842:
	s_mov_b64 s[0:1], 0
.LBB22_2843:
	s_andn2_b64 vcc, exec, s[0:1]
	s_cbranch_vccnz .LBB22_2852
; %bb.2844:
	s_cmp_lt_i32 s2, 6
	s_mov_b64 s[0:1], -1
	s_cbranch_scc1 .LBB22_2850
; %bb.2845:
	s_cmp_gt_i32 s2, 6
	s_cbranch_scc0 .LBB22_2847
; %bb.2846:
	s_mov_b32 s0, 0xffff
	v_and_b32_sdwa v2, s0, v4 dst_sel:DWORD dst_unused:UNUSED_PAD src0_sel:DWORD src1_sel:BYTE_0
	v_cvt_f64_u32_e32 v[8:9], v2
	s_mov_b64 s[0:1], 0
	global_store_dwordx2 v[0:1], v[8:9], off
.LBB22_2847:
	s_andn2_b64 vcc, exec, s[0:1]
	s_cbranch_vccnz .LBB22_2849
; %bb.2848:
	v_cvt_f32_ubyte0_e32 v2, v4
	global_store_dword v[0:1], v2, off
.LBB22_2849:
	s_mov_b64 s[0:1], 0
.LBB22_2850:
	s_andn2_b64 vcc, exec, s[0:1]
	s_cbranch_vccnz .LBB22_2852
; %bb.2851:
	v_cvt_f16_u16_sdwa v2, v4 dst_sel:DWORD dst_unused:UNUSED_PAD src0_sel:BYTE_0
	global_store_short v[0:1], v2, off
.LBB22_2852:
	s_mov_b64 s[0:1], 0
.LBB22_2853:
	s_andn2_b64 vcc, exec, s[0:1]
	s_cbranch_vccnz .LBB22_2869
; %bb.2854:
	s_cmp_lt_i32 s2, 2
	s_mov_b64 s[0:1], -1
	s_cbranch_scc1 .LBB22_2864
; %bb.2855:
	s_cmp_lt_i32 s2, 3
	s_cbranch_scc1 .LBB22_2861
; %bb.2856:
	s_cmp_gt_i32 s2, 3
	s_cbranch_scc0 .LBB22_2858
; %bb.2857:
	v_and_b32_e32 v8, 0xff, v4
	v_mov_b32_e32 v9, 0
	global_store_dwordx2 v[0:1], v[8:9], off
	s_mov_b64 s[0:1], 0
.LBB22_2858:
	s_andn2_b64 vcc, exec, s[0:1]
	s_cbranch_vccnz .LBB22_2860
; %bb.2859:
	v_and_b32_e32 v2, 0xff, v4
	global_store_dword v[0:1], v2, off
.LBB22_2860:
	s_mov_b64 s[0:1], 0
.LBB22_2861:
	s_andn2_b64 vcc, exec, s[0:1]
	s_cbranch_vccnz .LBB22_2863
; %bb.2862:
	v_and_b32_e32 v2, 0xff, v4
	global_store_short v[0:1], v2, off
.LBB22_2863:
	s_mov_b64 s[0:1], 0
.LBB22_2864:
	s_andn2_b64 vcc, exec, s[0:1]
	s_cbranch_vccnz .LBB22_2869
; %bb.2865:
	s_cmp_gt_i32 s2, 0
	s_mov_b64 s[0:1], -1
	s_cbranch_scc0 .LBB22_2867
; %bb.2866:
	global_store_byte v[0:1], v4, off
	s_mov_b64 s[0:1], 0
.LBB22_2867:
	s_andn2_b64 vcc, exec, s[0:1]
	s_cbranch_vccnz .LBB22_2869
; %bb.2868:
	global_store_byte v[0:1], v4, off
.LBB22_2869:
	s_mov_b64 s[4:5], -1
.LBB22_2870:
	s_andn2_b64 vcc, exec, s[4:5]
	s_cbranch_vccnz .LBB22_2947
; %bb.2871:
	v_mov_b32_e32 v0, s33
	v_cmp_gt_u16_sdwa vcc, v6, s16 src0_sel:BYTE_0 src1_sel:DWORD
	v_cndmask_b32_e32 v2, v0, v7, vcc
	v_add_u32_e32 v0, s14, v3
	v_ashrrev_i32_e32 v1, 31, v0
	v_mov_b32_e32 v3, s9
	v_add_co_u32_e32 v0, vcc, s8, v0
	s_cmp_lt_i32 s22, 11
	v_addc_co_u32_e32 v1, vcc, v3, v1, vcc
	s_cbranch_scc1 .LBB22_2992
; %bb.2872:
	s_and_b32 s12, 0xffff, s22
	s_mov_b64 s[4:5], -1
	s_mov_b64 s[2:3], 0
	s_cmp_gt_i32 s12, 25
	s_mov_b64 s[0:1], 0
	s_cbranch_scc0 .LBB22_2905
; %bb.2873:
	s_cmp_gt_i32 s12, 28
	s_cbranch_scc0 .LBB22_2889
; %bb.2874:
	s_cmp_gt_i32 s12, 43
	s_cbranch_scc0 .LBB22_2885
; %bb.2875:
	s_cmp_gt_i32 s12, 45
	s_cbranch_scc0 .LBB22_2879
; %bb.2876:
	s_cmp_eq_u32 s12, 46
	s_mov_b64 s[0:1], -1
	s_cbranch_scc0 .LBB22_2878
; %bb.2877:
	v_cvt_f32_ubyte0_e32 v3, v2
	v_bfe_u32 v4, v3, 16, 1
	s_movk_i32 s0, 0x7fff
	v_add3_u32 v3, v3, v4, s0
	v_lshrrev_b32_e32 v3, 16, v3
	global_store_dword v[0:1], v3, off
	s_mov_b64 s[0:1], 0
.LBB22_2878:
	s_mov_b64 s[4:5], 0
.LBB22_2879:
	s_and_b64 vcc, exec, s[4:5]
	s_cbranch_vccz .LBB22_2884
; %bb.2880:
	s_cmp_eq_u32 s12, 44
	s_mov_b64 s[0:1], -1
	s_cbranch_scc0 .LBB22_2884
; %bb.2881:
	v_cvt_f32_ubyte0_e32 v4, v2
	v_lshrrev_b32_e32 v3, 23, v4
	s_movk_i32 s0, 0xff
	v_cmp_ne_u32_e32 vcc, s0, v3
	v_mov_b32_e32 v5, 0xff
	s_and_saveexec_b64 s[4:5], vcc
; %bb.2882:
	s_mov_b32 s0, 0x3fffff
	v_and_b32_e32 v5, 0x400000, v4
	v_and_or_b32 v4, v4, s0, v3
	v_cmp_ne_u32_e32 vcc, 0, v5
	v_cmp_ne_u32_e64 s[0:1], 0, v4
	s_and_b64 s[0:1], vcc, s[0:1]
	v_cndmask_b32_e64 v4, 0, 1, s[0:1]
	v_add_u32_e32 v5, v3, v4
; %bb.2883:
	s_or_b64 exec, exec, s[4:5]
	s_mov_b64 s[0:1], 0
	global_store_byte v[0:1], v5, off
.LBB22_2884:
	s_mov_b64 s[4:5], 0
.LBB22_2885:
	s_and_b64 vcc, exec, s[4:5]
	s_cbranch_vccz .LBB22_2888
; %bb.2886:
	s_cmp_eq_u32 s12, 29
	s_mov_b64 s[0:1], -1
	s_cbranch_scc0 .LBB22_2888
; %bb.2887:
	v_and_b32_e32 v3, 0xff, v2
	v_mov_b32_e32 v4, 0
	global_store_dwordx2 v[0:1], v[3:4], off
	s_mov_b64 s[0:1], 0
.LBB22_2888:
	s_mov_b64 s[4:5], 0
.LBB22_2889:
	s_and_b64 vcc, exec, s[4:5]
	s_cbranch_vccz .LBB22_2904
; %bb.2890:
	s_cmp_lt_i32 s12, 27
	s_mov_b64 s[4:5], -1
	s_cbranch_scc1 .LBB22_2896
; %bb.2891:
	s_cmp_gt_i32 s12, 27
	s_cbranch_scc0 .LBB22_2893
; %bb.2892:
	v_and_b32_e32 v3, 0xff, v2
	global_store_dword v[0:1], v3, off
	s_mov_b64 s[4:5], 0
.LBB22_2893:
	s_andn2_b64 vcc, exec, s[4:5]
	s_cbranch_vccnz .LBB22_2895
; %bb.2894:
	v_and_b32_e32 v3, 0xff, v2
	global_store_short v[0:1], v3, off
.LBB22_2895:
	s_mov_b64 s[4:5], 0
.LBB22_2896:
	s_andn2_b64 vcc, exec, s[4:5]
	s_cbranch_vccnz .LBB22_2904
; %bb.2897:
	v_cvt_f32_ubyte0_e32 v4, v2
	s_mov_b32 s4, 0x43800000
	v_cmp_gt_u32_e32 vcc, s4, v4
	v_mov_b32_e32 v5, 0x80
	s_and_saveexec_b64 s[4:5], vcc
	s_cbranch_execz .LBB22_2903
; %bb.2898:
	s_mov_b32 s8, 0x3bffffff
	v_cmp_lt_u32_e32 vcc, s8, v4
	s_mov_b64 s[8:9], 0
                                        ; implicit-def: $vgpr3
	s_and_saveexec_b64 s[10:11], vcc
	s_xor_b64 s[10:11], exec, s[10:11]
	s_cbranch_execz .LBB22_3009
; %bb.2899:
	v_bfe_u32 v3, v4, 20, 1
	s_mov_b32 s13, 0x487ffff
	v_add3_u32 v3, v4, v3, s13
	s_mov_b64 s[8:9], exec
	v_lshrrev_b32_e32 v3, 20, v3
                                        ; implicit-def: $vgpr4
	s_andn2_saveexec_b64 s[10:11], s[10:11]
	s_cbranch_execnz .LBB22_3010
.LBB22_2900:
	s_or_b64 exec, exec, s[10:11]
	v_mov_b32_e32 v5, 0
	s_and_saveexec_b64 s[10:11], s[8:9]
.LBB22_2901:
	v_mov_b32_e32 v5, v3
.LBB22_2902:
	s_or_b64 exec, exec, s[10:11]
.LBB22_2903:
	s_or_b64 exec, exec, s[4:5]
	global_store_byte v[0:1], v5, off
.LBB22_2904:
	s_mov_b64 s[4:5], 0
.LBB22_2905:
	s_and_b64 vcc, exec, s[4:5]
	s_cbranch_vccz .LBB22_2945
; %bb.2906:
	s_cmp_gt_i32 s12, 22
	s_mov_b64 s[2:3], -1
	s_cbranch_scc0 .LBB22_2938
; %bb.2907:
	s_cmp_lt_i32 s12, 24
	s_cbranch_scc1 .LBB22_2927
; %bb.2908:
	s_cmp_gt_i32 s12, 24
	s_cbranch_scc0 .LBB22_2916
; %bb.2909:
	v_cvt_f32_ubyte0_e32 v4, v2
	s_mov_b32 s2, 0x47800000
	v_cmp_gt_u32_e32 vcc, s2, v4
	v_mov_b32_e32 v5, 0x80
	s_and_saveexec_b64 s[2:3], vcc
	s_cbranch_execz .LBB22_2915
; %bb.2910:
	s_mov_b32 s4, 0x37ffffff
	v_cmp_lt_u32_e32 vcc, s4, v4
	s_mov_b64 s[4:5], 0
                                        ; implicit-def: $vgpr3
	s_and_saveexec_b64 s[8:9], vcc
	s_xor_b64 s[8:9], exec, s[8:9]
	s_cbranch_execz .LBB22_3012
; %bb.2911:
	v_bfe_u32 v3, v4, 21, 1
	s_mov_b32 s10, 0x88fffff
	v_add3_u32 v3, v4, v3, s10
	s_mov_b64 s[4:5], exec
	v_lshrrev_b32_e32 v3, 21, v3
                                        ; implicit-def: $vgpr4
	s_andn2_saveexec_b64 s[8:9], s[8:9]
	s_cbranch_execnz .LBB22_3013
.LBB22_2912:
	s_or_b64 exec, exec, s[8:9]
	v_mov_b32_e32 v5, 0
	s_and_saveexec_b64 s[8:9], s[4:5]
.LBB22_2913:
	v_mov_b32_e32 v5, v3
.LBB22_2914:
	s_or_b64 exec, exec, s[8:9]
.LBB22_2915:
	s_or_b64 exec, exec, s[2:3]
	s_mov_b64 s[2:3], 0
	global_store_byte v[0:1], v5, off
.LBB22_2916:
	s_and_b64 vcc, exec, s[2:3]
	s_cbranch_vccz .LBB22_2926
; %bb.2917:
	v_cvt_f32_ubyte0_e32 v3, v2
	s_mov_b32 s2, 0x43f00000
	v_cmp_gt_u32_e32 vcc, s2, v3
                                        ; implicit-def: $vgpr4
	s_and_saveexec_b64 s[2:3], vcc
	s_xor_b64 s[2:3], exec, s[2:3]
	s_cbranch_execz .LBB22_2923
; %bb.2918:
	s_mov_b32 s4, 0x3c7fffff
	v_cmp_lt_u32_e32 vcc, s4, v3
                                        ; implicit-def: $vgpr4
	s_and_saveexec_b64 s[4:5], vcc
	s_xor_b64 s[4:5], exec, s[4:5]
; %bb.2919:
	v_bfe_u32 v4, v3, 20, 1
	s_mov_b32 s8, 0x407ffff
	v_add3_u32 v3, v3, v4, s8
	v_lshrrev_b32_e32 v4, 20, v3
	v_and_b32_e32 v3, 0xff00000, v3
	s_mov_b32 s8, 0x7f00000
	v_mov_b32_e32 v5, 0x7e
	v_cmp_ne_u32_e32 vcc, s8, v3
	v_cndmask_b32_e32 v4, v5, v4, vcc
                                        ; implicit-def: $vgpr3
; %bb.2920:
	s_andn2_saveexec_b64 s[4:5], s[4:5]
; %bb.2921:
	v_add_f32_e32 v4, 0x46800000, v3
; %bb.2922:
	s_or_b64 exec, exec, s[4:5]
                                        ; implicit-def: $vgpr3
.LBB22_2923:
	s_andn2_saveexec_b64 s[2:3], s[2:3]
; %bb.2924:
	s_mov_b32 s4, 0x7f800000
	v_mov_b32_e32 v4, 0x7e
	v_mov_b32_e32 v5, 0x7f
	v_cmp_lt_u32_e32 vcc, s4, v3
	v_cndmask_b32_e32 v4, v4, v5, vcc
; %bb.2925:
	s_or_b64 exec, exec, s[2:3]
	global_store_byte v[0:1], v4, off
.LBB22_2926:
	s_mov_b64 s[2:3], 0
.LBB22_2927:
	s_andn2_b64 vcc, exec, s[2:3]
	s_cbranch_vccnz .LBB22_2937
; %bb.2928:
	v_cvt_f32_ubyte0_e32 v3, v2
	s_mov_b32 s2, 0x47800000
	v_cmp_gt_u32_e32 vcc, s2, v3
                                        ; implicit-def: $vgpr4
	s_and_saveexec_b64 s[2:3], vcc
	s_xor_b64 s[2:3], exec, s[2:3]
	s_cbranch_execz .LBB22_2934
; %bb.2929:
	s_mov_b32 s4, 0x387fffff
	v_cmp_lt_u32_e32 vcc, s4, v3
                                        ; implicit-def: $vgpr4
	s_and_saveexec_b64 s[4:5], vcc
	s_xor_b64 s[4:5], exec, s[4:5]
; %bb.2930:
	v_bfe_u32 v4, v3, 21, 1
	s_mov_b32 s8, 0x80fffff
	v_add3_u32 v3, v3, v4, s8
	v_lshrrev_b32_e32 v4, 21, v3
                                        ; implicit-def: $vgpr3
; %bb.2931:
	s_andn2_saveexec_b64 s[4:5], s[4:5]
; %bb.2932:
	v_add_f32_e32 v4, 0x43000000, v3
; %bb.2933:
	s_or_b64 exec, exec, s[4:5]
                                        ; implicit-def: $vgpr3
.LBB22_2934:
	s_andn2_saveexec_b64 s[2:3], s[2:3]
; %bb.2935:
	s_mov_b32 s4, 0x7f800000
	v_mov_b32_e32 v4, 0x7c
	v_mov_b32_e32 v5, 0x7f
	v_cmp_lt_u32_e32 vcc, s4, v3
	v_cndmask_b32_e32 v4, v4, v5, vcc
; %bb.2936:
	s_or_b64 exec, exec, s[2:3]
	global_store_byte v[0:1], v4, off
.LBB22_2937:
	s_mov_b64 s[2:3], 0
.LBB22_2938:
	s_andn2_b64 vcc, exec, s[2:3]
	s_mov_b64 s[2:3], 0
	s_cbranch_vccnz .LBB22_2945
; %bb.2939:
	s_cmp_gt_i32 s12, 14
	s_mov_b64 s[4:5], -1
	s_cbranch_scc0 .LBB22_2943
; %bb.2940:
	s_cmp_eq_u32 s12, 15
	s_mov_b64 s[0:1], -1
	s_cbranch_scc0 .LBB22_2942
; %bb.2941:
	v_cvt_f32_ubyte0_e32 v3, v2
	v_bfe_u32 v4, v3, 16, 1
	s_movk_i32 s0, 0x7fff
	v_add3_u32 v3, v3, v4, s0
	global_store_short_d16_hi v[0:1], v3, off
	s_mov_b64 s[0:1], 0
.LBB22_2942:
	s_mov_b64 s[4:5], 0
.LBB22_2943:
	s_and_b64 vcc, exec, s[4:5]
	s_cbranch_vccz .LBB22_2945
; %bb.2944:
	s_cmp_lg_u32 s12, 11
	s_mov_b64 s[2:3], -1
	s_cselect_b64 s[0:1], -1, 0
.LBB22_2945:
	s_and_b64 vcc, exec, s[0:1]
	s_cbranch_vccnz .LBB22_3011
.LBB22_2946:
	s_mov_b64 s[0:1], 0
	s_branch .LBB22_2948
.LBB22_2947:
	s_mov_b64 s[0:1], 0
	s_mov_b64 s[2:3], 0
                                        ; implicit-def: $sgpr22
                                        ; implicit-def: $vgpr0_vgpr1
                                        ; implicit-def: $vgpr2
.LBB22_2948:
	s_and_b64 s[4:5], s[2:3], exec
	s_andn2_b64 s[2:3], s[18:19], exec
	s_and_b64 s[8:9], s[20:21], exec
	s_and_b64 s[0:1], s[0:1], exec
	s_or_b64 s[18:19], s[2:3], s[8:9]
.LBB22_2949:
	s_or_b64 exec, exec, s[6:7]
	s_and_saveexec_b64 s[2:3], s[18:19]
	s_cbranch_execz .LBB22_2952
; %bb.2950:
	; divergent unreachable
	s_or_b64 exec, exec, s[2:3]
	s_and_saveexec_b64 s[2:3], s[4:5]
	s_xor_b64 s[2:3], exec, s[2:3]
	s_cbranch_execnz .LBB22_2953
.LBB22_2951:
	s_or_b64 exec, exec, s[2:3]
	s_and_saveexec_b64 s[2:3], s[0:1]
	s_cbranch_execnz .LBB22_2954
	s_branch .LBB22_2991
.LBB22_2952:
	s_or_b64 exec, exec, s[2:3]
	s_and_saveexec_b64 s[2:3], s[4:5]
	s_xor_b64 s[2:3], exec, s[2:3]
	s_cbranch_execz .LBB22_2951
.LBB22_2953:
	s_waitcnt vmcnt(0)
	v_mov_b32_e32 v3, 0
	v_cmp_ne_u16_sdwa s[4:5], v2, v3 src0_sel:BYTE_0 src1_sel:DWORD
	v_cndmask_b32_e64 v3, 0, 1, s[4:5]
	global_store_byte v[0:1], v3, off
	s_or_b64 exec, exec, s[2:3]
	s_and_saveexec_b64 s[2:3], s[0:1]
	s_cbranch_execz .LBB22_2991
.LBB22_2954:
	s_sext_i32_i16 s2, s22
	s_cmp_lt_i32 s2, 5
	s_mov_b64 s[0:1], -1
	s_cbranch_scc1 .LBB22_2975
; %bb.2955:
	s_cmp_lt_i32 s2, 8
	s_cbranch_scc1 .LBB22_2965
; %bb.2956:
	s_cmp_lt_i32 s2, 9
	s_cbranch_scc1 .LBB22_2962
; %bb.2957:
	s_cmp_gt_i32 s2, 9
	s_cbranch_scc0 .LBB22_2959
; %bb.2958:
	s_mov_b32 s0, 0xffff
	s_waitcnt vmcnt(0)
	v_and_b32_sdwa v3, s0, v2 dst_sel:DWORD dst_unused:UNUSED_PAD src0_sel:DWORD src1_sel:BYTE_0
	v_cvt_f64_u32_e32 v[3:4], v3
	v_mov_b32_e32 v5, 0
	v_mov_b32_e32 v6, v5
	s_mov_b64 s[0:1], 0
	global_store_dwordx4 v[0:1], v[3:6], off
.LBB22_2959:
	s_andn2_b64 vcc, exec, s[0:1]
	s_cbranch_vccnz .LBB22_2961
; %bb.2960:
	s_waitcnt vmcnt(0)
	v_cvt_f32_ubyte0_e32 v3, v2
	v_mov_b32_e32 v4, 0
	global_store_dwordx2 v[0:1], v[3:4], off
.LBB22_2961:
	s_mov_b64 s[0:1], 0
.LBB22_2962:
	s_andn2_b64 vcc, exec, s[0:1]
	s_cbranch_vccnz .LBB22_2964
; %bb.2963:
	s_waitcnt vmcnt(0)
	v_cvt_f16_u16_sdwa v3, v2 dst_sel:DWORD dst_unused:UNUSED_PAD src0_sel:BYTE_0
	global_store_dword v[0:1], v3, off
.LBB22_2964:
	s_mov_b64 s[0:1], 0
.LBB22_2965:
	s_andn2_b64 vcc, exec, s[0:1]
	s_cbranch_vccnz .LBB22_2974
; %bb.2966:
	s_sext_i32_i16 s2, s22
	s_cmp_lt_i32 s2, 6
	s_mov_b64 s[0:1], -1
	s_cbranch_scc1 .LBB22_2972
; %bb.2967:
	s_cmp_gt_i32 s2, 6
	s_cbranch_scc0 .LBB22_2969
; %bb.2968:
	s_mov_b32 s0, 0xffff
	s_waitcnt vmcnt(0)
	v_and_b32_sdwa v3, s0, v2 dst_sel:DWORD dst_unused:UNUSED_PAD src0_sel:DWORD src1_sel:BYTE_0
	v_cvt_f64_u32_e32 v[3:4], v3
	s_mov_b64 s[0:1], 0
	global_store_dwordx2 v[0:1], v[3:4], off
.LBB22_2969:
	s_andn2_b64 vcc, exec, s[0:1]
	s_cbranch_vccnz .LBB22_2971
; %bb.2970:
	s_waitcnt vmcnt(0)
	v_cvt_f32_ubyte0_e32 v3, v2
	global_store_dword v[0:1], v3, off
.LBB22_2971:
	s_mov_b64 s[0:1], 0
.LBB22_2972:
	s_andn2_b64 vcc, exec, s[0:1]
	s_cbranch_vccnz .LBB22_2974
; %bb.2973:
	s_waitcnt vmcnt(0)
	v_cvt_f16_u16_sdwa v3, v2 dst_sel:DWORD dst_unused:UNUSED_PAD src0_sel:BYTE_0
	global_store_short v[0:1], v3, off
.LBB22_2974:
	s_mov_b64 s[0:1], 0
.LBB22_2975:
	s_andn2_b64 vcc, exec, s[0:1]
	s_cbranch_vccnz .LBB22_2991
; %bb.2976:
	s_sext_i32_i16 s2, s22
	s_cmp_lt_i32 s2, 2
	s_mov_b64 s[0:1], -1
	s_cbranch_scc1 .LBB22_2986
; %bb.2977:
	s_cmp_lt_i32 s2, 3
	s_cbranch_scc1 .LBB22_2983
; %bb.2978:
	s_cmp_gt_i32 s2, 3
	s_cbranch_scc0 .LBB22_2980
; %bb.2979:
	s_waitcnt vmcnt(0)
	v_and_b32_e32 v3, 0xff, v2
	v_mov_b32_e32 v4, 0
	global_store_dwordx2 v[0:1], v[3:4], off
	s_mov_b64 s[0:1], 0
.LBB22_2980:
	s_andn2_b64 vcc, exec, s[0:1]
	s_cbranch_vccnz .LBB22_2982
; %bb.2981:
	s_waitcnt vmcnt(0)
	v_and_b32_e32 v3, 0xff, v2
	global_store_dword v[0:1], v3, off
.LBB22_2982:
	s_mov_b64 s[0:1], 0
.LBB22_2983:
	s_andn2_b64 vcc, exec, s[0:1]
	s_cbranch_vccnz .LBB22_2985
; %bb.2984:
	s_waitcnt vmcnt(0)
	v_and_b32_e32 v3, 0xff, v2
	global_store_short v[0:1], v3, off
.LBB22_2985:
	s_mov_b64 s[0:1], 0
.LBB22_2986:
	s_andn2_b64 vcc, exec, s[0:1]
	s_cbranch_vccnz .LBB22_2991
; %bb.2987:
	s_sext_i32_i16 s0, s22
	s_cmp_gt_i32 s0, 0
	s_mov_b64 s[0:1], -1
	s_cbranch_scc0 .LBB22_2989
; %bb.2988:
	s_waitcnt vmcnt(0)
	global_store_byte v[0:1], v2, off
	s_mov_b64 s[0:1], 0
.LBB22_2989:
	s_andn2_b64 vcc, exec, s[0:1]
	s_cbranch_vccnz .LBB22_2991
; %bb.2990:
	s_waitcnt vmcnt(0)
	global_store_byte v[0:1], v2, off
	s_endpgm
.LBB22_2991:
	s_endpgm
.LBB22_2992:
	s_mov_b64 s[2:3], 0
	s_mov_b64 s[0:1], -1
	s_branch .LBB22_2948
.LBB22_2993:
	s_trap 2
	s_or_b64 s[20:21], s[20:21], exec
	s_cbranch_execz .LBB22_2462
	s_branch .LBB22_2463
.LBB22_2994:
	s_andn2_saveexec_b64 s[14:15], s[14:15]
	s_cbranch_execz .LBB22_2542
.LBB22_2995:
	v_add_f32_e32 v10, 0x46000000, v11
	v_and_b32_e32 v10, 0xff, v10
	v_cmp_ne_u32_e32 vcc, 0, v10
	s_andn2_b64 s[10:11], s[10:11], exec
	s_and_b64 s[24:25], vcc, exec
	s_or_b64 s[10:11], s[10:11], s[24:25]
	s_or_b64 exec, exec, s[14:15]
	v_mov_b32_e32 v12, 0
	s_and_saveexec_b64 s[14:15], s[10:11]
	s_cbranch_execnz .LBB22_2543
	s_branch .LBB22_2544
.LBB22_2996:
	s_trap 2
	s_or_b64 s[20:21], s[20:21], exec
	s_cbranch_execz .LBB22_2590
	s_branch .LBB22_2591
.LBB22_2997:
	s_andn2_saveexec_b64 s[10:11], s[10:11]
	s_cbranch_execz .LBB22_2555
.LBB22_2998:
	v_add_f32_e32 v10, 0x42800000, v11
	v_and_b32_e32 v10, 0xff, v10
	v_cmp_ne_u32_e32 vcc, 0, v10
	s_andn2_b64 s[4:5], s[4:5], exec
	s_and_b64 s[14:15], vcc, exec
	s_or_b64 s[4:5], s[4:5], s[14:15]
	s_or_b64 exec, exec, s[10:11]
	v_mov_b32_e32 v12, 0
	s_and_saveexec_b64 s[10:11], s[4:5]
	s_cbranch_execnz .LBB22_2556
	s_branch .LBB22_2557
.LBB22_2999:
	s_andn2_saveexec_b64 s[12:13], s[12:13]
	s_cbranch_execz .LBB22_2661
.LBB22_3000:
	v_add_f32_e32 v8, 0x46000000, v9
	v_and_b32_e32 v8, 0xff, v8
	v_cmp_ne_u32_e32 vcc, 0, v8
	s_andn2_b64 s[10:11], s[10:11], exec
	s_and_b64 s[24:25], vcc, exec
	s_or_b64 s[10:11], s[10:11], s[24:25]
	s_or_b64 exec, exec, s[12:13]
	v_mov_b32_e32 v10, 0
	s_and_saveexec_b64 s[12:13], s[10:11]
	s_cbranch_execnz .LBB22_2662
	s_branch .LBB22_2663
.LBB22_3001:
	s_trap 2
	s_or_b64 s[20:21], s[20:21], exec
	s_cbranch_execz .LBB22_2709
	s_branch .LBB22_2710
.LBB22_3002:
	s_andn2_saveexec_b64 s[10:11], s[10:11]
	s_cbranch_execz .LBB22_2674
.LBB22_3003:
	v_add_f32_e32 v8, 0x42800000, v9
	v_and_b32_e32 v8, 0xff, v8
	v_cmp_ne_u32_e32 vcc, 0, v8
	s_andn2_b64 s[4:5], s[4:5], exec
	s_and_b64 s[12:13], vcc, exec
	s_or_b64 s[4:5], s[4:5], s[12:13]
	s_or_b64 exec, exec, s[10:11]
	v_mov_b32_e32 v10, 0
	s_and_saveexec_b64 s[10:11], s[4:5]
	s_cbranch_execnz .LBB22_2675
	s_branch .LBB22_2676
.LBB22_3004:
	s_andn2_saveexec_b64 s[12:13], s[12:13]
	s_cbranch_execz .LBB22_2780
.LBB22_3005:
	v_add_f32_e32 v2, 0x46000000, v5
	v_and_b32_e32 v2, 0xff, v2
	v_cmp_ne_u32_e32 vcc, 0, v2
	s_andn2_b64 s[10:11], s[10:11], exec
	s_and_b64 s[24:25], vcc, exec
	s_or_b64 s[10:11], s[10:11], s[24:25]
	s_or_b64 exec, exec, s[12:13]
	v_mov_b32_e32 v8, 0
	s_and_saveexec_b64 s[12:13], s[10:11]
	s_cbranch_execnz .LBB22_2781
	s_branch .LBB22_2782
.LBB22_3006:
	s_trap 2
	s_or_b64 s[20:21], s[20:21], exec
	s_cbranch_execz .LBB22_2828
	s_branch .LBB22_2829
.LBB22_3007:
	s_andn2_saveexec_b64 s[10:11], s[10:11]
	s_cbranch_execz .LBB22_2793
.LBB22_3008:
	v_add_f32_e32 v2, 0x42800000, v5
	v_and_b32_e32 v2, 0xff, v2
	v_cmp_ne_u32_e32 vcc, 0, v2
	s_andn2_b64 s[4:5], s[4:5], exec
	s_and_b64 s[12:13], vcc, exec
	s_or_b64 s[4:5], s[4:5], s[12:13]
	s_or_b64 exec, exec, s[10:11]
	v_mov_b32_e32 v8, 0
	s_and_saveexec_b64 s[10:11], s[4:5]
	s_cbranch_execnz .LBB22_2794
	s_branch .LBB22_2795
.LBB22_3009:
	s_andn2_saveexec_b64 s[10:11], s[10:11]
	s_cbranch_execz .LBB22_2900
.LBB22_3010:
	v_add_f32_e32 v3, 0x46000000, v4
	v_and_b32_e32 v3, 0xff, v3
	v_cmp_ne_u32_e32 vcc, 0, v3
	s_andn2_b64 s[8:9], s[8:9], exec
	s_and_b64 s[14:15], vcc, exec
	s_or_b64 s[8:9], s[8:9], s[14:15]
	s_or_b64 exec, exec, s[10:11]
	v_mov_b32_e32 v5, 0
	s_and_saveexec_b64 s[10:11], s[8:9]
	s_cbranch_execnz .LBB22_2901
	s_branch .LBB22_2902
.LBB22_3011:
	s_mov_b64 s[2:3], 0
	s_or_b64 s[20:21], s[20:21], exec
	s_trap 2
	s_branch .LBB22_2946
.LBB22_3012:
	s_andn2_saveexec_b64 s[8:9], s[8:9]
	s_cbranch_execz .LBB22_2912
.LBB22_3013:
	v_add_f32_e32 v3, 0x42800000, v4
	v_and_b32_e32 v3, 0xff, v3
	v_cmp_ne_u32_e32 vcc, 0, v3
	s_andn2_b64 s[4:5], s[4:5], exec
	s_and_b64 s[10:11], vcc, exec
	s_or_b64 s[4:5], s[4:5], s[10:11]
	s_or_b64 exec, exec, s[8:9]
	v_mov_b32_e32 v5, 0
	s_and_saveexec_b64 s[8:9], s[4:5]
	s_cbranch_execnz .LBB22_2913
	s_branch .LBB22_2914
	.section	.rodata,"a",@progbits
	.p2align	6, 0x0
	.amdhsa_kernel _ZN2at6native32elementwise_kernel_manual_unrollILi128ELi4EZNS0_15gpu_kernel_implINS0_13BinaryFunctorIhhhZNS0_12_GLOBAL__N_121threshold_kernel_implIhEEvRNS_18TensorIteratorBaseET_S8_EUlhhE_EEEEvS7_RKS8_EUlibE_EEviT1_
		.amdhsa_group_segment_fixed_size 0
		.amdhsa_private_segment_fixed_size 0
		.amdhsa_kernarg_size 56
		.amdhsa_user_sgpr_count 6
		.amdhsa_user_sgpr_private_segment_buffer 1
		.amdhsa_user_sgpr_dispatch_ptr 0
		.amdhsa_user_sgpr_queue_ptr 0
		.amdhsa_user_sgpr_kernarg_segment_ptr 1
		.amdhsa_user_sgpr_dispatch_id 0
		.amdhsa_user_sgpr_flat_scratch_init 0
		.amdhsa_user_sgpr_private_segment_size 0
		.amdhsa_uses_dynamic_stack 0
		.amdhsa_system_sgpr_private_segment_wavefront_offset 0
		.amdhsa_system_sgpr_workgroup_id_x 1
		.amdhsa_system_sgpr_workgroup_id_y 0
		.amdhsa_system_sgpr_workgroup_id_z 0
		.amdhsa_system_sgpr_workgroup_info 0
		.amdhsa_system_vgpr_workitem_id 0
		.amdhsa_next_free_vgpr 16
		.amdhsa_next_free_sgpr 57
		.amdhsa_reserve_vcc 1
		.amdhsa_reserve_flat_scratch 0
		.amdhsa_float_round_mode_32 0
		.amdhsa_float_round_mode_16_64 0
		.amdhsa_float_denorm_mode_32 3
		.amdhsa_float_denorm_mode_16_64 3
		.amdhsa_dx10_clamp 1
		.amdhsa_ieee_mode 1
		.amdhsa_fp16_overflow 0
		.amdhsa_exception_fp_ieee_invalid_op 0
		.amdhsa_exception_fp_denorm_src 0
		.amdhsa_exception_fp_ieee_div_zero 0
		.amdhsa_exception_fp_ieee_overflow 0
		.amdhsa_exception_fp_ieee_underflow 0
		.amdhsa_exception_fp_ieee_inexact 0
		.amdhsa_exception_int_div_zero 0
	.end_amdhsa_kernel
	.section	.text._ZN2at6native32elementwise_kernel_manual_unrollILi128ELi4EZNS0_15gpu_kernel_implINS0_13BinaryFunctorIhhhZNS0_12_GLOBAL__N_121threshold_kernel_implIhEEvRNS_18TensorIteratorBaseET_S8_EUlhhE_EEEEvS7_RKS8_EUlibE_EEviT1_,"axG",@progbits,_ZN2at6native32elementwise_kernel_manual_unrollILi128ELi4EZNS0_15gpu_kernel_implINS0_13BinaryFunctorIhhhZNS0_12_GLOBAL__N_121threshold_kernel_implIhEEvRNS_18TensorIteratorBaseET_S8_EUlhhE_EEEEvS7_RKS8_EUlibE_EEviT1_,comdat
.Lfunc_end22:
	.size	_ZN2at6native32elementwise_kernel_manual_unrollILi128ELi4EZNS0_15gpu_kernel_implINS0_13BinaryFunctorIhhhZNS0_12_GLOBAL__N_121threshold_kernel_implIhEEvRNS_18TensorIteratorBaseET_S8_EUlhhE_EEEEvS7_RKS8_EUlibE_EEviT1_, .Lfunc_end22-_ZN2at6native32elementwise_kernel_manual_unrollILi128ELi4EZNS0_15gpu_kernel_implINS0_13BinaryFunctorIhhhZNS0_12_GLOBAL__N_121threshold_kernel_implIhEEvRNS_18TensorIteratorBaseET_S8_EUlhhE_EEEEvS7_RKS8_EUlibE_EEviT1_
                                        ; -- End function
	.set _ZN2at6native32elementwise_kernel_manual_unrollILi128ELi4EZNS0_15gpu_kernel_implINS0_13BinaryFunctorIhhhZNS0_12_GLOBAL__N_121threshold_kernel_implIhEEvRNS_18TensorIteratorBaseET_S8_EUlhhE_EEEEvS7_RKS8_EUlibE_EEviT1_.num_vgpr, 16
	.set _ZN2at6native32elementwise_kernel_manual_unrollILi128ELi4EZNS0_15gpu_kernel_implINS0_13BinaryFunctorIhhhZNS0_12_GLOBAL__N_121threshold_kernel_implIhEEvRNS_18TensorIteratorBaseET_S8_EUlhhE_EEEEvS7_RKS8_EUlibE_EEviT1_.num_agpr, 0
	.set _ZN2at6native32elementwise_kernel_manual_unrollILi128ELi4EZNS0_15gpu_kernel_implINS0_13BinaryFunctorIhhhZNS0_12_GLOBAL__N_121threshold_kernel_implIhEEvRNS_18TensorIteratorBaseET_S8_EUlhhE_EEEEvS7_RKS8_EUlibE_EEviT1_.numbered_sgpr, 57
	.set _ZN2at6native32elementwise_kernel_manual_unrollILi128ELi4EZNS0_15gpu_kernel_implINS0_13BinaryFunctorIhhhZNS0_12_GLOBAL__N_121threshold_kernel_implIhEEvRNS_18TensorIteratorBaseET_S8_EUlhhE_EEEEvS7_RKS8_EUlibE_EEviT1_.num_named_barrier, 0
	.set _ZN2at6native32elementwise_kernel_manual_unrollILi128ELi4EZNS0_15gpu_kernel_implINS0_13BinaryFunctorIhhhZNS0_12_GLOBAL__N_121threshold_kernel_implIhEEvRNS_18TensorIteratorBaseET_S8_EUlhhE_EEEEvS7_RKS8_EUlibE_EEviT1_.private_seg_size, 0
	.set _ZN2at6native32elementwise_kernel_manual_unrollILi128ELi4EZNS0_15gpu_kernel_implINS0_13BinaryFunctorIhhhZNS0_12_GLOBAL__N_121threshold_kernel_implIhEEvRNS_18TensorIteratorBaseET_S8_EUlhhE_EEEEvS7_RKS8_EUlibE_EEviT1_.uses_vcc, 1
	.set _ZN2at6native32elementwise_kernel_manual_unrollILi128ELi4EZNS0_15gpu_kernel_implINS0_13BinaryFunctorIhhhZNS0_12_GLOBAL__N_121threshold_kernel_implIhEEvRNS_18TensorIteratorBaseET_S8_EUlhhE_EEEEvS7_RKS8_EUlibE_EEviT1_.uses_flat_scratch, 0
	.set _ZN2at6native32elementwise_kernel_manual_unrollILi128ELi4EZNS0_15gpu_kernel_implINS0_13BinaryFunctorIhhhZNS0_12_GLOBAL__N_121threshold_kernel_implIhEEvRNS_18TensorIteratorBaseET_S8_EUlhhE_EEEEvS7_RKS8_EUlibE_EEviT1_.has_dyn_sized_stack, 0
	.set _ZN2at6native32elementwise_kernel_manual_unrollILi128ELi4EZNS0_15gpu_kernel_implINS0_13BinaryFunctorIhhhZNS0_12_GLOBAL__N_121threshold_kernel_implIhEEvRNS_18TensorIteratorBaseET_S8_EUlhhE_EEEEvS7_RKS8_EUlibE_EEviT1_.has_recursion, 0
	.set _ZN2at6native32elementwise_kernel_manual_unrollILi128ELi4EZNS0_15gpu_kernel_implINS0_13BinaryFunctorIhhhZNS0_12_GLOBAL__N_121threshold_kernel_implIhEEvRNS_18TensorIteratorBaseET_S8_EUlhhE_EEEEvS7_RKS8_EUlibE_EEviT1_.has_indirect_call, 0
	.section	.AMDGPU.csdata,"",@progbits
; Kernel info:
; codeLenInByte = 52124
; TotalNumSgprs: 61
; NumVgprs: 16
; ScratchSize: 0
; MemoryBound: 1
; FloatMode: 240
; IeeeMode: 1
; LDSByteSize: 0 bytes/workgroup (compile time only)
; SGPRBlocks: 7
; VGPRBlocks: 3
; NumSGPRsForWavesPerEU: 61
; NumVGPRsForWavesPerEU: 16
; Occupancy: 10
; WaveLimiterHint : 0
; COMPUTE_PGM_RSRC2:SCRATCH_EN: 0
; COMPUTE_PGM_RSRC2:USER_SGPR: 6
; COMPUTE_PGM_RSRC2:TRAP_HANDLER: 0
; COMPUTE_PGM_RSRC2:TGID_X_EN: 1
; COMPUTE_PGM_RSRC2:TGID_Y_EN: 0
; COMPUTE_PGM_RSRC2:TGID_Z_EN: 0
; COMPUTE_PGM_RSRC2:TIDIG_COMP_CNT: 0
	.section	.text._ZN2at6native32elementwise_kernel_manual_unrollILi128ELi4EZNS0_15gpu_kernel_implINS0_13BinaryFunctorIhhhZNS0_12_GLOBAL__N_121threshold_kernel_implIhEEvRNS_18TensorIteratorBaseET_S8_EUlhhE_EEEEvS7_RKS8_EUlibE0_EEviT1_,"axG",@progbits,_ZN2at6native32elementwise_kernel_manual_unrollILi128ELi4EZNS0_15gpu_kernel_implINS0_13BinaryFunctorIhhhZNS0_12_GLOBAL__N_121threshold_kernel_implIhEEvRNS_18TensorIteratorBaseET_S8_EUlhhE_EEEEvS7_RKS8_EUlibE0_EEviT1_,comdat
	.globl	_ZN2at6native32elementwise_kernel_manual_unrollILi128ELi4EZNS0_15gpu_kernel_implINS0_13BinaryFunctorIhhhZNS0_12_GLOBAL__N_121threshold_kernel_implIhEEvRNS_18TensorIteratorBaseET_S8_EUlhhE_EEEEvS7_RKS8_EUlibE0_EEviT1_ ; -- Begin function _ZN2at6native32elementwise_kernel_manual_unrollILi128ELi4EZNS0_15gpu_kernel_implINS0_13BinaryFunctorIhhhZNS0_12_GLOBAL__N_121threshold_kernel_implIhEEvRNS_18TensorIteratorBaseET_S8_EUlhhE_EEEEvS7_RKS8_EUlibE0_EEviT1_
	.p2align	8
	.type	_ZN2at6native32elementwise_kernel_manual_unrollILi128ELi4EZNS0_15gpu_kernel_implINS0_13BinaryFunctorIhhhZNS0_12_GLOBAL__N_121threshold_kernel_implIhEEvRNS_18TensorIteratorBaseET_S8_EUlhhE_EEEEvS7_RKS8_EUlibE0_EEviT1_,@function
_ZN2at6native32elementwise_kernel_manual_unrollILi128ELi4EZNS0_15gpu_kernel_implINS0_13BinaryFunctorIhhhZNS0_12_GLOBAL__N_121threshold_kernel_implIhEEvRNS_18TensorIteratorBaseET_S8_EUlhhE_EEEEvS7_RKS8_EUlibE0_EEviT1_: ; @_ZN2at6native32elementwise_kernel_manual_unrollILi128ELi4EZNS0_15gpu_kernel_implINS0_13BinaryFunctorIhhhZNS0_12_GLOBAL__N_121threshold_kernel_implIhEEvRNS_18TensorIteratorBaseET_S8_EUlhhE_EEEEvS7_RKS8_EUlibE0_EEviT1_
; %bb.0:
	s_load_dword s70, s[4:5], 0x0
	s_load_dword s33, s[4:5], 0x8
	s_add_u32 s2, s4, 8
	s_addc_u32 s3, s5, 0
	v_lshl_or_b32 v10, s6, 9, v0
	v_or_b32_e32 v20, 0x180, v10
	s_waitcnt lgkmcnt(0)
	s_add_i32 s72, s33, -1
	s_cmp_gt_u32 s72, 1
	v_cmp_le_i32_e32 vcc, s70, v20
	s_cselect_b64 s[24:25], -1, 0
	s_mov_b64 s[6:7], 0
	s_mov_b64 s[12:13], 0
	s_and_saveexec_b64 s[0:1], vcc
	s_xor_b64 s[26:27], exec, s[0:1]
	s_cbranch_execz .LBB23_1557
; %bb.1:
	s_cmp_lg_u32 s33, 0
	s_load_dwordx4 s[16:19], s[2:3], 0x4
	s_load_dwordx2 s[34:35], s[2:3], 0x14
	s_load_dwordx8 s[8:15], s[2:3], 0x188
	s_load_dwordx4 s[20:23], s[2:3], 0xc4
	s_load_dwordx2 s[30:31], s[2:3], 0xd4
	s_cselect_b64 s[38:39], -1, 0
	s_min_u32 s75, s72, 15
	s_cmp_gt_u32 s33, 1
	s_cselect_b64 s[36:37], -1, 0
	s_waitcnt lgkmcnt(0)
	s_lshr_b32 s74, s14, 8
	s_lshr_b32 s73, s14, 16
	s_lshr_b64 s[28:29], s[14:15], 24
	v_cmp_gt_i32_e32 vcc, s70, v10
	s_mov_b64 s[0:1], -1
	s_mov_b64 s[50:51], 0
	s_mov_b64 s[44:45], 0
	;; [unrolled: 1-line block ×4, first 2 shown]
	s_and_saveexec_b64 s[46:47], vcc
	s_cbranch_execz .LBB23_386
; %bb.2:
	s_andn2_b64 vcc, exec, s[24:25]
	s_cbranch_vccnz .LBB23_8
; %bb.3:
	s_andn2_b64 vcc, exec, s[38:39]
	s_cbranch_vccnz .LBB23_9
; %bb.4:
	s_add_i32 s0, s75, 1
	s_and_b32 s29, s0, 30
	s_add_u32 s0, s2, 0xffffffe8
	s_addc_u32 s1, s3, -1
	v_mov_b32_e32 v3, 0
	v_mov_b32_e32 v5, 0
	;; [unrolled: 1-line block ×4, first 2 shown]
.LBB23_5:                               ; =>This Inner Loop Header: Depth=1
	s_load_dwordx4 s[40:43], s[0:1], 0x1c
	s_load_dwordx2 s[44:45], s[0:1], 0x2c
	s_load_dwordx2 s[48:49], s[0:1], 0xec
	s_load_dwordx4 s[52:55], s[0:1], 0xdc
	s_add_u32 s0, s0, 24
	s_waitcnt lgkmcnt(0)
	v_mul_hi_u32 v2, s41, v1
	s_addc_u32 s1, s1, 0
	s_add_i32 s29, s29, -2
	s_cmp_lg_u32 s29, 0
	v_add_u32_e32 v2, v1, v2
	v_lshrrev_b32_e32 v2, s42, v2
	v_mul_lo_u32 v4, v2, s40
	v_mul_hi_u32 v6, s44, v2
	v_sub_u32_e32 v4, v1, v4
	v_add_u32_e32 v1, v2, v6
	v_lshrrev_b32_e32 v1, s45, v1
	v_mul_lo_u32 v8, v1, s43
	v_mul_lo_u32 v6, v4, s52
	;; [unrolled: 1-line block ×4, first 2 shown]
	v_sub_u32_e32 v2, v2, v8
	v_mul_lo_u32 v8, v2, s55
	v_mul_lo_u32 v9, v2, s48
	;; [unrolled: 1-line block ×3, first 2 shown]
	v_add3_u32 v0, v6, v0, v8
	v_add3_u32 v5, v7, v5, v9
	;; [unrolled: 1-line block ×3, first 2 shown]
	s_cbranch_scc1 .LBB23_5
; %bb.6:
	s_bitcmp1_b32 s75, 0
	s_cselect_b64 s[40:41], -1, 0
	s_and_b64 vcc, exec, s[40:41]
	s_cbranch_vccnz .LBB23_10
; %bb.7:
	s_load_dwordx2 s[40:41], s[0:1], 0x1c
	s_load_dword s29, s[0:1], 0x24
	s_load_dwordx2 s[42:43], s[0:1], 0xdc
	s_waitcnt lgkmcnt(0)
	v_mul_hi_u32 v2, s41, v1
	v_add_u32_e32 v2, v1, v2
	v_lshrrev_b32_e32 v2, s29, v2
	v_mul_lo_u32 v2, v2, s40
	s_load_dword s29, s[0:1], 0xe4
	v_sub_u32_e32 v2, v1, v2
	v_mad_u64_u32 v[0:1], s[0:1], v2, s42, v[0:1]
	v_mad_u64_u32 v[5:6], s[0:1], v2, s43, v[5:6]
	s_waitcnt lgkmcnt(0)
	v_mad_u64_u32 v[3:4], s[0:1], v2, s29, v[3:4]
	s_cbranch_execz .LBB23_11
	s_branch .LBB23_13
.LBB23_8:
                                        ; implicit-def: $vgpr0
                                        ; implicit-def: $vgpr5
                                        ; implicit-def: $vgpr3
	s_andn2_b64 vcc, exec, s[0:1]
	s_cbranch_vccz .LBB23_11
	s_branch .LBB23_13
.LBB23_9:
	v_mov_b32_e32 v0, 0
	v_mov_b32_e32 v5, 0
	;; [unrolled: 1-line block ×3, first 2 shown]
.LBB23_10:
	s_cbranch_execnz .LBB23_13
.LBB23_11:
	v_mul_hi_u32 v0, s17, v10
	s_andn2_b64 vcc, exec, s[36:37]
	v_add_u32_e32 v0, v10, v0
	v_lshrrev_b32_e32 v1, s18, v0
	v_mul_lo_u32 v0, v1, s16
	v_sub_u32_e32 v2, v10, v0
	v_mul_lo_u32 v0, v2, s20
	v_mul_lo_u32 v5, v2, s21
	;; [unrolled: 1-line block ×3, first 2 shown]
	s_cbranch_vccnz .LBB23_13
; %bb.12:
	v_mul_hi_u32 v2, s34, v1
	v_add_u32_e32 v2, v1, v2
	v_lshrrev_b32_e32 v2, s35, v2
	v_mul_lo_u32 v2, v2, s19
	v_sub_u32_e32 v2, v1, v2
	v_mad_u64_u32 v[0:1], s[0:1], v2, s23, v[0:1]
	v_mad_u64_u32 v[5:6], s[0:1], v2, s30, v[5:6]
	;; [unrolled: 1-line block ×3, first 2 shown]
.LBB23_13:
	v_mov_b32_e32 v1, s11
	s_and_b32 s29, s28, 0xff
	v_add_co_u32_e32 v4, vcc, s10, v5
	s_cmp_lt_i32 s29, 11
	v_addc_co_u32_e32 v5, vcc, 0, v1, vcc
	s_cbranch_scc1 .LBB23_20
; %bb.14:
	s_and_b32 s42, 0xffff, s29
	s_cmp_gt_i32 s42, 25
	s_cbranch_scc0 .LBB23_29
; %bb.15:
	s_cmp_gt_i32 s42, 28
	s_cbranch_scc0 .LBB23_39
; %bb.16:
	;; [unrolled: 3-line block ×4, first 2 shown]
	s_cmp_eq_u32 s42, 46
	s_mov_b64 s[40:41], 0
	s_cbranch_scc0 .LBB23_48
; %bb.19:
	global_load_dword v1, v[4:5], off
	s_mov_b32 s0, 0x2f800000
	s_mov_b32 s1, 0xcf800000
	s_mov_b64 s[44:45], 0
	s_waitcnt vmcnt(0)
	v_lshlrev_b32_e32 v1, 16, v1
	v_trunc_f32_e32 v1, v1
	v_mul_f32_e64 v2, |v1|, s0
	v_floor_f32_e32 v2, v2
	v_fma_f32 v2, v2, s1, |v1|
	v_cvt_u32_f32_e32 v2, v2
	v_ashrrev_i32_e32 v1, 31, v1
	s_mov_b64 s[0:1], -1
	v_xor_b32_e32 v2, v2, v1
	v_sub_u32_e32 v1, v2, v1
	s_branch .LBB23_50
.LBB23_20:
	s_mov_b64 s[44:45], 0
                                        ; implicit-def: $vgpr1
	s_mov_b64 s[0:1], 0
	s_cbranch_execnz .LBB23_112
.LBB23_21:
	s_andn2_b64 vcc, exec, s[0:1]
	s_cbranch_vccnz .LBB23_159
.LBB23_22:
	v_mov_b32_e32 v4, s13
	s_and_b32 s29, s15, 0xff
	s_waitcnt vmcnt(0)
	v_add_co_u32_e32 v2, vcc, s12, v3
	s_cmp_lt_i32 s29, 11
	v_addc_co_u32_e32 v3, vcc, 0, v4, vcc
	s_cbranch_scc1 .LBB23_30
; %bb.23:
	s_and_b32 s48, 0xffff, s29
	s_cmp_gt_i32 s48, 25
	s_cbranch_scc0 .LBB23_40
; %bb.24:
	s_cmp_gt_i32 s48, 28
	s_cbranch_scc0 .LBB23_43
; %bb.25:
	;; [unrolled: 3-line block ×4, first 2 shown]
	s_cmp_eq_u32 s48, 46
	s_mov_b64 s[40:41], 0
	s_cbranch_scc0 .LBB23_160
; %bb.28:
	global_load_dword v4, v[2:3], off
	s_mov_b32 s0, 0x2f800000
	s_mov_b32 s1, 0xcf800000
	s_mov_b64 s[42:43], 0
	s_waitcnt vmcnt(0)
	v_lshlrev_b32_e32 v4, 16, v4
	v_trunc_f32_e32 v4, v4
	v_mul_f32_e64 v5, |v4|, s0
	v_floor_f32_e32 v5, v5
	v_fma_f32 v5, v5, s1, |v4|
	v_cvt_u32_f32_e32 v5, v5
	v_ashrrev_i32_e32 v4, 31, v4
	s_mov_b64 s[0:1], -1
	v_xor_b32_e32 v5, v5, v4
	v_sub_u32_e32 v4, v5, v4
	s_branch .LBB23_162
.LBB23_29:
	s_mov_b64 s[44:45], 0
	s_mov_b64 s[0:1], 0
                                        ; implicit-def: $vgpr1
	s_cbranch_execnz .LBB23_79
	s_branch .LBB23_111
.LBB23_30:
	s_mov_b64 s[42:43], 0
                                        ; implicit-def: $vgpr4
	s_mov_b64 s[0:1], 0
	s_cbranch_execnz .LBB23_335
.LBB23_31:
	s_andn2_b64 vcc, exec, s[0:1]
	s_cbranch_vccnz .LBB23_383
.LBB23_32:
	s_and_b32 s0, s14, 0xff
	v_mov_b32_e32 v2, s74
	v_cmp_gt_u16_sdwa vcc, v1, s0 src0_sel:BYTE_0 src1_sel:DWORD
	s_waitcnt vmcnt(0)
	v_cndmask_b32_e32 v2, v2, v4, vcc
	v_mov_b32_e32 v1, s9
	s_and_b32 s29, s73, 0xff
	v_add_co_u32_e32 v0, vcc, s8, v0
	s_cmp_lt_i32 s29, 11
	v_addc_co_u32_e32 v1, vcc, 0, v1, vcc
	s_cbranch_scc1 .LBB23_41
; %bb.33:
	s_and_b32 s54, 0xffff, s29
	s_cmp_gt_i32 s54, 25
	s_cbranch_scc0 .LBB23_44
; %bb.34:
	s_cmp_gt_i32 s54, 28
	s_cbranch_scc0 .LBB23_47
; %bb.35:
	;; [unrolled: 3-line block ×4, first 2 shown]
	s_mov_b64 s[48:49], 0
	s_mov_b64 s[0:1], -1
	s_cmp_eq_u32 s54, 46
	s_mov_b64 s[40:41], 0
	s_cbranch_scc0 .LBB23_166
; %bb.38:
	v_cvt_f32_ubyte0_e32 v3, v2
	v_bfe_u32 v4, v3, 16, 1
	s_movk_i32 s0, 0x7fff
	v_add3_u32 v3, v3, v4, s0
	v_lshrrev_b32_e32 v3, 16, v3
	global_store_dword v[0:1], v3, off
	s_mov_b64 s[40:41], -1
	s_mov_b64 s[0:1], 0
	s_branch .LBB23_166
.LBB23_39:
	s_mov_b64 s[40:41], -1
	s_mov_b64 s[44:45], 0
	s_mov_b64 s[0:1], 0
                                        ; implicit-def: $vgpr1
	s_branch .LBB23_62
.LBB23_40:
	s_mov_b64 s[40:41], -1
	s_mov_b64 s[42:43], 0
	s_mov_b64 s[0:1], 0
                                        ; implicit-def: $vgpr4
	s_branch .LBB23_301
.LBB23_41:
	s_mov_b64 s[48:49], -1
	s_mov_b64 s[0:1], 0
	s_mov_b64 s[40:41], 0
	s_branch .LBB23_235
.LBB23_42:
	s_mov_b64 s[40:41], -1
	s_mov_b64 s[44:45], 0
	s_mov_b64 s[0:1], 0
                                        ; implicit-def: $vgpr1
	s_branch .LBB23_57
.LBB23_43:
	s_mov_b64 s[40:41], -1
	s_mov_b64 s[42:43], 0
	s_mov_b64 s[0:1], 0
                                        ; implicit-def: $vgpr4
	s_branch .LBB23_284
.LBB23_44:
	s_mov_b64 s[48:49], -1
	s_mov_b64 s[0:1], 0
	s_mov_b64 s[40:41], 0
	s_branch .LBB23_193
.LBB23_45:
	s_mov_b64 s[40:41], -1
	s_mov_b64 s[44:45], 0
	s_branch .LBB23_49
.LBB23_46:
	s_mov_b64 s[40:41], -1
	s_mov_b64 s[42:43], 0
	s_mov_b64 s[0:1], 0
                                        ; implicit-def: $vgpr4
	s_branch .LBB23_279
.LBB23_47:
	s_mov_b64 s[48:49], -1
	s_mov_b64 s[0:1], 0
	s_mov_b64 s[40:41], 0
	s_branch .LBB23_176
.LBB23_48:
	s_mov_b64 s[44:45], -1
.LBB23_49:
	s_mov_b64 s[0:1], 0
                                        ; implicit-def: $vgpr1
.LBB23_50:
	s_and_b64 vcc, exec, s[40:41]
	s_cbranch_vccz .LBB23_56
; %bb.51:
	s_cmp_eq_u32 s42, 44
	s_cbranch_scc0 .LBB23_55
; %bb.52:
	global_load_ubyte v1, v[4:5], off
	s_mov_b32 s0, 0x2f800000
	s_mov_b32 s1, 0xcf800000
	s_mov_b64 s[44:45], 0
	s_waitcnt vmcnt(0)
	v_lshlrev_b32_e32 v2, 23, v1
	v_trunc_f32_e32 v2, v2
	v_mul_f32_e64 v6, |v2|, s0
	v_floor_f32_e32 v6, v6
	v_fma_f32 v6, v6, s1, |v2|
	v_cvt_u32_f32_e32 v6, v6
	v_ashrrev_i32_e32 v2, 31, v2
	v_cmp_ne_u32_e32 vcc, 0, v1
	s_mov_b64 s[0:1], -1
	v_xor_b32_e32 v6, v6, v2
	v_sub_u32_e32 v2, v6, v2
	v_cndmask_b32_e32 v1, 0, v2, vcc
	s_branch .LBB23_56
.LBB23_53:
	s_mov_b64 s[40:41], -1
	s_mov_b64 s[42:43], 0
	s_branch .LBB23_161
.LBB23_54:
	s_mov_b64 s[48:49], -1
	s_mov_b64 s[0:1], 0
	s_mov_b64 s[40:41], 0
	s_branch .LBB23_172
.LBB23_55:
	s_mov_b64 s[44:45], -1
                                        ; implicit-def: $vgpr1
.LBB23_56:
	s_mov_b64 s[40:41], 0
.LBB23_57:
	s_and_b64 vcc, exec, s[40:41]
	s_cbranch_vccz .LBB23_61
; %bb.58:
	s_cmp_eq_u32 s42, 29
	s_cbranch_scc0 .LBB23_60
; %bb.59:
	global_load_dwordx2 v[1:2], v[4:5], off
	s_mov_b64 s[0:1], -1
	s_mov_b64 s[44:45], 0
	s_branch .LBB23_61
.LBB23_60:
	s_mov_b64 s[44:45], -1
                                        ; implicit-def: $vgpr1
.LBB23_61:
	s_mov_b64 s[40:41], 0
.LBB23_62:
	s_and_b64 vcc, exec, s[40:41]
	s_cbranch_vccz .LBB23_78
; %bb.63:
	s_cmp_lt_i32 s42, 27
	s_cbranch_scc1 .LBB23_66
; %bb.64:
	s_cmp_gt_i32 s42, 27
	s_cbranch_scc0 .LBB23_67
; %bb.65:
	global_load_dword v1, v[4:5], off
	s_mov_b64 s[0:1], 0
	s_branch .LBB23_68
.LBB23_66:
	s_mov_b64 s[0:1], -1
                                        ; implicit-def: $vgpr1
	s_branch .LBB23_71
.LBB23_67:
	s_mov_b64 s[0:1], -1
                                        ; implicit-def: $vgpr1
.LBB23_68:
	s_andn2_b64 vcc, exec, s[0:1]
	s_cbranch_vccnz .LBB23_70
; %bb.69:
	global_load_ushort v1, v[4:5], off
.LBB23_70:
	s_mov_b64 s[0:1], 0
.LBB23_71:
	s_andn2_b64 vcc, exec, s[0:1]
	s_cbranch_vccnz .LBB23_77
; %bb.72:
	global_load_ubyte v2, v[4:5], off
	s_movk_i32 s0, 0x7f
	s_mov_b64 s[40:41], 0
	s_waitcnt vmcnt(0)
	v_cmp_lt_i16_e32 vcc, s0, v2
	s_and_saveexec_b64 s[0:1], vcc
	s_xor_b64 s[0:1], exec, s[0:1]
	s_cbranch_execz .LBB23_88
; %bb.73:
	s_movk_i32 s40, 0x80
	v_cmp_ne_u16_e32 vcc, s40, v2
	s_and_b64 s[40:41], vcc, exec
	s_andn2_saveexec_b64 s[0:1], s[0:1]
	s_cbranch_execnz .LBB23_89
.LBB23_74:
	s_or_b64 exec, exec, s[0:1]
	v_mov_b32_e32 v1, 0
	s_and_saveexec_b64 s[0:1], s[40:41]
	s_cbranch_execz .LBB23_76
.LBB23_75:
	v_lshlrev_b32_e32 v1, 24, v2
	v_and_b32_e32 v2, 0xffff, v2
	v_and_b32_e32 v6, 7, v2
	v_ffbh_u32_e32 v8, v6
	v_min_u32_e32 v8, 32, v8
	v_subrev_u32_e32 v9, 28, v8
	v_bfe_u32 v7, v2, 3, 4
	v_lshlrev_b32_e32 v2, v9, v2
	v_sub_u32_e32 v8, 29, v8
	v_and_b32_e32 v2, 7, v2
	v_cmp_eq_u32_e32 vcc, 0, v7
	v_cndmask_b32_e32 v7, v7, v8, vcc
	v_cndmask_b32_e32 v2, v6, v2, vcc
	v_mov_b32_e32 v6, 0x3b800000
	v_lshlrev_b32_e32 v2, 20, v2
	v_and_b32_e32 v1, 0x80000000, v1
	v_lshl_add_u32 v6, v7, 23, v6
	v_or3_b32 v1, v1, v6, v2
	v_trunc_f32_e32 v1, v1
	s_mov_b32 s40, 0x2f800000
	v_mul_f32_e64 v2, |v1|, s40
	v_floor_f32_e32 v2, v2
	s_mov_b32 s40, 0xcf800000
	v_fma_f32 v2, v2, s40, |v1|
	v_cvt_u32_f32_e32 v2, v2
	v_ashrrev_i32_e32 v1, 31, v1
	v_xor_b32_e32 v2, v2, v1
	v_sub_u32_e32 v1, v2, v1
.LBB23_76:
	s_or_b64 exec, exec, s[0:1]
.LBB23_77:
	s_mov_b64 s[0:1], -1
.LBB23_78:
	s_branch .LBB23_111
.LBB23_79:
	s_cmp_gt_i32 s42, 22
	s_cbranch_scc0 .LBB23_87
; %bb.80:
	s_cmp_lt_i32 s42, 24
	s_cbranch_scc1 .LBB23_90
; %bb.81:
	s_cmp_gt_i32 s42, 24
	s_cbranch_scc0 .LBB23_91
; %bb.82:
	global_load_ubyte v2, v[4:5], off
	s_movk_i32 s0, 0x7f
	s_mov_b64 s[40:41], 0
	s_waitcnt vmcnt(0)
	v_cmp_lt_i16_e32 vcc, s0, v2
	s_and_saveexec_b64 s[0:1], vcc
	s_xor_b64 s[0:1], exec, s[0:1]
	s_cbranch_execz .LBB23_103
; %bb.83:
	s_movk_i32 s40, 0x80
	v_cmp_ne_u16_e32 vcc, s40, v2
	s_and_b64 s[40:41], vcc, exec
	s_andn2_saveexec_b64 s[0:1], s[0:1]
	s_cbranch_execnz .LBB23_104
.LBB23_84:
	s_or_b64 exec, exec, s[0:1]
	v_mov_b32_e32 v1, 0
	s_and_saveexec_b64 s[0:1], s[40:41]
	s_cbranch_execz .LBB23_86
.LBB23_85:
	v_lshlrev_b32_e32 v1, 24, v2
	v_and_b32_e32 v2, 0xffff, v2
	v_and_b32_e32 v6, 3, v2
	v_ffbh_u32_e32 v8, v6
	v_min_u32_e32 v8, 32, v8
	v_subrev_u32_e32 v9, 29, v8
	v_bfe_u32 v7, v2, 2, 5
	v_lshlrev_b32_e32 v2, v9, v2
	v_sub_u32_e32 v8, 30, v8
	v_and_b32_e32 v2, 3, v2
	v_cmp_eq_u32_e32 vcc, 0, v7
	v_cndmask_b32_e32 v7, v7, v8, vcc
	v_cndmask_b32_e32 v2, v6, v2, vcc
	v_mov_b32_e32 v6, 0x37800000
	v_lshlrev_b32_e32 v2, 21, v2
	v_and_b32_e32 v1, 0x80000000, v1
	v_lshl_add_u32 v6, v7, 23, v6
	v_or3_b32 v1, v1, v6, v2
	v_trunc_f32_e32 v1, v1
	s_mov_b32 s40, 0x2f800000
	v_mul_f32_e64 v2, |v1|, s40
	v_floor_f32_e32 v2, v2
	s_mov_b32 s40, 0xcf800000
	v_fma_f32 v2, v2, s40, |v1|
	v_cvt_u32_f32_e32 v2, v2
	v_ashrrev_i32_e32 v1, 31, v1
	v_xor_b32_e32 v2, v2, v1
	v_sub_u32_e32 v1, v2, v1
.LBB23_86:
	s_or_b64 exec, exec, s[0:1]
	s_mov_b64 s[0:1], 0
	s_branch .LBB23_92
.LBB23_87:
	s_mov_b64 s[40:41], -1
                                        ; implicit-def: $vgpr1
	s_branch .LBB23_98
.LBB23_88:
	s_andn2_saveexec_b64 s[0:1], s[0:1]
	s_cbranch_execz .LBB23_74
.LBB23_89:
	v_cmp_ne_u16_e32 vcc, 0, v2
	s_andn2_b64 s[40:41], s[40:41], exec
	s_and_b64 s[48:49], vcc, exec
	s_or_b64 s[40:41], s[40:41], s[48:49]
	s_or_b64 exec, exec, s[0:1]
	v_mov_b32_e32 v1, 0
	s_and_saveexec_b64 s[0:1], s[40:41]
	s_cbranch_execnz .LBB23_75
	s_branch .LBB23_76
.LBB23_90:
	s_mov_b64 s[0:1], -1
                                        ; implicit-def: $vgpr1
	s_branch .LBB23_95
.LBB23_91:
	s_mov_b64 s[0:1], -1
                                        ; implicit-def: $vgpr1
.LBB23_92:
	s_and_b64 vcc, exec, s[0:1]
	s_cbranch_vccz .LBB23_94
; %bb.93:
	global_load_ubyte v1, v[4:5], off
	s_mov_b32 s0, 0x7f800000
	s_brev_b32 s1, 1
	s_mov_b32 s40, 0x2f800000
	s_waitcnt vmcnt(0)
	v_lshlrev_b32_e32 v1, 24, v1
	v_and_b32_e32 v2, 0x7f000000, v1
	v_ffbh_u32_e32 v6, v2
	v_min_u32_e32 v6, 32, v6
	v_sub_u32_e64 v6, v6, 4 clamp
	v_lshlrev_b32_e32 v8, v6, v2
	v_lshlrev_b32_e32 v6, 23, v6
	v_lshrrev_b32_e32 v8, 4, v8
	v_add_u32_e32 v7, 0x1000000, v2
	v_sub_u32_e32 v6, v8, v6
	v_ashrrev_i32_e32 v7, 8, v7
	v_add_u32_e32 v6, 0x3c000000, v6
	v_and_or_b32 v6, v7, s0, v6
	v_cmp_ne_u32_e32 vcc, 0, v2
	v_cndmask_b32_e32 v2, 0, v6, vcc
	v_and_or_b32 v1, v1, s1, v2
	v_trunc_f32_e32 v1, v1
	v_mul_f32_e64 v2, |v1|, s40
	v_floor_f32_e32 v2, v2
	s_mov_b32 s0, 0xcf800000
	v_fma_f32 v2, v2, s0, |v1|
	v_cvt_u32_f32_e32 v2, v2
	v_ashrrev_i32_e32 v1, 31, v1
	v_xor_b32_e32 v2, v2, v1
	v_sub_u32_e32 v1, v2, v1
.LBB23_94:
	s_mov_b64 s[0:1], 0
.LBB23_95:
	s_andn2_b64 vcc, exec, s[0:1]
	s_cbranch_vccnz .LBB23_97
; %bb.96:
	global_load_ubyte v1, v[4:5], off
	s_movk_i32 s0, 0x7f00
	s_brev_b32 s1, 16
	s_brev_b32 s40, 1
	s_mov_b32 s41, 0x2f800000
	s_waitcnt vmcnt(0)
	v_lshlrev_b16_e32 v2, 8, v1
	v_lshlrev_b32_e32 v1, 25, v1
	v_lshrrev_b32_e32 v6, 4, v1
	v_and_or_b32 v7, v2, s0, 0.5
	v_or_b32_e32 v6, 0x70000000, v6
	v_add_f32_e32 v7, -0.5, v7
	v_mul_f32_e32 v6, 0x7800000, v6
	v_cmp_gt_u32_e32 vcc, s1, v1
	v_bfe_i32 v2, v2, 0, 16
	v_cndmask_b32_e32 v1, v6, v7, vcc
	v_and_or_b32 v1, v2, s40, v1
	v_trunc_f32_e32 v1, v1
	v_mul_f32_e64 v2, |v1|, s41
	v_floor_f32_e32 v2, v2
	s_mov_b32 s0, 0xcf800000
	v_fma_f32 v2, v2, s0, |v1|
	v_cvt_u32_f32_e32 v2, v2
	v_ashrrev_i32_e32 v1, 31, v1
	v_xor_b32_e32 v2, v2, v1
	v_sub_u32_e32 v1, v2, v1
.LBB23_97:
	s_mov_b64 s[40:41], 0
	s_mov_b64 s[0:1], -1
.LBB23_98:
	s_andn2_b64 vcc, exec, s[40:41]
	s_cbranch_vccnz .LBB23_111
; %bb.99:
	s_cmp_gt_i32 s42, 14
	s_cbranch_scc0 .LBB23_102
; %bb.100:
	s_cmp_eq_u32 s42, 15
	s_cbranch_scc0 .LBB23_105
; %bb.101:
	global_load_ushort v1, v[4:5], off
	s_mov_b32 s0, 0x2f800000
	s_mov_b32 s1, 0xcf800000
	s_mov_b64 s[44:45], 0
	s_waitcnt vmcnt(0)
	v_lshlrev_b32_e32 v1, 16, v1
	v_trunc_f32_e32 v1, v1
	v_mul_f32_e64 v2, |v1|, s0
	v_floor_f32_e32 v2, v2
	v_fma_f32 v2, v2, s1, |v1|
	v_cvt_u32_f32_e32 v2, v2
	v_ashrrev_i32_e32 v1, 31, v1
	s_mov_b64 s[0:1], -1
	v_xor_b32_e32 v2, v2, v1
	v_sub_u32_e32 v1, v2, v1
	s_branch .LBB23_106
.LBB23_102:
	s_mov_b64 s[40:41], -1
                                        ; implicit-def: $vgpr1
	s_branch .LBB23_107
.LBB23_103:
	s_andn2_saveexec_b64 s[0:1], s[0:1]
	s_cbranch_execz .LBB23_84
.LBB23_104:
	v_cmp_ne_u16_e32 vcc, 0, v2
	s_andn2_b64 s[40:41], s[40:41], exec
	s_and_b64 s[48:49], vcc, exec
	s_or_b64 s[40:41], s[40:41], s[48:49]
	s_or_b64 exec, exec, s[0:1]
	v_mov_b32_e32 v1, 0
	s_and_saveexec_b64 s[0:1], s[40:41]
	s_cbranch_execnz .LBB23_85
	s_branch .LBB23_86
.LBB23_105:
	s_mov_b64 s[44:45], -1
                                        ; implicit-def: $vgpr1
.LBB23_106:
	s_mov_b64 s[40:41], 0
.LBB23_107:
	s_and_b64 vcc, exec, s[40:41]
	s_cbranch_vccz .LBB23_111
; %bb.108:
	s_cmp_eq_u32 s42, 11
	s_cbranch_scc0 .LBB23_110
; %bb.109:
	global_load_ubyte v1, v[4:5], off
	s_mov_b64 s[0:1], -1
	s_mov_b64 s[44:45], 0
	s_waitcnt vmcnt(0)
	v_cmp_ne_u16_e32 vcc, 0, v1
	v_cndmask_b32_e64 v1, 0, 1, vcc
	s_branch .LBB23_111
.LBB23_110:
	s_mov_b64 s[44:45], -1
                                        ; implicit-def: $vgpr1
.LBB23_111:
	s_branch .LBB23_21
.LBB23_112:
	s_and_b32 s29, 0xffff, s29
	s_cmp_lt_i32 s29, 5
	s_cbranch_scc1 .LBB23_117
; %bb.113:
	s_cmp_lt_i32 s29, 8
	s_cbranch_scc1 .LBB23_118
; %bb.114:
	s_cmp_lt_i32 s29, 9
	s_cbranch_scc1 .LBB23_119
; %bb.115:
	s_cmp_gt_i32 s29, 9
	s_cbranch_scc0 .LBB23_120
; %bb.116:
	global_load_dwordx2 v[1:2], v[4:5], off
	s_movk_i32 s0, 0xffe0
	s_waitcnt vmcnt(0)
	v_trunc_f64_e32 v[1:2], v[1:2]
	v_ldexp_f64 v[6:7], v[1:2], s0
	s_mov_b32 s0, 0
	s_mov_b32 s1, 0xc1f00000
	v_floor_f64_e32 v[6:7], v[6:7]
	v_fma_f64 v[1:2], v[6:7], s[0:1], v[1:2]
	s_mov_b64 s[0:1], 0
	v_cvt_u32_f64_e32 v1, v[1:2]
	s_branch .LBB23_121
.LBB23_117:
                                        ; implicit-def: $vgpr1
	s_branch .LBB23_139
.LBB23_118:
	s_mov_b64 s[0:1], -1
                                        ; implicit-def: $vgpr1
	s_branch .LBB23_127
.LBB23_119:
	s_mov_b64 s[0:1], -1
                                        ; implicit-def: $vgpr1
	s_branch .LBB23_124
.LBB23_120:
	s_mov_b64 s[0:1], -1
                                        ; implicit-def: $vgpr1
.LBB23_121:
	s_andn2_b64 vcc, exec, s[0:1]
	s_cbranch_vccnz .LBB23_123
; %bb.122:
	global_load_dword v1, v[4:5], off
	s_mov_b32 s0, 0x2f800000
	s_waitcnt vmcnt(0)
	v_trunc_f32_e32 v1, v1
	v_mul_f32_e64 v2, |v1|, s0
	v_floor_f32_e32 v2, v2
	s_mov_b32 s0, 0xcf800000
	v_fma_f32 v2, v2, s0, |v1|
	v_cvt_u32_f32_e32 v2, v2
	v_ashrrev_i32_e32 v1, 31, v1
	v_xor_b32_e32 v2, v2, v1
	v_sub_u32_e32 v1, v2, v1
.LBB23_123:
	s_mov_b64 s[0:1], 0
.LBB23_124:
	s_andn2_b64 vcc, exec, s[0:1]
	s_cbranch_vccnz .LBB23_126
; %bb.125:
	global_load_dword v1, v[4:5], off
	s_waitcnt vmcnt(0)
	v_cvt_f32_f16_e32 v1, v1
	v_cvt_i32_f32_e32 v1, v1
.LBB23_126:
	s_mov_b64 s[0:1], 0
.LBB23_127:
	s_andn2_b64 vcc, exec, s[0:1]
	s_cbranch_vccnz .LBB23_138
; %bb.128:
	s_cmp_lt_i32 s29, 6
	s_cbranch_scc1 .LBB23_131
; %bb.129:
	s_cmp_gt_i32 s29, 6
	s_cbranch_scc0 .LBB23_132
; %bb.130:
	global_load_dwordx2 v[1:2], v[4:5], off
	s_movk_i32 s0, 0xffe0
	s_waitcnt vmcnt(0)
	v_trunc_f64_e32 v[1:2], v[1:2]
	v_ldexp_f64 v[6:7], v[1:2], s0
	s_mov_b32 s0, 0
	s_mov_b32 s1, 0xc1f00000
	v_floor_f64_e32 v[6:7], v[6:7]
	v_fma_f64 v[1:2], v[6:7], s[0:1], v[1:2]
	s_mov_b64 s[0:1], 0
	v_cvt_u32_f64_e32 v1, v[1:2]
	s_branch .LBB23_133
.LBB23_131:
	s_mov_b64 s[0:1], -1
                                        ; implicit-def: $vgpr1
	s_branch .LBB23_136
.LBB23_132:
	s_mov_b64 s[0:1], -1
                                        ; implicit-def: $vgpr1
.LBB23_133:
	s_andn2_b64 vcc, exec, s[0:1]
	s_cbranch_vccnz .LBB23_135
; %bb.134:
	global_load_dword v1, v[4:5], off
	s_mov_b32 s0, 0x2f800000
	s_waitcnt vmcnt(0)
	v_trunc_f32_e32 v1, v1
	v_mul_f32_e64 v2, |v1|, s0
	v_floor_f32_e32 v2, v2
	s_mov_b32 s0, 0xcf800000
	v_fma_f32 v2, v2, s0, |v1|
	v_cvt_u32_f32_e32 v2, v2
	v_ashrrev_i32_e32 v1, 31, v1
	v_xor_b32_e32 v2, v2, v1
	v_sub_u32_e32 v1, v2, v1
.LBB23_135:
	s_mov_b64 s[0:1], 0
.LBB23_136:
	s_andn2_b64 vcc, exec, s[0:1]
	s_cbranch_vccnz .LBB23_138
; %bb.137:
	global_load_ushort v1, v[4:5], off
	s_waitcnt vmcnt(0)
	v_cvt_f32_f16_e32 v1, v1
	v_cvt_i32_f32_e32 v1, v1
.LBB23_138:
	s_cbranch_execnz .LBB23_158
.LBB23_139:
	s_cmp_lt_i32 s29, 2
	s_cbranch_scc1 .LBB23_143
; %bb.140:
	s_cmp_lt_i32 s29, 3
	s_cbranch_scc1 .LBB23_144
; %bb.141:
	s_cmp_gt_i32 s29, 3
	s_cbranch_scc0 .LBB23_145
; %bb.142:
	global_load_dwordx2 v[1:2], v[4:5], off
	s_mov_b64 s[0:1], 0
	s_branch .LBB23_146
.LBB23_143:
	s_mov_b64 s[0:1], -1
                                        ; implicit-def: $vgpr1
	s_branch .LBB23_152
.LBB23_144:
	s_mov_b64 s[0:1], -1
                                        ; implicit-def: $vgpr1
	s_branch .LBB23_149
.LBB23_145:
	s_mov_b64 s[0:1], -1
                                        ; implicit-def: $vgpr1
.LBB23_146:
	s_andn2_b64 vcc, exec, s[0:1]
	s_cbranch_vccnz .LBB23_148
; %bb.147:
	global_load_dword v1, v[4:5], off
.LBB23_148:
	s_mov_b64 s[0:1], 0
.LBB23_149:
	s_andn2_b64 vcc, exec, s[0:1]
	s_cbranch_vccnz .LBB23_151
; %bb.150:
	global_load_ushort v1, v[4:5], off
.LBB23_151:
	s_mov_b64 s[0:1], 0
.LBB23_152:
	s_andn2_b64 vcc, exec, s[0:1]
	s_cbranch_vccnz .LBB23_158
; %bb.153:
	s_cmp_gt_i32 s29, 0
	s_cbranch_scc0 .LBB23_155
; %bb.154:
	global_load_ubyte v1, v[4:5], off
	s_mov_b64 s[0:1], 0
	s_branch .LBB23_156
.LBB23_155:
	s_mov_b64 s[0:1], -1
                                        ; implicit-def: $vgpr1
.LBB23_156:
	s_andn2_b64 vcc, exec, s[0:1]
	s_cbranch_vccnz .LBB23_158
; %bb.157:
	global_load_ubyte v1, v[4:5], off
.LBB23_158:
	s_branch .LBB23_22
.LBB23_159:
	s_mov_b64 s[0:1], 0
	s_mov_b64 s[42:43], 0
	s_branch .LBB23_384
.LBB23_160:
	s_mov_b64 s[42:43], -1
.LBB23_161:
	s_mov_b64 s[0:1], 0
                                        ; implicit-def: $vgpr4
.LBB23_162:
	s_and_b64 vcc, exec, s[40:41]
	s_cbranch_vccz .LBB23_278
; %bb.163:
	s_cmp_eq_u32 s48, 44
	s_cbranch_scc0 .LBB23_277
; %bb.164:
	global_load_ubyte v4, v[2:3], off
	s_mov_b32 s0, 0x2f800000
	s_mov_b32 s1, 0xcf800000
	s_mov_b64 s[42:43], 0
	s_waitcnt vmcnt(0)
	v_lshlrev_b32_e32 v5, 23, v4
	v_trunc_f32_e32 v5, v5
	v_mul_f32_e64 v6, |v5|, s0
	v_floor_f32_e32 v6, v6
	v_fma_f32 v6, v6, s1, |v5|
	v_cvt_u32_f32_e32 v6, v6
	v_ashrrev_i32_e32 v5, 31, v5
	v_cmp_ne_u32_e32 vcc, 0, v4
	s_mov_b64 s[0:1], -1
	v_xor_b32_e32 v6, v6, v5
	v_sub_u32_e32 v5, v6, v5
	v_cndmask_b32_e32 v4, 0, v5, vcc
	s_branch .LBB23_278
.LBB23_165:
	s_mov_b64 s[48:49], -1
	s_mov_b64 s[0:1], 0
	s_mov_b64 s[40:41], 0
.LBB23_166:
	s_and_b64 vcc, exec, s[48:49]
	s_cbranch_vccz .LBB23_171
; %bb.167:
	s_cmp_eq_u32 s54, 44
	s_mov_b64 s[0:1], -1
	s_cbranch_scc0 .LBB23_171
; %bb.168:
	v_cvt_f32_ubyte0_e32 v4, v2
	v_lshrrev_b32_e32 v3, 23, v4
	s_movk_i32 s0, 0xff
	v_cmp_ne_u32_e32 vcc, s0, v3
	v_mov_b32_e32 v5, 0xff
	s_and_saveexec_b64 s[40:41], vcc
; %bb.169:
	s_mov_b32 s0, 0x3fffff
	v_and_b32_e32 v5, 0x400000, v4
	v_and_or_b32 v4, v4, s0, v3
	v_cmp_ne_u32_e32 vcc, 0, v5
	v_cmp_ne_u32_e64 s[0:1], 0, v4
	s_and_b64 s[0:1], vcc, s[0:1]
	v_cndmask_b32_e64 v4, 0, 1, s[0:1]
	v_add_u32_e32 v5, v3, v4
; %bb.170:
	s_or_b64 exec, exec, s[40:41]
	s_mov_b64 s[40:41], -1
	s_mov_b64 s[0:1], 0
	global_store_byte v[0:1], v5, off
.LBB23_171:
	s_mov_b64 s[48:49], 0
.LBB23_172:
	s_and_b64 vcc, exec, s[48:49]
	s_cbranch_vccz .LBB23_175
; %bb.173:
	s_cmp_eq_u32 s54, 29
	s_mov_b64 s[0:1], -1
	s_cbranch_scc0 .LBB23_175
; %bb.174:
	v_and_b32_e32 v3, 0xff, v2
	v_mov_b32_e32 v4, 0
	global_store_dwordx2 v[0:1], v[3:4], off
	s_mov_b64 s[40:41], -1
	s_mov_b64 s[0:1], 0
.LBB23_175:
	s_mov_b64 s[48:49], 0
.LBB23_176:
	s_and_b64 vcc, exec, s[48:49]
	s_cbranch_vccz .LBB23_192
; %bb.177:
	s_cmp_lt_i32 s54, 27
	s_mov_b64 s[40:41], -1
	s_cbranch_scc1 .LBB23_183
; %bb.178:
	s_cmp_gt_i32 s54, 27
	s_cbranch_scc0 .LBB23_180
; %bb.179:
	v_and_b32_e32 v3, 0xff, v2
	s_mov_b64 s[40:41], 0
	global_store_dword v[0:1], v3, off
.LBB23_180:
	s_andn2_b64 vcc, exec, s[40:41]
	s_cbranch_vccnz .LBB23_182
; %bb.181:
	v_and_b32_e32 v3, 0xff, v2
	global_store_short v[0:1], v3, off
.LBB23_182:
	s_mov_b64 s[40:41], 0
.LBB23_183:
	s_andn2_b64 vcc, exec, s[40:41]
	s_cbranch_vccnz .LBB23_191
; %bb.184:
	v_cvt_f32_ubyte0_e32 v4, v2
	s_mov_b32 s40, 0x43800000
	v_cmp_gt_u32_e32 vcc, s40, v4
	v_mov_b32_e32 v5, 0x80
	s_and_saveexec_b64 s[40:41], vcc
	s_cbranch_execz .LBB23_190
; %bb.185:
	s_mov_b32 s48, 0x3bffffff
	v_cmp_lt_u32_e32 vcc, s48, v4
	s_mov_b64 s[48:49], 0
                                        ; implicit-def: $vgpr3
	s_and_saveexec_b64 s[52:53], vcc
	s_xor_b64 s[52:53], exec, s[52:53]
	s_cbranch_execz .LBB23_426
; %bb.186:
	v_bfe_u32 v3, v4, 20, 1
	s_mov_b32 s55, 0x487ffff
	v_add3_u32 v3, v4, v3, s55
	s_mov_b64 s[48:49], exec
	v_lshrrev_b32_e32 v3, 20, v3
                                        ; implicit-def: $vgpr4
	s_andn2_saveexec_b64 s[52:53], s[52:53]
	s_cbranch_execnz .LBB23_427
.LBB23_187:
	s_or_b64 exec, exec, s[52:53]
	v_mov_b32_e32 v5, 0
	s_and_saveexec_b64 s[52:53], s[48:49]
.LBB23_188:
	v_mov_b32_e32 v5, v3
.LBB23_189:
	s_or_b64 exec, exec, s[52:53]
.LBB23_190:
	s_or_b64 exec, exec, s[40:41]
	global_store_byte v[0:1], v5, off
.LBB23_191:
	s_mov_b64 s[40:41], -1
.LBB23_192:
	s_mov_b64 s[48:49], 0
.LBB23_193:
	s_and_b64 vcc, exec, s[48:49]
	s_cbranch_vccz .LBB23_234
; %bb.194:
	s_cmp_gt_i32 s54, 22
	s_mov_b64 s[48:49], -1
	s_cbranch_scc0 .LBB23_226
; %bb.195:
	s_cmp_lt_i32 s54, 24
	s_mov_b64 s[40:41], -1
	s_cbranch_scc1 .LBB23_215
; %bb.196:
	s_cmp_gt_i32 s54, 24
	s_cbranch_scc0 .LBB23_204
; %bb.197:
	v_cvt_f32_ubyte0_e32 v4, v2
	s_mov_b32 s40, 0x47800000
	v_cmp_gt_u32_e32 vcc, s40, v4
	v_mov_b32_e32 v5, 0x80
	s_and_saveexec_b64 s[40:41], vcc
	s_cbranch_execz .LBB23_203
; %bb.198:
	s_mov_b32 s48, 0x37ffffff
	v_cmp_lt_u32_e32 vcc, s48, v4
	s_mov_b64 s[48:49], 0
                                        ; implicit-def: $vgpr3
	s_and_saveexec_b64 s[52:53], vcc
	s_xor_b64 s[52:53], exec, s[52:53]
	s_cbranch_execz .LBB23_541
; %bb.199:
	v_bfe_u32 v3, v4, 21, 1
	s_mov_b32 s55, 0x88fffff
	v_add3_u32 v3, v4, v3, s55
	s_mov_b64 s[48:49], exec
	v_lshrrev_b32_e32 v3, 21, v3
                                        ; implicit-def: $vgpr4
	s_andn2_saveexec_b64 s[52:53], s[52:53]
	s_cbranch_execnz .LBB23_542
.LBB23_200:
	s_or_b64 exec, exec, s[52:53]
	v_mov_b32_e32 v5, 0
	s_and_saveexec_b64 s[52:53], s[48:49]
.LBB23_201:
	v_mov_b32_e32 v5, v3
.LBB23_202:
	s_or_b64 exec, exec, s[52:53]
.LBB23_203:
	s_or_b64 exec, exec, s[40:41]
	s_mov_b64 s[40:41], 0
	global_store_byte v[0:1], v5, off
.LBB23_204:
	s_and_b64 vcc, exec, s[40:41]
	s_cbranch_vccz .LBB23_214
; %bb.205:
	v_cvt_f32_ubyte0_e32 v3, v2
	s_mov_b32 s40, 0x43f00000
	v_cmp_gt_u32_e32 vcc, s40, v3
                                        ; implicit-def: $vgpr4
	s_and_saveexec_b64 s[40:41], vcc
	s_xor_b64 s[40:41], exec, s[40:41]
	s_cbranch_execz .LBB23_211
; %bb.206:
	s_mov_b32 s48, 0x3c7fffff
	v_cmp_lt_u32_e32 vcc, s48, v3
                                        ; implicit-def: $vgpr4
	s_and_saveexec_b64 s[48:49], vcc
	s_xor_b64 s[48:49], exec, s[48:49]
; %bb.207:
	v_bfe_u32 v4, v3, 20, 1
	s_mov_b32 s52, 0x407ffff
	v_add3_u32 v3, v3, v4, s52
	v_lshrrev_b32_e32 v4, 20, v3
	v_and_b32_e32 v3, 0xff00000, v3
	s_mov_b32 s52, 0x7f00000
	v_mov_b32_e32 v5, 0x7e
	v_cmp_ne_u32_e32 vcc, s52, v3
	v_cndmask_b32_e32 v4, v5, v4, vcc
                                        ; implicit-def: $vgpr3
; %bb.208:
	s_andn2_saveexec_b64 s[48:49], s[48:49]
; %bb.209:
	v_add_f32_e32 v4, 0x46800000, v3
; %bb.210:
	s_or_b64 exec, exec, s[48:49]
                                        ; implicit-def: $vgpr3
.LBB23_211:
	s_andn2_saveexec_b64 s[40:41], s[40:41]
; %bb.212:
	s_mov_b32 s48, 0x7f800000
	v_mov_b32_e32 v4, 0x7e
	v_mov_b32_e32 v5, 0x7f
	v_cmp_lt_u32_e32 vcc, s48, v3
	v_cndmask_b32_e32 v4, v4, v5, vcc
; %bb.213:
	s_or_b64 exec, exec, s[40:41]
	global_store_byte v[0:1], v4, off
.LBB23_214:
	s_mov_b64 s[40:41], 0
.LBB23_215:
	s_andn2_b64 vcc, exec, s[40:41]
	s_cbranch_vccnz .LBB23_225
; %bb.216:
	v_cvt_f32_ubyte0_e32 v3, v2
	s_mov_b32 s40, 0x47800000
	v_cmp_gt_u32_e32 vcc, s40, v3
                                        ; implicit-def: $vgpr4
	s_and_saveexec_b64 s[40:41], vcc
	s_xor_b64 s[40:41], exec, s[40:41]
	s_cbranch_execz .LBB23_222
; %bb.217:
	s_mov_b32 s48, 0x387fffff
	v_cmp_lt_u32_e32 vcc, s48, v3
                                        ; implicit-def: $vgpr4
	s_and_saveexec_b64 s[48:49], vcc
	s_xor_b64 s[48:49], exec, s[48:49]
; %bb.218:
	v_bfe_u32 v4, v3, 21, 1
	s_mov_b32 s52, 0x80fffff
	v_add3_u32 v3, v3, v4, s52
	v_lshrrev_b32_e32 v4, 21, v3
                                        ; implicit-def: $vgpr3
; %bb.219:
	s_andn2_saveexec_b64 s[48:49], s[48:49]
; %bb.220:
	v_add_f32_e32 v4, 0x43000000, v3
; %bb.221:
	s_or_b64 exec, exec, s[48:49]
                                        ; implicit-def: $vgpr3
.LBB23_222:
	s_andn2_saveexec_b64 s[40:41], s[40:41]
; %bb.223:
	s_mov_b32 s48, 0x7f800000
	v_mov_b32_e32 v4, 0x7c
	v_mov_b32_e32 v5, 0x7f
	v_cmp_lt_u32_e32 vcc, s48, v3
	v_cndmask_b32_e32 v4, v4, v5, vcc
; %bb.224:
	s_or_b64 exec, exec, s[40:41]
	global_store_byte v[0:1], v4, off
.LBB23_225:
	s_mov_b64 s[48:49], 0
	s_mov_b64 s[40:41], -1
.LBB23_226:
	s_andn2_b64 vcc, exec, s[48:49]
	s_cbranch_vccnz .LBB23_234
; %bb.227:
	s_cmp_gt_i32 s54, 14
	s_mov_b64 s[48:49], -1
	s_cbranch_scc0 .LBB23_231
; %bb.228:
	s_cmp_eq_u32 s54, 15
	s_mov_b64 s[0:1], -1
	s_cbranch_scc0 .LBB23_230
; %bb.229:
	v_cvt_f32_ubyte0_e32 v3, v2
	v_bfe_u32 v4, v3, 16, 1
	s_movk_i32 s0, 0x7fff
	v_add3_u32 v3, v3, v4, s0
	global_store_short_d16_hi v[0:1], v3, off
	s_mov_b64 s[40:41], -1
	s_mov_b64 s[0:1], 0
.LBB23_230:
	s_mov_b64 s[48:49], 0
.LBB23_231:
	s_and_b64 vcc, exec, s[48:49]
	s_cbranch_vccz .LBB23_234
; %bb.232:
	s_cmp_eq_u32 s54, 11
	s_mov_b64 s[0:1], -1
	s_cbranch_scc0 .LBB23_234
; %bb.233:
	v_mov_b32_e32 v3, 0
	v_cmp_ne_u16_sdwa s[0:1], v2, v3 src0_sel:BYTE_0 src1_sel:DWORD
	v_cndmask_b32_e64 v3, 0, 1, s[0:1]
	s_mov_b64 s[40:41], -1
	s_mov_b64 s[0:1], 0
	global_store_byte v[0:1], v3, off
.LBB23_234:
	s_mov_b64 s[48:49], 0
.LBB23_235:
	s_and_b64 vcc, exec, s[48:49]
	s_cbranch_vccz .LBB23_274
; %bb.236:
	s_and_b32 s29, 0xffff, s29
	s_cmp_lt_i32 s29, 5
	s_mov_b64 s[40:41], -1
	s_cbranch_scc1 .LBB23_257
; %bb.237:
	s_cmp_lt_i32 s29, 8
	s_cbranch_scc1 .LBB23_247
; %bb.238:
	s_cmp_lt_i32 s29, 9
	s_cbranch_scc1 .LBB23_244
; %bb.239:
	s_cmp_gt_i32 s29, 9
	s_cbranch_scc0 .LBB23_241
; %bb.240:
	s_mov_b32 s40, 0xffff
	v_and_b32_sdwa v3, s40, v2 dst_sel:DWORD dst_unused:UNUSED_PAD src0_sel:DWORD src1_sel:BYTE_0
	v_cvt_f64_u32_e32 v[3:4], v3
	v_mov_b32_e32 v5, 0
	v_mov_b32_e32 v6, v5
	s_mov_b64 s[40:41], 0
	global_store_dwordx4 v[0:1], v[3:6], off
.LBB23_241:
	s_andn2_b64 vcc, exec, s[40:41]
	s_cbranch_vccnz .LBB23_243
; %bb.242:
	v_cvt_f32_ubyte0_e32 v3, v2
	v_mov_b32_e32 v4, 0
	global_store_dwordx2 v[0:1], v[3:4], off
.LBB23_243:
	s_mov_b64 s[40:41], 0
.LBB23_244:
	s_andn2_b64 vcc, exec, s[40:41]
	s_cbranch_vccnz .LBB23_246
; %bb.245:
	v_cvt_f16_u16_sdwa v3, v2 dst_sel:DWORD dst_unused:UNUSED_PAD src0_sel:BYTE_0
	global_store_dword v[0:1], v3, off
.LBB23_246:
	s_mov_b64 s[40:41], 0
.LBB23_247:
	s_andn2_b64 vcc, exec, s[40:41]
	s_cbranch_vccnz .LBB23_256
; %bb.248:
	s_cmp_lt_i32 s29, 6
	s_mov_b64 s[40:41], -1
	s_cbranch_scc1 .LBB23_254
; %bb.249:
	s_cmp_gt_i32 s29, 6
	s_cbranch_scc0 .LBB23_251
; %bb.250:
	s_mov_b32 s40, 0xffff
	v_and_b32_sdwa v3, s40, v2 dst_sel:DWORD dst_unused:UNUSED_PAD src0_sel:DWORD src1_sel:BYTE_0
	v_cvt_f64_u32_e32 v[3:4], v3
	s_mov_b64 s[40:41], 0
	global_store_dwordx2 v[0:1], v[3:4], off
.LBB23_251:
	s_andn2_b64 vcc, exec, s[40:41]
	s_cbranch_vccnz .LBB23_253
; %bb.252:
	v_cvt_f32_ubyte0_e32 v3, v2
	global_store_dword v[0:1], v3, off
.LBB23_253:
	s_mov_b64 s[40:41], 0
.LBB23_254:
	s_andn2_b64 vcc, exec, s[40:41]
	s_cbranch_vccnz .LBB23_256
; %bb.255:
	v_cvt_f16_u16_sdwa v3, v2 dst_sel:DWORD dst_unused:UNUSED_PAD src0_sel:BYTE_0
	global_store_short v[0:1], v3, off
.LBB23_256:
	s_mov_b64 s[40:41], 0
.LBB23_257:
	s_andn2_b64 vcc, exec, s[40:41]
	s_cbranch_vccnz .LBB23_273
; %bb.258:
	s_cmp_lt_i32 s29, 2
	s_mov_b64 s[40:41], -1
	s_cbranch_scc1 .LBB23_268
; %bb.259:
	s_cmp_lt_i32 s29, 3
	s_cbranch_scc1 .LBB23_265
; %bb.260:
	s_cmp_gt_i32 s29, 3
	s_cbranch_scc0 .LBB23_262
; %bb.261:
	v_and_b32_e32 v3, 0xff, v2
	v_mov_b32_e32 v4, 0
	global_store_dwordx2 v[0:1], v[3:4], off
	s_mov_b64 s[40:41], 0
.LBB23_262:
	s_andn2_b64 vcc, exec, s[40:41]
	s_cbranch_vccnz .LBB23_264
; %bb.263:
	v_and_b32_e32 v3, 0xff, v2
	global_store_dword v[0:1], v3, off
.LBB23_264:
	s_mov_b64 s[40:41], 0
.LBB23_265:
	s_andn2_b64 vcc, exec, s[40:41]
	s_cbranch_vccnz .LBB23_267
; %bb.266:
	v_and_b32_e32 v3, 0xff, v2
	global_store_short v[0:1], v3, off
.LBB23_267:
	s_mov_b64 s[40:41], 0
.LBB23_268:
	s_andn2_b64 vcc, exec, s[40:41]
	s_cbranch_vccnz .LBB23_273
; %bb.269:
	s_cmp_gt_i32 s29, 0
	s_mov_b64 s[40:41], -1
	s_cbranch_scc0 .LBB23_271
; %bb.270:
	global_store_byte v[0:1], v2, off
	s_mov_b64 s[40:41], 0
.LBB23_271:
	s_andn2_b64 vcc, exec, s[40:41]
	s_cbranch_vccnz .LBB23_273
; %bb.272:
	global_store_byte v[0:1], v2, off
.LBB23_273:
	s_mov_b64 s[40:41], -1
.LBB23_274:
	s_andn2_b64 vcc, exec, s[40:41]
	s_cbranch_vccnz .LBB23_276
; %bb.275:
	v_add_u32_e32 v10, 0x80, v10
	s_mov_b64 s[48:49], -1
	s_branch .LBB23_385
.LBB23_276:
	s_mov_b64 s[48:49], 0
                                        ; implicit-def: $vgpr10
	s_branch .LBB23_385
.LBB23_277:
	s_mov_b64 s[42:43], -1
                                        ; implicit-def: $vgpr4
.LBB23_278:
	s_mov_b64 s[40:41], 0
.LBB23_279:
	s_and_b64 vcc, exec, s[40:41]
	s_cbranch_vccz .LBB23_283
; %bb.280:
	s_cmp_eq_u32 s48, 29
	s_cbranch_scc0 .LBB23_282
; %bb.281:
	global_load_dwordx2 v[4:5], v[2:3], off
	s_mov_b64 s[0:1], -1
	s_mov_b64 s[42:43], 0
	s_branch .LBB23_283
.LBB23_282:
	s_mov_b64 s[42:43], -1
                                        ; implicit-def: $vgpr4
.LBB23_283:
	s_mov_b64 s[40:41], 0
.LBB23_284:
	s_and_b64 vcc, exec, s[40:41]
	s_cbranch_vccz .LBB23_300
; %bb.285:
	s_cmp_lt_i32 s48, 27
	s_cbranch_scc1 .LBB23_288
; %bb.286:
	s_cmp_gt_i32 s48, 27
	s_cbranch_scc0 .LBB23_289
; %bb.287:
	global_load_dword v4, v[2:3], off
	s_mov_b64 s[0:1], 0
	s_branch .LBB23_290
.LBB23_288:
	s_mov_b64 s[0:1], -1
                                        ; implicit-def: $vgpr4
	s_branch .LBB23_293
.LBB23_289:
	s_mov_b64 s[0:1], -1
                                        ; implicit-def: $vgpr4
.LBB23_290:
	s_andn2_b64 vcc, exec, s[0:1]
	s_cbranch_vccnz .LBB23_292
; %bb.291:
	global_load_ushort v4, v[2:3], off
.LBB23_292:
	s_mov_b64 s[0:1], 0
.LBB23_293:
	s_andn2_b64 vcc, exec, s[0:1]
	s_cbranch_vccnz .LBB23_299
; %bb.294:
	global_load_ubyte v5, v[2:3], off
	s_movk_i32 s0, 0x7f
	s_mov_b64 s[40:41], 0
	s_waitcnt vmcnt(0)
	v_cmp_lt_i16_e32 vcc, s0, v5
	s_and_saveexec_b64 s[0:1], vcc
	s_xor_b64 s[0:1], exec, s[0:1]
	s_cbranch_execz .LBB23_311
; %bb.295:
	s_movk_i32 s40, 0x80
	v_cmp_ne_u16_e32 vcc, s40, v5
	s_and_b64 s[40:41], vcc, exec
	s_andn2_saveexec_b64 s[0:1], s[0:1]
	s_cbranch_execnz .LBB23_312
.LBB23_296:
	s_or_b64 exec, exec, s[0:1]
	v_mov_b32_e32 v4, 0
	s_and_saveexec_b64 s[0:1], s[40:41]
	s_cbranch_execz .LBB23_298
.LBB23_297:
	v_lshlrev_b32_e32 v4, 24, v5
	v_and_b32_e32 v5, 0xffff, v5
	v_and_b32_e32 v6, 7, v5
	v_ffbh_u32_e32 v8, v6
	v_min_u32_e32 v8, 32, v8
	v_subrev_u32_e32 v9, 28, v8
	v_bfe_u32 v7, v5, 3, 4
	v_lshlrev_b32_e32 v5, v9, v5
	v_sub_u32_e32 v8, 29, v8
	v_and_b32_e32 v5, 7, v5
	v_cmp_eq_u32_e32 vcc, 0, v7
	v_cndmask_b32_e32 v7, v7, v8, vcc
	v_cndmask_b32_e32 v5, v6, v5, vcc
	v_mov_b32_e32 v6, 0x3b800000
	v_lshlrev_b32_e32 v5, 20, v5
	v_and_b32_e32 v4, 0x80000000, v4
	v_lshl_add_u32 v6, v7, 23, v6
	v_or3_b32 v4, v4, v6, v5
	v_trunc_f32_e32 v4, v4
	s_mov_b32 s40, 0x2f800000
	v_mul_f32_e64 v5, |v4|, s40
	v_floor_f32_e32 v5, v5
	s_mov_b32 s40, 0xcf800000
	v_fma_f32 v5, v5, s40, |v4|
	v_cvt_u32_f32_e32 v5, v5
	v_ashrrev_i32_e32 v4, 31, v4
	v_xor_b32_e32 v5, v5, v4
	v_sub_u32_e32 v4, v5, v4
.LBB23_298:
	s_or_b64 exec, exec, s[0:1]
.LBB23_299:
	s_mov_b64 s[0:1], -1
.LBB23_300:
	s_mov_b64 s[40:41], 0
.LBB23_301:
	s_and_b64 vcc, exec, s[40:41]
	s_cbranch_vccz .LBB23_334
; %bb.302:
	s_cmp_gt_i32 s48, 22
	s_cbranch_scc0 .LBB23_310
; %bb.303:
	s_cmp_lt_i32 s48, 24
	s_cbranch_scc1 .LBB23_313
; %bb.304:
	s_cmp_gt_i32 s48, 24
	s_cbranch_scc0 .LBB23_314
; %bb.305:
	global_load_ubyte v5, v[2:3], off
	s_movk_i32 s0, 0x7f
	s_mov_b64 s[40:41], 0
	s_waitcnt vmcnt(0)
	v_cmp_lt_i16_e32 vcc, s0, v5
	s_and_saveexec_b64 s[0:1], vcc
	s_xor_b64 s[0:1], exec, s[0:1]
	s_cbranch_execz .LBB23_326
; %bb.306:
	s_movk_i32 s40, 0x80
	v_cmp_ne_u16_e32 vcc, s40, v5
	s_and_b64 s[40:41], vcc, exec
	s_andn2_saveexec_b64 s[0:1], s[0:1]
	s_cbranch_execnz .LBB23_327
.LBB23_307:
	s_or_b64 exec, exec, s[0:1]
	v_mov_b32_e32 v4, 0
	s_and_saveexec_b64 s[0:1], s[40:41]
	s_cbranch_execz .LBB23_309
.LBB23_308:
	v_lshlrev_b32_e32 v4, 24, v5
	v_and_b32_e32 v5, 0xffff, v5
	v_and_b32_e32 v6, 3, v5
	v_ffbh_u32_e32 v8, v6
	v_min_u32_e32 v8, 32, v8
	v_subrev_u32_e32 v9, 29, v8
	v_bfe_u32 v7, v5, 2, 5
	v_lshlrev_b32_e32 v5, v9, v5
	v_sub_u32_e32 v8, 30, v8
	v_and_b32_e32 v5, 3, v5
	v_cmp_eq_u32_e32 vcc, 0, v7
	v_cndmask_b32_e32 v7, v7, v8, vcc
	v_cndmask_b32_e32 v5, v6, v5, vcc
	v_mov_b32_e32 v6, 0x37800000
	v_lshlrev_b32_e32 v5, 21, v5
	v_and_b32_e32 v4, 0x80000000, v4
	v_lshl_add_u32 v6, v7, 23, v6
	v_or3_b32 v4, v4, v6, v5
	v_trunc_f32_e32 v4, v4
	s_mov_b32 s40, 0x2f800000
	v_mul_f32_e64 v5, |v4|, s40
	v_floor_f32_e32 v5, v5
	s_mov_b32 s40, 0xcf800000
	v_fma_f32 v5, v5, s40, |v4|
	v_cvt_u32_f32_e32 v5, v5
	v_ashrrev_i32_e32 v4, 31, v4
	v_xor_b32_e32 v5, v5, v4
	v_sub_u32_e32 v4, v5, v4
.LBB23_309:
	s_or_b64 exec, exec, s[0:1]
	s_mov_b64 s[0:1], 0
	s_branch .LBB23_315
.LBB23_310:
	s_mov_b64 s[40:41], -1
                                        ; implicit-def: $vgpr4
	s_branch .LBB23_321
.LBB23_311:
	s_andn2_saveexec_b64 s[0:1], s[0:1]
	s_cbranch_execz .LBB23_296
.LBB23_312:
	v_cmp_ne_u16_e32 vcc, 0, v5
	s_andn2_b64 s[40:41], s[40:41], exec
	s_and_b64 s[52:53], vcc, exec
	s_or_b64 s[40:41], s[40:41], s[52:53]
	s_or_b64 exec, exec, s[0:1]
	v_mov_b32_e32 v4, 0
	s_and_saveexec_b64 s[0:1], s[40:41]
	s_cbranch_execnz .LBB23_297
	s_branch .LBB23_298
.LBB23_313:
	s_mov_b64 s[0:1], -1
                                        ; implicit-def: $vgpr4
	s_branch .LBB23_318
.LBB23_314:
	s_mov_b64 s[0:1], -1
                                        ; implicit-def: $vgpr4
.LBB23_315:
	s_and_b64 vcc, exec, s[0:1]
	s_cbranch_vccz .LBB23_317
; %bb.316:
	global_load_ubyte v4, v[2:3], off
	s_mov_b32 s0, 0x7f800000
	s_brev_b32 s1, 1
	s_mov_b32 s40, 0x2f800000
	s_waitcnt vmcnt(0)
	v_lshlrev_b32_e32 v4, 24, v4
	v_and_b32_e32 v5, 0x7f000000, v4
	v_ffbh_u32_e32 v6, v5
	v_min_u32_e32 v6, 32, v6
	v_sub_u32_e64 v6, v6, 4 clamp
	v_lshlrev_b32_e32 v8, v6, v5
	v_lshlrev_b32_e32 v6, 23, v6
	v_lshrrev_b32_e32 v8, 4, v8
	v_add_u32_e32 v7, 0x1000000, v5
	v_sub_u32_e32 v6, v8, v6
	v_ashrrev_i32_e32 v7, 8, v7
	v_add_u32_e32 v6, 0x3c000000, v6
	v_and_or_b32 v6, v7, s0, v6
	v_cmp_ne_u32_e32 vcc, 0, v5
	v_cndmask_b32_e32 v5, 0, v6, vcc
	v_and_or_b32 v4, v4, s1, v5
	v_trunc_f32_e32 v4, v4
	v_mul_f32_e64 v5, |v4|, s40
	v_floor_f32_e32 v5, v5
	s_mov_b32 s0, 0xcf800000
	v_fma_f32 v5, v5, s0, |v4|
	v_cvt_u32_f32_e32 v5, v5
	v_ashrrev_i32_e32 v4, 31, v4
	v_xor_b32_e32 v5, v5, v4
	v_sub_u32_e32 v4, v5, v4
.LBB23_317:
	s_mov_b64 s[0:1], 0
.LBB23_318:
	s_andn2_b64 vcc, exec, s[0:1]
	s_cbranch_vccnz .LBB23_320
; %bb.319:
	global_load_ubyte v4, v[2:3], off
	s_movk_i32 s0, 0x7f00
	s_brev_b32 s1, 16
	s_brev_b32 s40, 1
	s_mov_b32 s41, 0x2f800000
	s_waitcnt vmcnt(0)
	v_lshlrev_b16_e32 v5, 8, v4
	v_lshlrev_b32_e32 v4, 25, v4
	v_lshrrev_b32_e32 v6, 4, v4
	v_and_or_b32 v7, v5, s0, 0.5
	v_or_b32_e32 v6, 0x70000000, v6
	v_add_f32_e32 v7, -0.5, v7
	v_mul_f32_e32 v6, 0x7800000, v6
	v_cmp_gt_u32_e32 vcc, s1, v4
	v_bfe_i32 v5, v5, 0, 16
	v_cndmask_b32_e32 v4, v6, v7, vcc
	v_and_or_b32 v4, v5, s40, v4
	v_trunc_f32_e32 v4, v4
	v_mul_f32_e64 v5, |v4|, s41
	v_floor_f32_e32 v5, v5
	s_mov_b32 s0, 0xcf800000
	v_fma_f32 v5, v5, s0, |v4|
	v_cvt_u32_f32_e32 v5, v5
	v_ashrrev_i32_e32 v4, 31, v4
	v_xor_b32_e32 v5, v5, v4
	v_sub_u32_e32 v4, v5, v4
.LBB23_320:
	s_mov_b64 s[40:41], 0
	s_mov_b64 s[0:1], -1
.LBB23_321:
	s_andn2_b64 vcc, exec, s[40:41]
	s_cbranch_vccnz .LBB23_334
; %bb.322:
	s_cmp_gt_i32 s48, 14
	s_cbranch_scc0 .LBB23_325
; %bb.323:
	s_cmp_eq_u32 s48, 15
	s_cbranch_scc0 .LBB23_328
; %bb.324:
	global_load_ushort v4, v[2:3], off
	s_mov_b32 s0, 0x2f800000
	s_mov_b32 s1, 0xcf800000
	s_mov_b64 s[42:43], 0
	s_waitcnt vmcnt(0)
	v_lshlrev_b32_e32 v4, 16, v4
	v_trunc_f32_e32 v4, v4
	v_mul_f32_e64 v5, |v4|, s0
	v_floor_f32_e32 v5, v5
	v_fma_f32 v5, v5, s1, |v4|
	v_cvt_u32_f32_e32 v5, v5
	v_ashrrev_i32_e32 v4, 31, v4
	s_mov_b64 s[0:1], -1
	v_xor_b32_e32 v5, v5, v4
	v_sub_u32_e32 v4, v5, v4
	s_branch .LBB23_329
.LBB23_325:
	s_mov_b64 s[40:41], -1
                                        ; implicit-def: $vgpr4
	s_branch .LBB23_330
.LBB23_326:
	s_andn2_saveexec_b64 s[0:1], s[0:1]
	s_cbranch_execz .LBB23_307
.LBB23_327:
	v_cmp_ne_u16_e32 vcc, 0, v5
	s_andn2_b64 s[40:41], s[40:41], exec
	s_and_b64 s[52:53], vcc, exec
	s_or_b64 s[40:41], s[40:41], s[52:53]
	s_or_b64 exec, exec, s[0:1]
	v_mov_b32_e32 v4, 0
	s_and_saveexec_b64 s[0:1], s[40:41]
	s_cbranch_execnz .LBB23_308
	s_branch .LBB23_309
.LBB23_328:
	s_mov_b64 s[42:43], -1
                                        ; implicit-def: $vgpr4
.LBB23_329:
	s_mov_b64 s[40:41], 0
.LBB23_330:
	s_and_b64 vcc, exec, s[40:41]
	s_cbranch_vccz .LBB23_334
; %bb.331:
	s_cmp_eq_u32 s48, 11
	s_cbranch_scc0 .LBB23_333
; %bb.332:
	global_load_ubyte v4, v[2:3], off
	s_mov_b64 s[0:1], -1
	s_mov_b64 s[42:43], 0
	s_waitcnt vmcnt(0)
	v_cmp_ne_u16_e32 vcc, 0, v4
	v_cndmask_b32_e64 v4, 0, 1, vcc
	s_branch .LBB23_334
.LBB23_333:
	s_mov_b64 s[42:43], -1
                                        ; implicit-def: $vgpr4
.LBB23_334:
	s_branch .LBB23_31
.LBB23_335:
	s_and_b32 s29, 0xffff, s29
	s_cmp_lt_i32 s29, 5
	s_cbranch_scc1 .LBB23_340
; %bb.336:
	s_cmp_lt_i32 s29, 8
	s_cbranch_scc1 .LBB23_341
; %bb.337:
	;; [unrolled: 3-line block ×3, first 2 shown]
	s_cmp_gt_i32 s29, 9
	s_cbranch_scc0 .LBB23_343
; %bb.339:
	global_load_dwordx2 v[4:5], v[2:3], off
	s_movk_i32 s0, 0xffe0
	s_waitcnt vmcnt(0)
	v_trunc_f64_e32 v[4:5], v[4:5]
	v_ldexp_f64 v[6:7], v[4:5], s0
	s_mov_b32 s0, 0
	s_mov_b32 s1, 0xc1f00000
	v_floor_f64_e32 v[6:7], v[6:7]
	v_fma_f64 v[4:5], v[6:7], s[0:1], v[4:5]
	s_mov_b64 s[0:1], 0
	v_cvt_u32_f64_e32 v4, v[4:5]
	s_branch .LBB23_344
.LBB23_340:
	s_mov_b64 s[0:1], -1
                                        ; implicit-def: $vgpr4
	s_branch .LBB23_362
.LBB23_341:
	s_mov_b64 s[0:1], -1
                                        ; implicit-def: $vgpr4
	s_branch .LBB23_350
.LBB23_342:
	s_mov_b64 s[0:1], -1
                                        ; implicit-def: $vgpr4
	s_branch .LBB23_347
.LBB23_343:
	s_mov_b64 s[0:1], -1
                                        ; implicit-def: $vgpr4
.LBB23_344:
	s_andn2_b64 vcc, exec, s[0:1]
	s_cbranch_vccnz .LBB23_346
; %bb.345:
	global_load_dword v4, v[2:3], off
	s_mov_b32 s0, 0x2f800000
	s_waitcnt vmcnt(0)
	v_trunc_f32_e32 v4, v4
	v_mul_f32_e64 v5, |v4|, s0
	v_floor_f32_e32 v5, v5
	s_mov_b32 s0, 0xcf800000
	v_fma_f32 v5, v5, s0, |v4|
	v_cvt_u32_f32_e32 v5, v5
	v_ashrrev_i32_e32 v4, 31, v4
	v_xor_b32_e32 v5, v5, v4
	v_sub_u32_e32 v4, v5, v4
.LBB23_346:
	s_mov_b64 s[0:1], 0
.LBB23_347:
	s_andn2_b64 vcc, exec, s[0:1]
	s_cbranch_vccnz .LBB23_349
; %bb.348:
	global_load_dword v4, v[2:3], off
	s_waitcnt vmcnt(0)
	v_cvt_f32_f16_e32 v4, v4
	v_cvt_i32_f32_e32 v4, v4
.LBB23_349:
	s_mov_b64 s[0:1], 0
.LBB23_350:
	s_andn2_b64 vcc, exec, s[0:1]
	s_cbranch_vccnz .LBB23_361
; %bb.351:
	s_cmp_lt_i32 s29, 6
	s_cbranch_scc1 .LBB23_354
; %bb.352:
	s_cmp_gt_i32 s29, 6
	s_cbranch_scc0 .LBB23_355
; %bb.353:
	global_load_dwordx2 v[4:5], v[2:3], off
	s_movk_i32 s0, 0xffe0
	s_waitcnt vmcnt(0)
	v_trunc_f64_e32 v[4:5], v[4:5]
	v_ldexp_f64 v[6:7], v[4:5], s0
	s_mov_b32 s0, 0
	s_mov_b32 s1, 0xc1f00000
	v_floor_f64_e32 v[6:7], v[6:7]
	v_fma_f64 v[4:5], v[6:7], s[0:1], v[4:5]
	s_mov_b64 s[0:1], 0
	v_cvt_u32_f64_e32 v4, v[4:5]
	s_branch .LBB23_356
.LBB23_354:
	s_mov_b64 s[0:1], -1
                                        ; implicit-def: $vgpr4
	s_branch .LBB23_359
.LBB23_355:
	s_mov_b64 s[0:1], -1
                                        ; implicit-def: $vgpr4
.LBB23_356:
	s_andn2_b64 vcc, exec, s[0:1]
	s_cbranch_vccnz .LBB23_358
; %bb.357:
	global_load_dword v4, v[2:3], off
	s_mov_b32 s0, 0x2f800000
	s_waitcnt vmcnt(0)
	v_trunc_f32_e32 v4, v4
	v_mul_f32_e64 v5, |v4|, s0
	v_floor_f32_e32 v5, v5
	s_mov_b32 s0, 0xcf800000
	v_fma_f32 v5, v5, s0, |v4|
	v_cvt_u32_f32_e32 v5, v5
	v_ashrrev_i32_e32 v4, 31, v4
	v_xor_b32_e32 v5, v5, v4
	v_sub_u32_e32 v4, v5, v4
.LBB23_358:
	s_mov_b64 s[0:1], 0
.LBB23_359:
	s_andn2_b64 vcc, exec, s[0:1]
	s_cbranch_vccnz .LBB23_361
; %bb.360:
	global_load_ushort v4, v[2:3], off
	s_waitcnt vmcnt(0)
	v_cvt_f32_f16_e32 v4, v4
	v_cvt_i32_f32_e32 v4, v4
.LBB23_361:
	s_mov_b64 s[0:1], 0
.LBB23_362:
	s_andn2_b64 vcc, exec, s[0:1]
	s_cbranch_vccnz .LBB23_382
; %bb.363:
	s_cmp_lt_i32 s29, 2
	s_cbranch_scc1 .LBB23_367
; %bb.364:
	s_cmp_lt_i32 s29, 3
	s_cbranch_scc1 .LBB23_368
; %bb.365:
	s_cmp_gt_i32 s29, 3
	s_cbranch_scc0 .LBB23_369
; %bb.366:
	global_load_dwordx2 v[4:5], v[2:3], off
	s_mov_b64 s[0:1], 0
	s_branch .LBB23_370
.LBB23_367:
	s_mov_b64 s[0:1], -1
                                        ; implicit-def: $vgpr4
	s_branch .LBB23_376
.LBB23_368:
	s_mov_b64 s[0:1], -1
                                        ; implicit-def: $vgpr4
	s_branch .LBB23_373
.LBB23_369:
	s_mov_b64 s[0:1], -1
                                        ; implicit-def: $vgpr4
.LBB23_370:
	s_andn2_b64 vcc, exec, s[0:1]
	s_cbranch_vccnz .LBB23_372
; %bb.371:
	global_load_dword v4, v[2:3], off
.LBB23_372:
	s_mov_b64 s[0:1], 0
.LBB23_373:
	s_andn2_b64 vcc, exec, s[0:1]
	s_cbranch_vccnz .LBB23_375
; %bb.374:
	global_load_ushort v4, v[2:3], off
.LBB23_375:
	s_mov_b64 s[0:1], 0
.LBB23_376:
	s_andn2_b64 vcc, exec, s[0:1]
	s_cbranch_vccnz .LBB23_382
; %bb.377:
	s_cmp_gt_i32 s29, 0
	s_cbranch_scc0 .LBB23_379
; %bb.378:
	global_load_ubyte v4, v[2:3], off
	s_mov_b64 s[0:1], 0
	s_branch .LBB23_380
.LBB23_379:
	s_mov_b64 s[0:1], -1
                                        ; implicit-def: $vgpr4
.LBB23_380:
	s_andn2_b64 vcc, exec, s[0:1]
	s_cbranch_vccnz .LBB23_382
; %bb.381:
	global_load_ubyte v4, v[2:3], off
.LBB23_382:
	s_branch .LBB23_32
.LBB23_383:
	s_mov_b64 s[0:1], 0
.LBB23_384:
                                        ; implicit-def: $vgpr10
	s_mov_b64 s[48:49], 0
.LBB23_385:
	s_and_b64 s[40:41], s[0:1], exec
	s_and_b64 s[42:43], s[42:43], exec
	;; [unrolled: 1-line block ×3, first 2 shown]
	s_orn2_b64 s[0:1], s[48:49], exec
.LBB23_386:
	s_or_b64 exec, exec, s[46:47]
	s_mov_b64 s[54:55], 0
	s_mov_b64 s[52:53], 0
                                        ; implicit-def: $sgpr29
                                        ; implicit-def: $vgpr4_vgpr5
                                        ; implicit-def: $vgpr0
                                        ; implicit-def: $vgpr3
                                        ; implicit-def: $vgpr1
	s_and_saveexec_b64 s[46:47], s[0:1]
	s_cbranch_execz .LBB23_394
; %bb.387:
	v_cmp_gt_i32_e32 vcc, s70, v10
	s_mov_b64 s[0:1], -1
	s_mov_b64 s[48:49], s[44:45]
	s_mov_b64 s[50:51], s[42:43]
	;; [unrolled: 1-line block ×3, first 2 shown]
	s_and_saveexec_b64 s[54:55], vcc
	s_cbranch_execz .LBB23_779
; %bb.388:
	s_andn2_b64 vcc, exec, s[24:25]
	s_cbranch_vccnz .LBB23_397
; %bb.389:
	s_andn2_b64 vcc, exec, s[38:39]
	s_cbranch_vccnz .LBB23_398
; %bb.390:
	s_add_i32 s0, s75, 1
	s_and_b32 s29, s0, 30
	s_add_u32 s0, s2, 0xffffffe8
	s_addc_u32 s1, s3, -1
	v_mov_b32_e32 v3, 0
	s_waitcnt vmcnt(0)
	v_mov_b32_e32 v5, 0
	v_mov_b32_e32 v0, 0
	;; [unrolled: 1-line block ×3, first 2 shown]
.LBB23_391:                             ; =>This Inner Loop Header: Depth=1
	s_load_dwordx4 s[48:51], s[0:1], 0x1c
	s_load_dwordx2 s[52:53], s[0:1], 0x2c
	s_load_dwordx2 s[60:61], s[0:1], 0xec
	s_load_dwordx4 s[56:59], s[0:1], 0xdc
	s_add_u32 s0, s0, 24
	s_waitcnt lgkmcnt(0)
	v_mul_hi_u32 v2, s49, v1
	s_addc_u32 s1, s1, 0
	s_add_i32 s29, s29, -2
	s_cmp_eq_u32 s29, 0
	v_add_u32_e32 v2, v1, v2
	v_lshrrev_b32_e32 v2, s50, v2
	v_mul_lo_u32 v4, v2, s48
	v_mul_hi_u32 v6, s52, v2
	v_sub_u32_e32 v4, v1, v4
	v_add_u32_e32 v1, v2, v6
	v_lshrrev_b32_e32 v1, s53, v1
	v_mul_lo_u32 v8, v1, s51
	v_mul_lo_u32 v6, v4, s56
	;; [unrolled: 1-line block ×4, first 2 shown]
	v_sub_u32_e32 v2, v2, v8
	v_mul_lo_u32 v8, v2, s59
	v_mul_lo_u32 v9, v2, s60
	v_mul_lo_u32 v2, v2, s61
	v_add3_u32 v0, v6, v0, v8
	v_add3_u32 v5, v7, v5, v9
	;; [unrolled: 1-line block ×3, first 2 shown]
	s_cbranch_scc0 .LBB23_391
; %bb.392:
	s_bitcmp1_b32 s75, 0
	s_cselect_b64 s[48:49], -1, 0
	s_and_b64 vcc, exec, s[48:49]
	s_cbranch_vccnz .LBB23_399
; %bb.393:
	s_load_dwordx2 s[48:49], s[0:1], 0x1c
	s_load_dword s29, s[0:1], 0x24
	s_load_dwordx2 s[50:51], s[0:1], 0xdc
	s_waitcnt lgkmcnt(0)
	v_mul_hi_u32 v2, s49, v1
	v_add_u32_e32 v2, v1, v2
	v_lshrrev_b32_e32 v2, s29, v2
	v_mul_lo_u32 v2, v2, s48
	s_load_dword s29, s[0:1], 0xe4
	v_sub_u32_e32 v2, v1, v2
	v_mad_u64_u32 v[0:1], s[0:1], v2, s50, v[0:1]
	v_mad_u64_u32 v[5:6], s[0:1], v2, s51, v[5:6]
	s_waitcnt lgkmcnt(0)
	v_mad_u64_u32 v[3:4], s[0:1], v2, s29, v[3:4]
	s_branch .LBB23_399
.LBB23_394:
	s_or_b64 exec, exec, s[46:47]
	s_mov_b64 s[10:11], 0
	s_and_saveexec_b64 s[0:1], s[44:45]
	s_cbranch_execnz .LBB23_1265
.LBB23_395:
	s_or_b64 exec, exec, s[0:1]
	s_and_saveexec_b64 s[0:1], s[50:51]
	s_xor_b64 s[0:1], exec, s[0:1]
	s_cbranch_execz .LBB23_1266
.LBB23_396:
	s_waitcnt vmcnt(0)
	global_load_ubyte v1, v[4:5], off
	s_or_b64 s[52:53], s[52:53], exec
	s_waitcnt vmcnt(0)
	v_cmp_ne_u16_e32 vcc, 0, v1
	v_cndmask_b32_e64 v1, 0, 1, vcc
	s_or_b64 exec, exec, s[0:1]
	s_and_saveexec_b64 s[0:1], s[54:55]
	s_cbranch_execz .LBB23_1312
	s_branch .LBB23_1267
.LBB23_397:
                                        ; implicit-def: $vgpr0
                                        ; implicit-def: $vgpr5
                                        ; implicit-def: $vgpr3
	s_andn2_b64 vcc, exec, s[0:1]
	s_cbranch_vccz .LBB23_400
	s_branch .LBB23_402
.LBB23_398:
	v_mov_b32_e32 v0, 0
	s_waitcnt vmcnt(0)
	v_mov_b32_e32 v5, 0
	v_mov_b32_e32 v3, 0
.LBB23_399:
	s_cbranch_execnz .LBB23_402
.LBB23_400:
	v_mul_hi_u32 v0, s17, v10
	s_andn2_b64 vcc, exec, s[36:37]
	v_add_u32_e32 v0, v10, v0
	s_waitcnt vmcnt(0)
	v_lshrrev_b32_e32 v1, s18, v0
	v_mul_lo_u32 v0, v1, s16
	v_sub_u32_e32 v2, v10, v0
	v_mul_lo_u32 v0, v2, s20
	v_mul_lo_u32 v5, v2, s21
	;; [unrolled: 1-line block ×3, first 2 shown]
	s_cbranch_vccnz .LBB23_402
; %bb.401:
	v_mul_hi_u32 v2, s34, v1
	v_add_u32_e32 v2, v1, v2
	v_lshrrev_b32_e32 v2, s35, v2
	v_mul_lo_u32 v2, v2, s19
	v_sub_u32_e32 v2, v1, v2
	v_mad_u64_u32 v[0:1], s[0:1], v2, s23, v[0:1]
	v_mad_u64_u32 v[5:6], s[0:1], v2, s30, v[5:6]
	;; [unrolled: 1-line block ×3, first 2 shown]
.LBB23_402:
	s_waitcnt vmcnt(0)
	v_mov_b32_e32 v1, s11
	s_and_b32 s29, s28, 0xff
	v_add_co_u32_e32 v4, vcc, s10, v5
	s_cmp_lt_i32 s29, 11
	v_addc_co_u32_e32 v5, vcc, 0, v1, vcc
	s_cbranch_scc1 .LBB23_409
; %bb.403:
	s_and_b32 s52, 0xffff, s29
	s_cmp_gt_i32 s52, 25
	s_cbranch_scc0 .LBB23_418
; %bb.404:
	s_cmp_gt_i32 s52, 28
	s_cbranch_scc0 .LBB23_420
; %bb.405:
	;; [unrolled: 3-line block ×4, first 2 shown]
	s_cmp_eq_u32 s52, 46
	s_mov_b64 s[50:51], 0
	s_cbranch_scc0 .LBB23_428
; %bb.408:
	global_load_dword v1, v[4:5], off
	s_mov_b32 s0, 0x2f800000
	s_mov_b32 s1, 0xcf800000
	s_mov_b64 s[48:49], 0
	s_waitcnt vmcnt(0)
	v_lshlrev_b32_e32 v1, 16, v1
	v_trunc_f32_e32 v1, v1
	v_mul_f32_e64 v2, |v1|, s0
	v_floor_f32_e32 v2, v2
	v_fma_f32 v2, v2, s1, |v1|
	v_cvt_u32_f32_e32 v2, v2
	v_ashrrev_i32_e32 v1, 31, v1
	s_mov_b64 s[0:1], -1
	v_xor_b32_e32 v2, v2, v1
	v_sub_u32_e32 v1, v2, v1
	s_branch .LBB23_429
.LBB23_409:
	s_mov_b64 s[0:1], 0
                                        ; implicit-def: $vgpr1
	s_mov_b64 s[48:49], s[44:45]
	s_cbranch_execnz .LBB23_491
.LBB23_410:
	s_andn2_b64 vcc, exec, s[0:1]
	s_cbranch_vccnz .LBB23_539
.LBB23_411:
	v_mov_b32_e32 v4, s13
	s_and_b32 s29, s15, 0xff
	s_waitcnt vmcnt(0)
	v_add_co_u32_e32 v2, vcc, s12, v3
	s_cmp_lt_i32 s29, 11
	v_addc_co_u32_e32 v3, vcc, 0, v4, vcc
	s_cbranch_scc1 .LBB23_419
; %bb.412:
	s_and_b32 s56, 0xffff, s29
	s_cmp_gt_i32 s56, 25
	s_cbranch_scc0 .LBB23_421
; %bb.413:
	s_cmp_gt_i32 s56, 28
	s_cbranch_scc0 .LBB23_423
; %bb.414:
	;; [unrolled: 3-line block ×4, first 2 shown]
	s_cmp_eq_u32 s56, 46
	s_mov_b64 s[52:53], 0
	s_cbranch_scc0 .LBB23_543
; %bb.417:
	global_load_dword v4, v[2:3], off
	s_mov_b32 s0, 0x2f800000
	s_mov_b32 s1, 0xcf800000
	s_mov_b64 s[50:51], 0
	s_waitcnt vmcnt(0)
	v_lshlrev_b32_e32 v4, 16, v4
	v_trunc_f32_e32 v4, v4
	v_mul_f32_e64 v5, |v4|, s0
	v_floor_f32_e32 v5, v5
	v_fma_f32 v5, v5, s1, |v4|
	v_cvt_u32_f32_e32 v5, v5
	v_ashrrev_i32_e32 v4, 31, v4
	s_mov_b64 s[0:1], -1
	v_xor_b32_e32 v5, v5, v4
	v_sub_u32_e32 v4, v5, v4
	s_branch .LBB23_544
.LBB23_418:
	s_mov_b64 s[50:51], -1
	s_mov_b64 s[0:1], 0
	s_mov_b64 s[48:49], s[44:45]
                                        ; implicit-def: $vgpr1
	s_branch .LBB23_457
.LBB23_419:
	s_mov_b64 s[52:53], -1
	s_mov_b64 s[0:1], 0
                                        ; implicit-def: $vgpr4
	s_mov_b64 s[50:51], s[42:43]
	s_branch .LBB23_605
.LBB23_420:
	s_mov_b64 s[50:51], -1
	s_mov_b64 s[0:1], 0
	s_mov_b64 s[48:49], s[44:45]
                                        ; implicit-def: $vgpr1
	s_branch .LBB23_440
.LBB23_421:
	s_mov_b64 s[52:53], -1
	s_mov_b64 s[0:1], 0
	s_mov_b64 s[50:51], s[42:43]
                                        ; implicit-def: $vgpr4
	s_branch .LBB23_571
.LBB23_422:
	s_mov_b64 s[50:51], -1
	s_mov_b64 s[0:1], 0
	s_mov_b64 s[48:49], s[44:45]
                                        ; implicit-def: $vgpr1
	s_branch .LBB23_435
.LBB23_423:
	s_mov_b64 s[52:53], -1
	s_mov_b64 s[0:1], 0
	s_mov_b64 s[50:51], s[42:43]
                                        ; implicit-def: $vgpr4
	s_branch .LBB23_554
.LBB23_424:
	s_mov_b64 s[50:51], -1
	s_mov_b64 s[0:1], 0
	s_mov_b64 s[48:49], s[44:45]
                                        ; implicit-def: $vgpr1
	s_branch .LBB23_429
.LBB23_425:
	s_mov_b64 s[52:53], -1
	s_mov_b64 s[0:1], 0
	s_mov_b64 s[50:51], s[42:43]
                                        ; implicit-def: $vgpr4
	s_branch .LBB23_549
.LBB23_426:
	s_andn2_saveexec_b64 s[52:53], s[52:53]
	s_cbranch_execz .LBB23_187
.LBB23_427:
	v_add_f32_e32 v3, 0x46000000, v4
	v_and_b32_e32 v3, 0xff, v3
	v_cmp_ne_u32_e32 vcc, 0, v3
	s_andn2_b64 s[48:49], s[48:49], exec
	s_and_b64 s[56:57], vcc, exec
	s_or_b64 s[48:49], s[48:49], s[56:57]
	s_or_b64 exec, exec, s[52:53]
	v_mov_b32_e32 v5, 0
	s_and_saveexec_b64 s[52:53], s[48:49]
	s_cbranch_execnz .LBB23_188
	s_branch .LBB23_189
.LBB23_428:
	s_mov_b64 s[48:49], -1
                                        ; implicit-def: $vgpr1
	s_mov_b64 s[0:1], 0
.LBB23_429:
	s_and_b64 vcc, exec, s[50:51]
	s_cbranch_vccz .LBB23_434
; %bb.430:
	s_cmp_eq_u32 s52, 44
	s_cbranch_scc0 .LBB23_433
; %bb.431:
	global_load_ubyte v1, v[4:5], off
	s_mov_b32 s0, 0x2f800000
	s_mov_b32 s1, 0xcf800000
	s_mov_b64 s[48:49], 0
	s_waitcnt vmcnt(0)
	v_lshlrev_b32_e32 v2, 23, v1
	v_trunc_f32_e32 v2, v2
	v_mul_f32_e64 v6, |v2|, s0
	v_floor_f32_e32 v6, v6
	v_fma_f32 v6, v6, s1, |v2|
	v_cvt_u32_f32_e32 v6, v6
	v_ashrrev_i32_e32 v2, 31, v2
	v_cmp_ne_u32_e32 vcc, 0, v1
	s_mov_b64 s[0:1], -1
	v_xor_b32_e32 v6, v6, v2
	v_sub_u32_e32 v2, v6, v2
	v_cndmask_b32_e32 v1, 0, v2, vcc
	s_branch .LBB23_434
.LBB23_432:
	s_mov_b64 s[52:53], -1
	s_mov_b64 s[0:1], 0
	s_mov_b64 s[50:51], s[42:43]
                                        ; implicit-def: $vgpr4
	s_branch .LBB23_544
.LBB23_433:
	s_mov_b64 s[48:49], -1
                                        ; implicit-def: $vgpr1
.LBB23_434:
	s_mov_b64 s[50:51], 0
.LBB23_435:
	s_and_b64 vcc, exec, s[50:51]
	s_cbranch_vccz .LBB23_439
; %bb.436:
	s_cmp_eq_u32 s52, 29
	s_cbranch_scc0 .LBB23_438
; %bb.437:
	global_load_dwordx2 v[1:2], v[4:5], off
	s_mov_b64 s[0:1], -1
	s_mov_b64 s[48:49], 0
	s_branch .LBB23_439
.LBB23_438:
	s_mov_b64 s[48:49], -1
                                        ; implicit-def: $vgpr1
.LBB23_439:
	s_mov_b64 s[50:51], 0
.LBB23_440:
	s_and_b64 vcc, exec, s[50:51]
	s_cbranch_vccz .LBB23_456
; %bb.441:
	s_cmp_lt_i32 s52, 27
	s_cbranch_scc1 .LBB23_444
; %bb.442:
	s_cmp_gt_i32 s52, 27
	s_cbranch_scc0 .LBB23_445
; %bb.443:
	global_load_dword v1, v[4:5], off
	s_mov_b64 s[0:1], 0
	s_branch .LBB23_446
.LBB23_444:
	s_mov_b64 s[0:1], -1
                                        ; implicit-def: $vgpr1
	s_branch .LBB23_449
.LBB23_445:
	s_mov_b64 s[0:1], -1
                                        ; implicit-def: $vgpr1
.LBB23_446:
	s_andn2_b64 vcc, exec, s[0:1]
	s_cbranch_vccnz .LBB23_448
; %bb.447:
	global_load_ushort v1, v[4:5], off
.LBB23_448:
	s_mov_b64 s[0:1], 0
.LBB23_449:
	s_andn2_b64 vcc, exec, s[0:1]
	s_cbranch_vccnz .LBB23_455
; %bb.450:
	global_load_ubyte v2, v[4:5], off
	s_movk_i32 s0, 0x7f
	s_mov_b64 s[50:51], 0
	s_waitcnt vmcnt(0)
	v_cmp_lt_i16_e32 vcc, s0, v2
	s_and_saveexec_b64 s[0:1], vcc
	s_xor_b64 s[0:1], exec, s[0:1]
	s_cbranch_execz .LBB23_467
; %bb.451:
	s_movk_i32 s50, 0x80
	v_cmp_ne_u16_e32 vcc, s50, v2
	s_and_b64 s[50:51], vcc, exec
	s_andn2_saveexec_b64 s[0:1], s[0:1]
	s_cbranch_execnz .LBB23_468
.LBB23_452:
	s_or_b64 exec, exec, s[0:1]
	v_mov_b32_e32 v1, 0
	s_and_saveexec_b64 s[0:1], s[50:51]
	s_cbranch_execz .LBB23_454
.LBB23_453:
	v_lshlrev_b32_e32 v1, 24, v2
	v_and_b32_e32 v2, 0xffff, v2
	v_and_b32_e32 v6, 7, v2
	v_ffbh_u32_e32 v8, v6
	v_min_u32_e32 v8, 32, v8
	v_subrev_u32_e32 v9, 28, v8
	v_bfe_u32 v7, v2, 3, 4
	v_lshlrev_b32_e32 v2, v9, v2
	v_sub_u32_e32 v8, 29, v8
	v_and_b32_e32 v2, 7, v2
	v_cmp_eq_u32_e32 vcc, 0, v7
	v_cndmask_b32_e32 v7, v7, v8, vcc
	v_cndmask_b32_e32 v2, v6, v2, vcc
	v_mov_b32_e32 v6, 0x3b800000
	v_lshlrev_b32_e32 v2, 20, v2
	v_and_b32_e32 v1, 0x80000000, v1
	v_lshl_add_u32 v6, v7, 23, v6
	v_or3_b32 v1, v1, v6, v2
	v_trunc_f32_e32 v1, v1
	s_mov_b32 s50, 0x2f800000
	v_mul_f32_e64 v2, |v1|, s50
	v_floor_f32_e32 v2, v2
	s_mov_b32 s50, 0xcf800000
	v_fma_f32 v2, v2, s50, |v1|
	v_cvt_u32_f32_e32 v2, v2
	v_ashrrev_i32_e32 v1, 31, v1
	v_xor_b32_e32 v2, v2, v1
	v_sub_u32_e32 v1, v2, v1
.LBB23_454:
	s_or_b64 exec, exec, s[0:1]
.LBB23_455:
	s_mov_b64 s[0:1], -1
.LBB23_456:
	s_mov_b64 s[50:51], 0
.LBB23_457:
	s_and_b64 vcc, exec, s[50:51]
	s_cbranch_vccz .LBB23_490
; %bb.458:
	s_cmp_gt_i32 s52, 22
	s_cbranch_scc0 .LBB23_466
; %bb.459:
	s_cmp_lt_i32 s52, 24
	s_cbranch_scc1 .LBB23_469
; %bb.460:
	s_cmp_gt_i32 s52, 24
	s_cbranch_scc0 .LBB23_470
; %bb.461:
	global_load_ubyte v2, v[4:5], off
	s_movk_i32 s0, 0x7f
	s_mov_b64 s[50:51], 0
	s_waitcnt vmcnt(0)
	v_cmp_lt_i16_e32 vcc, s0, v2
	s_and_saveexec_b64 s[0:1], vcc
	s_xor_b64 s[0:1], exec, s[0:1]
	s_cbranch_execz .LBB23_482
; %bb.462:
	s_movk_i32 s50, 0x80
	v_cmp_ne_u16_e32 vcc, s50, v2
	s_and_b64 s[50:51], vcc, exec
	s_andn2_saveexec_b64 s[0:1], s[0:1]
	s_cbranch_execnz .LBB23_483
.LBB23_463:
	s_or_b64 exec, exec, s[0:1]
	v_mov_b32_e32 v1, 0
	s_and_saveexec_b64 s[0:1], s[50:51]
	s_cbranch_execz .LBB23_465
.LBB23_464:
	v_lshlrev_b32_e32 v1, 24, v2
	v_and_b32_e32 v2, 0xffff, v2
	v_and_b32_e32 v6, 3, v2
	v_ffbh_u32_e32 v8, v6
	v_min_u32_e32 v8, 32, v8
	v_subrev_u32_e32 v9, 29, v8
	v_bfe_u32 v7, v2, 2, 5
	v_lshlrev_b32_e32 v2, v9, v2
	v_sub_u32_e32 v8, 30, v8
	v_and_b32_e32 v2, 3, v2
	v_cmp_eq_u32_e32 vcc, 0, v7
	v_cndmask_b32_e32 v7, v7, v8, vcc
	v_cndmask_b32_e32 v2, v6, v2, vcc
	v_mov_b32_e32 v6, 0x37800000
	v_lshlrev_b32_e32 v2, 21, v2
	v_and_b32_e32 v1, 0x80000000, v1
	v_lshl_add_u32 v6, v7, 23, v6
	v_or3_b32 v1, v1, v6, v2
	v_trunc_f32_e32 v1, v1
	s_mov_b32 s50, 0x2f800000
	v_mul_f32_e64 v2, |v1|, s50
	v_floor_f32_e32 v2, v2
	s_mov_b32 s50, 0xcf800000
	v_fma_f32 v2, v2, s50, |v1|
	v_cvt_u32_f32_e32 v2, v2
	v_ashrrev_i32_e32 v1, 31, v1
	v_xor_b32_e32 v2, v2, v1
	v_sub_u32_e32 v1, v2, v1
.LBB23_465:
	s_or_b64 exec, exec, s[0:1]
	s_mov_b64 s[0:1], 0
	s_branch .LBB23_471
.LBB23_466:
	s_mov_b64 s[50:51], -1
                                        ; implicit-def: $vgpr1
	s_branch .LBB23_477
.LBB23_467:
	s_andn2_saveexec_b64 s[0:1], s[0:1]
	s_cbranch_execz .LBB23_452
.LBB23_468:
	v_cmp_ne_u16_e32 vcc, 0, v2
	s_andn2_b64 s[50:51], s[50:51], exec
	s_and_b64 s[56:57], vcc, exec
	s_or_b64 s[50:51], s[50:51], s[56:57]
	s_or_b64 exec, exec, s[0:1]
	v_mov_b32_e32 v1, 0
	s_and_saveexec_b64 s[0:1], s[50:51]
	s_cbranch_execnz .LBB23_453
	s_branch .LBB23_454
.LBB23_469:
	s_mov_b64 s[0:1], -1
                                        ; implicit-def: $vgpr1
	s_branch .LBB23_474
.LBB23_470:
	s_mov_b64 s[0:1], -1
                                        ; implicit-def: $vgpr1
.LBB23_471:
	s_and_b64 vcc, exec, s[0:1]
	s_cbranch_vccz .LBB23_473
; %bb.472:
	global_load_ubyte v1, v[4:5], off
	s_mov_b32 s0, 0x7f800000
	s_brev_b32 s1, 1
	s_mov_b32 s50, 0x2f800000
	s_waitcnt vmcnt(0)
	v_lshlrev_b32_e32 v1, 24, v1
	v_and_b32_e32 v2, 0x7f000000, v1
	v_ffbh_u32_e32 v6, v2
	v_min_u32_e32 v6, 32, v6
	v_sub_u32_e64 v6, v6, 4 clamp
	v_lshlrev_b32_e32 v8, v6, v2
	v_lshlrev_b32_e32 v6, 23, v6
	v_lshrrev_b32_e32 v8, 4, v8
	v_add_u32_e32 v7, 0x1000000, v2
	v_sub_u32_e32 v6, v8, v6
	v_ashrrev_i32_e32 v7, 8, v7
	v_add_u32_e32 v6, 0x3c000000, v6
	v_and_or_b32 v6, v7, s0, v6
	v_cmp_ne_u32_e32 vcc, 0, v2
	v_cndmask_b32_e32 v2, 0, v6, vcc
	v_and_or_b32 v1, v1, s1, v2
	v_trunc_f32_e32 v1, v1
	v_mul_f32_e64 v2, |v1|, s50
	v_floor_f32_e32 v2, v2
	s_mov_b32 s0, 0xcf800000
	v_fma_f32 v2, v2, s0, |v1|
	v_cvt_u32_f32_e32 v2, v2
	v_ashrrev_i32_e32 v1, 31, v1
	v_xor_b32_e32 v2, v2, v1
	v_sub_u32_e32 v1, v2, v1
.LBB23_473:
	s_mov_b64 s[0:1], 0
.LBB23_474:
	s_andn2_b64 vcc, exec, s[0:1]
	s_cbranch_vccnz .LBB23_476
; %bb.475:
	global_load_ubyte v1, v[4:5], off
	s_movk_i32 s0, 0x7f00
	s_brev_b32 s1, 16
	s_brev_b32 s50, 1
	s_mov_b32 s51, 0x2f800000
	s_waitcnt vmcnt(0)
	v_lshlrev_b16_e32 v2, 8, v1
	v_lshlrev_b32_e32 v1, 25, v1
	v_lshrrev_b32_e32 v6, 4, v1
	v_and_or_b32 v7, v2, s0, 0.5
	v_or_b32_e32 v6, 0x70000000, v6
	v_add_f32_e32 v7, -0.5, v7
	v_mul_f32_e32 v6, 0x7800000, v6
	v_cmp_gt_u32_e32 vcc, s1, v1
	v_bfe_i32 v2, v2, 0, 16
	v_cndmask_b32_e32 v1, v6, v7, vcc
	v_and_or_b32 v1, v2, s50, v1
	v_trunc_f32_e32 v1, v1
	v_mul_f32_e64 v2, |v1|, s51
	v_floor_f32_e32 v2, v2
	s_mov_b32 s0, 0xcf800000
	v_fma_f32 v2, v2, s0, |v1|
	v_cvt_u32_f32_e32 v2, v2
	v_ashrrev_i32_e32 v1, 31, v1
	v_xor_b32_e32 v2, v2, v1
	v_sub_u32_e32 v1, v2, v1
.LBB23_476:
	s_mov_b64 s[50:51], 0
	s_mov_b64 s[0:1], -1
.LBB23_477:
	s_andn2_b64 vcc, exec, s[50:51]
	s_cbranch_vccnz .LBB23_490
; %bb.478:
	s_cmp_gt_i32 s52, 14
	s_cbranch_scc0 .LBB23_481
; %bb.479:
	s_cmp_eq_u32 s52, 15
	s_cbranch_scc0 .LBB23_484
; %bb.480:
	global_load_ushort v1, v[4:5], off
	s_mov_b32 s0, 0x2f800000
	s_mov_b32 s1, 0xcf800000
	s_mov_b64 s[48:49], 0
	s_waitcnt vmcnt(0)
	v_lshlrev_b32_e32 v1, 16, v1
	v_trunc_f32_e32 v1, v1
	v_mul_f32_e64 v2, |v1|, s0
	v_floor_f32_e32 v2, v2
	v_fma_f32 v2, v2, s1, |v1|
	v_cvt_u32_f32_e32 v2, v2
	v_ashrrev_i32_e32 v1, 31, v1
	s_mov_b64 s[0:1], -1
	v_xor_b32_e32 v2, v2, v1
	v_sub_u32_e32 v1, v2, v1
	s_branch .LBB23_485
.LBB23_481:
	s_mov_b64 s[50:51], -1
                                        ; implicit-def: $vgpr1
	s_branch .LBB23_486
.LBB23_482:
	s_andn2_saveexec_b64 s[0:1], s[0:1]
	s_cbranch_execz .LBB23_463
.LBB23_483:
	v_cmp_ne_u16_e32 vcc, 0, v2
	s_andn2_b64 s[50:51], s[50:51], exec
	s_and_b64 s[56:57], vcc, exec
	s_or_b64 s[50:51], s[50:51], s[56:57]
	s_or_b64 exec, exec, s[0:1]
	v_mov_b32_e32 v1, 0
	s_and_saveexec_b64 s[0:1], s[50:51]
	s_cbranch_execnz .LBB23_464
	s_branch .LBB23_465
.LBB23_484:
	s_mov_b64 s[48:49], -1
                                        ; implicit-def: $vgpr1
.LBB23_485:
	s_mov_b64 s[50:51], 0
.LBB23_486:
	s_and_b64 vcc, exec, s[50:51]
	s_cbranch_vccz .LBB23_490
; %bb.487:
	s_cmp_eq_u32 s52, 11
	s_cbranch_scc0 .LBB23_489
; %bb.488:
	global_load_ubyte v1, v[4:5], off
	s_mov_b64 s[0:1], -1
	s_mov_b64 s[48:49], 0
	s_waitcnt vmcnt(0)
	v_cmp_ne_u16_e32 vcc, 0, v1
	v_cndmask_b32_e64 v1, 0, 1, vcc
	s_branch .LBB23_490
.LBB23_489:
	s_mov_b64 s[48:49], -1
                                        ; implicit-def: $vgpr1
.LBB23_490:
	s_branch .LBB23_410
.LBB23_491:
	s_and_b32 s29, 0xffff, s29
	s_cmp_lt_i32 s29, 5
	s_cbranch_scc1 .LBB23_496
; %bb.492:
	s_cmp_lt_i32 s29, 8
	s_cbranch_scc1 .LBB23_497
; %bb.493:
	;; [unrolled: 3-line block ×3, first 2 shown]
	s_cmp_gt_i32 s29, 9
	s_cbranch_scc0 .LBB23_499
; %bb.495:
	global_load_dwordx2 v[1:2], v[4:5], off
	s_movk_i32 s0, 0xffe0
	s_waitcnt vmcnt(0)
	v_trunc_f64_e32 v[1:2], v[1:2]
	v_ldexp_f64 v[6:7], v[1:2], s0
	s_mov_b32 s0, 0
	s_mov_b32 s1, 0xc1f00000
	v_floor_f64_e32 v[6:7], v[6:7]
	v_fma_f64 v[1:2], v[6:7], s[0:1], v[1:2]
	s_mov_b64 s[0:1], 0
	v_cvt_u32_f64_e32 v1, v[1:2]
	s_branch .LBB23_500
.LBB23_496:
	s_mov_b64 s[0:1], -1
                                        ; implicit-def: $vgpr1
	s_branch .LBB23_518
.LBB23_497:
	s_mov_b64 s[0:1], -1
                                        ; implicit-def: $vgpr1
	s_branch .LBB23_506
.LBB23_498:
	s_mov_b64 s[0:1], -1
                                        ; implicit-def: $vgpr1
	s_branch .LBB23_503
.LBB23_499:
	s_mov_b64 s[0:1], -1
                                        ; implicit-def: $vgpr1
.LBB23_500:
	s_andn2_b64 vcc, exec, s[0:1]
	s_cbranch_vccnz .LBB23_502
; %bb.501:
	global_load_dword v1, v[4:5], off
	s_mov_b32 s0, 0x2f800000
	s_waitcnt vmcnt(0)
	v_trunc_f32_e32 v1, v1
	v_mul_f32_e64 v2, |v1|, s0
	v_floor_f32_e32 v2, v2
	s_mov_b32 s0, 0xcf800000
	v_fma_f32 v2, v2, s0, |v1|
	v_cvt_u32_f32_e32 v2, v2
	v_ashrrev_i32_e32 v1, 31, v1
	v_xor_b32_e32 v2, v2, v1
	v_sub_u32_e32 v1, v2, v1
.LBB23_502:
	s_mov_b64 s[0:1], 0
.LBB23_503:
	s_andn2_b64 vcc, exec, s[0:1]
	s_cbranch_vccnz .LBB23_505
; %bb.504:
	global_load_dword v1, v[4:5], off
	s_waitcnt vmcnt(0)
	v_cvt_f32_f16_e32 v1, v1
	v_cvt_i32_f32_e32 v1, v1
.LBB23_505:
	s_mov_b64 s[0:1], 0
.LBB23_506:
	s_andn2_b64 vcc, exec, s[0:1]
	s_cbranch_vccnz .LBB23_517
; %bb.507:
	s_cmp_lt_i32 s29, 6
	s_cbranch_scc1 .LBB23_510
; %bb.508:
	s_cmp_gt_i32 s29, 6
	s_cbranch_scc0 .LBB23_511
; %bb.509:
	global_load_dwordx2 v[1:2], v[4:5], off
	s_movk_i32 s0, 0xffe0
	s_waitcnt vmcnt(0)
	v_trunc_f64_e32 v[1:2], v[1:2]
	v_ldexp_f64 v[6:7], v[1:2], s0
	s_mov_b32 s0, 0
	s_mov_b32 s1, 0xc1f00000
	v_floor_f64_e32 v[6:7], v[6:7]
	v_fma_f64 v[1:2], v[6:7], s[0:1], v[1:2]
	s_mov_b64 s[0:1], 0
	v_cvt_u32_f64_e32 v1, v[1:2]
	s_branch .LBB23_512
.LBB23_510:
	s_mov_b64 s[0:1], -1
                                        ; implicit-def: $vgpr1
	s_branch .LBB23_515
.LBB23_511:
	s_mov_b64 s[0:1], -1
                                        ; implicit-def: $vgpr1
.LBB23_512:
	s_andn2_b64 vcc, exec, s[0:1]
	s_cbranch_vccnz .LBB23_514
; %bb.513:
	global_load_dword v1, v[4:5], off
	s_mov_b32 s0, 0x2f800000
	s_waitcnt vmcnt(0)
	v_trunc_f32_e32 v1, v1
	v_mul_f32_e64 v2, |v1|, s0
	v_floor_f32_e32 v2, v2
	s_mov_b32 s0, 0xcf800000
	v_fma_f32 v2, v2, s0, |v1|
	v_cvt_u32_f32_e32 v2, v2
	v_ashrrev_i32_e32 v1, 31, v1
	v_xor_b32_e32 v2, v2, v1
	v_sub_u32_e32 v1, v2, v1
.LBB23_514:
	s_mov_b64 s[0:1], 0
.LBB23_515:
	s_andn2_b64 vcc, exec, s[0:1]
	s_cbranch_vccnz .LBB23_517
; %bb.516:
	global_load_ushort v1, v[4:5], off
	s_waitcnt vmcnt(0)
	v_cvt_f32_f16_e32 v1, v1
	v_cvt_i32_f32_e32 v1, v1
.LBB23_517:
	s_mov_b64 s[0:1], 0
.LBB23_518:
	s_andn2_b64 vcc, exec, s[0:1]
	s_cbranch_vccnz .LBB23_538
; %bb.519:
	s_cmp_lt_i32 s29, 2
	s_cbranch_scc1 .LBB23_523
; %bb.520:
	s_cmp_lt_i32 s29, 3
	s_cbranch_scc1 .LBB23_524
; %bb.521:
	s_cmp_gt_i32 s29, 3
	s_cbranch_scc0 .LBB23_525
; %bb.522:
	global_load_dwordx2 v[1:2], v[4:5], off
	s_mov_b64 s[0:1], 0
	s_branch .LBB23_526
.LBB23_523:
	s_mov_b64 s[0:1], -1
                                        ; implicit-def: $vgpr1
	s_branch .LBB23_532
.LBB23_524:
	s_mov_b64 s[0:1], -1
                                        ; implicit-def: $vgpr1
	s_branch .LBB23_529
.LBB23_525:
	s_mov_b64 s[0:1], -1
                                        ; implicit-def: $vgpr1
.LBB23_526:
	s_andn2_b64 vcc, exec, s[0:1]
	s_cbranch_vccnz .LBB23_528
; %bb.527:
	global_load_dword v1, v[4:5], off
.LBB23_528:
	s_mov_b64 s[0:1], 0
.LBB23_529:
	s_andn2_b64 vcc, exec, s[0:1]
	s_cbranch_vccnz .LBB23_531
; %bb.530:
	global_load_ushort v1, v[4:5], off
.LBB23_531:
	s_mov_b64 s[0:1], 0
.LBB23_532:
	s_andn2_b64 vcc, exec, s[0:1]
	s_cbranch_vccnz .LBB23_538
; %bb.533:
	s_cmp_gt_i32 s29, 0
	s_cbranch_scc0 .LBB23_535
; %bb.534:
	global_load_ubyte v1, v[4:5], off
	s_mov_b64 s[0:1], 0
	s_branch .LBB23_536
.LBB23_535:
	s_mov_b64 s[0:1], -1
                                        ; implicit-def: $vgpr1
.LBB23_536:
	s_andn2_b64 vcc, exec, s[0:1]
	s_cbranch_vccnz .LBB23_538
; %bb.537:
	global_load_ubyte v1, v[4:5], off
.LBB23_538:
	s_branch .LBB23_411
.LBB23_539:
	s_mov_b64 s[56:57], 0
	s_mov_b64 s[0:1], s[40:41]
	;; [unrolled: 1-line block ×3, first 2 shown]
.LBB23_540:
                                        ; implicit-def: $vgpr10
	s_branch .LBB23_778
.LBB23_541:
	s_andn2_saveexec_b64 s[52:53], s[52:53]
	s_cbranch_execz .LBB23_200
.LBB23_542:
	v_add_f32_e32 v3, 0x42800000, v4
	v_and_b32_e32 v3, 0xff, v3
	v_cmp_ne_u32_e32 vcc, 0, v3
	s_andn2_b64 s[48:49], s[48:49], exec
	s_and_b64 s[56:57], vcc, exec
	s_or_b64 s[48:49], s[48:49], s[56:57]
	s_or_b64 exec, exec, s[52:53]
	v_mov_b32_e32 v5, 0
	s_and_saveexec_b64 s[52:53], s[48:49]
	s_cbranch_execnz .LBB23_201
	s_branch .LBB23_202
.LBB23_543:
	s_mov_b64 s[50:51], -1
                                        ; implicit-def: $vgpr4
	s_mov_b64 s[0:1], 0
.LBB23_544:
	s_and_b64 vcc, exec, s[52:53]
	s_cbranch_vccz .LBB23_548
; %bb.545:
	s_cmp_eq_u32 s56, 44
	s_cbranch_scc0 .LBB23_547
; %bb.546:
	global_load_ubyte v4, v[2:3], off
	s_mov_b32 s0, 0x2f800000
	s_mov_b32 s1, 0xcf800000
	s_mov_b64 s[50:51], 0
	s_waitcnt vmcnt(0)
	v_lshlrev_b32_e32 v5, 23, v4
	v_trunc_f32_e32 v5, v5
	v_mul_f32_e64 v6, |v5|, s0
	v_floor_f32_e32 v6, v6
	v_fma_f32 v6, v6, s1, |v5|
	v_cvt_u32_f32_e32 v6, v6
	v_ashrrev_i32_e32 v5, 31, v5
	v_cmp_ne_u32_e32 vcc, 0, v4
	s_mov_b64 s[0:1], -1
	v_xor_b32_e32 v6, v6, v5
	v_sub_u32_e32 v5, v6, v5
	v_cndmask_b32_e32 v4, 0, v5, vcc
	s_branch .LBB23_548
.LBB23_547:
	s_mov_b64 s[50:51], -1
                                        ; implicit-def: $vgpr4
.LBB23_548:
	s_mov_b64 s[52:53], 0
.LBB23_549:
	s_and_b64 vcc, exec, s[52:53]
	s_cbranch_vccz .LBB23_553
; %bb.550:
	s_cmp_eq_u32 s56, 29
	s_cbranch_scc0 .LBB23_552
; %bb.551:
	global_load_dwordx2 v[4:5], v[2:3], off
	s_mov_b64 s[0:1], -1
	s_mov_b64 s[50:51], 0
	s_branch .LBB23_553
.LBB23_552:
	s_mov_b64 s[50:51], -1
                                        ; implicit-def: $vgpr4
.LBB23_553:
	s_mov_b64 s[52:53], 0
.LBB23_554:
	s_and_b64 vcc, exec, s[52:53]
	s_cbranch_vccz .LBB23_570
; %bb.555:
	s_cmp_lt_i32 s56, 27
	s_cbranch_scc1 .LBB23_558
; %bb.556:
	s_cmp_gt_i32 s56, 27
	s_cbranch_scc0 .LBB23_559
; %bb.557:
	global_load_dword v4, v[2:3], off
	s_mov_b64 s[0:1], 0
	s_branch .LBB23_560
.LBB23_558:
	s_mov_b64 s[0:1], -1
                                        ; implicit-def: $vgpr4
	s_branch .LBB23_563
.LBB23_559:
	s_mov_b64 s[0:1], -1
                                        ; implicit-def: $vgpr4
.LBB23_560:
	s_andn2_b64 vcc, exec, s[0:1]
	s_cbranch_vccnz .LBB23_562
; %bb.561:
	global_load_ushort v4, v[2:3], off
.LBB23_562:
	s_mov_b64 s[0:1], 0
.LBB23_563:
	s_andn2_b64 vcc, exec, s[0:1]
	s_cbranch_vccnz .LBB23_569
; %bb.564:
	global_load_ubyte v5, v[2:3], off
	s_movk_i32 s0, 0x7f
	s_mov_b64 s[52:53], 0
	s_waitcnt vmcnt(0)
	v_cmp_lt_i16_e32 vcc, s0, v5
	s_and_saveexec_b64 s[0:1], vcc
	s_xor_b64 s[0:1], exec, s[0:1]
	s_cbranch_execz .LBB23_581
; %bb.565:
	s_movk_i32 s52, 0x80
	v_cmp_ne_u16_e32 vcc, s52, v5
	s_and_b64 s[52:53], vcc, exec
	s_andn2_saveexec_b64 s[0:1], s[0:1]
	s_cbranch_execnz .LBB23_582
.LBB23_566:
	s_or_b64 exec, exec, s[0:1]
	v_mov_b32_e32 v4, 0
	s_and_saveexec_b64 s[0:1], s[52:53]
	s_cbranch_execz .LBB23_568
.LBB23_567:
	v_lshlrev_b32_e32 v4, 24, v5
	v_and_b32_e32 v5, 0xffff, v5
	v_and_b32_e32 v6, 7, v5
	v_ffbh_u32_e32 v8, v6
	v_min_u32_e32 v8, 32, v8
	v_subrev_u32_e32 v9, 28, v8
	v_bfe_u32 v7, v5, 3, 4
	v_lshlrev_b32_e32 v5, v9, v5
	v_sub_u32_e32 v8, 29, v8
	v_and_b32_e32 v5, 7, v5
	v_cmp_eq_u32_e32 vcc, 0, v7
	v_cndmask_b32_e32 v7, v7, v8, vcc
	v_cndmask_b32_e32 v5, v6, v5, vcc
	v_mov_b32_e32 v6, 0x3b800000
	v_lshlrev_b32_e32 v5, 20, v5
	v_and_b32_e32 v4, 0x80000000, v4
	v_lshl_add_u32 v6, v7, 23, v6
	v_or3_b32 v4, v4, v6, v5
	v_trunc_f32_e32 v4, v4
	s_mov_b32 s52, 0x2f800000
	v_mul_f32_e64 v5, |v4|, s52
	v_floor_f32_e32 v5, v5
	s_mov_b32 s52, 0xcf800000
	v_fma_f32 v5, v5, s52, |v4|
	v_cvt_u32_f32_e32 v5, v5
	v_ashrrev_i32_e32 v4, 31, v4
	v_xor_b32_e32 v5, v5, v4
	v_sub_u32_e32 v4, v5, v4
.LBB23_568:
	s_or_b64 exec, exec, s[0:1]
.LBB23_569:
	s_mov_b64 s[0:1], -1
.LBB23_570:
	s_mov_b64 s[52:53], 0
.LBB23_571:
	s_and_b64 vcc, exec, s[52:53]
	s_cbranch_vccz .LBB23_604
; %bb.572:
	s_cmp_gt_i32 s56, 22
	s_cbranch_scc0 .LBB23_580
; %bb.573:
	s_cmp_lt_i32 s56, 24
	s_cbranch_scc1 .LBB23_583
; %bb.574:
	s_cmp_gt_i32 s56, 24
	s_cbranch_scc0 .LBB23_584
; %bb.575:
	global_load_ubyte v5, v[2:3], off
	s_movk_i32 s0, 0x7f
	s_mov_b64 s[52:53], 0
	s_waitcnt vmcnt(0)
	v_cmp_lt_i16_e32 vcc, s0, v5
	s_and_saveexec_b64 s[0:1], vcc
	s_xor_b64 s[0:1], exec, s[0:1]
	s_cbranch_execz .LBB23_596
; %bb.576:
	s_movk_i32 s52, 0x80
	v_cmp_ne_u16_e32 vcc, s52, v5
	s_and_b64 s[52:53], vcc, exec
	s_andn2_saveexec_b64 s[0:1], s[0:1]
	s_cbranch_execnz .LBB23_597
.LBB23_577:
	s_or_b64 exec, exec, s[0:1]
	v_mov_b32_e32 v4, 0
	s_and_saveexec_b64 s[0:1], s[52:53]
	s_cbranch_execz .LBB23_579
.LBB23_578:
	v_lshlrev_b32_e32 v4, 24, v5
	v_and_b32_e32 v5, 0xffff, v5
	v_and_b32_e32 v6, 3, v5
	v_ffbh_u32_e32 v8, v6
	v_min_u32_e32 v8, 32, v8
	v_subrev_u32_e32 v9, 29, v8
	v_bfe_u32 v7, v5, 2, 5
	v_lshlrev_b32_e32 v5, v9, v5
	v_sub_u32_e32 v8, 30, v8
	v_and_b32_e32 v5, 3, v5
	v_cmp_eq_u32_e32 vcc, 0, v7
	v_cndmask_b32_e32 v7, v7, v8, vcc
	v_cndmask_b32_e32 v5, v6, v5, vcc
	v_mov_b32_e32 v6, 0x37800000
	v_lshlrev_b32_e32 v5, 21, v5
	v_and_b32_e32 v4, 0x80000000, v4
	v_lshl_add_u32 v6, v7, 23, v6
	v_or3_b32 v4, v4, v6, v5
	v_trunc_f32_e32 v4, v4
	s_mov_b32 s52, 0x2f800000
	v_mul_f32_e64 v5, |v4|, s52
	v_floor_f32_e32 v5, v5
	s_mov_b32 s52, 0xcf800000
	v_fma_f32 v5, v5, s52, |v4|
	v_cvt_u32_f32_e32 v5, v5
	v_ashrrev_i32_e32 v4, 31, v4
	v_xor_b32_e32 v5, v5, v4
	v_sub_u32_e32 v4, v5, v4
.LBB23_579:
	s_or_b64 exec, exec, s[0:1]
	s_mov_b64 s[0:1], 0
	s_branch .LBB23_585
.LBB23_580:
	s_mov_b64 s[52:53], -1
                                        ; implicit-def: $vgpr4
	s_branch .LBB23_591
.LBB23_581:
	s_andn2_saveexec_b64 s[0:1], s[0:1]
	s_cbranch_execz .LBB23_566
.LBB23_582:
	v_cmp_ne_u16_e32 vcc, 0, v5
	s_andn2_b64 s[52:53], s[52:53], exec
	s_and_b64 s[58:59], vcc, exec
	s_or_b64 s[52:53], s[52:53], s[58:59]
	s_or_b64 exec, exec, s[0:1]
	v_mov_b32_e32 v4, 0
	s_and_saveexec_b64 s[0:1], s[52:53]
	s_cbranch_execnz .LBB23_567
	s_branch .LBB23_568
.LBB23_583:
	s_mov_b64 s[0:1], -1
                                        ; implicit-def: $vgpr4
	s_branch .LBB23_588
.LBB23_584:
	s_mov_b64 s[0:1], -1
                                        ; implicit-def: $vgpr4
.LBB23_585:
	s_and_b64 vcc, exec, s[0:1]
	s_cbranch_vccz .LBB23_587
; %bb.586:
	global_load_ubyte v4, v[2:3], off
	s_mov_b32 s0, 0x7f800000
	s_brev_b32 s1, 1
	s_mov_b32 s52, 0x2f800000
	s_waitcnt vmcnt(0)
	v_lshlrev_b32_e32 v4, 24, v4
	v_and_b32_e32 v5, 0x7f000000, v4
	v_ffbh_u32_e32 v6, v5
	v_min_u32_e32 v6, 32, v6
	v_sub_u32_e64 v6, v6, 4 clamp
	v_lshlrev_b32_e32 v8, v6, v5
	v_lshlrev_b32_e32 v6, 23, v6
	v_lshrrev_b32_e32 v8, 4, v8
	v_add_u32_e32 v7, 0x1000000, v5
	v_sub_u32_e32 v6, v8, v6
	v_ashrrev_i32_e32 v7, 8, v7
	v_add_u32_e32 v6, 0x3c000000, v6
	v_and_or_b32 v6, v7, s0, v6
	v_cmp_ne_u32_e32 vcc, 0, v5
	v_cndmask_b32_e32 v5, 0, v6, vcc
	v_and_or_b32 v4, v4, s1, v5
	v_trunc_f32_e32 v4, v4
	v_mul_f32_e64 v5, |v4|, s52
	v_floor_f32_e32 v5, v5
	s_mov_b32 s0, 0xcf800000
	v_fma_f32 v5, v5, s0, |v4|
	v_cvt_u32_f32_e32 v5, v5
	v_ashrrev_i32_e32 v4, 31, v4
	v_xor_b32_e32 v5, v5, v4
	v_sub_u32_e32 v4, v5, v4
.LBB23_587:
	s_mov_b64 s[0:1], 0
.LBB23_588:
	s_andn2_b64 vcc, exec, s[0:1]
	s_cbranch_vccnz .LBB23_590
; %bb.589:
	global_load_ubyte v4, v[2:3], off
	s_movk_i32 s0, 0x7f00
	s_brev_b32 s1, 16
	s_brev_b32 s52, 1
	s_mov_b32 s53, 0x2f800000
	s_waitcnt vmcnt(0)
	v_lshlrev_b16_e32 v5, 8, v4
	v_lshlrev_b32_e32 v4, 25, v4
	v_lshrrev_b32_e32 v6, 4, v4
	v_and_or_b32 v7, v5, s0, 0.5
	v_or_b32_e32 v6, 0x70000000, v6
	v_add_f32_e32 v7, -0.5, v7
	v_mul_f32_e32 v6, 0x7800000, v6
	v_cmp_gt_u32_e32 vcc, s1, v4
	v_bfe_i32 v5, v5, 0, 16
	v_cndmask_b32_e32 v4, v6, v7, vcc
	v_and_or_b32 v4, v5, s52, v4
	v_trunc_f32_e32 v4, v4
	v_mul_f32_e64 v5, |v4|, s53
	v_floor_f32_e32 v5, v5
	s_mov_b32 s0, 0xcf800000
	v_fma_f32 v5, v5, s0, |v4|
	v_cvt_u32_f32_e32 v5, v5
	v_ashrrev_i32_e32 v4, 31, v4
	v_xor_b32_e32 v5, v5, v4
	v_sub_u32_e32 v4, v5, v4
.LBB23_590:
	s_mov_b64 s[52:53], 0
	s_mov_b64 s[0:1], -1
.LBB23_591:
	s_andn2_b64 vcc, exec, s[52:53]
	s_cbranch_vccnz .LBB23_604
; %bb.592:
	s_cmp_gt_i32 s56, 14
	s_cbranch_scc0 .LBB23_595
; %bb.593:
	s_cmp_eq_u32 s56, 15
	s_cbranch_scc0 .LBB23_598
; %bb.594:
	global_load_ushort v4, v[2:3], off
	s_mov_b32 s0, 0x2f800000
	s_mov_b32 s1, 0xcf800000
	s_mov_b64 s[50:51], 0
	s_waitcnt vmcnt(0)
	v_lshlrev_b32_e32 v4, 16, v4
	v_trunc_f32_e32 v4, v4
	v_mul_f32_e64 v5, |v4|, s0
	v_floor_f32_e32 v5, v5
	v_fma_f32 v5, v5, s1, |v4|
	v_cvt_u32_f32_e32 v5, v5
	v_ashrrev_i32_e32 v4, 31, v4
	s_mov_b64 s[0:1], -1
	v_xor_b32_e32 v5, v5, v4
	v_sub_u32_e32 v4, v5, v4
	s_branch .LBB23_599
.LBB23_595:
	s_mov_b64 s[52:53], -1
                                        ; implicit-def: $vgpr4
	s_branch .LBB23_600
.LBB23_596:
	s_andn2_saveexec_b64 s[0:1], s[0:1]
	s_cbranch_execz .LBB23_577
.LBB23_597:
	v_cmp_ne_u16_e32 vcc, 0, v5
	s_andn2_b64 s[52:53], s[52:53], exec
	s_and_b64 s[58:59], vcc, exec
	s_or_b64 s[52:53], s[52:53], s[58:59]
	s_or_b64 exec, exec, s[0:1]
	v_mov_b32_e32 v4, 0
	s_and_saveexec_b64 s[0:1], s[52:53]
	s_cbranch_execnz .LBB23_578
	s_branch .LBB23_579
.LBB23_598:
	s_mov_b64 s[50:51], -1
                                        ; implicit-def: $vgpr4
.LBB23_599:
	s_mov_b64 s[52:53], 0
.LBB23_600:
	s_and_b64 vcc, exec, s[52:53]
	s_cbranch_vccz .LBB23_604
; %bb.601:
	s_cmp_eq_u32 s56, 11
	s_cbranch_scc0 .LBB23_603
; %bb.602:
	global_load_ubyte v4, v[2:3], off
	s_mov_b64 s[0:1], -1
	s_mov_b64 s[50:51], 0
	s_waitcnt vmcnt(0)
	v_cmp_ne_u16_e32 vcc, 0, v4
	v_cndmask_b32_e64 v4, 0, 1, vcc
	s_branch .LBB23_604
.LBB23_603:
	s_mov_b64 s[50:51], -1
                                        ; implicit-def: $vgpr4
.LBB23_604:
	s_mov_b64 s[52:53], 0
.LBB23_605:
	s_and_b64 vcc, exec, s[52:53]
	s_cbranch_vccz .LBB23_654
; %bb.606:
	s_and_b32 s29, 0xffff, s29
	s_cmp_lt_i32 s29, 5
	s_cbranch_scc1 .LBB23_611
; %bb.607:
	s_cmp_lt_i32 s29, 8
	s_cbranch_scc1 .LBB23_612
; %bb.608:
	;; [unrolled: 3-line block ×3, first 2 shown]
	s_cmp_gt_i32 s29, 9
	s_cbranch_scc0 .LBB23_614
; %bb.610:
	global_load_dwordx2 v[4:5], v[2:3], off
	s_movk_i32 s0, 0xffe0
	s_waitcnt vmcnt(0)
	v_trunc_f64_e32 v[4:5], v[4:5]
	v_ldexp_f64 v[6:7], v[4:5], s0
	s_mov_b32 s0, 0
	s_mov_b32 s1, 0xc1f00000
	v_floor_f64_e32 v[6:7], v[6:7]
	v_fma_f64 v[4:5], v[6:7], s[0:1], v[4:5]
	s_mov_b64 s[0:1], 0
	v_cvt_u32_f64_e32 v4, v[4:5]
	s_branch .LBB23_615
.LBB23_611:
	s_mov_b64 s[0:1], -1
                                        ; implicit-def: $vgpr4
	s_branch .LBB23_633
.LBB23_612:
	s_mov_b64 s[0:1], -1
                                        ; implicit-def: $vgpr4
	s_branch .LBB23_621
.LBB23_613:
	s_mov_b64 s[0:1], -1
                                        ; implicit-def: $vgpr4
	s_branch .LBB23_618
.LBB23_614:
	s_mov_b64 s[0:1], -1
                                        ; implicit-def: $vgpr4
.LBB23_615:
	s_andn2_b64 vcc, exec, s[0:1]
	s_cbranch_vccnz .LBB23_617
; %bb.616:
	global_load_dword v4, v[2:3], off
	s_mov_b32 s0, 0x2f800000
	s_waitcnt vmcnt(0)
	v_trunc_f32_e32 v4, v4
	v_mul_f32_e64 v5, |v4|, s0
	v_floor_f32_e32 v5, v5
	s_mov_b32 s0, 0xcf800000
	v_fma_f32 v5, v5, s0, |v4|
	v_cvt_u32_f32_e32 v5, v5
	v_ashrrev_i32_e32 v4, 31, v4
	v_xor_b32_e32 v5, v5, v4
	v_sub_u32_e32 v4, v5, v4
.LBB23_617:
	s_mov_b64 s[0:1], 0
.LBB23_618:
	s_andn2_b64 vcc, exec, s[0:1]
	s_cbranch_vccnz .LBB23_620
; %bb.619:
	global_load_dword v4, v[2:3], off
	s_waitcnt vmcnt(0)
	v_cvt_f32_f16_e32 v4, v4
	v_cvt_i32_f32_e32 v4, v4
.LBB23_620:
	s_mov_b64 s[0:1], 0
.LBB23_621:
	s_andn2_b64 vcc, exec, s[0:1]
	s_cbranch_vccnz .LBB23_632
; %bb.622:
	s_cmp_lt_i32 s29, 6
	s_cbranch_scc1 .LBB23_625
; %bb.623:
	s_cmp_gt_i32 s29, 6
	s_cbranch_scc0 .LBB23_626
; %bb.624:
	global_load_dwordx2 v[4:5], v[2:3], off
	s_movk_i32 s0, 0xffe0
	s_waitcnt vmcnt(0)
	v_trunc_f64_e32 v[4:5], v[4:5]
	v_ldexp_f64 v[6:7], v[4:5], s0
	s_mov_b32 s0, 0
	s_mov_b32 s1, 0xc1f00000
	v_floor_f64_e32 v[6:7], v[6:7]
	v_fma_f64 v[4:5], v[6:7], s[0:1], v[4:5]
	s_mov_b64 s[0:1], 0
	v_cvt_u32_f64_e32 v4, v[4:5]
	s_branch .LBB23_627
.LBB23_625:
	s_mov_b64 s[0:1], -1
                                        ; implicit-def: $vgpr4
	s_branch .LBB23_630
.LBB23_626:
	s_mov_b64 s[0:1], -1
                                        ; implicit-def: $vgpr4
.LBB23_627:
	s_andn2_b64 vcc, exec, s[0:1]
	s_cbranch_vccnz .LBB23_629
; %bb.628:
	global_load_dword v4, v[2:3], off
	s_mov_b32 s0, 0x2f800000
	s_waitcnt vmcnt(0)
	v_trunc_f32_e32 v4, v4
	v_mul_f32_e64 v5, |v4|, s0
	v_floor_f32_e32 v5, v5
	s_mov_b32 s0, 0xcf800000
	v_fma_f32 v5, v5, s0, |v4|
	v_cvt_u32_f32_e32 v5, v5
	v_ashrrev_i32_e32 v4, 31, v4
	v_xor_b32_e32 v5, v5, v4
	v_sub_u32_e32 v4, v5, v4
.LBB23_629:
	s_mov_b64 s[0:1], 0
.LBB23_630:
	s_andn2_b64 vcc, exec, s[0:1]
	s_cbranch_vccnz .LBB23_632
; %bb.631:
	global_load_ushort v4, v[2:3], off
	s_waitcnt vmcnt(0)
	v_cvt_f32_f16_e32 v4, v4
	v_cvt_i32_f32_e32 v4, v4
.LBB23_632:
	s_mov_b64 s[0:1], 0
.LBB23_633:
	s_andn2_b64 vcc, exec, s[0:1]
	s_cbranch_vccnz .LBB23_653
; %bb.634:
	s_cmp_lt_i32 s29, 2
	s_cbranch_scc1 .LBB23_638
; %bb.635:
	s_cmp_lt_i32 s29, 3
	s_cbranch_scc1 .LBB23_639
; %bb.636:
	s_cmp_gt_i32 s29, 3
	s_cbranch_scc0 .LBB23_640
; %bb.637:
	global_load_dwordx2 v[4:5], v[2:3], off
	s_mov_b64 s[0:1], 0
	s_branch .LBB23_641
.LBB23_638:
	s_mov_b64 s[0:1], -1
                                        ; implicit-def: $vgpr4
	s_branch .LBB23_647
.LBB23_639:
	s_mov_b64 s[0:1], -1
                                        ; implicit-def: $vgpr4
	s_branch .LBB23_644
.LBB23_640:
	s_mov_b64 s[0:1], -1
                                        ; implicit-def: $vgpr4
.LBB23_641:
	s_andn2_b64 vcc, exec, s[0:1]
	s_cbranch_vccnz .LBB23_643
; %bb.642:
	global_load_dword v4, v[2:3], off
.LBB23_643:
	s_mov_b64 s[0:1], 0
.LBB23_644:
	s_andn2_b64 vcc, exec, s[0:1]
	s_cbranch_vccnz .LBB23_646
; %bb.645:
	global_load_ushort v4, v[2:3], off
.LBB23_646:
	s_mov_b64 s[0:1], 0
.LBB23_647:
	s_andn2_b64 vcc, exec, s[0:1]
	s_cbranch_vccnz .LBB23_653
; %bb.648:
	s_cmp_gt_i32 s29, 0
	s_cbranch_scc0 .LBB23_650
; %bb.649:
	global_load_ubyte v4, v[2:3], off
	s_mov_b64 s[0:1], 0
	s_branch .LBB23_651
.LBB23_650:
	s_mov_b64 s[0:1], -1
                                        ; implicit-def: $vgpr4
.LBB23_651:
	s_andn2_b64 vcc, exec, s[0:1]
	s_cbranch_vccnz .LBB23_653
; %bb.652:
	global_load_ubyte v4, v[2:3], off
.LBB23_653:
	s_mov_b64 s[0:1], -1
.LBB23_654:
	s_andn2_b64 vcc, exec, s[0:1]
	s_cbranch_vccnz .LBB23_662
; %bb.655:
	s_and_b32 s0, s14, 0xff
	v_mov_b32_e32 v2, s74
	v_cmp_gt_u16_sdwa vcc, v1, s0 src0_sel:BYTE_0 src1_sel:DWORD
	s_waitcnt vmcnt(0)
	v_cndmask_b32_e32 v2, v2, v4, vcc
	v_mov_b32_e32 v1, s9
	s_and_b32 s29, s73, 0xff
	v_add_co_u32_e32 v0, vcc, s8, v0
	s_cmp_lt_i32 s29, 11
	v_addc_co_u32_e32 v1, vcc, 0, v1, vcc
	s_cbranch_scc1 .LBB23_663
; %bb.656:
	s_and_b32 s60, 0xffff, s29
	s_cmp_gt_i32 s60, 25
	s_cbranch_scc0 .LBB23_664
; %bb.657:
	s_cmp_gt_i32 s60, 28
	s_cbranch_scc0 .LBB23_665
; %bb.658:
	;; [unrolled: 3-line block ×4, first 2 shown]
	s_mov_b64 s[56:57], 0
	s_mov_b64 s[0:1], -1
	s_cmp_eq_u32 s60, 46
	s_mov_b64 s[52:53], 0
	s_cbranch_scc0 .LBB23_668
; %bb.661:
	v_cvt_f32_ubyte0_e32 v3, v2
	v_bfe_u32 v4, v3, 16, 1
	s_movk_i32 s0, 0x7fff
	v_add3_u32 v3, v3, v4, s0
	v_lshrrev_b32_e32 v3, 16, v3
	global_store_dword v[0:1], v3, off
	s_mov_b64 s[52:53], -1
	s_mov_b64 s[0:1], 0
	s_branch .LBB23_668
.LBB23_662:
	s_mov_b64 s[56:57], 0
                                        ; implicit-def: $vgpr10
	s_mov_b64 s[0:1], s[40:41]
	s_branch .LBB23_778
.LBB23_663:
	s_mov_b64 s[56:57], -1
	s_mov_b64 s[52:53], 0
	s_mov_b64 s[0:1], s[40:41]
	s_branch .LBB23_737
.LBB23_664:
	s_mov_b64 s[56:57], -1
	s_mov_b64 s[52:53], 0
	s_mov_b64 s[0:1], s[40:41]
	s_branch .LBB23_695
.LBB23_665:
	s_mov_b64 s[56:57], -1
	s_mov_b64 s[52:53], 0
	s_mov_b64 s[0:1], s[40:41]
	s_branch .LBB23_678
.LBB23_666:
	s_mov_b64 s[56:57], -1
	s_mov_b64 s[52:53], 0
	s_mov_b64 s[0:1], s[40:41]
	s_branch .LBB23_674
.LBB23_667:
	s_mov_b64 s[56:57], -1
	s_mov_b64 s[52:53], 0
	s_mov_b64 s[0:1], s[40:41]
.LBB23_668:
	s_and_b64 vcc, exec, s[56:57]
	s_cbranch_vccz .LBB23_673
; %bb.669:
	s_cmp_eq_u32 s60, 44
	s_mov_b64 s[0:1], -1
	s_cbranch_scc0 .LBB23_673
; %bb.670:
	v_cvt_f32_ubyte0_e32 v4, v2
	v_lshrrev_b32_e32 v3, 23, v4
	s_movk_i32 s0, 0xff
	v_cmp_ne_u32_e32 vcc, s0, v3
	v_mov_b32_e32 v5, 0xff
	s_and_saveexec_b64 s[52:53], vcc
; %bb.671:
	s_mov_b32 s0, 0x3fffff
	v_and_b32_e32 v5, 0x400000, v4
	v_and_or_b32 v4, v4, s0, v3
	v_cmp_ne_u32_e32 vcc, 0, v5
	v_cmp_ne_u32_e64 s[0:1], 0, v4
	s_and_b64 s[0:1], vcc, s[0:1]
	v_cndmask_b32_e64 v4, 0, 1, s[0:1]
	v_add_u32_e32 v5, v3, v4
; %bb.672:
	s_or_b64 exec, exec, s[52:53]
	s_mov_b64 s[52:53], -1
	s_mov_b64 s[0:1], 0
	global_store_byte v[0:1], v5, off
.LBB23_673:
	s_mov_b64 s[56:57], 0
.LBB23_674:
	s_and_b64 vcc, exec, s[56:57]
	s_cbranch_vccz .LBB23_677
; %bb.675:
	s_cmp_eq_u32 s60, 29
	s_mov_b64 s[0:1], -1
	s_cbranch_scc0 .LBB23_677
; %bb.676:
	v_and_b32_e32 v3, 0xff, v2
	v_mov_b32_e32 v4, 0
	global_store_dwordx2 v[0:1], v[3:4], off
	s_mov_b64 s[52:53], -1
	s_mov_b64 s[0:1], 0
.LBB23_677:
	s_mov_b64 s[56:57], 0
.LBB23_678:
	s_and_b64 vcc, exec, s[56:57]
	s_cbranch_vccz .LBB23_694
; %bb.679:
	s_cmp_lt_i32 s60, 27
	s_mov_b64 s[52:53], -1
	s_cbranch_scc1 .LBB23_685
; %bb.680:
	s_cmp_gt_i32 s60, 27
	s_cbranch_scc0 .LBB23_682
; %bb.681:
	v_and_b32_e32 v3, 0xff, v2
	s_mov_b64 s[52:53], 0
	global_store_dword v[0:1], v3, off
.LBB23_682:
	s_andn2_b64 vcc, exec, s[52:53]
	s_cbranch_vccnz .LBB23_684
; %bb.683:
	v_and_b32_e32 v3, 0xff, v2
	global_store_short v[0:1], v3, off
.LBB23_684:
	s_mov_b64 s[52:53], 0
.LBB23_685:
	s_andn2_b64 vcc, exec, s[52:53]
	s_cbranch_vccnz .LBB23_693
; %bb.686:
	v_cvt_f32_ubyte0_e32 v4, v2
	s_mov_b32 s52, 0x43800000
	v_cmp_gt_u32_e32 vcc, s52, v4
	v_mov_b32_e32 v5, 0x80
	s_and_saveexec_b64 s[52:53], vcc
	s_cbranch_execz .LBB23_692
; %bb.687:
	s_mov_b32 s56, 0x3bffffff
	v_cmp_lt_u32_e32 vcc, s56, v4
	s_mov_b64 s[56:57], 0
                                        ; implicit-def: $vgpr3
	s_and_saveexec_b64 s[58:59], vcc
	s_xor_b64 s[58:59], exec, s[58:59]
	s_cbranch_execz .LBB23_806
; %bb.688:
	v_bfe_u32 v3, v4, 20, 1
	s_mov_b32 s61, 0x487ffff
	v_add3_u32 v3, v4, v3, s61
	s_mov_b64 s[56:57], exec
	v_lshrrev_b32_e32 v3, 20, v3
                                        ; implicit-def: $vgpr4
	s_andn2_saveexec_b64 s[58:59], s[58:59]
	s_cbranch_execnz .LBB23_807
.LBB23_689:
	s_or_b64 exec, exec, s[58:59]
	v_mov_b32_e32 v5, 0
	s_and_saveexec_b64 s[58:59], s[56:57]
.LBB23_690:
	v_mov_b32_e32 v5, v3
.LBB23_691:
	s_or_b64 exec, exec, s[58:59]
.LBB23_692:
	s_or_b64 exec, exec, s[52:53]
	global_store_byte v[0:1], v5, off
.LBB23_693:
	s_mov_b64 s[52:53], -1
.LBB23_694:
	s_mov_b64 s[56:57], 0
.LBB23_695:
	s_and_b64 vcc, exec, s[56:57]
	s_cbranch_vccz .LBB23_736
; %bb.696:
	s_cmp_gt_i32 s60, 22
	s_mov_b64 s[56:57], -1
	s_cbranch_scc0 .LBB23_728
; %bb.697:
	s_cmp_lt_i32 s60, 24
	s_mov_b64 s[52:53], -1
	s_cbranch_scc1 .LBB23_717
; %bb.698:
	s_cmp_gt_i32 s60, 24
	s_cbranch_scc0 .LBB23_706
; %bb.699:
	v_cvt_f32_ubyte0_e32 v4, v2
	s_mov_b32 s52, 0x47800000
	v_cmp_gt_u32_e32 vcc, s52, v4
	v_mov_b32_e32 v5, 0x80
	s_and_saveexec_b64 s[52:53], vcc
	s_cbranch_execz .LBB23_705
; %bb.700:
	s_mov_b32 s56, 0x37ffffff
	v_cmp_lt_u32_e32 vcc, s56, v4
	s_mov_b64 s[56:57], 0
                                        ; implicit-def: $vgpr3
	s_and_saveexec_b64 s[58:59], vcc
	s_xor_b64 s[58:59], exec, s[58:59]
	s_cbranch_execz .LBB23_934
; %bb.701:
	v_bfe_u32 v3, v4, 21, 1
	s_mov_b32 s61, 0x88fffff
	v_add3_u32 v3, v4, v3, s61
	s_mov_b64 s[56:57], exec
	v_lshrrev_b32_e32 v3, 21, v3
                                        ; implicit-def: $vgpr4
	s_andn2_saveexec_b64 s[58:59], s[58:59]
	s_cbranch_execnz .LBB23_935
.LBB23_702:
	s_or_b64 exec, exec, s[58:59]
	v_mov_b32_e32 v5, 0
	s_and_saveexec_b64 s[58:59], s[56:57]
.LBB23_703:
	v_mov_b32_e32 v5, v3
.LBB23_704:
	s_or_b64 exec, exec, s[58:59]
.LBB23_705:
	s_or_b64 exec, exec, s[52:53]
	s_mov_b64 s[52:53], 0
	global_store_byte v[0:1], v5, off
.LBB23_706:
	s_and_b64 vcc, exec, s[52:53]
	s_cbranch_vccz .LBB23_716
; %bb.707:
	v_cvt_f32_ubyte0_e32 v3, v2
	s_mov_b32 s52, 0x43f00000
	v_cmp_gt_u32_e32 vcc, s52, v3
                                        ; implicit-def: $vgpr4
	s_and_saveexec_b64 s[52:53], vcc
	s_xor_b64 s[52:53], exec, s[52:53]
	s_cbranch_execz .LBB23_713
; %bb.708:
	s_mov_b32 s56, 0x3c7fffff
	v_cmp_lt_u32_e32 vcc, s56, v3
                                        ; implicit-def: $vgpr4
	s_and_saveexec_b64 s[56:57], vcc
	s_xor_b64 s[56:57], exec, s[56:57]
; %bb.709:
	v_bfe_u32 v4, v3, 20, 1
	s_mov_b32 s58, 0x407ffff
	v_add3_u32 v3, v3, v4, s58
	v_lshrrev_b32_e32 v4, 20, v3
	v_and_b32_e32 v3, 0xff00000, v3
	s_mov_b32 s58, 0x7f00000
	v_mov_b32_e32 v5, 0x7e
	v_cmp_ne_u32_e32 vcc, s58, v3
	v_cndmask_b32_e32 v4, v5, v4, vcc
                                        ; implicit-def: $vgpr3
; %bb.710:
	s_andn2_saveexec_b64 s[56:57], s[56:57]
; %bb.711:
	v_add_f32_e32 v4, 0x46800000, v3
; %bb.712:
	s_or_b64 exec, exec, s[56:57]
                                        ; implicit-def: $vgpr3
.LBB23_713:
	s_andn2_saveexec_b64 s[52:53], s[52:53]
; %bb.714:
	s_mov_b32 s56, 0x7f800000
	v_mov_b32_e32 v4, 0x7e
	v_mov_b32_e32 v5, 0x7f
	v_cmp_lt_u32_e32 vcc, s56, v3
	v_cndmask_b32_e32 v4, v4, v5, vcc
; %bb.715:
	s_or_b64 exec, exec, s[52:53]
	global_store_byte v[0:1], v4, off
.LBB23_716:
	s_mov_b64 s[52:53], 0
.LBB23_717:
	s_andn2_b64 vcc, exec, s[52:53]
	s_cbranch_vccnz .LBB23_727
; %bb.718:
	v_cvt_f32_ubyte0_e32 v3, v2
	s_mov_b32 s52, 0x47800000
	v_cmp_gt_u32_e32 vcc, s52, v3
                                        ; implicit-def: $vgpr4
	s_and_saveexec_b64 s[52:53], vcc
	s_xor_b64 s[52:53], exec, s[52:53]
	s_cbranch_execz .LBB23_724
; %bb.719:
	s_mov_b32 s56, 0x387fffff
	v_cmp_lt_u32_e32 vcc, s56, v3
                                        ; implicit-def: $vgpr4
	s_and_saveexec_b64 s[56:57], vcc
	s_xor_b64 s[56:57], exec, s[56:57]
; %bb.720:
	v_bfe_u32 v4, v3, 21, 1
	s_mov_b32 s58, 0x80fffff
	v_add3_u32 v3, v3, v4, s58
	v_lshrrev_b32_e32 v4, 21, v3
                                        ; implicit-def: $vgpr3
; %bb.721:
	s_andn2_saveexec_b64 s[56:57], s[56:57]
; %bb.722:
	v_add_f32_e32 v4, 0x43000000, v3
; %bb.723:
	s_or_b64 exec, exec, s[56:57]
                                        ; implicit-def: $vgpr3
.LBB23_724:
	s_andn2_saveexec_b64 s[52:53], s[52:53]
; %bb.725:
	s_mov_b32 s56, 0x7f800000
	v_mov_b32_e32 v4, 0x7c
	v_mov_b32_e32 v5, 0x7f
	v_cmp_lt_u32_e32 vcc, s56, v3
	v_cndmask_b32_e32 v4, v4, v5, vcc
; %bb.726:
	s_or_b64 exec, exec, s[52:53]
	global_store_byte v[0:1], v4, off
.LBB23_727:
	s_mov_b64 s[56:57], 0
	s_mov_b64 s[52:53], -1
.LBB23_728:
	s_andn2_b64 vcc, exec, s[56:57]
	s_cbranch_vccnz .LBB23_736
; %bb.729:
	s_cmp_gt_i32 s60, 14
	s_mov_b64 s[56:57], -1
	s_cbranch_scc0 .LBB23_733
; %bb.730:
	s_cmp_eq_u32 s60, 15
	s_mov_b64 s[0:1], -1
	s_cbranch_scc0 .LBB23_732
; %bb.731:
	v_cvt_f32_ubyte0_e32 v3, v2
	v_bfe_u32 v4, v3, 16, 1
	s_movk_i32 s0, 0x7fff
	v_add3_u32 v3, v3, v4, s0
	global_store_short_d16_hi v[0:1], v3, off
	s_mov_b64 s[52:53], -1
	s_mov_b64 s[0:1], 0
.LBB23_732:
	s_mov_b64 s[56:57], 0
.LBB23_733:
	s_and_b64 vcc, exec, s[56:57]
	s_cbranch_vccz .LBB23_736
; %bb.734:
	s_cmp_eq_u32 s60, 11
	s_mov_b64 s[0:1], -1
	s_cbranch_scc0 .LBB23_736
; %bb.735:
	v_mov_b32_e32 v3, 0
	v_cmp_ne_u16_sdwa s[0:1], v2, v3 src0_sel:BYTE_0 src1_sel:DWORD
	v_cndmask_b32_e64 v3, 0, 1, s[0:1]
	s_mov_b64 s[52:53], -1
	s_mov_b64 s[0:1], 0
	global_store_byte v[0:1], v3, off
.LBB23_736:
	s_mov_b64 s[56:57], 0
.LBB23_737:
	s_and_b64 vcc, exec, s[56:57]
	s_cbranch_vccz .LBB23_776
; %bb.738:
	s_and_b32 s29, 0xffff, s29
	s_cmp_lt_i32 s29, 5
	s_mov_b64 s[52:53], -1
	s_cbranch_scc1 .LBB23_759
; %bb.739:
	s_cmp_lt_i32 s29, 8
	s_cbranch_scc1 .LBB23_749
; %bb.740:
	s_cmp_lt_i32 s29, 9
	s_cbranch_scc1 .LBB23_746
; %bb.741:
	s_cmp_gt_i32 s29, 9
	s_cbranch_scc0 .LBB23_743
; %bb.742:
	s_mov_b32 s52, 0xffff
	v_and_b32_sdwa v3, s52, v2 dst_sel:DWORD dst_unused:UNUSED_PAD src0_sel:DWORD src1_sel:BYTE_0
	v_cvt_f64_u32_e32 v[3:4], v3
	v_mov_b32_e32 v5, 0
	v_mov_b32_e32 v6, v5
	s_mov_b64 s[52:53], 0
	global_store_dwordx4 v[0:1], v[3:6], off
.LBB23_743:
	s_andn2_b64 vcc, exec, s[52:53]
	s_cbranch_vccnz .LBB23_745
; %bb.744:
	v_cvt_f32_ubyte0_e32 v3, v2
	v_mov_b32_e32 v4, 0
	global_store_dwordx2 v[0:1], v[3:4], off
.LBB23_745:
	s_mov_b64 s[52:53], 0
.LBB23_746:
	s_andn2_b64 vcc, exec, s[52:53]
	s_cbranch_vccnz .LBB23_748
; %bb.747:
	v_cvt_f16_u16_sdwa v3, v2 dst_sel:DWORD dst_unused:UNUSED_PAD src0_sel:BYTE_0
	global_store_dword v[0:1], v3, off
.LBB23_748:
	s_mov_b64 s[52:53], 0
.LBB23_749:
	s_andn2_b64 vcc, exec, s[52:53]
	s_cbranch_vccnz .LBB23_758
; %bb.750:
	s_cmp_lt_i32 s29, 6
	s_mov_b64 s[52:53], -1
	s_cbranch_scc1 .LBB23_756
; %bb.751:
	s_cmp_gt_i32 s29, 6
	s_cbranch_scc0 .LBB23_753
; %bb.752:
	s_mov_b32 s52, 0xffff
	v_and_b32_sdwa v3, s52, v2 dst_sel:DWORD dst_unused:UNUSED_PAD src0_sel:DWORD src1_sel:BYTE_0
	v_cvt_f64_u32_e32 v[3:4], v3
	s_mov_b64 s[52:53], 0
	global_store_dwordx2 v[0:1], v[3:4], off
.LBB23_753:
	s_andn2_b64 vcc, exec, s[52:53]
	s_cbranch_vccnz .LBB23_755
; %bb.754:
	v_cvt_f32_ubyte0_e32 v3, v2
	global_store_dword v[0:1], v3, off
.LBB23_755:
	s_mov_b64 s[52:53], 0
.LBB23_756:
	s_andn2_b64 vcc, exec, s[52:53]
	s_cbranch_vccnz .LBB23_758
; %bb.757:
	v_cvt_f16_u16_sdwa v3, v2 dst_sel:DWORD dst_unused:UNUSED_PAD src0_sel:BYTE_0
	global_store_short v[0:1], v3, off
.LBB23_758:
	s_mov_b64 s[52:53], 0
.LBB23_759:
	s_andn2_b64 vcc, exec, s[52:53]
	s_cbranch_vccnz .LBB23_775
; %bb.760:
	s_cmp_lt_i32 s29, 2
	s_mov_b64 s[52:53], -1
	s_cbranch_scc1 .LBB23_770
; %bb.761:
	s_cmp_lt_i32 s29, 3
	s_cbranch_scc1 .LBB23_767
; %bb.762:
	s_cmp_gt_i32 s29, 3
	s_cbranch_scc0 .LBB23_764
; %bb.763:
	v_and_b32_e32 v3, 0xff, v2
	v_mov_b32_e32 v4, 0
	s_mov_b64 s[52:53], 0
	global_store_dwordx2 v[0:1], v[3:4], off
.LBB23_764:
	s_andn2_b64 vcc, exec, s[52:53]
	s_cbranch_vccnz .LBB23_766
; %bb.765:
	v_and_b32_e32 v3, 0xff, v2
	global_store_dword v[0:1], v3, off
.LBB23_766:
	s_mov_b64 s[52:53], 0
.LBB23_767:
	s_andn2_b64 vcc, exec, s[52:53]
	s_cbranch_vccnz .LBB23_769
; %bb.768:
	v_and_b32_e32 v3, 0xff, v2
	global_store_short v[0:1], v3, off
.LBB23_769:
	s_mov_b64 s[52:53], 0
.LBB23_770:
	s_andn2_b64 vcc, exec, s[52:53]
	s_cbranch_vccnz .LBB23_775
; %bb.771:
	s_cmp_gt_i32 s29, 0
	s_mov_b64 s[52:53], -1
	s_cbranch_scc0 .LBB23_773
; %bb.772:
	s_mov_b64 s[52:53], 0
	global_store_byte v[0:1], v2, off
.LBB23_773:
	s_andn2_b64 vcc, exec, s[52:53]
	s_cbranch_vccnz .LBB23_775
; %bb.774:
	global_store_byte v[0:1], v2, off
.LBB23_775:
	s_mov_b64 s[52:53], -1
.LBB23_776:
	s_andn2_b64 vcc, exec, s[52:53]
	s_cbranch_vccnz .LBB23_788
; %bb.777:
	v_add_u32_e32 v10, 0x80, v10
	s_mov_b64 s[56:57], -1
.LBB23_778:
	s_andn2_b64 s[52:53], s[40:41], exec
	s_and_b64 s[0:1], s[0:1], exec
	s_or_b64 s[52:53], s[52:53], s[0:1]
	s_andn2_b64 s[0:1], s[42:43], exec
	s_and_b64 s[50:51], s[50:51], exec
	s_or_b64 s[50:51], s[0:1], s[50:51]
	;; [unrolled: 3-line block ×3, first 2 shown]
	s_orn2_b64 s[0:1], s[56:57], exec
.LBB23_779:
	s_or_b64 exec, exec, s[54:55]
	s_mov_b64 s[56:57], 0
	s_mov_b64 s[58:59], 0
	;; [unrolled: 1-line block ×3, first 2 shown]
                                        ; implicit-def: $sgpr29
                                        ; implicit-def: $vgpr4_vgpr5
                                        ; implicit-def: $vgpr0
                                        ; implicit-def: $vgpr3
                                        ; implicit-def: $vgpr1
	s_and_saveexec_b64 s[54:55], s[0:1]
	s_cbranch_execz .LBB23_1264
; %bb.780:
	v_cmp_gt_i32_e32 vcc, s70, v10
	s_mov_b64 s[68:69], -1
	s_mov_b64 s[0:1], s[48:49]
	s_mov_b64 s[60:61], s[50:51]
	;; [unrolled: 1-line block ×3, first 2 shown]
	s_and_saveexec_b64 s[56:57], vcc
	s_cbranch_execz .LBB23_1172
; %bb.781:
	s_andn2_b64 vcc, exec, s[24:25]
	s_cbranch_vccnz .LBB23_787
; %bb.782:
	s_andn2_b64 vcc, exec, s[38:39]
	s_cbranch_vccnz .LBB23_789
; %bb.783:
	s_add_i32 s0, s75, 1
	s_and_b32 s29, s0, 30
	s_add_u32 s0, s2, 0xffffffe8
	s_addc_u32 s1, s3, -1
	v_mov_b32_e32 v3, 0
	s_waitcnt vmcnt(0)
	v_mov_b32_e32 v5, 0
	v_mov_b32_e32 v0, 0
	;; [unrolled: 1-line block ×3, first 2 shown]
.LBB23_784:                             ; =>This Inner Loop Header: Depth=1
	s_load_dwordx4 s[60:63], s[0:1], 0x1c
	s_load_dwordx2 s[58:59], s[0:1], 0x2c
	s_load_dwordx2 s[68:69], s[0:1], 0xec
	s_load_dwordx4 s[64:67], s[0:1], 0xdc
	s_add_u32 s0, s0, 24
	s_waitcnt lgkmcnt(0)
	v_mul_hi_u32 v2, s61, v1
	s_addc_u32 s1, s1, 0
	s_add_i32 s29, s29, -2
	s_cmp_eq_u32 s29, 0
	v_add_u32_e32 v2, v1, v2
	v_lshrrev_b32_e32 v2, s62, v2
	v_mul_lo_u32 v4, v2, s60
	v_mul_hi_u32 v6, s58, v2
	v_sub_u32_e32 v4, v1, v4
	v_add_u32_e32 v1, v2, v6
	v_lshrrev_b32_e32 v1, s59, v1
	v_mul_lo_u32 v8, v1, s63
	v_mul_lo_u32 v6, v4, s64
	;; [unrolled: 1-line block ×4, first 2 shown]
	v_sub_u32_e32 v2, v2, v8
	v_mul_lo_u32 v8, v2, s67
	v_mul_lo_u32 v9, v2, s68
	;; [unrolled: 1-line block ×3, first 2 shown]
	v_add3_u32 v0, v6, v0, v8
	v_add3_u32 v5, v7, v5, v9
	;; [unrolled: 1-line block ×3, first 2 shown]
	s_cbranch_scc0 .LBB23_784
; %bb.785:
	s_bitcmp1_b32 s75, 0
	s_cselect_b64 s[58:59], -1, 0
	s_and_b64 vcc, exec, s[58:59]
	s_cbranch_vccnz .LBB23_790
; %bb.786:
	s_load_dwordx2 s[58:59], s[0:1], 0x1c
	s_load_dword s29, s[0:1], 0x24
	s_load_dwordx2 s[60:61], s[0:1], 0xdc
	s_waitcnt lgkmcnt(0)
	v_mul_hi_u32 v2, s59, v1
	v_add_u32_e32 v2, v1, v2
	v_lshrrev_b32_e32 v2, s29, v2
	v_mul_lo_u32 v2, v2, s58
	s_load_dword s29, s[0:1], 0xe4
	v_sub_u32_e32 v2, v1, v2
	v_mad_u64_u32 v[0:1], s[0:1], v2, s60, v[0:1]
	v_mad_u64_u32 v[5:6], s[0:1], v2, s61, v[5:6]
	s_waitcnt lgkmcnt(0)
	v_mad_u64_u32 v[3:4], s[0:1], v2, s29, v[3:4]
	s_branch .LBB23_790
.LBB23_787:
	s_mov_b64 s[0:1], -1
                                        ; implicit-def: $vgpr0
                                        ; implicit-def: $vgpr5
                                        ; implicit-def: $vgpr3
	s_branch .LBB23_791
.LBB23_788:
	s_mov_b64 s[56:57], 0
	s_branch .LBB23_540
.LBB23_789:
	v_mov_b32_e32 v0, 0
	s_waitcnt vmcnt(0)
	v_mov_b32_e32 v5, 0
	v_mov_b32_e32 v3, 0
.LBB23_790:
	s_mov_b64 s[0:1], 0
.LBB23_791:
	s_andn2_b64 vcc, exec, s[0:1]
	s_cbranch_vccnz .LBB23_794
; %bb.792:
	v_mul_hi_u32 v0, s17, v10
	s_andn2_b64 vcc, exec, s[36:37]
	v_add_u32_e32 v0, v10, v0
	s_waitcnt vmcnt(0)
	v_lshrrev_b32_e32 v1, s18, v0
	v_mul_lo_u32 v0, v1, s16
	v_sub_u32_e32 v2, v10, v0
	v_mul_lo_u32 v0, v2, s20
	v_mul_lo_u32 v5, v2, s21
	;; [unrolled: 1-line block ×3, first 2 shown]
	s_cbranch_vccnz .LBB23_794
; %bb.793:
	v_mul_hi_u32 v2, s34, v1
	v_add_u32_e32 v2, v1, v2
	v_lshrrev_b32_e32 v2, s35, v2
	v_mul_lo_u32 v2, v2, s19
	v_sub_u32_e32 v2, v1, v2
	v_mad_u64_u32 v[0:1], s[0:1], v2, s23, v[0:1]
	v_mad_u64_u32 v[5:6], s[0:1], v2, s30, v[5:6]
	;; [unrolled: 1-line block ×3, first 2 shown]
.LBB23_794:
	s_waitcnt vmcnt(0)
	v_mov_b32_e32 v1, s11
	s_and_b32 s29, s28, 0xff
	v_add_co_u32_e32 v4, vcc, s10, v5
	s_cmp_lt_i32 s29, 11
	v_addc_co_u32_e32 v5, vcc, 0, v1, vcc
	s_cbranch_scc1 .LBB23_801
; %bb.795:
	s_and_b32 s62, 0xffff, s29
	s_cmp_gt_i32 s62, 25
	s_cbranch_scc0 .LBB23_802
; %bb.796:
	s_cmp_gt_i32 s62, 28
	s_cbranch_scc0 .LBB23_803
; %bb.797:
	;; [unrolled: 3-line block ×4, first 2 shown]
	s_cmp_eq_u32 s62, 46
	s_mov_b64 s[60:61], 0
	s_cbranch_scc0 .LBB23_808
; %bb.800:
	global_load_dword v1, v[4:5], off
	s_mov_b32 s0, 0x2f800000
	s_mov_b32 s1, 0xcf800000
	s_mov_b64 s[58:59], 0
	s_waitcnt vmcnt(0)
	v_lshlrev_b32_e32 v1, 16, v1
	v_trunc_f32_e32 v1, v1
	v_mul_f32_e64 v2, |v1|, s0
	v_floor_f32_e32 v2, v2
	v_fma_f32 v2, v2, s1, |v1|
	v_cvt_u32_f32_e32 v2, v2
	v_ashrrev_i32_e32 v1, 31, v1
	s_mov_b64 s[0:1], -1
	v_xor_b32_e32 v2, v2, v1
	v_sub_u32_e32 v1, v2, v1
	s_branch .LBB23_809
.LBB23_801:
	s_mov_b64 s[60:61], -1
	s_mov_b64 s[0:1], 0
                                        ; implicit-def: $vgpr1
	s_mov_b64 s[58:59], s[48:49]
	s_branch .LBB23_870
.LBB23_802:
	s_mov_b64 s[60:61], -1
	s_mov_b64 s[0:1], 0
	s_mov_b64 s[58:59], s[48:49]
                                        ; implicit-def: $vgpr1
	s_branch .LBB23_836
.LBB23_803:
	s_mov_b64 s[60:61], -1
	s_mov_b64 s[0:1], 0
	s_mov_b64 s[58:59], s[48:49]
                                        ; implicit-def: $vgpr1
	s_branch .LBB23_819
.LBB23_804:
	s_mov_b64 s[60:61], -1
	s_mov_b64 s[0:1], 0
	s_mov_b64 s[58:59], s[48:49]
                                        ; implicit-def: $vgpr1
	s_branch .LBB23_814
.LBB23_805:
	s_mov_b64 s[60:61], -1
	s_mov_b64 s[0:1], 0
	s_mov_b64 s[58:59], s[48:49]
                                        ; implicit-def: $vgpr1
	s_branch .LBB23_809
.LBB23_806:
	s_andn2_saveexec_b64 s[58:59], s[58:59]
	s_cbranch_execz .LBB23_689
.LBB23_807:
	v_add_f32_e32 v3, 0x46000000, v4
	v_and_b32_e32 v3, 0xff, v3
	v_cmp_ne_u32_e32 vcc, 0, v3
	s_andn2_b64 s[56:57], s[56:57], exec
	s_and_b64 s[62:63], vcc, exec
	s_or_b64 s[56:57], s[56:57], s[62:63]
	s_or_b64 exec, exec, s[58:59]
	v_mov_b32_e32 v5, 0
	s_and_saveexec_b64 s[58:59], s[56:57]
	s_cbranch_execnz .LBB23_690
	s_branch .LBB23_691
.LBB23_808:
	s_mov_b64 s[58:59], -1
                                        ; implicit-def: $vgpr1
	s_mov_b64 s[0:1], 0
.LBB23_809:
	s_and_b64 vcc, exec, s[60:61]
	s_cbranch_vccz .LBB23_813
; %bb.810:
	s_cmp_eq_u32 s62, 44
	s_cbranch_scc0 .LBB23_812
; %bb.811:
	global_load_ubyte v1, v[4:5], off
	s_mov_b32 s0, 0x2f800000
	s_mov_b32 s1, 0xcf800000
	s_mov_b64 s[58:59], 0
	s_waitcnt vmcnt(0)
	v_lshlrev_b32_e32 v2, 23, v1
	v_trunc_f32_e32 v2, v2
	v_mul_f32_e64 v6, |v2|, s0
	v_floor_f32_e32 v6, v6
	v_fma_f32 v6, v6, s1, |v2|
	v_cvt_u32_f32_e32 v6, v6
	v_ashrrev_i32_e32 v2, 31, v2
	v_cmp_ne_u32_e32 vcc, 0, v1
	s_mov_b64 s[0:1], -1
	v_xor_b32_e32 v6, v6, v2
	v_sub_u32_e32 v2, v6, v2
	v_cndmask_b32_e32 v1, 0, v2, vcc
	s_branch .LBB23_813
.LBB23_812:
	s_mov_b64 s[58:59], -1
                                        ; implicit-def: $vgpr1
.LBB23_813:
	s_mov_b64 s[60:61], 0
.LBB23_814:
	s_and_b64 vcc, exec, s[60:61]
	s_cbranch_vccz .LBB23_818
; %bb.815:
	s_cmp_eq_u32 s62, 29
	s_cbranch_scc0 .LBB23_817
; %bb.816:
	global_load_dwordx2 v[1:2], v[4:5], off
	s_mov_b64 s[0:1], -1
	s_mov_b64 s[58:59], 0
	s_branch .LBB23_818
.LBB23_817:
	s_mov_b64 s[58:59], -1
                                        ; implicit-def: $vgpr1
.LBB23_818:
	s_mov_b64 s[60:61], 0
.LBB23_819:
	s_and_b64 vcc, exec, s[60:61]
	s_cbranch_vccz .LBB23_835
; %bb.820:
	s_cmp_lt_i32 s62, 27
	s_cbranch_scc1 .LBB23_823
; %bb.821:
	s_cmp_gt_i32 s62, 27
	s_cbranch_scc0 .LBB23_824
; %bb.822:
	global_load_dword v1, v[4:5], off
	s_mov_b64 s[0:1], 0
	s_branch .LBB23_825
.LBB23_823:
	s_mov_b64 s[0:1], -1
                                        ; implicit-def: $vgpr1
	s_branch .LBB23_828
.LBB23_824:
	s_mov_b64 s[0:1], -1
                                        ; implicit-def: $vgpr1
.LBB23_825:
	s_andn2_b64 vcc, exec, s[0:1]
	s_cbranch_vccnz .LBB23_827
; %bb.826:
	global_load_ushort v1, v[4:5], off
.LBB23_827:
	s_mov_b64 s[0:1], 0
.LBB23_828:
	s_andn2_b64 vcc, exec, s[0:1]
	s_cbranch_vccnz .LBB23_834
; %bb.829:
	global_load_ubyte v2, v[4:5], off
	s_movk_i32 s0, 0x7f
	s_mov_b64 s[60:61], 0
	s_waitcnt vmcnt(0)
	v_cmp_lt_i16_e32 vcc, s0, v2
	s_and_saveexec_b64 s[0:1], vcc
	s_xor_b64 s[0:1], exec, s[0:1]
	s_cbranch_execz .LBB23_846
; %bb.830:
	s_movk_i32 s60, 0x80
	v_cmp_ne_u16_e32 vcc, s60, v2
	s_and_b64 s[60:61], vcc, exec
	s_andn2_saveexec_b64 s[0:1], s[0:1]
	s_cbranch_execnz .LBB23_847
.LBB23_831:
	s_or_b64 exec, exec, s[0:1]
	v_mov_b32_e32 v1, 0
	s_and_saveexec_b64 s[0:1], s[60:61]
	s_cbranch_execz .LBB23_833
.LBB23_832:
	v_lshlrev_b32_e32 v1, 24, v2
	v_and_b32_e32 v2, 0xffff, v2
	v_and_b32_e32 v6, 7, v2
	v_ffbh_u32_e32 v8, v6
	v_min_u32_e32 v8, 32, v8
	v_subrev_u32_e32 v9, 28, v8
	v_bfe_u32 v7, v2, 3, 4
	v_lshlrev_b32_e32 v2, v9, v2
	v_sub_u32_e32 v8, 29, v8
	v_and_b32_e32 v2, 7, v2
	v_cmp_eq_u32_e32 vcc, 0, v7
	v_cndmask_b32_e32 v7, v7, v8, vcc
	v_cndmask_b32_e32 v2, v6, v2, vcc
	v_mov_b32_e32 v6, 0x3b800000
	v_lshlrev_b32_e32 v2, 20, v2
	v_and_b32_e32 v1, 0x80000000, v1
	v_lshl_add_u32 v6, v7, 23, v6
	v_or3_b32 v1, v1, v6, v2
	v_trunc_f32_e32 v1, v1
	s_mov_b32 s60, 0x2f800000
	v_mul_f32_e64 v2, |v1|, s60
	v_floor_f32_e32 v2, v2
	s_mov_b32 s60, 0xcf800000
	v_fma_f32 v2, v2, s60, |v1|
	v_cvt_u32_f32_e32 v2, v2
	v_ashrrev_i32_e32 v1, 31, v1
	v_xor_b32_e32 v2, v2, v1
	v_sub_u32_e32 v1, v2, v1
.LBB23_833:
	s_or_b64 exec, exec, s[0:1]
.LBB23_834:
	s_mov_b64 s[0:1], -1
.LBB23_835:
	s_mov_b64 s[60:61], 0
.LBB23_836:
	s_and_b64 vcc, exec, s[60:61]
	s_cbranch_vccz .LBB23_869
; %bb.837:
	s_cmp_gt_i32 s62, 22
	s_cbranch_scc0 .LBB23_845
; %bb.838:
	s_cmp_lt_i32 s62, 24
	s_cbranch_scc1 .LBB23_848
; %bb.839:
	s_cmp_gt_i32 s62, 24
	s_cbranch_scc0 .LBB23_849
; %bb.840:
	global_load_ubyte v2, v[4:5], off
	s_movk_i32 s0, 0x7f
	s_mov_b64 s[60:61], 0
	s_waitcnt vmcnt(0)
	v_cmp_lt_i16_e32 vcc, s0, v2
	s_and_saveexec_b64 s[0:1], vcc
	s_xor_b64 s[0:1], exec, s[0:1]
	s_cbranch_execz .LBB23_861
; %bb.841:
	s_movk_i32 s60, 0x80
	v_cmp_ne_u16_e32 vcc, s60, v2
	s_and_b64 s[60:61], vcc, exec
	s_andn2_saveexec_b64 s[0:1], s[0:1]
	s_cbranch_execnz .LBB23_862
.LBB23_842:
	s_or_b64 exec, exec, s[0:1]
	v_mov_b32_e32 v1, 0
	s_and_saveexec_b64 s[0:1], s[60:61]
	s_cbranch_execz .LBB23_844
.LBB23_843:
	v_lshlrev_b32_e32 v1, 24, v2
	v_and_b32_e32 v2, 0xffff, v2
	v_and_b32_e32 v6, 3, v2
	v_ffbh_u32_e32 v8, v6
	v_min_u32_e32 v8, 32, v8
	v_subrev_u32_e32 v9, 29, v8
	v_bfe_u32 v7, v2, 2, 5
	v_lshlrev_b32_e32 v2, v9, v2
	v_sub_u32_e32 v8, 30, v8
	v_and_b32_e32 v2, 3, v2
	v_cmp_eq_u32_e32 vcc, 0, v7
	v_cndmask_b32_e32 v7, v7, v8, vcc
	v_cndmask_b32_e32 v2, v6, v2, vcc
	v_mov_b32_e32 v6, 0x37800000
	v_lshlrev_b32_e32 v2, 21, v2
	v_and_b32_e32 v1, 0x80000000, v1
	v_lshl_add_u32 v6, v7, 23, v6
	v_or3_b32 v1, v1, v6, v2
	v_trunc_f32_e32 v1, v1
	s_mov_b32 s60, 0x2f800000
	v_mul_f32_e64 v2, |v1|, s60
	v_floor_f32_e32 v2, v2
	s_mov_b32 s60, 0xcf800000
	v_fma_f32 v2, v2, s60, |v1|
	v_cvt_u32_f32_e32 v2, v2
	v_ashrrev_i32_e32 v1, 31, v1
	v_xor_b32_e32 v2, v2, v1
	v_sub_u32_e32 v1, v2, v1
.LBB23_844:
	s_or_b64 exec, exec, s[0:1]
	s_mov_b64 s[0:1], 0
	s_branch .LBB23_850
.LBB23_845:
	s_mov_b64 s[60:61], -1
                                        ; implicit-def: $vgpr1
	s_branch .LBB23_856
.LBB23_846:
	s_andn2_saveexec_b64 s[0:1], s[0:1]
	s_cbranch_execz .LBB23_831
.LBB23_847:
	v_cmp_ne_u16_e32 vcc, 0, v2
	s_andn2_b64 s[60:61], s[60:61], exec
	s_and_b64 s[64:65], vcc, exec
	s_or_b64 s[60:61], s[60:61], s[64:65]
	s_or_b64 exec, exec, s[0:1]
	v_mov_b32_e32 v1, 0
	s_and_saveexec_b64 s[0:1], s[60:61]
	s_cbranch_execnz .LBB23_832
	s_branch .LBB23_833
.LBB23_848:
	s_mov_b64 s[0:1], -1
                                        ; implicit-def: $vgpr1
	s_branch .LBB23_853
.LBB23_849:
	s_mov_b64 s[0:1], -1
                                        ; implicit-def: $vgpr1
.LBB23_850:
	s_and_b64 vcc, exec, s[0:1]
	s_cbranch_vccz .LBB23_852
; %bb.851:
	global_load_ubyte v1, v[4:5], off
	s_mov_b32 s0, 0x7f800000
	s_brev_b32 s1, 1
	s_mov_b32 s60, 0x2f800000
	s_waitcnt vmcnt(0)
	v_lshlrev_b32_e32 v1, 24, v1
	v_and_b32_e32 v2, 0x7f000000, v1
	v_ffbh_u32_e32 v6, v2
	v_min_u32_e32 v6, 32, v6
	v_sub_u32_e64 v6, v6, 4 clamp
	v_lshlrev_b32_e32 v8, v6, v2
	v_lshlrev_b32_e32 v6, 23, v6
	v_lshrrev_b32_e32 v8, 4, v8
	v_add_u32_e32 v7, 0x1000000, v2
	v_sub_u32_e32 v6, v8, v6
	v_ashrrev_i32_e32 v7, 8, v7
	v_add_u32_e32 v6, 0x3c000000, v6
	v_and_or_b32 v6, v7, s0, v6
	v_cmp_ne_u32_e32 vcc, 0, v2
	v_cndmask_b32_e32 v2, 0, v6, vcc
	v_and_or_b32 v1, v1, s1, v2
	v_trunc_f32_e32 v1, v1
	v_mul_f32_e64 v2, |v1|, s60
	v_floor_f32_e32 v2, v2
	s_mov_b32 s0, 0xcf800000
	v_fma_f32 v2, v2, s0, |v1|
	v_cvt_u32_f32_e32 v2, v2
	v_ashrrev_i32_e32 v1, 31, v1
	v_xor_b32_e32 v2, v2, v1
	v_sub_u32_e32 v1, v2, v1
.LBB23_852:
	s_mov_b64 s[0:1], 0
.LBB23_853:
	s_andn2_b64 vcc, exec, s[0:1]
	s_cbranch_vccnz .LBB23_855
; %bb.854:
	global_load_ubyte v1, v[4:5], off
	s_movk_i32 s0, 0x7f00
	s_brev_b32 s1, 16
	s_brev_b32 s60, 1
	s_mov_b32 s61, 0x2f800000
	s_waitcnt vmcnt(0)
	v_lshlrev_b16_e32 v2, 8, v1
	v_lshlrev_b32_e32 v1, 25, v1
	v_lshrrev_b32_e32 v6, 4, v1
	v_and_or_b32 v7, v2, s0, 0.5
	v_or_b32_e32 v6, 0x70000000, v6
	v_add_f32_e32 v7, -0.5, v7
	v_mul_f32_e32 v6, 0x7800000, v6
	v_cmp_gt_u32_e32 vcc, s1, v1
	v_bfe_i32 v2, v2, 0, 16
	v_cndmask_b32_e32 v1, v6, v7, vcc
	v_and_or_b32 v1, v2, s60, v1
	v_trunc_f32_e32 v1, v1
	v_mul_f32_e64 v2, |v1|, s61
	v_floor_f32_e32 v2, v2
	s_mov_b32 s0, 0xcf800000
	v_fma_f32 v2, v2, s0, |v1|
	v_cvt_u32_f32_e32 v2, v2
	v_ashrrev_i32_e32 v1, 31, v1
	v_xor_b32_e32 v2, v2, v1
	v_sub_u32_e32 v1, v2, v1
.LBB23_855:
	s_mov_b64 s[60:61], 0
	s_mov_b64 s[0:1], -1
.LBB23_856:
	s_andn2_b64 vcc, exec, s[60:61]
	s_cbranch_vccnz .LBB23_869
; %bb.857:
	s_cmp_gt_i32 s62, 14
	s_cbranch_scc0 .LBB23_860
; %bb.858:
	s_cmp_eq_u32 s62, 15
	s_cbranch_scc0 .LBB23_863
; %bb.859:
	global_load_ushort v1, v[4:5], off
	s_mov_b32 s0, 0x2f800000
	s_mov_b32 s1, 0xcf800000
	s_mov_b64 s[58:59], 0
	s_waitcnt vmcnt(0)
	v_lshlrev_b32_e32 v1, 16, v1
	v_trunc_f32_e32 v1, v1
	v_mul_f32_e64 v2, |v1|, s0
	v_floor_f32_e32 v2, v2
	v_fma_f32 v2, v2, s1, |v1|
	v_cvt_u32_f32_e32 v2, v2
	v_ashrrev_i32_e32 v1, 31, v1
	s_mov_b64 s[0:1], -1
	v_xor_b32_e32 v2, v2, v1
	v_sub_u32_e32 v1, v2, v1
	s_branch .LBB23_864
.LBB23_860:
	s_mov_b64 s[60:61], -1
                                        ; implicit-def: $vgpr1
	s_branch .LBB23_865
.LBB23_861:
	s_andn2_saveexec_b64 s[0:1], s[0:1]
	s_cbranch_execz .LBB23_842
.LBB23_862:
	v_cmp_ne_u16_e32 vcc, 0, v2
	s_andn2_b64 s[60:61], s[60:61], exec
	s_and_b64 s[64:65], vcc, exec
	s_or_b64 s[60:61], s[60:61], s[64:65]
	s_or_b64 exec, exec, s[0:1]
	v_mov_b32_e32 v1, 0
	s_and_saveexec_b64 s[0:1], s[60:61]
	s_cbranch_execnz .LBB23_843
	s_branch .LBB23_844
.LBB23_863:
	s_mov_b64 s[58:59], -1
                                        ; implicit-def: $vgpr1
.LBB23_864:
	s_mov_b64 s[60:61], 0
.LBB23_865:
	s_and_b64 vcc, exec, s[60:61]
	s_cbranch_vccz .LBB23_869
; %bb.866:
	s_cmp_eq_u32 s62, 11
	s_cbranch_scc0 .LBB23_868
; %bb.867:
	global_load_ubyte v1, v[4:5], off
	s_mov_b64 s[0:1], -1
	s_mov_b64 s[58:59], 0
	s_waitcnt vmcnt(0)
	v_cmp_ne_u16_e32 vcc, 0, v1
	v_cndmask_b32_e64 v1, 0, 1, vcc
	s_branch .LBB23_869
.LBB23_868:
	s_mov_b64 s[58:59], -1
                                        ; implicit-def: $vgpr1
.LBB23_869:
	s_mov_b64 s[60:61], 0
.LBB23_870:
	s_and_b64 vcc, exec, s[60:61]
	s_cbranch_vccz .LBB23_919
; %bb.871:
	s_and_b32 s29, 0xffff, s29
	s_cmp_lt_i32 s29, 5
	s_cbranch_scc1 .LBB23_876
; %bb.872:
	s_cmp_lt_i32 s29, 8
	s_cbranch_scc1 .LBB23_877
; %bb.873:
	;; [unrolled: 3-line block ×3, first 2 shown]
	s_cmp_gt_i32 s29, 9
	s_cbranch_scc0 .LBB23_879
; %bb.875:
	global_load_dwordx2 v[1:2], v[4:5], off
	s_movk_i32 s0, 0xffe0
	s_waitcnt vmcnt(0)
	v_trunc_f64_e32 v[1:2], v[1:2]
	v_ldexp_f64 v[6:7], v[1:2], s0
	s_mov_b32 s0, 0
	s_mov_b32 s1, 0xc1f00000
	v_floor_f64_e32 v[6:7], v[6:7]
	v_fma_f64 v[1:2], v[6:7], s[0:1], v[1:2]
	s_mov_b64 s[0:1], 0
	v_cvt_u32_f64_e32 v1, v[1:2]
	s_branch .LBB23_880
.LBB23_876:
	s_mov_b64 s[0:1], -1
                                        ; implicit-def: $vgpr1
	s_branch .LBB23_898
.LBB23_877:
	s_mov_b64 s[0:1], -1
                                        ; implicit-def: $vgpr1
	s_branch .LBB23_886
.LBB23_878:
	s_mov_b64 s[0:1], -1
                                        ; implicit-def: $vgpr1
	s_branch .LBB23_883
.LBB23_879:
	s_mov_b64 s[0:1], -1
                                        ; implicit-def: $vgpr1
.LBB23_880:
	s_andn2_b64 vcc, exec, s[0:1]
	s_cbranch_vccnz .LBB23_882
; %bb.881:
	global_load_dword v1, v[4:5], off
	s_mov_b32 s0, 0x2f800000
	s_waitcnt vmcnt(0)
	v_trunc_f32_e32 v1, v1
	v_mul_f32_e64 v2, |v1|, s0
	v_floor_f32_e32 v2, v2
	s_mov_b32 s0, 0xcf800000
	v_fma_f32 v2, v2, s0, |v1|
	v_cvt_u32_f32_e32 v2, v2
	v_ashrrev_i32_e32 v1, 31, v1
	v_xor_b32_e32 v2, v2, v1
	v_sub_u32_e32 v1, v2, v1
.LBB23_882:
	s_mov_b64 s[0:1], 0
.LBB23_883:
	s_andn2_b64 vcc, exec, s[0:1]
	s_cbranch_vccnz .LBB23_885
; %bb.884:
	global_load_dword v1, v[4:5], off
	s_waitcnt vmcnt(0)
	v_cvt_f32_f16_e32 v1, v1
	v_cvt_i32_f32_e32 v1, v1
.LBB23_885:
	s_mov_b64 s[0:1], 0
.LBB23_886:
	s_andn2_b64 vcc, exec, s[0:1]
	s_cbranch_vccnz .LBB23_897
; %bb.887:
	s_cmp_lt_i32 s29, 6
	s_cbranch_scc1 .LBB23_890
; %bb.888:
	s_cmp_gt_i32 s29, 6
	s_cbranch_scc0 .LBB23_891
; %bb.889:
	global_load_dwordx2 v[1:2], v[4:5], off
	s_movk_i32 s0, 0xffe0
	s_waitcnt vmcnt(0)
	v_trunc_f64_e32 v[1:2], v[1:2]
	v_ldexp_f64 v[6:7], v[1:2], s0
	s_mov_b32 s0, 0
	s_mov_b32 s1, 0xc1f00000
	v_floor_f64_e32 v[6:7], v[6:7]
	v_fma_f64 v[1:2], v[6:7], s[0:1], v[1:2]
	s_mov_b64 s[0:1], 0
	v_cvt_u32_f64_e32 v1, v[1:2]
	s_branch .LBB23_892
.LBB23_890:
	s_mov_b64 s[0:1], -1
                                        ; implicit-def: $vgpr1
	s_branch .LBB23_895
.LBB23_891:
	s_mov_b64 s[0:1], -1
                                        ; implicit-def: $vgpr1
.LBB23_892:
	s_andn2_b64 vcc, exec, s[0:1]
	s_cbranch_vccnz .LBB23_894
; %bb.893:
	global_load_dword v1, v[4:5], off
	s_mov_b32 s0, 0x2f800000
	s_waitcnt vmcnt(0)
	v_trunc_f32_e32 v1, v1
	v_mul_f32_e64 v2, |v1|, s0
	v_floor_f32_e32 v2, v2
	s_mov_b32 s0, 0xcf800000
	v_fma_f32 v2, v2, s0, |v1|
	v_cvt_u32_f32_e32 v2, v2
	v_ashrrev_i32_e32 v1, 31, v1
	v_xor_b32_e32 v2, v2, v1
	v_sub_u32_e32 v1, v2, v1
.LBB23_894:
	s_mov_b64 s[0:1], 0
.LBB23_895:
	s_andn2_b64 vcc, exec, s[0:1]
	s_cbranch_vccnz .LBB23_897
; %bb.896:
	global_load_ushort v1, v[4:5], off
	s_waitcnt vmcnt(0)
	v_cvt_f32_f16_e32 v1, v1
	v_cvt_i32_f32_e32 v1, v1
.LBB23_897:
	s_mov_b64 s[0:1], 0
.LBB23_898:
	s_andn2_b64 vcc, exec, s[0:1]
	s_cbranch_vccnz .LBB23_918
; %bb.899:
	s_cmp_lt_i32 s29, 2
	s_cbranch_scc1 .LBB23_903
; %bb.900:
	s_cmp_lt_i32 s29, 3
	s_cbranch_scc1 .LBB23_904
; %bb.901:
	s_cmp_gt_i32 s29, 3
	s_cbranch_scc0 .LBB23_905
; %bb.902:
	global_load_dwordx2 v[1:2], v[4:5], off
	s_mov_b64 s[0:1], 0
	s_branch .LBB23_906
.LBB23_903:
	s_mov_b64 s[0:1], -1
                                        ; implicit-def: $vgpr1
	s_branch .LBB23_912
.LBB23_904:
	s_mov_b64 s[0:1], -1
                                        ; implicit-def: $vgpr1
	s_branch .LBB23_909
.LBB23_905:
	s_mov_b64 s[0:1], -1
                                        ; implicit-def: $vgpr1
.LBB23_906:
	s_andn2_b64 vcc, exec, s[0:1]
	s_cbranch_vccnz .LBB23_908
; %bb.907:
	global_load_dword v1, v[4:5], off
.LBB23_908:
	s_mov_b64 s[0:1], 0
.LBB23_909:
	s_andn2_b64 vcc, exec, s[0:1]
	s_cbranch_vccnz .LBB23_911
; %bb.910:
	global_load_ushort v1, v[4:5], off
.LBB23_911:
	s_mov_b64 s[0:1], 0
.LBB23_912:
	s_andn2_b64 vcc, exec, s[0:1]
	s_cbranch_vccnz .LBB23_918
; %bb.913:
	s_cmp_gt_i32 s29, 0
	s_cbranch_scc0 .LBB23_915
; %bb.914:
	global_load_ubyte v1, v[4:5], off
	s_mov_b64 s[0:1], 0
	s_branch .LBB23_916
.LBB23_915:
	s_mov_b64 s[0:1], -1
                                        ; implicit-def: $vgpr1
.LBB23_916:
	s_andn2_b64 vcc, exec, s[0:1]
	s_cbranch_vccnz .LBB23_918
; %bb.917:
	global_load_ubyte v1, v[4:5], off
.LBB23_918:
	s_mov_b64 s[0:1], -1
.LBB23_919:
	s_andn2_b64 vcc, exec, s[0:1]
	s_cbranch_vccnz .LBB23_927
; %bb.920:
	v_mov_b32_e32 v4, s13
	s_and_b32 s29, s15, 0xff
	s_waitcnt vmcnt(0)
	v_add_co_u32_e32 v2, vcc, s12, v3
	s_cmp_lt_i32 s29, 11
	v_addc_co_u32_e32 v3, vcc, 0, v4, vcc
	s_cbranch_scc1 .LBB23_929
; %bb.921:
	s_and_b32 s64, 0xffff, s29
	s_cmp_gt_i32 s64, 25
	s_cbranch_scc0 .LBB23_930
; %bb.922:
	s_cmp_gt_i32 s64, 28
	s_cbranch_scc0 .LBB23_931
; %bb.923:
	;; [unrolled: 3-line block ×4, first 2 shown]
	s_cmp_eq_u32 s64, 46
	s_mov_b64 s[62:63], 0
	s_cbranch_scc0 .LBB23_936
; %bb.926:
	global_load_dword v4, v[2:3], off
	s_mov_b32 s0, 0x2f800000
	s_mov_b32 s1, 0xcf800000
	s_mov_b64 s[60:61], 0
	s_waitcnt vmcnt(0)
	v_lshlrev_b32_e32 v4, 16, v4
	v_trunc_f32_e32 v4, v4
	v_mul_f32_e64 v5, |v4|, s0
	v_floor_f32_e32 v5, v5
	v_fma_f32 v5, v5, s1, |v4|
	v_cvt_u32_f32_e32 v5, v5
	v_ashrrev_i32_e32 v4, 31, v4
	s_mov_b64 s[0:1], -1
	v_xor_b32_e32 v5, v5, v4
	v_sub_u32_e32 v4, v5, v4
	s_branch .LBB23_937
.LBB23_927:
	s_mov_b64 s[64:65], 0
	s_mov_b64 s[0:1], s[52:53]
	;; [unrolled: 1-line block ×3, first 2 shown]
.LBB23_928:
                                        ; implicit-def: $vgpr10
	s_branch .LBB23_1171
.LBB23_929:
	s_mov_b64 s[62:63], -1
	s_mov_b64 s[0:1], 0
                                        ; implicit-def: $vgpr4
	s_mov_b64 s[60:61], s[50:51]
	s_branch .LBB23_998
.LBB23_930:
	s_mov_b64 s[62:63], -1
	s_mov_b64 s[0:1], 0
	s_mov_b64 s[60:61], s[50:51]
                                        ; implicit-def: $vgpr4
	s_branch .LBB23_964
.LBB23_931:
	s_mov_b64 s[62:63], -1
	s_mov_b64 s[0:1], 0
	s_mov_b64 s[60:61], s[50:51]
                                        ; implicit-def: $vgpr4
	s_branch .LBB23_947
.LBB23_932:
	s_mov_b64 s[62:63], -1
	s_mov_b64 s[0:1], 0
	s_mov_b64 s[60:61], s[50:51]
                                        ; implicit-def: $vgpr4
	s_branch .LBB23_942
.LBB23_933:
	s_mov_b64 s[62:63], -1
	s_mov_b64 s[0:1], 0
	s_mov_b64 s[60:61], s[50:51]
                                        ; implicit-def: $vgpr4
	s_branch .LBB23_937
.LBB23_934:
	s_andn2_saveexec_b64 s[58:59], s[58:59]
	s_cbranch_execz .LBB23_702
.LBB23_935:
	v_add_f32_e32 v3, 0x42800000, v4
	v_and_b32_e32 v3, 0xff, v3
	v_cmp_ne_u32_e32 vcc, 0, v3
	s_andn2_b64 s[56:57], s[56:57], exec
	s_and_b64 s[62:63], vcc, exec
	s_or_b64 s[56:57], s[56:57], s[62:63]
	s_or_b64 exec, exec, s[58:59]
	v_mov_b32_e32 v5, 0
	s_and_saveexec_b64 s[58:59], s[56:57]
	s_cbranch_execnz .LBB23_703
	s_branch .LBB23_704
.LBB23_936:
	s_mov_b64 s[60:61], -1
                                        ; implicit-def: $vgpr4
	s_mov_b64 s[0:1], 0
.LBB23_937:
	s_and_b64 vcc, exec, s[62:63]
	s_cbranch_vccz .LBB23_941
; %bb.938:
	s_cmp_eq_u32 s64, 44
	s_cbranch_scc0 .LBB23_940
; %bb.939:
	global_load_ubyte v4, v[2:3], off
	s_mov_b32 s0, 0x2f800000
	s_mov_b32 s1, 0xcf800000
	s_mov_b64 s[60:61], 0
	s_waitcnt vmcnt(0)
	v_lshlrev_b32_e32 v5, 23, v4
	v_trunc_f32_e32 v5, v5
	v_mul_f32_e64 v6, |v5|, s0
	v_floor_f32_e32 v6, v6
	v_fma_f32 v6, v6, s1, |v5|
	v_cvt_u32_f32_e32 v6, v6
	v_ashrrev_i32_e32 v5, 31, v5
	v_cmp_ne_u32_e32 vcc, 0, v4
	s_mov_b64 s[0:1], -1
	v_xor_b32_e32 v6, v6, v5
	v_sub_u32_e32 v5, v6, v5
	v_cndmask_b32_e32 v4, 0, v5, vcc
	s_branch .LBB23_941
.LBB23_940:
	s_mov_b64 s[60:61], -1
                                        ; implicit-def: $vgpr4
.LBB23_941:
	s_mov_b64 s[62:63], 0
.LBB23_942:
	s_and_b64 vcc, exec, s[62:63]
	s_cbranch_vccz .LBB23_946
; %bb.943:
	s_cmp_eq_u32 s64, 29
	s_cbranch_scc0 .LBB23_945
; %bb.944:
	global_load_dwordx2 v[4:5], v[2:3], off
	s_mov_b64 s[0:1], -1
	s_mov_b64 s[60:61], 0
	s_branch .LBB23_946
.LBB23_945:
	s_mov_b64 s[60:61], -1
                                        ; implicit-def: $vgpr4
.LBB23_946:
	s_mov_b64 s[62:63], 0
.LBB23_947:
	s_and_b64 vcc, exec, s[62:63]
	s_cbranch_vccz .LBB23_963
; %bb.948:
	s_cmp_lt_i32 s64, 27
	s_cbranch_scc1 .LBB23_951
; %bb.949:
	s_cmp_gt_i32 s64, 27
	s_cbranch_scc0 .LBB23_952
; %bb.950:
	global_load_dword v4, v[2:3], off
	s_mov_b64 s[0:1], 0
	s_branch .LBB23_953
.LBB23_951:
	s_mov_b64 s[0:1], -1
                                        ; implicit-def: $vgpr4
	s_branch .LBB23_956
.LBB23_952:
	s_mov_b64 s[0:1], -1
                                        ; implicit-def: $vgpr4
.LBB23_953:
	s_andn2_b64 vcc, exec, s[0:1]
	s_cbranch_vccnz .LBB23_955
; %bb.954:
	global_load_ushort v4, v[2:3], off
.LBB23_955:
	s_mov_b64 s[0:1], 0
.LBB23_956:
	s_andn2_b64 vcc, exec, s[0:1]
	s_cbranch_vccnz .LBB23_962
; %bb.957:
	global_load_ubyte v5, v[2:3], off
	s_movk_i32 s0, 0x7f
	s_mov_b64 s[62:63], 0
	s_waitcnt vmcnt(0)
	v_cmp_lt_i16_e32 vcc, s0, v5
	s_and_saveexec_b64 s[0:1], vcc
	s_xor_b64 s[0:1], exec, s[0:1]
	s_cbranch_execz .LBB23_974
; %bb.958:
	s_movk_i32 s62, 0x80
	v_cmp_ne_u16_e32 vcc, s62, v5
	s_and_b64 s[62:63], vcc, exec
	s_andn2_saveexec_b64 s[0:1], s[0:1]
	s_cbranch_execnz .LBB23_975
.LBB23_959:
	s_or_b64 exec, exec, s[0:1]
	v_mov_b32_e32 v4, 0
	s_and_saveexec_b64 s[0:1], s[62:63]
	s_cbranch_execz .LBB23_961
.LBB23_960:
	v_lshlrev_b32_e32 v4, 24, v5
	v_and_b32_e32 v5, 0xffff, v5
	v_and_b32_e32 v6, 7, v5
	v_ffbh_u32_e32 v8, v6
	v_min_u32_e32 v8, 32, v8
	v_subrev_u32_e32 v9, 28, v8
	v_bfe_u32 v7, v5, 3, 4
	v_lshlrev_b32_e32 v5, v9, v5
	v_sub_u32_e32 v8, 29, v8
	v_and_b32_e32 v5, 7, v5
	v_cmp_eq_u32_e32 vcc, 0, v7
	v_cndmask_b32_e32 v7, v7, v8, vcc
	v_cndmask_b32_e32 v5, v6, v5, vcc
	v_mov_b32_e32 v6, 0x3b800000
	v_lshlrev_b32_e32 v5, 20, v5
	v_and_b32_e32 v4, 0x80000000, v4
	v_lshl_add_u32 v6, v7, 23, v6
	v_or3_b32 v4, v4, v6, v5
	v_trunc_f32_e32 v4, v4
	s_mov_b32 s62, 0x2f800000
	v_mul_f32_e64 v5, |v4|, s62
	v_floor_f32_e32 v5, v5
	s_mov_b32 s62, 0xcf800000
	v_fma_f32 v5, v5, s62, |v4|
	v_cvt_u32_f32_e32 v5, v5
	v_ashrrev_i32_e32 v4, 31, v4
	v_xor_b32_e32 v5, v5, v4
	v_sub_u32_e32 v4, v5, v4
.LBB23_961:
	s_or_b64 exec, exec, s[0:1]
.LBB23_962:
	s_mov_b64 s[0:1], -1
.LBB23_963:
	s_mov_b64 s[62:63], 0
.LBB23_964:
	s_and_b64 vcc, exec, s[62:63]
	s_cbranch_vccz .LBB23_997
; %bb.965:
	s_cmp_gt_i32 s64, 22
	s_cbranch_scc0 .LBB23_973
; %bb.966:
	s_cmp_lt_i32 s64, 24
	s_cbranch_scc1 .LBB23_976
; %bb.967:
	s_cmp_gt_i32 s64, 24
	s_cbranch_scc0 .LBB23_977
; %bb.968:
	global_load_ubyte v5, v[2:3], off
	s_movk_i32 s0, 0x7f
	s_mov_b64 s[62:63], 0
	s_waitcnt vmcnt(0)
	v_cmp_lt_i16_e32 vcc, s0, v5
	s_and_saveexec_b64 s[0:1], vcc
	s_xor_b64 s[0:1], exec, s[0:1]
	s_cbranch_execz .LBB23_989
; %bb.969:
	s_movk_i32 s62, 0x80
	v_cmp_ne_u16_e32 vcc, s62, v5
	s_and_b64 s[62:63], vcc, exec
	s_andn2_saveexec_b64 s[0:1], s[0:1]
	s_cbranch_execnz .LBB23_990
.LBB23_970:
	s_or_b64 exec, exec, s[0:1]
	v_mov_b32_e32 v4, 0
	s_and_saveexec_b64 s[0:1], s[62:63]
	s_cbranch_execz .LBB23_972
.LBB23_971:
	v_lshlrev_b32_e32 v4, 24, v5
	v_and_b32_e32 v5, 0xffff, v5
	v_and_b32_e32 v6, 3, v5
	v_ffbh_u32_e32 v8, v6
	v_min_u32_e32 v8, 32, v8
	v_subrev_u32_e32 v9, 29, v8
	v_bfe_u32 v7, v5, 2, 5
	v_lshlrev_b32_e32 v5, v9, v5
	v_sub_u32_e32 v8, 30, v8
	v_and_b32_e32 v5, 3, v5
	v_cmp_eq_u32_e32 vcc, 0, v7
	v_cndmask_b32_e32 v7, v7, v8, vcc
	v_cndmask_b32_e32 v5, v6, v5, vcc
	v_mov_b32_e32 v6, 0x37800000
	v_lshlrev_b32_e32 v5, 21, v5
	v_and_b32_e32 v4, 0x80000000, v4
	v_lshl_add_u32 v6, v7, 23, v6
	v_or3_b32 v4, v4, v6, v5
	v_trunc_f32_e32 v4, v4
	s_mov_b32 s62, 0x2f800000
	v_mul_f32_e64 v5, |v4|, s62
	v_floor_f32_e32 v5, v5
	s_mov_b32 s62, 0xcf800000
	v_fma_f32 v5, v5, s62, |v4|
	v_cvt_u32_f32_e32 v5, v5
	v_ashrrev_i32_e32 v4, 31, v4
	v_xor_b32_e32 v5, v5, v4
	v_sub_u32_e32 v4, v5, v4
.LBB23_972:
	s_or_b64 exec, exec, s[0:1]
	s_mov_b64 s[0:1], 0
	s_branch .LBB23_978
.LBB23_973:
	s_mov_b64 s[62:63], -1
                                        ; implicit-def: $vgpr4
	s_branch .LBB23_984
.LBB23_974:
	s_andn2_saveexec_b64 s[0:1], s[0:1]
	s_cbranch_execz .LBB23_959
.LBB23_975:
	v_cmp_ne_u16_e32 vcc, 0, v5
	s_andn2_b64 s[62:63], s[62:63], exec
	s_and_b64 s[66:67], vcc, exec
	s_or_b64 s[62:63], s[62:63], s[66:67]
	s_or_b64 exec, exec, s[0:1]
	v_mov_b32_e32 v4, 0
	s_and_saveexec_b64 s[0:1], s[62:63]
	s_cbranch_execnz .LBB23_960
	s_branch .LBB23_961
.LBB23_976:
	s_mov_b64 s[0:1], -1
                                        ; implicit-def: $vgpr4
	s_branch .LBB23_981
.LBB23_977:
	s_mov_b64 s[0:1], -1
                                        ; implicit-def: $vgpr4
.LBB23_978:
	s_and_b64 vcc, exec, s[0:1]
	s_cbranch_vccz .LBB23_980
; %bb.979:
	global_load_ubyte v4, v[2:3], off
	s_mov_b32 s0, 0x7f800000
	s_brev_b32 s1, 1
	s_mov_b32 s62, 0x2f800000
	s_waitcnt vmcnt(0)
	v_lshlrev_b32_e32 v4, 24, v4
	v_and_b32_e32 v5, 0x7f000000, v4
	v_ffbh_u32_e32 v6, v5
	v_min_u32_e32 v6, 32, v6
	v_sub_u32_e64 v6, v6, 4 clamp
	v_lshlrev_b32_e32 v8, v6, v5
	v_lshlrev_b32_e32 v6, 23, v6
	v_lshrrev_b32_e32 v8, 4, v8
	v_add_u32_e32 v7, 0x1000000, v5
	v_sub_u32_e32 v6, v8, v6
	v_ashrrev_i32_e32 v7, 8, v7
	v_add_u32_e32 v6, 0x3c000000, v6
	v_and_or_b32 v6, v7, s0, v6
	v_cmp_ne_u32_e32 vcc, 0, v5
	v_cndmask_b32_e32 v5, 0, v6, vcc
	v_and_or_b32 v4, v4, s1, v5
	v_trunc_f32_e32 v4, v4
	v_mul_f32_e64 v5, |v4|, s62
	v_floor_f32_e32 v5, v5
	s_mov_b32 s0, 0xcf800000
	v_fma_f32 v5, v5, s0, |v4|
	v_cvt_u32_f32_e32 v5, v5
	v_ashrrev_i32_e32 v4, 31, v4
	v_xor_b32_e32 v5, v5, v4
	v_sub_u32_e32 v4, v5, v4
.LBB23_980:
	s_mov_b64 s[0:1], 0
.LBB23_981:
	s_andn2_b64 vcc, exec, s[0:1]
	s_cbranch_vccnz .LBB23_983
; %bb.982:
	global_load_ubyte v4, v[2:3], off
	s_movk_i32 s0, 0x7f00
	s_brev_b32 s1, 16
	s_brev_b32 s62, 1
	s_mov_b32 s63, 0x2f800000
	s_waitcnt vmcnt(0)
	v_lshlrev_b16_e32 v5, 8, v4
	v_lshlrev_b32_e32 v4, 25, v4
	v_lshrrev_b32_e32 v6, 4, v4
	v_and_or_b32 v7, v5, s0, 0.5
	v_or_b32_e32 v6, 0x70000000, v6
	v_add_f32_e32 v7, -0.5, v7
	v_mul_f32_e32 v6, 0x7800000, v6
	v_cmp_gt_u32_e32 vcc, s1, v4
	v_bfe_i32 v5, v5, 0, 16
	v_cndmask_b32_e32 v4, v6, v7, vcc
	v_and_or_b32 v4, v5, s62, v4
	v_trunc_f32_e32 v4, v4
	v_mul_f32_e64 v5, |v4|, s63
	v_floor_f32_e32 v5, v5
	s_mov_b32 s0, 0xcf800000
	v_fma_f32 v5, v5, s0, |v4|
	v_cvt_u32_f32_e32 v5, v5
	v_ashrrev_i32_e32 v4, 31, v4
	v_xor_b32_e32 v5, v5, v4
	v_sub_u32_e32 v4, v5, v4
.LBB23_983:
	s_mov_b64 s[62:63], 0
	s_mov_b64 s[0:1], -1
.LBB23_984:
	s_andn2_b64 vcc, exec, s[62:63]
	s_cbranch_vccnz .LBB23_997
; %bb.985:
	s_cmp_gt_i32 s64, 14
	s_cbranch_scc0 .LBB23_988
; %bb.986:
	s_cmp_eq_u32 s64, 15
	s_cbranch_scc0 .LBB23_991
; %bb.987:
	global_load_ushort v4, v[2:3], off
	s_mov_b32 s0, 0x2f800000
	s_mov_b32 s1, 0xcf800000
	s_mov_b64 s[60:61], 0
	s_waitcnt vmcnt(0)
	v_lshlrev_b32_e32 v4, 16, v4
	v_trunc_f32_e32 v4, v4
	v_mul_f32_e64 v5, |v4|, s0
	v_floor_f32_e32 v5, v5
	v_fma_f32 v5, v5, s1, |v4|
	v_cvt_u32_f32_e32 v5, v5
	v_ashrrev_i32_e32 v4, 31, v4
	s_mov_b64 s[0:1], -1
	v_xor_b32_e32 v5, v5, v4
	v_sub_u32_e32 v4, v5, v4
	s_branch .LBB23_992
.LBB23_988:
	s_mov_b64 s[62:63], -1
                                        ; implicit-def: $vgpr4
	s_branch .LBB23_993
.LBB23_989:
	s_andn2_saveexec_b64 s[0:1], s[0:1]
	s_cbranch_execz .LBB23_970
.LBB23_990:
	v_cmp_ne_u16_e32 vcc, 0, v5
	s_andn2_b64 s[62:63], s[62:63], exec
	s_and_b64 s[66:67], vcc, exec
	s_or_b64 s[62:63], s[62:63], s[66:67]
	s_or_b64 exec, exec, s[0:1]
	v_mov_b32_e32 v4, 0
	s_and_saveexec_b64 s[0:1], s[62:63]
	s_cbranch_execnz .LBB23_971
	s_branch .LBB23_972
.LBB23_991:
	s_mov_b64 s[60:61], -1
                                        ; implicit-def: $vgpr4
.LBB23_992:
	s_mov_b64 s[62:63], 0
.LBB23_993:
	s_and_b64 vcc, exec, s[62:63]
	s_cbranch_vccz .LBB23_997
; %bb.994:
	s_cmp_eq_u32 s64, 11
	s_cbranch_scc0 .LBB23_996
; %bb.995:
	global_load_ubyte v4, v[2:3], off
	s_mov_b64 s[0:1], -1
	s_mov_b64 s[60:61], 0
	s_waitcnt vmcnt(0)
	v_cmp_ne_u16_e32 vcc, 0, v4
	v_cndmask_b32_e64 v4, 0, 1, vcc
	s_branch .LBB23_997
.LBB23_996:
	s_mov_b64 s[60:61], -1
                                        ; implicit-def: $vgpr4
.LBB23_997:
	s_mov_b64 s[62:63], 0
.LBB23_998:
	s_and_b64 vcc, exec, s[62:63]
	s_cbranch_vccz .LBB23_1047
; %bb.999:
	s_and_b32 s29, 0xffff, s29
	s_cmp_lt_i32 s29, 5
	s_cbranch_scc1 .LBB23_1004
; %bb.1000:
	s_cmp_lt_i32 s29, 8
	s_cbranch_scc1 .LBB23_1005
; %bb.1001:
	s_cmp_lt_i32 s29, 9
	s_cbranch_scc1 .LBB23_1006
; %bb.1002:
	s_cmp_gt_i32 s29, 9
	s_cbranch_scc0 .LBB23_1007
; %bb.1003:
	global_load_dwordx2 v[4:5], v[2:3], off
	s_movk_i32 s0, 0xffe0
	s_waitcnt vmcnt(0)
	v_trunc_f64_e32 v[4:5], v[4:5]
	v_ldexp_f64 v[6:7], v[4:5], s0
	s_mov_b32 s0, 0
	s_mov_b32 s1, 0xc1f00000
	v_floor_f64_e32 v[6:7], v[6:7]
	v_fma_f64 v[4:5], v[6:7], s[0:1], v[4:5]
	s_mov_b64 s[0:1], 0
	v_cvt_u32_f64_e32 v4, v[4:5]
	s_branch .LBB23_1008
.LBB23_1004:
	s_mov_b64 s[0:1], -1
                                        ; implicit-def: $vgpr4
	s_branch .LBB23_1026
.LBB23_1005:
	s_mov_b64 s[0:1], -1
                                        ; implicit-def: $vgpr4
	s_branch .LBB23_1014
.LBB23_1006:
	s_mov_b64 s[0:1], -1
                                        ; implicit-def: $vgpr4
	s_branch .LBB23_1011
.LBB23_1007:
	s_mov_b64 s[0:1], -1
                                        ; implicit-def: $vgpr4
.LBB23_1008:
	s_andn2_b64 vcc, exec, s[0:1]
	s_cbranch_vccnz .LBB23_1010
; %bb.1009:
	global_load_dword v4, v[2:3], off
	s_mov_b32 s0, 0x2f800000
	s_waitcnt vmcnt(0)
	v_trunc_f32_e32 v4, v4
	v_mul_f32_e64 v5, |v4|, s0
	v_floor_f32_e32 v5, v5
	s_mov_b32 s0, 0xcf800000
	v_fma_f32 v5, v5, s0, |v4|
	v_cvt_u32_f32_e32 v5, v5
	v_ashrrev_i32_e32 v4, 31, v4
	v_xor_b32_e32 v5, v5, v4
	v_sub_u32_e32 v4, v5, v4
.LBB23_1010:
	s_mov_b64 s[0:1], 0
.LBB23_1011:
	s_andn2_b64 vcc, exec, s[0:1]
	s_cbranch_vccnz .LBB23_1013
; %bb.1012:
	global_load_dword v4, v[2:3], off
	s_waitcnt vmcnt(0)
	v_cvt_f32_f16_e32 v4, v4
	v_cvt_i32_f32_e32 v4, v4
.LBB23_1013:
	s_mov_b64 s[0:1], 0
.LBB23_1014:
	s_andn2_b64 vcc, exec, s[0:1]
	s_cbranch_vccnz .LBB23_1025
; %bb.1015:
	s_cmp_lt_i32 s29, 6
	s_cbranch_scc1 .LBB23_1018
; %bb.1016:
	s_cmp_gt_i32 s29, 6
	s_cbranch_scc0 .LBB23_1019
; %bb.1017:
	global_load_dwordx2 v[4:5], v[2:3], off
	s_movk_i32 s0, 0xffe0
	s_waitcnt vmcnt(0)
	v_trunc_f64_e32 v[4:5], v[4:5]
	v_ldexp_f64 v[6:7], v[4:5], s0
	s_mov_b32 s0, 0
	s_mov_b32 s1, 0xc1f00000
	v_floor_f64_e32 v[6:7], v[6:7]
	v_fma_f64 v[4:5], v[6:7], s[0:1], v[4:5]
	s_mov_b64 s[0:1], 0
	v_cvt_u32_f64_e32 v4, v[4:5]
	s_branch .LBB23_1020
.LBB23_1018:
	s_mov_b64 s[0:1], -1
                                        ; implicit-def: $vgpr4
	s_branch .LBB23_1023
.LBB23_1019:
	s_mov_b64 s[0:1], -1
                                        ; implicit-def: $vgpr4
.LBB23_1020:
	s_andn2_b64 vcc, exec, s[0:1]
	s_cbranch_vccnz .LBB23_1022
; %bb.1021:
	global_load_dword v4, v[2:3], off
	s_mov_b32 s0, 0x2f800000
	s_waitcnt vmcnt(0)
	v_trunc_f32_e32 v4, v4
	v_mul_f32_e64 v5, |v4|, s0
	v_floor_f32_e32 v5, v5
	s_mov_b32 s0, 0xcf800000
	v_fma_f32 v5, v5, s0, |v4|
	v_cvt_u32_f32_e32 v5, v5
	v_ashrrev_i32_e32 v4, 31, v4
	v_xor_b32_e32 v5, v5, v4
	v_sub_u32_e32 v4, v5, v4
.LBB23_1022:
	s_mov_b64 s[0:1], 0
.LBB23_1023:
	s_andn2_b64 vcc, exec, s[0:1]
	s_cbranch_vccnz .LBB23_1025
; %bb.1024:
	global_load_ushort v4, v[2:3], off
	s_waitcnt vmcnt(0)
	v_cvt_f32_f16_e32 v4, v4
	v_cvt_i32_f32_e32 v4, v4
.LBB23_1025:
	s_mov_b64 s[0:1], 0
.LBB23_1026:
	s_andn2_b64 vcc, exec, s[0:1]
	s_cbranch_vccnz .LBB23_1046
; %bb.1027:
	s_cmp_lt_i32 s29, 2
	s_cbranch_scc1 .LBB23_1031
; %bb.1028:
	s_cmp_lt_i32 s29, 3
	s_cbranch_scc1 .LBB23_1032
; %bb.1029:
	s_cmp_gt_i32 s29, 3
	s_cbranch_scc0 .LBB23_1033
; %bb.1030:
	global_load_dwordx2 v[4:5], v[2:3], off
	s_mov_b64 s[0:1], 0
	s_branch .LBB23_1034
.LBB23_1031:
	s_mov_b64 s[0:1], -1
                                        ; implicit-def: $vgpr4
	s_branch .LBB23_1040
.LBB23_1032:
	s_mov_b64 s[0:1], -1
                                        ; implicit-def: $vgpr4
	s_branch .LBB23_1037
.LBB23_1033:
	s_mov_b64 s[0:1], -1
                                        ; implicit-def: $vgpr4
.LBB23_1034:
	s_andn2_b64 vcc, exec, s[0:1]
	s_cbranch_vccnz .LBB23_1036
; %bb.1035:
	global_load_dword v4, v[2:3], off
.LBB23_1036:
	s_mov_b64 s[0:1], 0
.LBB23_1037:
	s_andn2_b64 vcc, exec, s[0:1]
	s_cbranch_vccnz .LBB23_1039
; %bb.1038:
	global_load_ushort v4, v[2:3], off
.LBB23_1039:
	s_mov_b64 s[0:1], 0
.LBB23_1040:
	s_andn2_b64 vcc, exec, s[0:1]
	s_cbranch_vccnz .LBB23_1046
; %bb.1041:
	s_cmp_gt_i32 s29, 0
	s_cbranch_scc0 .LBB23_1043
; %bb.1042:
	global_load_ubyte v4, v[2:3], off
	s_mov_b64 s[0:1], 0
	s_branch .LBB23_1044
.LBB23_1043:
	s_mov_b64 s[0:1], -1
                                        ; implicit-def: $vgpr4
.LBB23_1044:
	s_andn2_b64 vcc, exec, s[0:1]
	s_cbranch_vccnz .LBB23_1046
; %bb.1045:
	global_load_ubyte v4, v[2:3], off
.LBB23_1046:
	s_mov_b64 s[0:1], -1
.LBB23_1047:
	s_andn2_b64 vcc, exec, s[0:1]
	s_cbranch_vccnz .LBB23_1055
; %bb.1048:
	s_and_b32 s0, s14, 0xff
	v_mov_b32_e32 v2, s74
	v_cmp_gt_u16_sdwa vcc, v1, s0 src0_sel:BYTE_0 src1_sel:DWORD
	s_waitcnt vmcnt(0)
	v_cndmask_b32_e32 v2, v2, v4, vcc
	v_mov_b32_e32 v1, s9
	s_and_b32 s29, s73, 0xff
	v_add_co_u32_e32 v0, vcc, s8, v0
	s_cmp_lt_i32 s29, 11
	v_addc_co_u32_e32 v1, vcc, 0, v1, vcc
	s_cbranch_scc1 .LBB23_1056
; %bb.1049:
	s_and_b32 s68, 0xffff, s29
	s_cmp_gt_i32 s68, 25
	s_cbranch_scc0 .LBB23_1057
; %bb.1050:
	s_cmp_gt_i32 s68, 28
	s_cbranch_scc0 .LBB23_1058
; %bb.1051:
	;; [unrolled: 3-line block ×4, first 2 shown]
	s_mov_b64 s[64:65], 0
	s_mov_b64 s[0:1], -1
	s_cmp_eq_u32 s68, 46
	s_mov_b64 s[62:63], 0
	s_cbranch_scc0 .LBB23_1061
; %bb.1054:
	v_cvt_f32_ubyte0_e32 v3, v2
	v_bfe_u32 v4, v3, 16, 1
	s_movk_i32 s0, 0x7fff
	v_add3_u32 v3, v3, v4, s0
	v_lshrrev_b32_e32 v3, 16, v3
	global_store_dword v[0:1], v3, off
	s_mov_b64 s[62:63], -1
	s_mov_b64 s[0:1], 0
	s_branch .LBB23_1061
.LBB23_1055:
	s_mov_b64 s[64:65], 0
                                        ; implicit-def: $vgpr10
	s_mov_b64 s[0:1], s[52:53]
	s_branch .LBB23_1171
.LBB23_1056:
	s_mov_b64 s[64:65], -1
	s_mov_b64 s[62:63], 0
	s_mov_b64 s[0:1], s[52:53]
	s_branch .LBB23_1130
.LBB23_1057:
	s_mov_b64 s[64:65], -1
	s_mov_b64 s[62:63], 0
	s_mov_b64 s[0:1], s[52:53]
	s_branch .LBB23_1088
.LBB23_1058:
	s_mov_b64 s[64:65], -1
	s_mov_b64 s[62:63], 0
	s_mov_b64 s[0:1], s[52:53]
	s_branch .LBB23_1071
.LBB23_1059:
	s_mov_b64 s[64:65], -1
	s_mov_b64 s[62:63], 0
	s_mov_b64 s[0:1], s[52:53]
	s_branch .LBB23_1067
.LBB23_1060:
	s_mov_b64 s[64:65], -1
	s_mov_b64 s[62:63], 0
	s_mov_b64 s[0:1], s[52:53]
.LBB23_1061:
	s_and_b64 vcc, exec, s[64:65]
	s_cbranch_vccz .LBB23_1066
; %bb.1062:
	s_cmp_eq_u32 s68, 44
	s_mov_b64 s[0:1], -1
	s_cbranch_scc0 .LBB23_1066
; %bb.1063:
	v_cvt_f32_ubyte0_e32 v4, v2
	v_lshrrev_b32_e32 v3, 23, v4
	s_movk_i32 s0, 0xff
	v_cmp_ne_u32_e32 vcc, s0, v3
	v_mov_b32_e32 v5, 0xff
	s_and_saveexec_b64 s[62:63], vcc
; %bb.1064:
	s_mov_b32 s0, 0x3fffff
	v_and_b32_e32 v5, 0x400000, v4
	v_and_or_b32 v4, v4, s0, v3
	v_cmp_ne_u32_e32 vcc, 0, v5
	v_cmp_ne_u32_e64 s[0:1], 0, v4
	s_and_b64 s[0:1], vcc, s[0:1]
	v_cndmask_b32_e64 v4, 0, 1, s[0:1]
	v_add_u32_e32 v5, v3, v4
; %bb.1065:
	s_or_b64 exec, exec, s[62:63]
	s_mov_b64 s[62:63], -1
	s_mov_b64 s[0:1], 0
	global_store_byte v[0:1], v5, off
.LBB23_1066:
	s_mov_b64 s[64:65], 0
.LBB23_1067:
	s_and_b64 vcc, exec, s[64:65]
	s_cbranch_vccz .LBB23_1070
; %bb.1068:
	s_cmp_eq_u32 s68, 29
	s_mov_b64 s[0:1], -1
	s_cbranch_scc0 .LBB23_1070
; %bb.1069:
	v_and_b32_e32 v3, 0xff, v2
	v_mov_b32_e32 v4, 0
	global_store_dwordx2 v[0:1], v[3:4], off
	s_mov_b64 s[62:63], -1
	s_mov_b64 s[0:1], 0
.LBB23_1070:
	s_mov_b64 s[64:65], 0
.LBB23_1071:
	s_and_b64 vcc, exec, s[64:65]
	s_cbranch_vccz .LBB23_1087
; %bb.1072:
	s_cmp_lt_i32 s68, 27
	s_mov_b64 s[62:63], -1
	s_cbranch_scc1 .LBB23_1078
; %bb.1073:
	s_cmp_gt_i32 s68, 27
	s_cbranch_scc0 .LBB23_1075
; %bb.1074:
	v_and_b32_e32 v3, 0xff, v2
	s_mov_b64 s[62:63], 0
	global_store_dword v[0:1], v3, off
.LBB23_1075:
	s_andn2_b64 vcc, exec, s[62:63]
	s_cbranch_vccnz .LBB23_1077
; %bb.1076:
	v_and_b32_e32 v3, 0xff, v2
	global_store_short v[0:1], v3, off
.LBB23_1077:
	s_mov_b64 s[62:63], 0
.LBB23_1078:
	s_andn2_b64 vcc, exec, s[62:63]
	s_cbranch_vccnz .LBB23_1086
; %bb.1079:
	v_cvt_f32_ubyte0_e32 v4, v2
	s_mov_b32 s62, 0x43800000
	v_cmp_gt_u32_e32 vcc, s62, v4
	v_mov_b32_e32 v5, 0x80
	s_and_saveexec_b64 s[62:63], vcc
	s_cbranch_execz .LBB23_1085
; %bb.1080:
	s_mov_b32 s64, 0x3bffffff
	v_cmp_lt_u32_e32 vcc, s64, v4
	s_mov_b64 s[64:65], 0
                                        ; implicit-def: $vgpr3
	s_and_saveexec_b64 s[66:67], vcc
	s_xor_b64 s[66:67], exec, s[66:67]
	s_cbranch_execz .LBB23_1199
; %bb.1081:
	v_bfe_u32 v3, v4, 20, 1
	s_mov_b32 s69, 0x487ffff
	v_add3_u32 v3, v4, v3, s69
	s_mov_b64 s[64:65], exec
	v_lshrrev_b32_e32 v3, 20, v3
                                        ; implicit-def: $vgpr4
	s_andn2_saveexec_b64 s[66:67], s[66:67]
	s_cbranch_execnz .LBB23_1200
.LBB23_1082:
	s_or_b64 exec, exec, s[66:67]
	v_mov_b32_e32 v5, 0
	s_and_saveexec_b64 s[66:67], s[64:65]
.LBB23_1083:
	v_mov_b32_e32 v5, v3
.LBB23_1084:
	s_or_b64 exec, exec, s[66:67]
.LBB23_1085:
	s_or_b64 exec, exec, s[62:63]
	global_store_byte v[0:1], v5, off
.LBB23_1086:
	s_mov_b64 s[62:63], -1
.LBB23_1087:
	s_mov_b64 s[64:65], 0
.LBB23_1088:
	s_and_b64 vcc, exec, s[64:65]
	s_cbranch_vccz .LBB23_1129
; %bb.1089:
	s_cmp_gt_i32 s68, 22
	s_mov_b64 s[64:65], -1
	s_cbranch_scc0 .LBB23_1121
; %bb.1090:
	s_cmp_lt_i32 s68, 24
	s_mov_b64 s[62:63], -1
	s_cbranch_scc1 .LBB23_1110
; %bb.1091:
	s_cmp_gt_i32 s68, 24
	s_cbranch_scc0 .LBB23_1099
; %bb.1092:
	v_cvt_f32_ubyte0_e32 v4, v2
	s_mov_b32 s62, 0x47800000
	v_cmp_gt_u32_e32 vcc, s62, v4
	v_mov_b32_e32 v5, 0x80
	s_and_saveexec_b64 s[62:63], vcc
	s_cbranch_execz .LBB23_1098
; %bb.1093:
	s_mov_b32 s64, 0x37ffffff
	v_cmp_lt_u32_e32 vcc, s64, v4
	s_mov_b64 s[64:65], 0
                                        ; implicit-def: $vgpr3
	s_and_saveexec_b64 s[66:67], vcc
	s_xor_b64 s[66:67], exec, s[66:67]
	s_cbranch_execz .LBB23_2236
; %bb.1094:
	v_bfe_u32 v3, v4, 21, 1
	s_mov_b32 s69, 0x88fffff
	v_add3_u32 v3, v4, v3, s69
	s_mov_b64 s[64:65], exec
	v_lshrrev_b32_e32 v3, 21, v3
                                        ; implicit-def: $vgpr4
	s_andn2_saveexec_b64 s[66:67], s[66:67]
	s_cbranch_execnz .LBB23_2237
.LBB23_1095:
	s_or_b64 exec, exec, s[66:67]
	v_mov_b32_e32 v5, 0
	s_and_saveexec_b64 s[66:67], s[64:65]
.LBB23_1096:
	v_mov_b32_e32 v5, v3
.LBB23_1097:
	s_or_b64 exec, exec, s[66:67]
.LBB23_1098:
	s_or_b64 exec, exec, s[62:63]
	s_mov_b64 s[62:63], 0
	global_store_byte v[0:1], v5, off
.LBB23_1099:
	s_and_b64 vcc, exec, s[62:63]
	s_cbranch_vccz .LBB23_1109
; %bb.1100:
	v_cvt_f32_ubyte0_e32 v3, v2
	s_mov_b32 s62, 0x43f00000
	v_cmp_gt_u32_e32 vcc, s62, v3
                                        ; implicit-def: $vgpr4
	s_and_saveexec_b64 s[62:63], vcc
	s_xor_b64 s[62:63], exec, s[62:63]
	s_cbranch_execz .LBB23_1106
; %bb.1101:
	s_mov_b32 s64, 0x3c7fffff
	v_cmp_lt_u32_e32 vcc, s64, v3
                                        ; implicit-def: $vgpr4
	s_and_saveexec_b64 s[64:65], vcc
	s_xor_b64 s[64:65], exec, s[64:65]
; %bb.1102:
	v_bfe_u32 v4, v3, 20, 1
	s_mov_b32 s66, 0x407ffff
	v_add3_u32 v3, v3, v4, s66
	v_lshrrev_b32_e32 v4, 20, v3
	v_and_b32_e32 v3, 0xff00000, v3
	s_mov_b32 s66, 0x7f00000
	v_mov_b32_e32 v5, 0x7e
	v_cmp_ne_u32_e32 vcc, s66, v3
	v_cndmask_b32_e32 v4, v5, v4, vcc
                                        ; implicit-def: $vgpr3
; %bb.1103:
	s_andn2_saveexec_b64 s[64:65], s[64:65]
; %bb.1104:
	v_add_f32_e32 v4, 0x46800000, v3
; %bb.1105:
	s_or_b64 exec, exec, s[64:65]
                                        ; implicit-def: $vgpr3
.LBB23_1106:
	s_andn2_saveexec_b64 s[62:63], s[62:63]
; %bb.1107:
	s_mov_b32 s64, 0x7f800000
	v_mov_b32_e32 v4, 0x7e
	v_mov_b32_e32 v5, 0x7f
	v_cmp_lt_u32_e32 vcc, s64, v3
	v_cndmask_b32_e32 v4, v4, v5, vcc
; %bb.1108:
	s_or_b64 exec, exec, s[62:63]
	global_store_byte v[0:1], v4, off
.LBB23_1109:
	s_mov_b64 s[62:63], 0
.LBB23_1110:
	s_andn2_b64 vcc, exec, s[62:63]
	s_cbranch_vccnz .LBB23_1120
; %bb.1111:
	v_cvt_f32_ubyte0_e32 v3, v2
	s_mov_b32 s62, 0x47800000
	v_cmp_gt_u32_e32 vcc, s62, v3
                                        ; implicit-def: $vgpr4
	s_and_saveexec_b64 s[62:63], vcc
	s_xor_b64 s[62:63], exec, s[62:63]
	s_cbranch_execz .LBB23_1117
; %bb.1112:
	s_mov_b32 s64, 0x387fffff
	v_cmp_lt_u32_e32 vcc, s64, v3
                                        ; implicit-def: $vgpr4
	s_and_saveexec_b64 s[64:65], vcc
	s_xor_b64 s[64:65], exec, s[64:65]
; %bb.1113:
	v_bfe_u32 v4, v3, 21, 1
	s_mov_b32 s66, 0x80fffff
	v_add3_u32 v3, v3, v4, s66
	v_lshrrev_b32_e32 v4, 21, v3
                                        ; implicit-def: $vgpr3
; %bb.1114:
	s_andn2_saveexec_b64 s[64:65], s[64:65]
; %bb.1115:
	v_add_f32_e32 v4, 0x43000000, v3
; %bb.1116:
	s_or_b64 exec, exec, s[64:65]
                                        ; implicit-def: $vgpr3
.LBB23_1117:
	s_andn2_saveexec_b64 s[62:63], s[62:63]
; %bb.1118:
	s_mov_b32 s64, 0x7f800000
	v_mov_b32_e32 v4, 0x7c
	v_mov_b32_e32 v5, 0x7f
	v_cmp_lt_u32_e32 vcc, s64, v3
	v_cndmask_b32_e32 v4, v4, v5, vcc
; %bb.1119:
	s_or_b64 exec, exec, s[62:63]
	global_store_byte v[0:1], v4, off
.LBB23_1120:
	s_mov_b64 s[64:65], 0
	s_mov_b64 s[62:63], -1
.LBB23_1121:
	s_andn2_b64 vcc, exec, s[64:65]
	s_cbranch_vccnz .LBB23_1129
; %bb.1122:
	s_cmp_gt_i32 s68, 14
	s_mov_b64 s[64:65], -1
	s_cbranch_scc0 .LBB23_1126
; %bb.1123:
	s_cmp_eq_u32 s68, 15
	s_mov_b64 s[0:1], -1
	s_cbranch_scc0 .LBB23_1125
; %bb.1124:
	v_cvt_f32_ubyte0_e32 v3, v2
	v_bfe_u32 v4, v3, 16, 1
	s_movk_i32 s0, 0x7fff
	v_add3_u32 v3, v3, v4, s0
	global_store_short_d16_hi v[0:1], v3, off
	s_mov_b64 s[62:63], -1
	s_mov_b64 s[0:1], 0
.LBB23_1125:
	s_mov_b64 s[64:65], 0
.LBB23_1126:
	s_and_b64 vcc, exec, s[64:65]
	s_cbranch_vccz .LBB23_1129
; %bb.1127:
	s_cmp_eq_u32 s68, 11
	s_mov_b64 s[0:1], -1
	s_cbranch_scc0 .LBB23_1129
; %bb.1128:
	v_mov_b32_e32 v3, 0
	v_cmp_ne_u16_sdwa s[0:1], v2, v3 src0_sel:BYTE_0 src1_sel:DWORD
	v_cndmask_b32_e64 v3, 0, 1, s[0:1]
	s_mov_b64 s[62:63], -1
	s_mov_b64 s[0:1], 0
	global_store_byte v[0:1], v3, off
.LBB23_1129:
	s_mov_b64 s[64:65], 0
.LBB23_1130:
	s_and_b64 vcc, exec, s[64:65]
	s_cbranch_vccz .LBB23_1169
; %bb.1131:
	s_and_b32 s29, 0xffff, s29
	s_cmp_lt_i32 s29, 5
	s_mov_b64 s[62:63], -1
	s_cbranch_scc1 .LBB23_1152
; %bb.1132:
	s_cmp_lt_i32 s29, 8
	s_cbranch_scc1 .LBB23_1142
; %bb.1133:
	s_cmp_lt_i32 s29, 9
	s_cbranch_scc1 .LBB23_1139
; %bb.1134:
	s_cmp_gt_i32 s29, 9
	s_cbranch_scc0 .LBB23_1136
; %bb.1135:
	s_mov_b32 s62, 0xffff
	v_and_b32_sdwa v3, s62, v2 dst_sel:DWORD dst_unused:UNUSED_PAD src0_sel:DWORD src1_sel:BYTE_0
	v_cvt_f64_u32_e32 v[3:4], v3
	v_mov_b32_e32 v5, 0
	v_mov_b32_e32 v6, v5
	s_mov_b64 s[62:63], 0
	global_store_dwordx4 v[0:1], v[3:6], off
.LBB23_1136:
	s_andn2_b64 vcc, exec, s[62:63]
	s_cbranch_vccnz .LBB23_1138
; %bb.1137:
	v_cvt_f32_ubyte0_e32 v3, v2
	v_mov_b32_e32 v4, 0
	global_store_dwordx2 v[0:1], v[3:4], off
.LBB23_1138:
	s_mov_b64 s[62:63], 0
.LBB23_1139:
	s_andn2_b64 vcc, exec, s[62:63]
	s_cbranch_vccnz .LBB23_1141
; %bb.1140:
	v_cvt_f16_u16_sdwa v3, v2 dst_sel:DWORD dst_unused:UNUSED_PAD src0_sel:BYTE_0
	global_store_dword v[0:1], v3, off
.LBB23_1141:
	s_mov_b64 s[62:63], 0
.LBB23_1142:
	s_andn2_b64 vcc, exec, s[62:63]
	s_cbranch_vccnz .LBB23_1151
; %bb.1143:
	s_cmp_lt_i32 s29, 6
	s_mov_b64 s[62:63], -1
	s_cbranch_scc1 .LBB23_1149
; %bb.1144:
	s_cmp_gt_i32 s29, 6
	s_cbranch_scc0 .LBB23_1146
; %bb.1145:
	s_mov_b32 s62, 0xffff
	v_and_b32_sdwa v3, s62, v2 dst_sel:DWORD dst_unused:UNUSED_PAD src0_sel:DWORD src1_sel:BYTE_0
	v_cvt_f64_u32_e32 v[3:4], v3
	s_mov_b64 s[62:63], 0
	global_store_dwordx2 v[0:1], v[3:4], off
.LBB23_1146:
	s_andn2_b64 vcc, exec, s[62:63]
	s_cbranch_vccnz .LBB23_1148
; %bb.1147:
	v_cvt_f32_ubyte0_e32 v3, v2
	global_store_dword v[0:1], v3, off
.LBB23_1148:
	s_mov_b64 s[62:63], 0
.LBB23_1149:
	s_andn2_b64 vcc, exec, s[62:63]
	s_cbranch_vccnz .LBB23_1151
; %bb.1150:
	v_cvt_f16_u16_sdwa v3, v2 dst_sel:DWORD dst_unused:UNUSED_PAD src0_sel:BYTE_0
	global_store_short v[0:1], v3, off
.LBB23_1151:
	s_mov_b64 s[62:63], 0
.LBB23_1152:
	s_andn2_b64 vcc, exec, s[62:63]
	s_cbranch_vccnz .LBB23_1168
; %bb.1153:
	s_cmp_lt_i32 s29, 2
	s_mov_b64 s[62:63], -1
	s_cbranch_scc1 .LBB23_1163
; %bb.1154:
	s_cmp_lt_i32 s29, 3
	s_cbranch_scc1 .LBB23_1160
; %bb.1155:
	s_cmp_gt_i32 s29, 3
	s_cbranch_scc0 .LBB23_1157
; %bb.1156:
	v_and_b32_e32 v3, 0xff, v2
	v_mov_b32_e32 v4, 0
	s_mov_b64 s[62:63], 0
	global_store_dwordx2 v[0:1], v[3:4], off
.LBB23_1157:
	s_andn2_b64 vcc, exec, s[62:63]
	s_cbranch_vccnz .LBB23_1159
; %bb.1158:
	v_and_b32_e32 v3, 0xff, v2
	global_store_dword v[0:1], v3, off
.LBB23_1159:
	s_mov_b64 s[62:63], 0
.LBB23_1160:
	s_andn2_b64 vcc, exec, s[62:63]
	s_cbranch_vccnz .LBB23_1162
; %bb.1161:
	v_and_b32_e32 v3, 0xff, v2
	global_store_short v[0:1], v3, off
.LBB23_1162:
	s_mov_b64 s[62:63], 0
.LBB23_1163:
	s_andn2_b64 vcc, exec, s[62:63]
	s_cbranch_vccnz .LBB23_1168
; %bb.1164:
	s_cmp_gt_i32 s29, 0
	s_mov_b64 s[62:63], -1
	s_cbranch_scc0 .LBB23_1166
; %bb.1165:
	s_mov_b64 s[62:63], 0
	global_store_byte v[0:1], v2, off
.LBB23_1166:
	s_andn2_b64 vcc, exec, s[62:63]
	s_cbranch_vccnz .LBB23_1168
; %bb.1167:
	global_store_byte v[0:1], v2, off
.LBB23_1168:
	s_mov_b64 s[62:63], -1
.LBB23_1169:
	s_andn2_b64 vcc, exec, s[62:63]
	s_cbranch_vccnz .LBB23_1181
; %bb.1170:
	v_add_u32_e32 v10, 0x80, v10
	s_mov_b64 s[64:65], -1
.LBB23_1171:
	s_andn2_b64 s[62:63], s[52:53], exec
	s_and_b64 s[0:1], s[0:1], exec
	s_or_b64 s[62:63], s[62:63], s[0:1]
	s_andn2_b64 s[0:1], s[50:51], exec
	s_and_b64 s[60:61], s[60:61], exec
	s_or_b64 s[60:61], s[0:1], s[60:61]
	;; [unrolled: 3-line block ×3, first 2 shown]
	s_orn2_b64 s[68:69], s[64:65], exec
.LBB23_1172:
	s_or_b64 exec, exec, s[56:57]
	s_mov_b64 s[64:65], 0
	s_mov_b64 s[58:59], 0
	;; [unrolled: 1-line block ×3, first 2 shown]
                                        ; implicit-def: $sgpr29
                                        ; implicit-def: $vgpr4_vgpr5
                                        ; implicit-def: $vgpr0
                                        ; implicit-def: $vgpr3
                                        ; implicit-def: $vgpr1
	s_and_saveexec_b64 s[56:57], s[68:69]
	s_cbranch_execz .LBB23_1263
; %bb.1173:
	v_cmp_gt_i32_e32 vcc, s70, v10
	s_mov_b64 s[68:69], s[0:1]
	s_mov_b64 s[70:71], 0
                                        ; implicit-def: $sgpr29
                                        ; implicit-def: $vgpr4_vgpr5
                                        ; implicit-def: $vgpr0
                                        ; implicit-def: $vgpr3
                                        ; implicit-def: $vgpr1
	s_and_saveexec_b64 s[58:59], vcc
	s_cbranch_execz .LBB23_1262
; %bb.1174:
	s_andn2_b64 vcc, exec, s[24:25]
	s_cbranch_vccnz .LBB23_1180
; %bb.1175:
	s_andn2_b64 vcc, exec, s[38:39]
	s_cbranch_vccnz .LBB23_1182
; %bb.1176:
	s_add_i32 s29, s75, 1
	s_and_b32 s29, s29, 30
	s_add_u32 s38, s2, 0xffffffe8
	s_addc_u32 s39, s3, -1
	v_mov_b32_e32 v3, 0
	s_waitcnt vmcnt(0)
	v_mov_b32_e32 v5, 0
	v_mov_b32_e32 v0, 0
	;; [unrolled: 1-line block ×3, first 2 shown]
.LBB23_1177:                            ; =>This Inner Loop Header: Depth=1
	s_load_dwordx4 s[64:67], s[38:39], 0x1c
	s_load_dwordx2 s[76:77], s[38:39], 0x2c
	s_load_dwordx2 s[78:79], s[38:39], 0xec
	s_load_dwordx4 s[68:71], s[38:39], 0xdc
	s_add_u32 s38, s38, 24
	s_waitcnt lgkmcnt(0)
	v_mul_hi_u32 v2, s65, v1
	s_addc_u32 s39, s39, 0
	s_add_i32 s29, s29, -2
	s_cmp_eq_u32 s29, 0
	v_add_u32_e32 v2, v1, v2
	v_lshrrev_b32_e32 v2, s66, v2
	v_mul_lo_u32 v4, v2, s64
	v_mul_hi_u32 v6, s76, v2
	v_sub_u32_e32 v4, v1, v4
	v_add_u32_e32 v1, v2, v6
	v_lshrrev_b32_e32 v1, s77, v1
	v_mul_lo_u32 v8, v1, s67
	v_mul_lo_u32 v6, v4, s68
	;; [unrolled: 1-line block ×4, first 2 shown]
	v_sub_u32_e32 v2, v2, v8
	v_mul_lo_u32 v8, v2, s71
	v_mul_lo_u32 v9, v2, s78
	;; [unrolled: 1-line block ×3, first 2 shown]
	v_add3_u32 v0, v6, v0, v8
	v_add3_u32 v5, v7, v5, v9
	;; [unrolled: 1-line block ×3, first 2 shown]
	s_cbranch_scc0 .LBB23_1177
; %bb.1178:
	s_bitcmp1_b32 s75, 0
	s_cselect_b64 s[64:65], -1, 0
	s_and_b64 vcc, exec, s[64:65]
	s_cbranch_vccnz .LBB23_1183
; %bb.1179:
	s_load_dwordx2 s[64:65], s[38:39], 0x1c
	s_load_dword s29, s[38:39], 0x24
	s_load_dwordx2 s[66:67], s[38:39], 0xdc
	s_waitcnt lgkmcnt(0)
	v_mul_hi_u32 v2, s65, v1
	v_add_u32_e32 v2, v1, v2
	v_lshrrev_b32_e32 v2, s29, v2
	v_mul_lo_u32 v2, v2, s64
	s_load_dword s29, s[38:39], 0xe4
	v_sub_u32_e32 v2, v1, v2
	v_mad_u64_u32 v[0:1], s[38:39], v2, s66, v[0:1]
	v_mad_u64_u32 v[5:6], s[38:39], v2, s67, v[5:6]
	s_waitcnt lgkmcnt(0)
	v_mad_u64_u32 v[3:4], s[38:39], v2, s29, v[3:4]
	s_branch .LBB23_1183
.LBB23_1180:
	s_mov_b64 s[38:39], -1
                                        ; implicit-def: $vgpr0
                                        ; implicit-def: $vgpr5
                                        ; implicit-def: $vgpr3
	s_branch .LBB23_1184
.LBB23_1181:
	s_mov_b64 s[64:65], 0
	s_branch .LBB23_928
.LBB23_1182:
	v_mov_b32_e32 v0, 0
	s_waitcnt vmcnt(0)
	v_mov_b32_e32 v5, 0
	v_mov_b32_e32 v3, 0
.LBB23_1183:
	s_mov_b64 s[38:39], 0
.LBB23_1184:
	s_andn2_b64 vcc, exec, s[38:39]
	s_cbranch_vccnz .LBB23_1187
; %bb.1185:
	v_mul_hi_u32 v0, s17, v10
	s_andn2_b64 vcc, exec, s[36:37]
	v_add_u32_e32 v0, v10, v0
	s_waitcnt vmcnt(0)
	v_lshrrev_b32_e32 v1, s18, v0
	v_mul_lo_u32 v0, v1, s16
	v_sub_u32_e32 v2, v10, v0
	v_mul_lo_u32 v0, v2, s20
	v_mul_lo_u32 v5, v2, s21
	;; [unrolled: 1-line block ×3, first 2 shown]
	s_cbranch_vccnz .LBB23_1187
; %bb.1186:
	v_mul_hi_u32 v2, s34, v1
	v_add_u32_e32 v2, v1, v2
	v_lshrrev_b32_e32 v2, s35, v2
	v_mul_lo_u32 v2, v2, s19
	v_sub_u32_e32 v2, v1, v2
	v_mad_u64_u32 v[0:1], s[16:17], v2, s23, v[0:1]
	v_mad_u64_u32 v[5:6], s[16:17], v2, s30, v[5:6]
	;; [unrolled: 1-line block ×3, first 2 shown]
.LBB23_1187:
	s_waitcnt vmcnt(0)
	v_mov_b32_e32 v1, s11
	s_and_b32 s29, s28, 0xff
	v_add_co_u32_e32 v4, vcc, s10, v5
	s_cmp_lt_i32 s29, 11
	v_addc_co_u32_e32 v5, vcc, 0, v1, vcc
	s_cbranch_scc1 .LBB23_1194
; %bb.1188:
	s_and_b32 s22, 0xffff, s29
	s_cmp_gt_i32 s22, 25
	s_mov_b64 s[16:17], 0
	s_cbranch_scc0 .LBB23_1195
; %bb.1189:
	s_cmp_gt_i32 s22, 28
	s_cbranch_scc0 .LBB23_1196
; %bb.1190:
	s_cmp_gt_i32 s22, 43
	;; [unrolled: 3-line block ×3, first 2 shown]
	s_cbranch_scc0 .LBB23_1198
; %bb.1192:
	s_cmp_eq_u32 s22, 46
	s_mov_b64 s[20:21], 0
	s_cbranch_scc0 .LBB23_1201
; %bb.1193:
	global_load_dword v1, v[4:5], off
	s_mov_b32 s10, 0x2f800000
	s_mov_b32 s11, 0xcf800000
	s_mov_b64 s[18:19], -1
	s_waitcnt vmcnt(0)
	v_lshlrev_b32_e32 v1, 16, v1
	v_trunc_f32_e32 v1, v1
	v_mul_f32_e64 v2, |v1|, s10
	v_floor_f32_e32 v2, v2
	v_fma_f32 v2, v2, s11, |v1|
	v_cvt_u32_f32_e32 v2, v2
	v_ashrrev_i32_e32 v1, 31, v1
	s_mov_b64 s[10:11], 0
	v_xor_b32_e32 v2, v2, v1
	v_sub_u32_e32 v1, v2, v1
	s_branch .LBB23_1202
.LBB23_1194:
	s_mov_b64 s[20:21], -1
	s_mov_b64 s[18:19], 0
	s_mov_b64 s[16:17], 0
	;; [unrolled: 1-line block ×3, first 2 shown]
                                        ; implicit-def: $vgpr1
	s_branch .LBB23_1261
.LBB23_1195:
	s_mov_b64 s[20:21], -1
	s_mov_b64 s[18:19], 0
	s_mov_b64 s[10:11], s[0:1]
                                        ; implicit-def: $vgpr1
	s_branch .LBB23_1229
.LBB23_1196:
	s_mov_b64 s[20:21], -1
	s_mov_b64 s[18:19], 0
	s_mov_b64 s[10:11], s[0:1]
                                        ; implicit-def: $vgpr1
	s_branch .LBB23_1212
.LBB23_1197:
	s_mov_b64 s[20:21], -1
	s_mov_b64 s[18:19], 0
	s_mov_b64 s[10:11], s[0:1]
                                        ; implicit-def: $vgpr1
	s_branch .LBB23_1207
.LBB23_1198:
	s_mov_b64 s[20:21], -1
	s_mov_b64 s[18:19], 0
	s_mov_b64 s[10:11], s[0:1]
                                        ; implicit-def: $vgpr1
	s_branch .LBB23_1202
.LBB23_1199:
	s_andn2_saveexec_b64 s[66:67], s[66:67]
	s_cbranch_execz .LBB23_1082
.LBB23_1200:
	v_add_f32_e32 v3, 0x46000000, v4
	v_and_b32_e32 v3, 0xff, v3
	v_cmp_ne_u32_e32 vcc, 0, v3
	s_andn2_b64 s[64:65], s[64:65], exec
	s_and_b64 s[76:77], vcc, exec
	s_or_b64 s[64:65], s[64:65], s[76:77]
	s_or_b64 exec, exec, s[66:67]
	v_mov_b32_e32 v5, 0
	s_and_saveexec_b64 s[66:67], s[64:65]
	s_cbranch_execnz .LBB23_1083
	s_branch .LBB23_1084
.LBB23_1201:
	s_mov_b64 s[10:11], -1
                                        ; implicit-def: $vgpr1
	s_mov_b64 s[18:19], 0
.LBB23_1202:
	s_and_b64 vcc, exec, s[20:21]
	s_cbranch_vccz .LBB23_1206
; %bb.1203:
	s_cmp_eq_u32 s22, 44
	s_cbranch_scc0 .LBB23_1205
; %bb.1204:
	global_load_ubyte v1, v[4:5], off
	s_mov_b32 s10, 0x2f800000
	s_mov_b32 s11, 0xcf800000
	s_mov_b64 s[18:19], -1
	s_waitcnt vmcnt(0)
	v_lshlrev_b32_e32 v2, 23, v1
	v_trunc_f32_e32 v2, v2
	v_mul_f32_e64 v6, |v2|, s10
	v_floor_f32_e32 v6, v6
	v_fma_f32 v6, v6, s11, |v2|
	v_cvt_u32_f32_e32 v6, v6
	v_ashrrev_i32_e32 v2, 31, v2
	v_cmp_ne_u32_e32 vcc, 0, v1
	s_mov_b64 s[10:11], 0
	v_xor_b32_e32 v6, v6, v2
	v_sub_u32_e32 v2, v6, v2
	v_cndmask_b32_e32 v1, 0, v2, vcc
	s_branch .LBB23_1206
.LBB23_1205:
	s_mov_b64 s[10:11], -1
                                        ; implicit-def: $vgpr1
.LBB23_1206:
	s_mov_b64 s[20:21], 0
.LBB23_1207:
	s_and_b64 vcc, exec, s[20:21]
	s_cbranch_vccz .LBB23_1211
; %bb.1208:
	s_cmp_eq_u32 s22, 29
	s_cbranch_scc0 .LBB23_1210
; %bb.1209:
	global_load_dwordx2 v[1:2], v[4:5], off
	s_mov_b64 s[10:11], 0
	s_mov_b64 s[18:19], -1
	s_branch .LBB23_1211
.LBB23_1210:
	s_mov_b64 s[10:11], -1
                                        ; implicit-def: $vgpr1
.LBB23_1211:
	s_mov_b64 s[20:21], 0
.LBB23_1212:
	s_and_b64 vcc, exec, s[20:21]
	s_cbranch_vccz .LBB23_1228
; %bb.1213:
	s_cmp_lt_i32 s22, 27
	s_cbranch_scc1 .LBB23_1216
; %bb.1214:
	s_cmp_gt_i32 s22, 27
	s_cbranch_scc0 .LBB23_1217
; %bb.1215:
	global_load_dword v1, v[4:5], off
	s_mov_b64 s[18:19], 0
	s_branch .LBB23_1218
.LBB23_1216:
	s_mov_b64 s[18:19], -1
                                        ; implicit-def: $vgpr1
	s_branch .LBB23_1221
.LBB23_1217:
	s_mov_b64 s[18:19], -1
                                        ; implicit-def: $vgpr1
.LBB23_1218:
	s_andn2_b64 vcc, exec, s[18:19]
	s_cbranch_vccnz .LBB23_1220
; %bb.1219:
	global_load_ushort v1, v[4:5], off
.LBB23_1220:
	s_mov_b64 s[18:19], 0
.LBB23_1221:
	s_andn2_b64 vcc, exec, s[18:19]
	s_cbranch_vccnz .LBB23_1227
; %bb.1222:
	global_load_ubyte v2, v[4:5], off
	s_movk_i32 s18, 0x7f
	s_mov_b64 s[20:21], 0
	s_waitcnt vmcnt(0)
	v_cmp_lt_i16_e32 vcc, s18, v2
	s_and_saveexec_b64 s[18:19], vcc
	s_xor_b64 s[18:19], exec, s[18:19]
	s_cbranch_execz .LBB23_1239
; %bb.1223:
	s_movk_i32 s20, 0x80
	v_cmp_ne_u16_e32 vcc, s20, v2
	s_and_b64 s[20:21], vcc, exec
	s_andn2_saveexec_b64 s[18:19], s[18:19]
	s_cbranch_execnz .LBB23_1240
.LBB23_1224:
	s_or_b64 exec, exec, s[18:19]
	v_mov_b32_e32 v1, 0
	s_and_saveexec_b64 s[18:19], s[20:21]
	s_cbranch_execz .LBB23_1226
.LBB23_1225:
	v_lshlrev_b32_e32 v1, 24, v2
	v_and_b32_e32 v2, 0xffff, v2
	v_and_b32_e32 v6, 7, v2
	v_ffbh_u32_e32 v8, v6
	v_min_u32_e32 v8, 32, v8
	v_subrev_u32_e32 v9, 28, v8
	v_bfe_u32 v7, v2, 3, 4
	v_lshlrev_b32_e32 v2, v9, v2
	v_sub_u32_e32 v8, 29, v8
	v_and_b32_e32 v2, 7, v2
	v_cmp_eq_u32_e32 vcc, 0, v7
	v_cndmask_b32_e32 v7, v7, v8, vcc
	v_cndmask_b32_e32 v2, v6, v2, vcc
	v_mov_b32_e32 v6, 0x3b800000
	v_lshlrev_b32_e32 v2, 20, v2
	v_and_b32_e32 v1, 0x80000000, v1
	v_lshl_add_u32 v6, v7, 23, v6
	v_or3_b32 v1, v1, v6, v2
	v_trunc_f32_e32 v1, v1
	s_mov_b32 s20, 0x2f800000
	v_mul_f32_e64 v2, |v1|, s20
	v_floor_f32_e32 v2, v2
	s_mov_b32 s20, 0xcf800000
	v_fma_f32 v2, v2, s20, |v1|
	v_cvt_u32_f32_e32 v2, v2
	v_ashrrev_i32_e32 v1, 31, v1
	v_xor_b32_e32 v2, v2, v1
	v_sub_u32_e32 v1, v2, v1
.LBB23_1226:
	s_or_b64 exec, exec, s[18:19]
.LBB23_1227:
	s_mov_b64 s[18:19], -1
.LBB23_1228:
	s_mov_b64 s[20:21], 0
.LBB23_1229:
	s_and_b64 vcc, exec, s[20:21]
	s_cbranch_vccz .LBB23_1260
; %bb.1230:
	s_cmp_gt_i32 s22, 22
	s_cbranch_scc0 .LBB23_1238
; %bb.1231:
	s_cmp_lt_i32 s22, 24
	s_cbranch_scc1 .LBB23_1241
; %bb.1232:
	s_cmp_gt_i32 s22, 24
	s_cbranch_scc0 .LBB23_1242
; %bb.1233:
	global_load_ubyte v2, v[4:5], off
	s_movk_i32 s16, 0x7f
	s_mov_b64 s[18:19], 0
	s_waitcnt vmcnt(0)
	v_cmp_lt_i16_e32 vcc, s16, v2
	s_and_saveexec_b64 s[16:17], vcc
	s_xor_b64 s[16:17], exec, s[16:17]
	s_cbranch_execz .LBB23_1254
; %bb.1234:
	s_movk_i32 s18, 0x80
	v_cmp_ne_u16_e32 vcc, s18, v2
	s_and_b64 s[18:19], vcc, exec
	s_andn2_saveexec_b64 s[16:17], s[16:17]
	s_cbranch_execnz .LBB23_1255
.LBB23_1235:
	s_or_b64 exec, exec, s[16:17]
	v_mov_b32_e32 v1, 0
	s_and_saveexec_b64 s[16:17], s[18:19]
	s_cbranch_execz .LBB23_1237
.LBB23_1236:
	v_lshlrev_b32_e32 v1, 24, v2
	v_and_b32_e32 v2, 0xffff, v2
	v_and_b32_e32 v6, 3, v2
	v_ffbh_u32_e32 v8, v6
	v_min_u32_e32 v8, 32, v8
	v_subrev_u32_e32 v9, 29, v8
	v_bfe_u32 v7, v2, 2, 5
	v_lshlrev_b32_e32 v2, v9, v2
	v_sub_u32_e32 v8, 30, v8
	v_and_b32_e32 v2, 3, v2
	v_cmp_eq_u32_e32 vcc, 0, v7
	v_cndmask_b32_e32 v7, v7, v8, vcc
	v_cndmask_b32_e32 v2, v6, v2, vcc
	v_mov_b32_e32 v6, 0x37800000
	v_lshlrev_b32_e32 v2, 21, v2
	v_and_b32_e32 v1, 0x80000000, v1
	v_lshl_add_u32 v6, v7, 23, v6
	v_or3_b32 v1, v1, v6, v2
	v_trunc_f32_e32 v1, v1
	s_mov_b32 s18, 0x2f800000
	v_mul_f32_e64 v2, |v1|, s18
	v_floor_f32_e32 v2, v2
	s_mov_b32 s18, 0xcf800000
	v_fma_f32 v2, v2, s18, |v1|
	v_cvt_u32_f32_e32 v2, v2
	v_ashrrev_i32_e32 v1, 31, v1
	v_xor_b32_e32 v2, v2, v1
	v_sub_u32_e32 v1, v2, v1
.LBB23_1237:
	s_or_b64 exec, exec, s[16:17]
	s_mov_b64 s[16:17], 0
	s_branch .LBB23_1243
.LBB23_1238:
	s_mov_b64 s[16:17], -1
                                        ; implicit-def: $vgpr1
	s_branch .LBB23_1249
.LBB23_1239:
	s_andn2_saveexec_b64 s[18:19], s[18:19]
	s_cbranch_execz .LBB23_1224
.LBB23_1240:
	v_cmp_ne_u16_e32 vcc, 0, v2
	s_andn2_b64 s[20:21], s[20:21], exec
	s_and_b64 s[30:31], vcc, exec
	s_or_b64 s[20:21], s[20:21], s[30:31]
	s_or_b64 exec, exec, s[18:19]
	v_mov_b32_e32 v1, 0
	s_and_saveexec_b64 s[18:19], s[20:21]
	s_cbranch_execnz .LBB23_1225
	s_branch .LBB23_1226
.LBB23_1241:
	s_mov_b64 s[16:17], -1
                                        ; implicit-def: $vgpr1
	s_branch .LBB23_1246
.LBB23_1242:
	s_mov_b64 s[16:17], -1
                                        ; implicit-def: $vgpr1
.LBB23_1243:
	s_and_b64 vcc, exec, s[16:17]
	s_cbranch_vccz .LBB23_1245
; %bb.1244:
	global_load_ubyte v1, v[4:5], off
	s_mov_b32 s16, 0x7f800000
	s_brev_b32 s17, 1
	s_mov_b32 s18, 0x2f800000
	s_waitcnt vmcnt(0)
	v_lshlrev_b32_e32 v1, 24, v1
	v_and_b32_e32 v2, 0x7f000000, v1
	v_ffbh_u32_e32 v6, v2
	v_min_u32_e32 v6, 32, v6
	v_sub_u32_e64 v6, v6, 4 clamp
	v_lshlrev_b32_e32 v8, v6, v2
	v_lshlrev_b32_e32 v6, 23, v6
	v_lshrrev_b32_e32 v8, 4, v8
	v_add_u32_e32 v7, 0x1000000, v2
	v_sub_u32_e32 v6, v8, v6
	v_ashrrev_i32_e32 v7, 8, v7
	v_add_u32_e32 v6, 0x3c000000, v6
	v_and_or_b32 v6, v7, s16, v6
	v_cmp_ne_u32_e32 vcc, 0, v2
	v_cndmask_b32_e32 v2, 0, v6, vcc
	v_and_or_b32 v1, v1, s17, v2
	v_trunc_f32_e32 v1, v1
	v_mul_f32_e64 v2, |v1|, s18
	v_floor_f32_e32 v2, v2
	s_mov_b32 s16, 0xcf800000
	v_fma_f32 v2, v2, s16, |v1|
	v_cvt_u32_f32_e32 v2, v2
	v_ashrrev_i32_e32 v1, 31, v1
	v_xor_b32_e32 v2, v2, v1
	v_sub_u32_e32 v1, v2, v1
.LBB23_1245:
	s_mov_b64 s[16:17], 0
.LBB23_1246:
	s_andn2_b64 vcc, exec, s[16:17]
	s_cbranch_vccnz .LBB23_1248
; %bb.1247:
	global_load_ubyte v1, v[4:5], off
	s_movk_i32 s16, 0x7f00
	s_brev_b32 s17, 16
	s_brev_b32 s18, 1
	s_mov_b32 s19, 0x2f800000
	s_waitcnt vmcnt(0)
	v_lshlrev_b16_e32 v2, 8, v1
	v_lshlrev_b32_e32 v1, 25, v1
	v_lshrrev_b32_e32 v6, 4, v1
	v_and_or_b32 v7, v2, s16, 0.5
	v_or_b32_e32 v6, 0x70000000, v6
	v_add_f32_e32 v7, -0.5, v7
	v_mul_f32_e32 v6, 0x7800000, v6
	v_cmp_gt_u32_e32 vcc, s17, v1
	v_bfe_i32 v2, v2, 0, 16
	v_cndmask_b32_e32 v1, v6, v7, vcc
	v_and_or_b32 v1, v2, s18, v1
	v_trunc_f32_e32 v1, v1
	v_mul_f32_e64 v2, |v1|, s19
	v_floor_f32_e32 v2, v2
	s_mov_b32 s16, 0xcf800000
	v_fma_f32 v2, v2, s16, |v1|
	v_cvt_u32_f32_e32 v2, v2
	v_ashrrev_i32_e32 v1, 31, v1
	v_xor_b32_e32 v2, v2, v1
	v_sub_u32_e32 v1, v2, v1
.LBB23_1248:
	s_mov_b64 s[16:17], 0
	s_mov_b64 s[18:19], -1
.LBB23_1249:
	s_andn2_b64 vcc, exec, s[16:17]
	s_mov_b64 s[16:17], 0
	s_cbranch_vccnz .LBB23_1260
; %bb.1250:
	s_cmp_gt_i32 s22, 14
	s_cbranch_scc0 .LBB23_1253
; %bb.1251:
	s_cmp_eq_u32 s22, 15
	s_cbranch_scc0 .LBB23_1256
; %bb.1252:
	global_load_ushort v1, v[4:5], off
	s_mov_b32 s10, 0x2f800000
	s_mov_b32 s11, 0xcf800000
	s_mov_b64 s[18:19], -1
	s_waitcnt vmcnt(0)
	v_lshlrev_b32_e32 v1, 16, v1
	v_trunc_f32_e32 v1, v1
	v_mul_f32_e64 v2, |v1|, s10
	v_floor_f32_e32 v2, v2
	v_fma_f32 v2, v2, s11, |v1|
	v_cvt_u32_f32_e32 v2, v2
	v_ashrrev_i32_e32 v1, 31, v1
	s_mov_b64 s[10:11], 0
	v_xor_b32_e32 v2, v2, v1
	v_sub_u32_e32 v1, v2, v1
	s_branch .LBB23_1257
.LBB23_1253:
	s_mov_b64 s[20:21], -1
                                        ; implicit-def: $vgpr1
	s_branch .LBB23_1258
.LBB23_1254:
	s_andn2_saveexec_b64 s[16:17], s[16:17]
	s_cbranch_execz .LBB23_1235
.LBB23_1255:
	v_cmp_ne_u16_e32 vcc, 0, v2
	s_andn2_b64 s[18:19], s[18:19], exec
	s_and_b64 s[20:21], vcc, exec
	s_or_b64 s[18:19], s[18:19], s[20:21]
	s_or_b64 exec, exec, s[16:17]
	v_mov_b32_e32 v1, 0
	s_and_saveexec_b64 s[16:17], s[18:19]
	s_cbranch_execnz .LBB23_1236
	s_branch .LBB23_1237
.LBB23_1256:
	s_mov_b64 s[10:11], -1
                                        ; implicit-def: $vgpr1
.LBB23_1257:
	s_mov_b64 s[20:21], 0
.LBB23_1258:
	s_and_b64 vcc, exec, s[20:21]
	s_cbranch_vccz .LBB23_1260
; %bb.1259:
	s_cmp_lg_u32 s22, 11
	s_cselect_b64 s[20:21], -1, 0
	s_andn2_b64 s[10:11], s[10:11], exec
	s_and_b64 s[20:21], s[20:21], exec
	s_mov_b64 s[16:17], -1
	s_or_b64 s[10:11], s[10:11], s[20:21]
.LBB23_1260:
	s_mov_b64 s[20:21], 0
.LBB23_1261:
	s_and_b64 s[64:65], s[16:17], exec
	s_andn2_b64 s[16:17], s[0:1], exec
	s_and_b64 s[10:11], s[10:11], exec
	s_and_b64 s[66:67], s[18:19], exec
	;; [unrolled: 1-line block ×3, first 2 shown]
	s_or_b64 s[68:69], s[16:17], s[10:11]
.LBB23_1262:
	s_or_b64 exec, exec, s[58:59]
	s_andn2_b64 s[0:1], s[0:1], exec
	s_and_b64 s[10:11], s[68:69], exec
	s_and_b64 s[66:67], s[66:67], exec
	;; [unrolled: 1-line block ×4, first 2 shown]
	s_or_b64 s[0:1], s[0:1], s[10:11]
.LBB23_1263:
	s_or_b64 exec, exec, s[56:57]
	s_andn2_b64 s[10:11], s[52:53], exec
	s_and_b64 s[16:17], s[62:63], exec
	s_or_b64 s[52:53], s[10:11], s[16:17]
	s_andn2_b64 s[10:11], s[50:51], exec
	s_and_b64 s[16:17], s[60:61], exec
	s_or_b64 s[50:51], s[10:11], s[16:17]
	s_andn2_b64 s[10:11], s[48:49], exec
	s_and_b64 s[0:1], s[0:1], exec
	s_and_b64 s[60:61], s[66:67], exec
	;; [unrolled: 1-line block ×4, first 2 shown]
	s_or_b64 s[48:49], s[10:11], s[0:1]
.LBB23_1264:
	s_or_b64 exec, exec, s[54:55]
	s_andn2_b64 s[0:1], s[40:41], exec
	s_and_b64 s[10:11], s[52:53], exec
	s_or_b64 s[40:41], s[0:1], s[10:11]
	s_andn2_b64 s[0:1], s[42:43], exec
	s_and_b64 s[10:11], s[50:51], exec
	s_or_b64 s[42:43], s[0:1], s[10:11]
	s_andn2_b64 s[0:1], s[44:45], exec
	s_and_b64 s[10:11], s[48:49], exec
	s_and_b64 s[52:53], s[60:61], exec
	;; [unrolled: 1-line block ×4, first 2 shown]
	s_or_b64 s[44:45], s[0:1], s[10:11]
	s_or_b64 exec, exec, s[46:47]
	s_mov_b64 s[10:11], 0
	s_and_saveexec_b64 s[0:1], s[44:45]
	s_cbranch_execz .LBB23_395
.LBB23_1265:
	s_mov_b64 s[10:11], exec
	s_andn2_b64 s[50:51], s[50:51], exec
	s_trap 2
	s_or_b64 exec, exec, s[0:1]
	s_and_saveexec_b64 s[0:1], s[50:51]
	s_xor_b64 s[0:1], exec, s[0:1]
	s_cbranch_execnz .LBB23_396
.LBB23_1266:
	s_or_b64 exec, exec, s[0:1]
	s_and_saveexec_b64 s[0:1], s[54:55]
	s_cbranch_execz .LBB23_1312
.LBB23_1267:
	s_sext_i32_i16 s16, s29
	s_cmp_lt_i32 s16, 5
	s_cbranch_scc1 .LBB23_1272
; %bb.1268:
	s_cmp_lt_i32 s16, 8
	s_cbranch_scc1 .LBB23_1273
; %bb.1269:
	;; [unrolled: 3-line block ×3, first 2 shown]
	s_cmp_gt_i32 s16, 9
	s_cbranch_scc0 .LBB23_1275
; %bb.1271:
	s_waitcnt vmcnt(0)
	global_load_dwordx2 v[1:2], v[4:5], off
	s_movk_i32 s16, 0xffe0
	s_waitcnt vmcnt(0)
	v_trunc_f64_e32 v[1:2], v[1:2]
	v_ldexp_f64 v[6:7], v[1:2], s16
	s_mov_b32 s16, 0
	s_mov_b32 s17, 0xc1f00000
	v_floor_f64_e32 v[6:7], v[6:7]
	v_fma_f64 v[1:2], v[6:7], s[16:17], v[1:2]
	s_mov_b64 s[16:17], 0
	v_cvt_u32_f64_e32 v1, v[1:2]
	s_branch .LBB23_1276
.LBB23_1272:
                                        ; implicit-def: $vgpr1
	s_branch .LBB23_1293
.LBB23_1273:
                                        ; implicit-def: $vgpr1
	s_branch .LBB23_1282
.LBB23_1274:
	s_mov_b64 s[16:17], -1
                                        ; implicit-def: $vgpr1
	s_branch .LBB23_1279
.LBB23_1275:
	s_mov_b64 s[16:17], -1
                                        ; implicit-def: $vgpr1
.LBB23_1276:
	s_andn2_b64 vcc, exec, s[16:17]
	s_cbranch_vccnz .LBB23_1278
; %bb.1277:
	s_waitcnt vmcnt(0)
	global_load_dword v1, v[4:5], off
	s_mov_b32 s16, 0x2f800000
	s_waitcnt vmcnt(0)
	v_trunc_f32_e32 v1, v1
	v_mul_f32_e64 v2, |v1|, s16
	v_floor_f32_e32 v2, v2
	s_mov_b32 s16, 0xcf800000
	v_fma_f32 v2, v2, s16, |v1|
	v_cvt_u32_f32_e32 v2, v2
	v_ashrrev_i32_e32 v1, 31, v1
	v_xor_b32_e32 v2, v2, v1
	v_sub_u32_e32 v1, v2, v1
.LBB23_1278:
	s_mov_b64 s[16:17], 0
.LBB23_1279:
	s_andn2_b64 vcc, exec, s[16:17]
	s_cbranch_vccnz .LBB23_1281
; %bb.1280:
	s_waitcnt vmcnt(0)
	global_load_dword v1, v[4:5], off
	s_waitcnt vmcnt(0)
	v_cvt_f32_f16_e32 v1, v1
	v_cvt_i32_f32_e32 v1, v1
.LBB23_1281:
	s_cbranch_execnz .LBB23_1292
.LBB23_1282:
	s_sext_i32_i16 s16, s29
	s_cmp_lt_i32 s16, 6
	s_cbranch_scc1 .LBB23_1285
; %bb.1283:
	s_cmp_gt_i32 s16, 6
	s_cbranch_scc0 .LBB23_1286
; %bb.1284:
	s_waitcnt vmcnt(0)
	global_load_dwordx2 v[1:2], v[4:5], off
	s_movk_i32 s16, 0xffe0
	s_waitcnt vmcnt(0)
	v_trunc_f64_e32 v[1:2], v[1:2]
	v_ldexp_f64 v[6:7], v[1:2], s16
	s_mov_b32 s16, 0
	s_mov_b32 s17, 0xc1f00000
	v_floor_f64_e32 v[6:7], v[6:7]
	v_fma_f64 v[1:2], v[6:7], s[16:17], v[1:2]
	s_mov_b64 s[16:17], 0
	v_cvt_u32_f64_e32 v1, v[1:2]
	s_branch .LBB23_1287
.LBB23_1285:
	s_mov_b64 s[16:17], -1
                                        ; implicit-def: $vgpr1
	s_branch .LBB23_1290
.LBB23_1286:
	s_mov_b64 s[16:17], -1
                                        ; implicit-def: $vgpr1
.LBB23_1287:
	s_andn2_b64 vcc, exec, s[16:17]
	s_cbranch_vccnz .LBB23_1289
; %bb.1288:
	s_waitcnt vmcnt(0)
	global_load_dword v1, v[4:5], off
	s_mov_b32 s16, 0x2f800000
	s_waitcnt vmcnt(0)
	v_trunc_f32_e32 v1, v1
	v_mul_f32_e64 v2, |v1|, s16
	v_floor_f32_e32 v2, v2
	s_mov_b32 s16, 0xcf800000
	v_fma_f32 v2, v2, s16, |v1|
	v_cvt_u32_f32_e32 v2, v2
	v_ashrrev_i32_e32 v1, 31, v1
	v_xor_b32_e32 v2, v2, v1
	v_sub_u32_e32 v1, v2, v1
.LBB23_1289:
	s_mov_b64 s[16:17], 0
.LBB23_1290:
	s_andn2_b64 vcc, exec, s[16:17]
	s_cbranch_vccnz .LBB23_1292
; %bb.1291:
	s_waitcnt vmcnt(0)
	global_load_ushort v1, v[4:5], off
	s_waitcnt vmcnt(0)
	v_cvt_f32_f16_e32 v1, v1
	v_cvt_i32_f32_e32 v1, v1
.LBB23_1292:
	s_cbranch_execnz .LBB23_1311
.LBB23_1293:
	s_sext_i32_i16 s16, s29
	s_cmp_lt_i32 s16, 2
	s_cbranch_scc1 .LBB23_1297
; %bb.1294:
	s_cmp_lt_i32 s16, 3
	s_cbranch_scc1 .LBB23_1298
; %bb.1295:
	s_cmp_gt_i32 s16, 3
	s_cbranch_scc0 .LBB23_1299
; %bb.1296:
	s_waitcnt vmcnt(0)
	global_load_dwordx2 v[1:2], v[4:5], off
	s_mov_b64 s[16:17], 0
	s_branch .LBB23_1300
.LBB23_1297:
                                        ; implicit-def: $vgpr1
	s_branch .LBB23_1306
.LBB23_1298:
	s_mov_b64 s[16:17], -1
                                        ; implicit-def: $vgpr1
	s_branch .LBB23_1303
.LBB23_1299:
	s_mov_b64 s[16:17], -1
                                        ; implicit-def: $vgpr1
.LBB23_1300:
	s_andn2_b64 vcc, exec, s[16:17]
	s_cbranch_vccnz .LBB23_1302
; %bb.1301:
	s_waitcnt vmcnt(0)
	global_load_dword v1, v[4:5], off
.LBB23_1302:
	s_mov_b64 s[16:17], 0
.LBB23_1303:
	s_andn2_b64 vcc, exec, s[16:17]
	s_cbranch_vccnz .LBB23_1305
; %bb.1304:
	s_waitcnt vmcnt(0)
	global_load_ushort v1, v[4:5], off
.LBB23_1305:
	s_cbranch_execnz .LBB23_1311
.LBB23_1306:
	s_sext_i32_i16 s16, s29
	s_cmp_gt_i32 s16, 0
	s_cbranch_scc0 .LBB23_1308
; %bb.1307:
	s_waitcnt vmcnt(0)
	global_load_ubyte v1, v[4:5], off
	s_mov_b64 s[16:17], 0
	s_branch .LBB23_1309
.LBB23_1308:
	s_mov_b64 s[16:17], -1
                                        ; implicit-def: $vgpr1
.LBB23_1309:
	s_andn2_b64 vcc, exec, s[16:17]
	s_cbranch_vccnz .LBB23_1311
; %bb.1310:
	s_waitcnt vmcnt(0)
	global_load_ubyte v1, v[4:5], off
.LBB23_1311:
	s_or_b64 s[52:53], s[52:53], exec
.LBB23_1312:
	s_or_b64 exec, exec, s[0:1]
	s_mov_b64 s[18:19], 0
	s_mov_b64 s[20:21], 0
	;; [unrolled: 1-line block ×3, first 2 shown]
                                        ; implicit-def: $sgpr22
                                        ; implicit-def: $vgpr4_vgpr5
                                        ; implicit-def: $vgpr6
	s_and_saveexec_b64 s[0:1], s[52:53]
	s_cbranch_execz .LBB23_1320
; %bb.1313:
	s_waitcnt vmcnt(0)
	v_mov_b32_e32 v2, s13
	s_and_b32 s22, s15, 0xff
	v_add_co_u32_e32 v4, vcc, s12, v3
	s_cmp_lt_i32 s22, 11
	v_addc_co_u32_e32 v5, vcc, 0, v2, vcc
	s_cbranch_scc1 .LBB23_1323
; %bb.1314:
	s_and_b32 s15, 0xffff, s22
	s_cmp_gt_i32 s15, 25
	s_cbranch_scc0 .LBB23_1324
; %bb.1315:
	s_cmp_gt_i32 s15, 28
	s_cbranch_scc0 .LBB23_1325
; %bb.1316:
	s_cmp_gt_i32 s15, 43
	s_cbranch_scc0 .LBB23_1326
; %bb.1317:
	s_cmp_gt_i32 s15, 45
	s_cbranch_scc0 .LBB23_1327
; %bb.1318:
	s_cmp_eq_u32 s15, 46
	s_cbranch_scc0 .LBB23_1328
; %bb.1319:
	global_load_dword v2, v[4:5], off
	s_mov_b32 s12, 0x2f800000
	s_mov_b32 s13, 0xcf800000
	s_mov_b64 s[16:17], -1
	s_waitcnt vmcnt(0)
	v_lshlrev_b32_e32 v2, 16, v2
	v_trunc_f32_e32 v2, v2
	v_mul_f32_e64 v3, |v2|, s12
	v_floor_f32_e32 v3, v3
	v_fma_f32 v3, v3, s13, |v2|
	v_cvt_u32_f32_e32 v3, v3
	v_ashrrev_i32_e32 v2, 31, v2
	s_mov_b64 s[12:13], 0
	v_xor_b32_e32 v3, v3, v2
	v_sub_u32_e32 v6, v3, v2
	s_branch .LBB23_1330
.LBB23_1320:
	s_or_b64 exec, exec, s[0:1]
	s_and_saveexec_b64 s[0:1], s[42:43]
	s_cbranch_execnz .LBB23_1389
.LBB23_1321:
	s_or_b64 exec, exec, s[0:1]
	s_and_saveexec_b64 s[0:1], s[18:19]
	s_xor_b64 s[0:1], exec, s[0:1]
	s_cbranch_execz .LBB23_1390
.LBB23_1322:
	s_waitcnt vmcnt(0)
	global_load_ubyte v2, v[4:5], off
	s_or_b64 s[16:17], s[16:17], exec
	s_waitcnt vmcnt(0)
	v_cmp_ne_u16_e32 vcc, 0, v2
	v_cndmask_b32_e64 v6, 0, 1, vcc
	s_or_b64 exec, exec, s[0:1]
	s_and_saveexec_b64 s[0:1], s[20:21]
	s_cbranch_execz .LBB23_1436
	s_branch .LBB23_1391
.LBB23_1323:
	s_mov_b64 s[20:21], -1
                                        ; implicit-def: $vgpr6
	s_mov_b64 s[12:13], s[42:43]
	s_branch .LBB23_1388
.LBB23_1324:
	s_mov_b64 s[12:13], s[42:43]
                                        ; implicit-def: $vgpr6
	s_cbranch_execnz .LBB23_1357
	s_branch .LBB23_1387
.LBB23_1325:
	s_mov_b64 s[20:21], -1
	s_mov_b64 s[12:13], s[42:43]
                                        ; implicit-def: $vgpr6
	s_branch .LBB23_1340
.LBB23_1326:
	s_mov_b64 s[20:21], -1
	s_mov_b64 s[12:13], s[42:43]
                                        ; implicit-def: $vgpr6
	s_branch .LBB23_1335
.LBB23_1327:
	s_mov_b64 s[20:21], -1
	s_mov_b64 s[12:13], s[42:43]
	s_branch .LBB23_1329
.LBB23_1328:
	s_mov_b64 s[12:13], -1
.LBB23_1329:
                                        ; implicit-def: $vgpr6
.LBB23_1330:
	s_and_b64 vcc, exec, s[20:21]
	s_cbranch_vccz .LBB23_1334
; %bb.1331:
	s_cmp_eq_u32 s15, 44
	s_cbranch_scc0 .LBB23_1333
; %bb.1332:
	global_load_ubyte v2, v[4:5], off
	s_mov_b32 s12, 0x2f800000
	s_mov_b32 s13, 0xcf800000
	s_mov_b64 s[16:17], -1
	s_waitcnt vmcnt(0)
	v_lshlrev_b32_e32 v3, 23, v2
	v_trunc_f32_e32 v3, v3
	v_mul_f32_e64 v6, |v3|, s12
	v_floor_f32_e32 v6, v6
	v_fma_f32 v6, v6, s13, |v3|
	v_cvt_u32_f32_e32 v6, v6
	v_ashrrev_i32_e32 v3, 31, v3
	v_cmp_ne_u32_e32 vcc, 0, v2
	s_mov_b64 s[12:13], 0
	v_xor_b32_e32 v6, v6, v3
	v_sub_u32_e32 v3, v6, v3
	v_cndmask_b32_e32 v6, 0, v3, vcc
	s_branch .LBB23_1334
.LBB23_1333:
	s_mov_b64 s[12:13], -1
                                        ; implicit-def: $vgpr6
.LBB23_1334:
	s_mov_b64 s[20:21], 0
.LBB23_1335:
	s_and_b64 vcc, exec, s[20:21]
	s_cbranch_vccz .LBB23_1339
; %bb.1336:
	s_cmp_eq_u32 s15, 29
	s_cbranch_scc0 .LBB23_1338
; %bb.1337:
	global_load_dwordx2 v[6:7], v[4:5], off
	s_mov_b64 s[12:13], 0
	s_mov_b64 s[16:17], -1
	s_branch .LBB23_1339
.LBB23_1338:
	s_mov_b64 s[12:13], -1
                                        ; implicit-def: $vgpr6
.LBB23_1339:
	s_mov_b64 s[20:21], 0
.LBB23_1340:
	s_and_b64 vcc, exec, s[20:21]
	s_cbranch_vccz .LBB23_1356
; %bb.1341:
	s_cmp_lt_i32 s15, 27
	s_cbranch_scc1 .LBB23_1344
; %bb.1342:
	s_cmp_gt_i32 s15, 27
	s_cbranch_scc0 .LBB23_1345
; %bb.1343:
	global_load_dword v6, v[4:5], off
	s_mov_b64 s[16:17], 0
	s_branch .LBB23_1346
.LBB23_1344:
	s_mov_b64 s[16:17], -1
                                        ; implicit-def: $vgpr6
	s_branch .LBB23_1349
.LBB23_1345:
	s_mov_b64 s[16:17], -1
                                        ; implicit-def: $vgpr6
.LBB23_1346:
	s_andn2_b64 vcc, exec, s[16:17]
	s_cbranch_vccnz .LBB23_1348
; %bb.1347:
	global_load_ushort v6, v[4:5], off
.LBB23_1348:
	s_mov_b64 s[16:17], 0
.LBB23_1349:
	s_andn2_b64 vcc, exec, s[16:17]
	s_cbranch_vccnz .LBB23_1355
; %bb.1350:
	global_load_ubyte v2, v[4:5], off
	s_movk_i32 s16, 0x7f
	s_mov_b64 s[20:21], 0
	s_waitcnt vmcnt(0)
	v_cmp_lt_i16_e32 vcc, s16, v2
	s_and_saveexec_b64 s[16:17], vcc
	s_xor_b64 s[16:17], exec, s[16:17]
	s_cbranch_execz .LBB23_1366
; %bb.1351:
	s_movk_i32 s20, 0x80
	v_cmp_ne_u16_e32 vcc, s20, v2
	s_and_b64 s[20:21], vcc, exec
	s_andn2_saveexec_b64 s[16:17], s[16:17]
	s_cbranch_execnz .LBB23_1367
.LBB23_1352:
	s_or_b64 exec, exec, s[16:17]
	v_mov_b32_e32 v6, 0
	s_and_saveexec_b64 s[16:17], s[20:21]
	s_cbranch_execz .LBB23_1354
.LBB23_1353:
	v_lshlrev_b32_e32 v3, 24, v2
	v_and_b32_e32 v2, 0xffff, v2
	v_and_b32_e32 v6, 7, v2
	v_ffbh_u32_e32 v8, v6
	v_min_u32_e32 v8, 32, v8
	v_subrev_u32_e32 v9, 28, v8
	v_bfe_u32 v7, v2, 3, 4
	v_lshlrev_b32_e32 v2, v9, v2
	v_sub_u32_e32 v8, 29, v8
	v_and_b32_e32 v2, 7, v2
	v_cmp_eq_u32_e32 vcc, 0, v7
	v_cndmask_b32_e32 v7, v7, v8, vcc
	v_cndmask_b32_e32 v2, v6, v2, vcc
	v_mov_b32_e32 v6, 0x3b800000
	v_lshlrev_b32_e32 v2, 20, v2
	v_and_b32_e32 v3, 0x80000000, v3
	v_lshl_add_u32 v6, v7, 23, v6
	v_or3_b32 v2, v3, v6, v2
	v_trunc_f32_e32 v2, v2
	s_mov_b32 s20, 0x2f800000
	v_mul_f32_e64 v3, |v2|, s20
	v_floor_f32_e32 v3, v3
	s_mov_b32 s20, 0xcf800000
	v_fma_f32 v3, v3, s20, |v2|
	v_cvt_u32_f32_e32 v3, v3
	v_ashrrev_i32_e32 v2, 31, v2
	v_xor_b32_e32 v3, v3, v2
	v_sub_u32_e32 v6, v3, v2
.LBB23_1354:
	s_or_b64 exec, exec, s[16:17]
.LBB23_1355:
	s_mov_b64 s[16:17], -1
.LBB23_1356:
	s_branch .LBB23_1387
.LBB23_1357:
	s_cmp_gt_i32 s15, 22
	s_cbranch_scc0 .LBB23_1365
; %bb.1358:
	s_cmp_lt_i32 s15, 24
	s_cbranch_scc1 .LBB23_1368
; %bb.1359:
	s_cmp_gt_i32 s15, 24
	s_cbranch_scc0 .LBB23_1369
; %bb.1360:
	global_load_ubyte v2, v[4:5], off
	s_movk_i32 s16, 0x7f
	s_waitcnt vmcnt(0)
	v_cmp_lt_i16_e32 vcc, s16, v2
	s_and_saveexec_b64 s[16:17], vcc
	s_xor_b64 s[16:17], exec, s[16:17]
	s_cbranch_execz .LBB23_1381
; %bb.1361:
	s_movk_i32 s18, 0x80
	v_cmp_ne_u16_e32 vcc, s18, v2
	s_and_b64 s[18:19], vcc, exec
	s_andn2_saveexec_b64 s[16:17], s[16:17]
	s_cbranch_execnz .LBB23_1382
.LBB23_1362:
	s_or_b64 exec, exec, s[16:17]
	v_mov_b32_e32 v6, 0
	s_and_saveexec_b64 s[16:17], s[18:19]
	s_cbranch_execz .LBB23_1364
.LBB23_1363:
	v_lshlrev_b32_e32 v3, 24, v2
	v_and_b32_e32 v2, 0xffff, v2
	v_and_b32_e32 v6, 3, v2
	v_ffbh_u32_e32 v8, v6
	v_min_u32_e32 v8, 32, v8
	v_subrev_u32_e32 v9, 29, v8
	v_bfe_u32 v7, v2, 2, 5
	v_lshlrev_b32_e32 v2, v9, v2
	v_sub_u32_e32 v8, 30, v8
	v_and_b32_e32 v2, 3, v2
	v_cmp_eq_u32_e32 vcc, 0, v7
	v_cndmask_b32_e32 v7, v7, v8, vcc
	v_cndmask_b32_e32 v2, v6, v2, vcc
	v_mov_b32_e32 v6, 0x37800000
	v_lshlrev_b32_e32 v2, 21, v2
	v_and_b32_e32 v3, 0x80000000, v3
	v_lshl_add_u32 v6, v7, 23, v6
	v_or3_b32 v2, v3, v6, v2
	v_trunc_f32_e32 v2, v2
	s_mov_b32 s18, 0x2f800000
	v_mul_f32_e64 v3, |v2|, s18
	v_floor_f32_e32 v3, v3
	s_mov_b32 s18, 0xcf800000
	v_fma_f32 v3, v3, s18, |v2|
	v_cvt_u32_f32_e32 v3, v3
	v_ashrrev_i32_e32 v2, 31, v2
	v_xor_b32_e32 v3, v3, v2
	v_sub_u32_e32 v6, v3, v2
.LBB23_1364:
	s_or_b64 exec, exec, s[16:17]
	s_mov_b64 s[16:17], 0
	s_branch .LBB23_1370
.LBB23_1365:
	s_mov_b64 s[18:19], -1
                                        ; implicit-def: $vgpr6
	s_branch .LBB23_1376
.LBB23_1366:
	s_andn2_saveexec_b64 s[16:17], s[16:17]
	s_cbranch_execz .LBB23_1352
.LBB23_1367:
	v_cmp_ne_u16_e32 vcc, 0, v2
	s_andn2_b64 s[20:21], s[20:21], exec
	s_and_b64 s[28:29], vcc, exec
	s_or_b64 s[20:21], s[20:21], s[28:29]
	s_or_b64 exec, exec, s[16:17]
	v_mov_b32_e32 v6, 0
	s_and_saveexec_b64 s[16:17], s[20:21]
	s_cbranch_execnz .LBB23_1353
	s_branch .LBB23_1354
.LBB23_1368:
	s_mov_b64 s[16:17], -1
                                        ; implicit-def: $vgpr6
	s_branch .LBB23_1373
.LBB23_1369:
	s_mov_b64 s[16:17], -1
                                        ; implicit-def: $vgpr6
.LBB23_1370:
	s_and_b64 vcc, exec, s[16:17]
	s_cbranch_vccz .LBB23_1372
; %bb.1371:
	global_load_ubyte v2, v[4:5], off
	s_mov_b32 s16, 0x7f800000
	s_brev_b32 s17, 1
	s_mov_b32 s18, 0x2f800000
	s_waitcnt vmcnt(0)
	v_lshlrev_b32_e32 v2, 24, v2
	v_and_b32_e32 v3, 0x7f000000, v2
	v_ffbh_u32_e32 v6, v3
	v_min_u32_e32 v6, 32, v6
	v_sub_u32_e64 v6, v6, 4 clamp
	v_lshlrev_b32_e32 v8, v6, v3
	v_lshlrev_b32_e32 v6, 23, v6
	v_lshrrev_b32_e32 v8, 4, v8
	v_add_u32_e32 v7, 0x1000000, v3
	v_sub_u32_e32 v6, v8, v6
	v_ashrrev_i32_e32 v7, 8, v7
	v_add_u32_e32 v6, 0x3c000000, v6
	v_and_or_b32 v6, v7, s16, v6
	v_cmp_ne_u32_e32 vcc, 0, v3
	v_cndmask_b32_e32 v3, 0, v6, vcc
	v_and_or_b32 v2, v2, s17, v3
	v_trunc_f32_e32 v2, v2
	v_mul_f32_e64 v3, |v2|, s18
	v_floor_f32_e32 v3, v3
	s_mov_b32 s16, 0xcf800000
	v_fma_f32 v3, v3, s16, |v2|
	v_cvt_u32_f32_e32 v3, v3
	v_ashrrev_i32_e32 v2, 31, v2
	v_xor_b32_e32 v3, v3, v2
	v_sub_u32_e32 v6, v3, v2
.LBB23_1372:
	s_mov_b64 s[16:17], 0
.LBB23_1373:
	s_andn2_b64 vcc, exec, s[16:17]
	s_cbranch_vccnz .LBB23_1375
; %bb.1374:
	global_load_ubyte v2, v[4:5], off
	s_movk_i32 s16, 0x7f00
	s_brev_b32 s17, 16
	s_brev_b32 s18, 1
	s_mov_b32 s19, 0x2f800000
	s_waitcnt vmcnt(0)
	v_lshlrev_b16_e32 v3, 8, v2
	v_lshlrev_b32_e32 v2, 25, v2
	v_lshrrev_b32_e32 v6, 4, v2
	v_and_or_b32 v7, v3, s16, 0.5
	v_or_b32_e32 v6, 0x70000000, v6
	v_add_f32_e32 v7, -0.5, v7
	v_mul_f32_e32 v6, 0x7800000, v6
	v_cmp_gt_u32_e32 vcc, s17, v2
	v_bfe_i32 v3, v3, 0, 16
	v_cndmask_b32_e32 v2, v6, v7, vcc
	v_and_or_b32 v2, v3, s18, v2
	v_trunc_f32_e32 v2, v2
	v_mul_f32_e64 v3, |v2|, s19
	v_floor_f32_e32 v3, v3
	s_mov_b32 s16, 0xcf800000
	v_fma_f32 v3, v3, s16, |v2|
	v_cvt_u32_f32_e32 v3, v3
	v_ashrrev_i32_e32 v2, 31, v2
	v_xor_b32_e32 v3, v3, v2
	v_sub_u32_e32 v6, v3, v2
.LBB23_1375:
	s_mov_b64 s[18:19], 0
	s_mov_b64 s[16:17], -1
.LBB23_1376:
	s_andn2_b64 vcc, exec, s[18:19]
	s_mov_b64 s[18:19], 0
	s_cbranch_vccnz .LBB23_1387
; %bb.1377:
	s_cmp_gt_i32 s15, 14
	s_cbranch_scc0 .LBB23_1380
; %bb.1378:
	s_cmp_eq_u32 s15, 15
	s_cbranch_scc0 .LBB23_1383
; %bb.1379:
	global_load_ushort v2, v[4:5], off
	s_mov_b32 s12, 0x2f800000
	s_mov_b32 s13, 0xcf800000
	s_mov_b64 s[16:17], -1
	s_waitcnt vmcnt(0)
	v_lshlrev_b32_e32 v2, 16, v2
	v_trunc_f32_e32 v2, v2
	v_mul_f32_e64 v3, |v2|, s12
	v_floor_f32_e32 v3, v3
	v_fma_f32 v3, v3, s13, |v2|
	v_cvt_u32_f32_e32 v3, v3
	v_ashrrev_i32_e32 v2, 31, v2
	s_mov_b64 s[12:13], 0
	v_xor_b32_e32 v3, v3, v2
	v_sub_u32_e32 v6, v3, v2
	s_branch .LBB23_1384
.LBB23_1380:
	s_mov_b64 s[20:21], -1
                                        ; implicit-def: $vgpr6
	s_branch .LBB23_1385
.LBB23_1381:
	s_andn2_saveexec_b64 s[16:17], s[16:17]
	s_cbranch_execz .LBB23_1362
.LBB23_1382:
	v_cmp_ne_u16_e32 vcc, 0, v2
	s_andn2_b64 s[18:19], s[18:19], exec
	s_and_b64 s[20:21], vcc, exec
	s_or_b64 s[18:19], s[18:19], s[20:21]
	s_or_b64 exec, exec, s[16:17]
	v_mov_b32_e32 v6, 0
	s_and_saveexec_b64 s[16:17], s[18:19]
	s_cbranch_execnz .LBB23_1363
	s_branch .LBB23_1364
.LBB23_1383:
	s_mov_b64 s[12:13], -1
                                        ; implicit-def: $vgpr6
.LBB23_1384:
	s_mov_b64 s[20:21], 0
.LBB23_1385:
	s_and_b64 vcc, exec, s[20:21]
	s_cbranch_vccz .LBB23_1387
; %bb.1386:
	s_cmp_lg_u32 s15, 11
	s_cselect_b64 s[20:21], -1, 0
	s_andn2_b64 s[12:13], s[12:13], exec
	s_and_b64 s[20:21], s[20:21], exec
	s_mov_b64 s[18:19], -1
	s_or_b64 s[12:13], s[12:13], s[20:21]
.LBB23_1387:
	s_mov_b64 s[20:21], 0
.LBB23_1388:
	s_andn2_b64 s[28:29], s[42:43], exec
	s_and_b64 s[12:13], s[12:13], exec
	s_and_b64 s[16:17], s[16:17], exec
	;; [unrolled: 1-line block ×4, first 2 shown]
	s_or_b64 s[42:43], s[28:29], s[12:13]
	s_or_b64 exec, exec, s[0:1]
	s_and_saveexec_b64 s[0:1], s[42:43]
	s_cbranch_execz .LBB23_1321
.LBB23_1389:
	s_or_b64 s[10:11], s[10:11], exec
	s_andn2_b64 s[18:19], s[18:19], exec
	s_trap 2
	s_or_b64 exec, exec, s[0:1]
	s_and_saveexec_b64 s[0:1], s[18:19]
	s_xor_b64 s[0:1], exec, s[0:1]
	s_cbranch_execnz .LBB23_1322
.LBB23_1390:
	s_or_b64 exec, exec, s[0:1]
	s_and_saveexec_b64 s[0:1], s[20:21]
	s_cbranch_execz .LBB23_1436
.LBB23_1391:
	s_sext_i32_i16 s12, s22
	s_cmp_lt_i32 s12, 5
	s_cbranch_scc1 .LBB23_1396
; %bb.1392:
	s_cmp_lt_i32 s12, 8
	s_cbranch_scc1 .LBB23_1397
; %bb.1393:
	;; [unrolled: 3-line block ×3, first 2 shown]
	s_cmp_gt_i32 s12, 9
	s_cbranch_scc0 .LBB23_1399
; %bb.1395:
	s_waitcnt vmcnt(0)
	global_load_dwordx2 v[2:3], v[4:5], off
	s_movk_i32 s12, 0xffe0
	s_waitcnt vmcnt(0)
	v_trunc_f64_e32 v[2:3], v[2:3]
	v_ldexp_f64 v[6:7], v[2:3], s12
	s_mov_b32 s12, 0
	s_mov_b32 s13, 0xc1f00000
	v_floor_f64_e32 v[6:7], v[6:7]
	v_fma_f64 v[2:3], v[6:7], s[12:13], v[2:3]
	s_mov_b64 s[12:13], 0
	v_cvt_u32_f64_e32 v6, v[2:3]
	s_branch .LBB23_1400
.LBB23_1396:
                                        ; implicit-def: $vgpr6
	s_branch .LBB23_1417
.LBB23_1397:
                                        ; implicit-def: $vgpr6
	s_branch .LBB23_1406
.LBB23_1398:
	s_mov_b64 s[12:13], -1
                                        ; implicit-def: $vgpr6
	s_branch .LBB23_1403
.LBB23_1399:
	s_mov_b64 s[12:13], -1
                                        ; implicit-def: $vgpr6
.LBB23_1400:
	s_andn2_b64 vcc, exec, s[12:13]
	s_cbranch_vccnz .LBB23_1402
; %bb.1401:
	s_waitcnt vmcnt(0)
	global_load_dword v2, v[4:5], off
	s_mov_b32 s12, 0x2f800000
	s_waitcnt vmcnt(0)
	v_trunc_f32_e32 v2, v2
	v_mul_f32_e64 v3, |v2|, s12
	v_floor_f32_e32 v3, v3
	s_mov_b32 s12, 0xcf800000
	v_fma_f32 v3, v3, s12, |v2|
	v_cvt_u32_f32_e32 v3, v3
	v_ashrrev_i32_e32 v2, 31, v2
	v_xor_b32_e32 v3, v3, v2
	v_sub_u32_e32 v6, v3, v2
.LBB23_1402:
	s_mov_b64 s[12:13], 0
.LBB23_1403:
	s_andn2_b64 vcc, exec, s[12:13]
	s_cbranch_vccnz .LBB23_1405
; %bb.1404:
	s_waitcnt vmcnt(0)
	global_load_dword v2, v[4:5], off
	s_waitcnt vmcnt(0)
	v_cvt_f32_f16_e32 v2, v2
	v_cvt_i32_f32_e32 v6, v2
.LBB23_1405:
	s_cbranch_execnz .LBB23_1416
.LBB23_1406:
	s_sext_i32_i16 s12, s22
	s_cmp_lt_i32 s12, 6
	s_cbranch_scc1 .LBB23_1409
; %bb.1407:
	s_cmp_gt_i32 s12, 6
	s_cbranch_scc0 .LBB23_1410
; %bb.1408:
	s_waitcnt vmcnt(0)
	global_load_dwordx2 v[2:3], v[4:5], off
	s_movk_i32 s12, 0xffe0
	s_waitcnt vmcnt(0)
	v_trunc_f64_e32 v[2:3], v[2:3]
	v_ldexp_f64 v[6:7], v[2:3], s12
	s_mov_b32 s12, 0
	s_mov_b32 s13, 0xc1f00000
	v_floor_f64_e32 v[6:7], v[6:7]
	v_fma_f64 v[2:3], v[6:7], s[12:13], v[2:3]
	s_mov_b64 s[12:13], 0
	v_cvt_u32_f64_e32 v6, v[2:3]
	s_branch .LBB23_1411
.LBB23_1409:
	s_mov_b64 s[12:13], -1
                                        ; implicit-def: $vgpr6
	s_branch .LBB23_1414
.LBB23_1410:
	s_mov_b64 s[12:13], -1
                                        ; implicit-def: $vgpr6
.LBB23_1411:
	s_andn2_b64 vcc, exec, s[12:13]
	s_cbranch_vccnz .LBB23_1413
; %bb.1412:
	s_waitcnt vmcnt(0)
	global_load_dword v2, v[4:5], off
	s_mov_b32 s12, 0x2f800000
	s_waitcnt vmcnt(0)
	v_trunc_f32_e32 v2, v2
	v_mul_f32_e64 v3, |v2|, s12
	v_floor_f32_e32 v3, v3
	s_mov_b32 s12, 0xcf800000
	v_fma_f32 v3, v3, s12, |v2|
	v_cvt_u32_f32_e32 v3, v3
	v_ashrrev_i32_e32 v2, 31, v2
	v_xor_b32_e32 v3, v3, v2
	v_sub_u32_e32 v6, v3, v2
.LBB23_1413:
	s_mov_b64 s[12:13], 0
.LBB23_1414:
	s_andn2_b64 vcc, exec, s[12:13]
	s_cbranch_vccnz .LBB23_1416
; %bb.1415:
	s_waitcnt vmcnt(0)
	global_load_ushort v2, v[4:5], off
	s_waitcnt vmcnt(0)
	v_cvt_f32_f16_e32 v2, v2
	v_cvt_i32_f32_e32 v6, v2
.LBB23_1416:
	s_cbranch_execnz .LBB23_1435
.LBB23_1417:
	s_sext_i32_i16 s12, s22
	s_cmp_lt_i32 s12, 2
	s_cbranch_scc1 .LBB23_1421
; %bb.1418:
	s_cmp_lt_i32 s12, 3
	s_cbranch_scc1 .LBB23_1422
; %bb.1419:
	s_cmp_gt_i32 s12, 3
	s_cbranch_scc0 .LBB23_1423
; %bb.1420:
	s_waitcnt vmcnt(0)
	global_load_dwordx2 v[6:7], v[4:5], off
	s_mov_b64 s[12:13], 0
	s_branch .LBB23_1424
.LBB23_1421:
                                        ; implicit-def: $vgpr6
	s_branch .LBB23_1430
.LBB23_1422:
	s_mov_b64 s[12:13], -1
                                        ; implicit-def: $vgpr6
	s_branch .LBB23_1427
.LBB23_1423:
	s_mov_b64 s[12:13], -1
                                        ; implicit-def: $vgpr6
.LBB23_1424:
	s_andn2_b64 vcc, exec, s[12:13]
	s_cbranch_vccnz .LBB23_1426
; %bb.1425:
	s_waitcnt vmcnt(0)
	global_load_dword v6, v[4:5], off
.LBB23_1426:
	s_mov_b64 s[12:13], 0
.LBB23_1427:
	s_andn2_b64 vcc, exec, s[12:13]
	s_cbranch_vccnz .LBB23_1429
; %bb.1428:
	s_waitcnt vmcnt(0)
	global_load_ushort v6, v[4:5], off
.LBB23_1429:
	s_cbranch_execnz .LBB23_1435
.LBB23_1430:
	s_sext_i32_i16 s12, s22
	s_cmp_gt_i32 s12, 0
	s_cbranch_scc0 .LBB23_1432
; %bb.1431:
	s_waitcnt vmcnt(0)
	global_load_ubyte v6, v[4:5], off
	s_mov_b64 s[12:13], 0
	s_branch .LBB23_1433
.LBB23_1432:
	s_mov_b64 s[12:13], -1
                                        ; implicit-def: $vgpr6
.LBB23_1433:
	s_andn2_b64 vcc, exec, s[12:13]
	s_cbranch_vccnz .LBB23_1435
; %bb.1434:
	s_waitcnt vmcnt(0)
	global_load_ubyte v6, v[4:5], off
.LBB23_1435:
	s_or_b64 s[16:17], s[16:17], exec
.LBB23_1436:
	s_or_b64 exec, exec, s[0:1]
	s_mov_b64 s[20:21], 0
	s_mov_b64 s[18:19], 0
                                        ; implicit-def: $sgpr22
                                        ; implicit-def: $vgpr2_vgpr3
                                        ; implicit-def: $vgpr4
	s_and_saveexec_b64 s[12:13], s[16:17]
	s_cbranch_execz .LBB23_1511
; %bb.1437:
	s_and_b32 s0, s14, 0xff
	s_waitcnt vmcnt(0)
	v_mov_b32_e32 v2, s74
	v_cmp_gt_u16_sdwa vcc, v1, s0 src0_sel:BYTE_0 src1_sel:DWORD
	v_cndmask_b32_e32 v4, v2, v6, vcc
	v_mov_b32_e32 v1, s9
	s_and_b32 s22, s73, 0xff
	v_add_co_u32_e32 v2, vcc, s8, v0
	s_cmp_lt_i32 s22, 11
	v_addc_co_u32_e32 v3, vcc, 0, v1, vcc
	s_cbranch_scc1 .LBB23_1514
; %bb.1438:
	s_and_b32 s20, 0xffff, s22
	s_mov_b64 s[14:15], -1
	s_cmp_gt_i32 s20, 25
	s_mov_b64 s[0:1], s[40:41]
	s_cbranch_scc0 .LBB23_1471
; %bb.1439:
	s_mov_b64 s[8:9], -1
	s_cmp_gt_i32 s20, 28
	s_mov_b64 s[0:1], s[40:41]
	s_cbranch_scc0 .LBB23_1455
; %bb.1440:
	s_cmp_gt_i32 s20, 43
	s_mov_b64 s[0:1], s[40:41]
	s_cbranch_scc0 .LBB23_1451
; %bb.1441:
	;; [unrolled: 4-line block ×3, first 2 shown]
	s_cmp_eq_u32 s20, 46
	s_mov_b64 s[0:1], -1
	s_cbranch_scc0 .LBB23_1444
; %bb.1443:
	v_cvt_f32_ubyte0_e32 v0, v4
	v_bfe_u32 v1, v0, 16, 1
	s_movk_i32 s0, 0x7fff
	v_add3_u32 v0, v0, v1, s0
	v_lshrrev_b32_e32 v0, 16, v0
	global_store_dword v[2:3], v0, off
	s_mov_b64 s[0:1], 0
.LBB23_1444:
	s_mov_b64 s[8:9], 0
.LBB23_1445:
	s_and_b64 vcc, exec, s[8:9]
	s_cbranch_vccz .LBB23_1450
; %bb.1446:
	s_cmp_eq_u32 s20, 44
	s_mov_b64 s[0:1], -1
	s_cbranch_scc0 .LBB23_1450
; %bb.1447:
	v_cvt_f32_ubyte0_e32 v1, v4
	v_lshrrev_b32_e32 v0, 23, v1
	s_movk_i32 s0, 0xff
	v_cmp_ne_u32_e32 vcc, s0, v0
	v_mov_b32_e32 v5, 0xff
	s_and_saveexec_b64 s[8:9], vcc
; %bb.1448:
	s_mov_b32 s0, 0x3fffff
	v_and_b32_e32 v5, 0x400000, v1
	v_and_or_b32 v1, v1, s0, v0
	v_cmp_ne_u32_e32 vcc, 0, v5
	v_cmp_ne_u32_e64 s[0:1], 0, v1
	s_and_b64 s[0:1], vcc, s[0:1]
	v_cndmask_b32_e64 v1, 0, 1, s[0:1]
	v_add_u32_e32 v5, v0, v1
; %bb.1449:
	s_or_b64 exec, exec, s[8:9]
	s_mov_b64 s[0:1], 0
	global_store_byte v[2:3], v5, off
.LBB23_1450:
	s_mov_b64 s[8:9], 0
.LBB23_1451:
	s_and_b64 vcc, exec, s[8:9]
	s_cbranch_vccz .LBB23_1454
; %bb.1452:
	s_cmp_eq_u32 s20, 29
	s_mov_b64 s[0:1], -1
	s_cbranch_scc0 .LBB23_1454
; %bb.1453:
	v_and_b32_e32 v0, 0xff, v4
	v_mov_b32_e32 v1, 0
	global_store_dwordx2 v[2:3], v[0:1], off
	s_mov_b64 s[0:1], 0
.LBB23_1454:
	s_mov_b64 s[8:9], 0
.LBB23_1455:
	s_and_b64 vcc, exec, s[8:9]
	s_cbranch_vccz .LBB23_1470
; %bb.1456:
	s_cmp_lt_i32 s20, 27
	s_mov_b64 s[8:9], -1
	s_cbranch_scc1 .LBB23_1462
; %bb.1457:
	s_cmp_gt_i32 s20, 27
	s_cbranch_scc0 .LBB23_1459
; %bb.1458:
	v_and_b32_e32 v0, 0xff, v4
	s_mov_b64 s[8:9], 0
	global_store_dword v[2:3], v0, off
.LBB23_1459:
	s_andn2_b64 vcc, exec, s[8:9]
	s_cbranch_vccnz .LBB23_1461
; %bb.1460:
	v_and_b32_e32 v0, 0xff, v4
	global_store_short v[2:3], v0, off
.LBB23_1461:
	s_mov_b64 s[8:9], 0
.LBB23_1462:
	s_andn2_b64 vcc, exec, s[8:9]
	s_cbranch_vccnz .LBB23_1470
; %bb.1463:
	v_cvt_f32_ubyte0_e32 v1, v4
	s_mov_b32 s8, 0x43800000
	v_cmp_gt_u32_e32 vcc, s8, v1
	v_mov_b32_e32 v5, 0x80
	s_and_saveexec_b64 s[8:9], vcc
	s_cbranch_execz .LBB23_1469
; %bb.1464:
	s_mov_b32 s14, 0x3bffffff
	v_cmp_lt_u32_e32 vcc, s14, v1
	s_mov_b64 s[14:15], 0
                                        ; implicit-def: $vgpr0
	s_and_saveexec_b64 s[16:17], vcc
	s_xor_b64 s[16:17], exec, s[16:17]
	s_cbranch_execz .LBB23_1615
; %bb.1465:
	v_bfe_u32 v0, v1, 20, 1
	s_mov_b32 s18, 0x487ffff
	v_add3_u32 v0, v1, v0, s18
	s_mov_b64 s[14:15], exec
	v_lshrrev_b32_e32 v0, 20, v0
                                        ; implicit-def: $vgpr1
	s_andn2_saveexec_b64 s[16:17], s[16:17]
	s_cbranch_execnz .LBB23_1616
.LBB23_1466:
	s_or_b64 exec, exec, s[16:17]
	v_mov_b32_e32 v5, 0
	s_and_saveexec_b64 s[16:17], s[14:15]
.LBB23_1467:
	v_mov_b32_e32 v5, v0
.LBB23_1468:
	s_or_b64 exec, exec, s[16:17]
.LBB23_1469:
	s_or_b64 exec, exec, s[8:9]
	global_store_byte v[2:3], v5, off
.LBB23_1470:
	s_mov_b64 s[14:15], 0
.LBB23_1471:
	s_mov_b64 s[8:9], 0
	s_and_b64 vcc, exec, s[14:15]
	s_cbranch_vccz .LBB23_1515
; %bb.1472:
	s_cmp_gt_i32 s20, 22
	s_mov_b64 s[14:15], -1
	s_cbranch_scc0 .LBB23_1504
; %bb.1473:
	s_cmp_lt_i32 s20, 24
	s_cbranch_scc1 .LBB23_1493
; %bb.1474:
	s_cmp_gt_i32 s20, 24
	s_cbranch_scc0 .LBB23_1482
; %bb.1475:
	v_cvt_f32_ubyte0_e32 v1, v4
	s_mov_b32 s14, 0x47800000
	v_cmp_gt_u32_e32 vcc, s14, v1
	v_mov_b32_e32 v5, 0x80
	s_and_saveexec_b64 s[14:15], vcc
	s_cbranch_execz .LBB23_1481
; %bb.1476:
	s_mov_b32 s16, 0x37ffffff
	v_cmp_lt_u32_e32 vcc, s16, v1
	s_mov_b64 s[16:17], 0
                                        ; implicit-def: $vgpr0
	s_and_saveexec_b64 s[18:19], vcc
	s_xor_b64 s[18:19], exec, s[18:19]
	s_cbranch_execz .LBB23_1735
; %bb.1477:
	v_bfe_u32 v0, v1, 21, 1
	s_mov_b32 s21, 0x88fffff
	v_add3_u32 v0, v1, v0, s21
	s_mov_b64 s[16:17], exec
	v_lshrrev_b32_e32 v0, 21, v0
                                        ; implicit-def: $vgpr1
	s_andn2_saveexec_b64 s[18:19], s[18:19]
	s_cbranch_execnz .LBB23_1736
.LBB23_1478:
	s_or_b64 exec, exec, s[18:19]
	v_mov_b32_e32 v5, 0
	s_and_saveexec_b64 s[18:19], s[16:17]
.LBB23_1479:
	v_mov_b32_e32 v5, v0
.LBB23_1480:
	s_or_b64 exec, exec, s[18:19]
.LBB23_1481:
	s_or_b64 exec, exec, s[14:15]
	s_mov_b64 s[14:15], 0
	global_store_byte v[2:3], v5, off
.LBB23_1482:
	s_and_b64 vcc, exec, s[14:15]
	s_cbranch_vccz .LBB23_1492
; %bb.1483:
	v_cvt_f32_ubyte0_e32 v0, v4
	s_mov_b32 s14, 0x43f00000
	v_cmp_gt_u32_e32 vcc, s14, v0
                                        ; implicit-def: $vgpr1
	s_and_saveexec_b64 s[14:15], vcc
	s_xor_b64 s[14:15], exec, s[14:15]
	s_cbranch_execz .LBB23_1489
; %bb.1484:
	s_mov_b32 s16, 0x3c7fffff
	v_cmp_lt_u32_e32 vcc, s16, v0
                                        ; implicit-def: $vgpr1
	s_and_saveexec_b64 s[16:17], vcc
	s_xor_b64 s[16:17], exec, s[16:17]
; %bb.1485:
	v_bfe_u32 v1, v0, 20, 1
	s_mov_b32 s18, 0x407ffff
	v_add3_u32 v0, v0, v1, s18
	v_lshrrev_b32_e32 v1, 20, v0
	v_and_b32_e32 v0, 0xff00000, v0
	s_mov_b32 s18, 0x7f00000
	v_mov_b32_e32 v5, 0x7e
	v_cmp_ne_u32_e32 vcc, s18, v0
	v_cndmask_b32_e32 v1, v5, v1, vcc
                                        ; implicit-def: $vgpr0
; %bb.1486:
	s_andn2_saveexec_b64 s[16:17], s[16:17]
; %bb.1487:
	v_add_f32_e32 v1, 0x46800000, v0
; %bb.1488:
	s_or_b64 exec, exec, s[16:17]
                                        ; implicit-def: $vgpr0
.LBB23_1489:
	s_andn2_saveexec_b64 s[14:15], s[14:15]
; %bb.1490:
	s_mov_b32 s16, 0x7f800000
	v_mov_b32_e32 v1, 0x7e
	v_mov_b32_e32 v5, 0x7f
	v_cmp_lt_u32_e32 vcc, s16, v0
	v_cndmask_b32_e32 v1, v1, v5, vcc
; %bb.1491:
	s_or_b64 exec, exec, s[14:15]
	global_store_byte v[2:3], v1, off
.LBB23_1492:
	s_mov_b64 s[14:15], 0
.LBB23_1493:
	s_andn2_b64 vcc, exec, s[14:15]
	s_cbranch_vccnz .LBB23_1503
; %bb.1494:
	v_cvt_f32_ubyte0_e32 v0, v4
	s_mov_b32 s14, 0x47800000
	v_cmp_gt_u32_e32 vcc, s14, v0
                                        ; implicit-def: $vgpr1
	s_and_saveexec_b64 s[14:15], vcc
	s_xor_b64 s[14:15], exec, s[14:15]
	s_cbranch_execz .LBB23_1500
; %bb.1495:
	s_mov_b32 s16, 0x387fffff
	v_cmp_lt_u32_e32 vcc, s16, v0
                                        ; implicit-def: $vgpr1
	s_and_saveexec_b64 s[16:17], vcc
	s_xor_b64 s[16:17], exec, s[16:17]
; %bb.1496:
	v_bfe_u32 v1, v0, 21, 1
	s_mov_b32 s18, 0x80fffff
	v_add3_u32 v0, v0, v1, s18
	v_lshrrev_b32_e32 v1, 21, v0
                                        ; implicit-def: $vgpr0
; %bb.1497:
	s_andn2_saveexec_b64 s[16:17], s[16:17]
; %bb.1498:
	v_add_f32_e32 v1, 0x43000000, v0
; %bb.1499:
	s_or_b64 exec, exec, s[16:17]
                                        ; implicit-def: $vgpr0
.LBB23_1500:
	s_andn2_saveexec_b64 s[14:15], s[14:15]
; %bb.1501:
	s_mov_b32 s16, 0x7f800000
	v_mov_b32_e32 v1, 0x7c
	v_mov_b32_e32 v5, 0x7f
	v_cmp_lt_u32_e32 vcc, s16, v0
	v_cndmask_b32_e32 v1, v1, v5, vcc
; %bb.1502:
	s_or_b64 exec, exec, s[14:15]
	global_store_byte v[2:3], v1, off
.LBB23_1503:
	s_mov_b64 s[14:15], 0
.LBB23_1504:
	s_andn2_b64 vcc, exec, s[14:15]
	s_mov_b64 s[14:15], 0
	s_cbranch_vccnz .LBB23_1516
; %bb.1505:
	s_cmp_gt_i32 s20, 14
	s_mov_b64 s[16:17], -1
	s_cbranch_scc0 .LBB23_1509
; %bb.1506:
	s_cmp_eq_u32 s20, 15
	s_mov_b64 s[0:1], -1
	s_cbranch_scc0 .LBB23_1508
; %bb.1507:
	v_cvt_f32_ubyte0_e32 v0, v4
	v_bfe_u32 v1, v0, 16, 1
	s_movk_i32 s0, 0x7fff
	v_add3_u32 v0, v0, v1, s0
	global_store_short_d16_hi v[2:3], v0, off
	s_mov_b64 s[0:1], 0
.LBB23_1508:
	s_mov_b64 s[16:17], 0
.LBB23_1509:
	s_and_b64 vcc, exec, s[16:17]
	s_cbranch_vccz .LBB23_1516
; %bb.1510:
	s_cmp_lg_u32 s20, 11
	s_cselect_b64 s[16:17], -1, 0
	s_andn2_b64 s[0:1], s[0:1], exec
	s_and_b64 s[16:17], s[16:17], exec
	s_mov_b64 s[14:15], -1
	s_or_b64 s[0:1], s[0:1], s[16:17]
	s_branch .LBB23_1516
.LBB23_1511:
	s_or_b64 exec, exec, s[12:13]
	s_and_saveexec_b64 s[0:1], s[40:41]
	s_cbranch_execnz .LBB23_1517
.LBB23_1512:
	s_or_b64 exec, exec, s[0:1]
	s_and_saveexec_b64 s[0:1], s[20:21]
	s_xor_b64 s[0:1], exec, s[0:1]
	s_cbranch_execz .LBB23_1518
.LBB23_1513:
	v_mov_b32_e32 v0, 0
	s_waitcnt vmcnt(0)
	v_cmp_ne_u16_sdwa s[8:9], v4, v0 src0_sel:BYTE_0 src1_sel:DWORD
	v_cndmask_b32_e64 v0, 0, 1, s[8:9]
	global_store_byte v[2:3], v0, off
	s_or_b64 exec, exec, s[0:1]
	s_and_saveexec_b64 s[0:1], s[18:19]
	s_xor_b64 s[0:1], exec, s[0:1]
	s_cbranch_execz .LBB23_1556
	s_branch .LBB23_1519
.LBB23_1514:
	s_mov_b64 s[14:15], 0
	s_mov_b64 s[8:9], -1
	s_mov_b64 s[0:1], s[40:41]
	s_branch .LBB23_1516
.LBB23_1515:
	s_mov_b64 s[14:15], 0
.LBB23_1516:
	s_and_b64 s[18:19], s[8:9], exec
	s_andn2_b64 s[8:9], s[40:41], exec
	s_and_b64 s[0:1], s[0:1], exec
	s_and_b64 s[20:21], s[14:15], exec
	s_or_b64 s[40:41], s[8:9], s[0:1]
	s_or_b64 exec, exec, s[12:13]
	s_and_saveexec_b64 s[0:1], s[40:41]
	s_cbranch_execz .LBB23_1512
.LBB23_1517:
	s_or_b64 s[10:11], s[10:11], exec
	s_andn2_b64 s[20:21], s[20:21], exec
	s_trap 2
	s_or_b64 exec, exec, s[0:1]
	s_and_saveexec_b64 s[0:1], s[20:21]
	s_xor_b64 s[0:1], exec, s[0:1]
	s_cbranch_execnz .LBB23_1513
.LBB23_1518:
	s_or_b64 exec, exec, s[0:1]
	s_and_saveexec_b64 s[0:1], s[18:19]
	s_xor_b64 s[0:1], exec, s[0:1]
	s_cbranch_execz .LBB23_1556
.LBB23_1519:
	s_sext_i32_i16 s12, s22
	s_cmp_lt_i32 s12, 5
	s_mov_b64 s[8:9], -1
	s_cbranch_scc1 .LBB23_1540
; %bb.1520:
	s_cmp_lt_i32 s12, 8
	s_cbranch_scc1 .LBB23_1530
; %bb.1521:
	s_cmp_lt_i32 s12, 9
	s_cbranch_scc1 .LBB23_1527
; %bb.1522:
	s_cmp_gt_i32 s12, 9
	s_cbranch_scc0 .LBB23_1524
; %bb.1523:
	s_mov_b32 s8, 0xffff
	s_waitcnt vmcnt(0)
	v_and_b32_sdwa v0, s8, v4 dst_sel:DWORD dst_unused:UNUSED_PAD src0_sel:DWORD src1_sel:BYTE_0
	v_cvt_f64_u32_e32 v[5:6], v0
	v_mov_b32_e32 v7, 0
	v_mov_b32_e32 v8, v7
	s_mov_b64 s[8:9], 0
	global_store_dwordx4 v[2:3], v[5:8], off
.LBB23_1524:
	s_andn2_b64 vcc, exec, s[8:9]
	s_cbranch_vccnz .LBB23_1526
; %bb.1525:
	s_waitcnt vmcnt(0)
	v_cvt_f32_ubyte0_e32 v0, v4
	v_mov_b32_e32 v1, 0
	global_store_dwordx2 v[2:3], v[0:1], off
.LBB23_1526:
	s_mov_b64 s[8:9], 0
.LBB23_1527:
	s_andn2_b64 vcc, exec, s[8:9]
	s_cbranch_vccnz .LBB23_1529
; %bb.1528:
	s_waitcnt vmcnt(0)
	v_cvt_f16_u16_sdwa v0, v4 dst_sel:DWORD dst_unused:UNUSED_PAD src0_sel:BYTE_0
	global_store_dword v[2:3], v0, off
.LBB23_1529:
	s_mov_b64 s[8:9], 0
.LBB23_1530:
	s_andn2_b64 vcc, exec, s[8:9]
	s_cbranch_vccnz .LBB23_1539
; %bb.1531:
	s_sext_i32_i16 s12, s22
	s_cmp_lt_i32 s12, 6
	s_mov_b64 s[8:9], -1
	s_cbranch_scc1 .LBB23_1537
; %bb.1532:
	s_cmp_gt_i32 s12, 6
	s_cbranch_scc0 .LBB23_1534
; %bb.1533:
	s_mov_b32 s8, 0xffff
	s_waitcnt vmcnt(0)
	v_and_b32_sdwa v0, s8, v4 dst_sel:DWORD dst_unused:UNUSED_PAD src0_sel:DWORD src1_sel:BYTE_0
	v_cvt_f64_u32_e32 v[0:1], v0
	s_mov_b64 s[8:9], 0
	global_store_dwordx2 v[2:3], v[0:1], off
.LBB23_1534:
	s_andn2_b64 vcc, exec, s[8:9]
	s_cbranch_vccnz .LBB23_1536
; %bb.1535:
	s_waitcnt vmcnt(0)
	v_cvt_f32_ubyte0_e32 v0, v4
	global_store_dword v[2:3], v0, off
.LBB23_1536:
	s_mov_b64 s[8:9], 0
.LBB23_1537:
	s_andn2_b64 vcc, exec, s[8:9]
	s_cbranch_vccnz .LBB23_1539
; %bb.1538:
	s_waitcnt vmcnt(0)
	v_cvt_f16_u16_sdwa v0, v4 dst_sel:DWORD dst_unused:UNUSED_PAD src0_sel:BYTE_0
	global_store_short v[2:3], v0, off
.LBB23_1539:
	s_mov_b64 s[8:9], 0
.LBB23_1540:
	s_andn2_b64 vcc, exec, s[8:9]
	s_cbranch_vccnz .LBB23_1556
; %bb.1541:
	s_sext_i32_i16 s12, s22
	s_cmp_lt_i32 s12, 2
	s_mov_b64 s[8:9], -1
	s_cbranch_scc1 .LBB23_1551
; %bb.1542:
	s_cmp_lt_i32 s12, 3
	s_cbranch_scc1 .LBB23_1548
; %bb.1543:
	s_cmp_gt_i32 s12, 3
	s_cbranch_scc0 .LBB23_1545
; %bb.1544:
	s_waitcnt vmcnt(0)
	v_and_b32_e32 v0, 0xff, v4
	v_mov_b32_e32 v1, 0
	s_mov_b64 s[8:9], 0
	global_store_dwordx2 v[2:3], v[0:1], off
.LBB23_1545:
	s_andn2_b64 vcc, exec, s[8:9]
	s_cbranch_vccnz .LBB23_1547
; %bb.1546:
	s_waitcnt vmcnt(0)
	v_and_b32_e32 v0, 0xff, v4
	global_store_dword v[2:3], v0, off
.LBB23_1547:
	s_mov_b64 s[8:9], 0
.LBB23_1548:
	s_andn2_b64 vcc, exec, s[8:9]
	s_cbranch_vccnz .LBB23_1550
; %bb.1549:
	s_waitcnt vmcnt(0)
	v_and_b32_e32 v0, 0xff, v4
	global_store_short v[2:3], v0, off
.LBB23_1550:
	s_mov_b64 s[8:9], 0
.LBB23_1551:
	s_andn2_b64 vcc, exec, s[8:9]
	s_cbranch_vccnz .LBB23_1556
; %bb.1552:
	s_sext_i32_i16 s8, s22
	s_cmp_gt_i32 s8, 0
	s_mov_b64 s[8:9], -1
	s_cbranch_scc0 .LBB23_1554
; %bb.1553:
	s_mov_b64 s[8:9], 0
	s_waitcnt vmcnt(0)
	global_store_byte v[2:3], v4, off
.LBB23_1554:
	s_andn2_b64 vcc, exec, s[8:9]
	s_cbranch_vccnz .LBB23_1556
; %bb.1555:
	s_waitcnt vmcnt(0)
	global_store_byte v[2:3], v4, off
.LBB23_1556:
	s_or_b64 exec, exec, s[0:1]
	s_and_b64 s[12:13], s[10:11], exec
                                        ; implicit-def: $vgpr20
                                        ; implicit-def: $vgpr10
.LBB23_1557:
	s_or_saveexec_b64 s[14:15], s[26:27]
	s_mov_b64 s[0:1], 0
                                        ; implicit-def: $vgpr0_vgpr1
                                        ; implicit-def: $sgpr18
                                        ; implicit-def: $vgpr2
	s_xor_b64 exec, exec, s[14:15]
	s_cbranch_execz .LBB23_3038
; %bb.1558:
	v_cndmask_b32_e64 v0, 0, 1, s[24:25]
	v_cmp_ne_u32_e64 s[0:1], 1, v0
	s_andn2_b64 vcc, exec, s[24:25]
	s_cbranch_vccnz .LBB23_1564
; %bb.1559:
	s_cmp_lg_u32 s33, 0
	s_cbranch_scc0 .LBB23_1565
; %bb.1560:
	s_min_u32 s8, s72, 15
	s_add_i32 s6, s8, 1
	s_and_b32 s9, s6, 30
	s_add_u32 s6, s2, 0xffffffe8
	s_addc_u32 s7, s3, -1
	v_mov_b32_e32 v11, 0
	v_mov_b32_e32 v8, 0
	s_waitcnt vmcnt(0)
	v_mov_b32_e32 v6, 0
	v_mov_b32_e32 v0, v10
.LBB23_1561:                            ; =>This Inner Loop Header: Depth=1
	s_load_dwordx4 s[16:19], s[6:7], 0x1c
	s_load_dwordx2 s[10:11], s[6:7], 0x2c
	s_load_dwordx2 s[24:25], s[6:7], 0xec
	s_load_dwordx4 s[20:23], s[6:7], 0xdc
	s_add_u32 s6, s6, 24
	s_waitcnt lgkmcnt(0)
	v_mul_hi_u32 v1, s17, v0
	s_addc_u32 s7, s7, 0
	s_add_i32 s9, s9, -2
	s_cmp_lg_u32 s9, 0
	v_add_u32_e32 v1, v0, v1
	v_lshrrev_b32_e32 v1, s18, v1
	v_mul_lo_u32 v2, v1, s16
	v_mul_hi_u32 v3, s10, v1
	v_sub_u32_e32 v2, v0, v2
	v_add_u32_e32 v0, v1, v3
	v_lshrrev_b32_e32 v0, s11, v0
	v_mul_lo_u32 v5, v0, s19
	v_mul_lo_u32 v3, v2, s20
	;; [unrolled: 1-line block ×4, first 2 shown]
	v_sub_u32_e32 v1, v1, v5
	v_mul_lo_u32 v5, v1, s23
	v_mul_lo_u32 v7, v1, s24
	;; [unrolled: 1-line block ×3, first 2 shown]
	v_add3_u32 v6, v3, v6, v5
	v_add3_u32 v8, v4, v8, v7
	;; [unrolled: 1-line block ×3, first 2 shown]
	s_cbranch_scc1 .LBB23_1561
; %bb.1562:
	s_bitcmp1_b32 s8, 0
	s_cselect_b64 s[8:9], -1, 0
	s_and_b64 vcc, exec, s[8:9]
	s_cbranch_vccnz .LBB23_1566
; %bb.1563:
	s_load_dwordx2 s[8:9], s[6:7], 0x1c
	s_load_dword s16, s[6:7], 0x24
	s_load_dwordx2 s[10:11], s[6:7], 0xdc
	s_waitcnt lgkmcnt(0)
	v_mul_hi_u32 v1, s9, v0
	v_add_u32_e32 v1, v0, v1
	v_lshrrev_b32_e32 v1, s16, v1
	v_mul_lo_u32 v1, v1, s8
	s_load_dword s8, s[6:7], 0xe4
	v_sub_u32_e32 v0, v0, v1
	v_mad_u64_u32 v[6:7], s[6:7], v0, s10, v[6:7]
	v_mad_u64_u32 v[8:9], s[6:7], v0, s11, v[8:9]
	s_waitcnt lgkmcnt(0)
	v_mad_u64_u32 v[11:12], s[6:7], v0, s8, v[11:12]
	s_cbranch_execz .LBB23_1567
	s_branch .LBB23_1569
.LBB23_1564:
                                        ; implicit-def: $vgpr6
                                        ; implicit-def: $vgpr8
                                        ; implicit-def: $vgpr11
	s_branch .LBB23_1567
.LBB23_1565:
	s_waitcnt vmcnt(0)
	v_mov_b32_e32 v6, 0
	v_mov_b32_e32 v8, 0
	;; [unrolled: 1-line block ×3, first 2 shown]
.LBB23_1566:
	s_cbranch_execnz .LBB23_1569
.LBB23_1567:
	s_load_dwordx4 s[8:11], s[2:3], 0x4
	s_load_dwordx4 s[16:19], s[2:3], 0xc4
	s_cmp_lt_u32 s33, 2
	s_waitcnt lgkmcnt(0)
	v_mul_hi_u32 v0, s9, v10
	v_add_u32_e32 v0, v10, v0
	v_lshrrev_b32_e32 v0, s10, v0
	s_waitcnt vmcnt(0)
	v_mul_lo_u32 v1, v0, s8
	v_sub_u32_e32 v1, v10, v1
	v_mul_lo_u32 v6, v1, s16
	v_mul_lo_u32 v8, v1, s17
	;; [unrolled: 1-line block ×3, first 2 shown]
	s_cbranch_scc1 .LBB23_1569
; %bb.1568:
	s_load_dwordx4 s[8:11], s[2:3], 0x10
	s_load_dwordx4 s[16:19], s[2:3], 0xd0
	s_waitcnt lgkmcnt(0)
	v_mul_hi_u32 v1, s9, v0
	v_add_u32_e32 v1, v0, v1
	v_lshrrev_b32_e32 v1, s10, v1
	v_mul_lo_u32 v1, v1, s8
	v_sub_u32_e32 v0, v0, v1
	v_mad_u64_u32 v[6:7], s[6:7], v0, s16, v[6:7]
	v_mad_u64_u32 v[8:9], s[6:7], v0, s17, v[8:9]
	;; [unrolled: 1-line block ×3, first 2 shown]
.LBB23_1569:
	s_and_b64 vcc, exec, s[0:1]
	v_add_u32_e32 v0, 0x80, v10
	s_cbranch_vccnz .LBB23_1575
; %bb.1570:
	s_cmp_lg_u32 s33, 0
	s_cbranch_scc0 .LBB23_1576
; %bb.1571:
	s_min_u32 s8, s72, 15
	s_add_i32 s6, s8, 1
	s_and_b32 s9, s6, 30
	s_add_u32 s6, s2, 0xffffffe8
	s_addc_u32 s7, s3, -1
	v_mov_b32_e32 v15, 0
	v_mov_b32_e32 v12, 0
	s_waitcnt vmcnt(0)
	v_mov_b32_e32 v4, 0
	v_mov_b32_e32 v1, v0
.LBB23_1572:                            ; =>This Inner Loop Header: Depth=1
	s_load_dwordx4 s[16:19], s[6:7], 0x1c
	s_load_dwordx2 s[10:11], s[6:7], 0x2c
	s_load_dwordx2 s[24:25], s[6:7], 0xec
	s_load_dwordx4 s[20:23], s[6:7], 0xdc
	s_add_u32 s6, s6, 24
	s_waitcnt lgkmcnt(0)
	v_mul_hi_u32 v2, s17, v1
	s_addc_u32 s7, s7, 0
	s_add_i32 s9, s9, -2
	s_cmp_lg_u32 s9, 0
	v_add_u32_e32 v2, v1, v2
	v_lshrrev_b32_e32 v2, s18, v2
	v_mul_lo_u32 v3, v2, s16
	v_mul_hi_u32 v5, s10, v2
	v_sub_u32_e32 v3, v1, v3
	v_add_u32_e32 v1, v2, v5
	v_lshrrev_b32_e32 v1, s11, v1
	v_mul_lo_u32 v9, v1, s19
	v_mul_lo_u32 v5, v3, s20
	;; [unrolled: 1-line block ×4, first 2 shown]
	v_sub_u32_e32 v2, v2, v9
	v_mul_lo_u32 v9, v2, s23
	v_mul_lo_u32 v13, v2, s24
	;; [unrolled: 1-line block ×3, first 2 shown]
	v_add3_u32 v4, v5, v4, v9
	v_add3_u32 v12, v7, v12, v13
	;; [unrolled: 1-line block ×3, first 2 shown]
	s_cbranch_scc1 .LBB23_1572
; %bb.1573:
	s_bitcmp1_b32 s8, 0
	s_cselect_b64 s[8:9], -1, 0
	s_and_b64 vcc, exec, s[8:9]
	s_cbranch_vccnz .LBB23_1577
; %bb.1574:
	s_load_dwordx2 s[8:9], s[6:7], 0x1c
	s_load_dword s16, s[6:7], 0x24
	s_load_dwordx2 s[10:11], s[6:7], 0xdc
	s_waitcnt lgkmcnt(0)
	v_mul_hi_u32 v2, s9, v1
	v_add_u32_e32 v2, v1, v2
	v_lshrrev_b32_e32 v2, s16, v2
	v_mul_lo_u32 v2, v2, s8
	s_load_dword s8, s[6:7], 0xe4
	v_sub_u32_e32 v1, v1, v2
	v_mad_u64_u32 v[4:5], s[6:7], v1, s10, v[4:5]
	v_mad_u64_u32 v[12:13], s[6:7], v1, s11, v[12:13]
	s_waitcnt lgkmcnt(0)
	v_mad_u64_u32 v[15:16], s[6:7], v1, s8, v[15:16]
	s_cbranch_execz .LBB23_1578
	s_branch .LBB23_1580
.LBB23_1575:
                                        ; implicit-def: $vgpr4
                                        ; implicit-def: $vgpr12
                                        ; implicit-def: $vgpr15
	s_branch .LBB23_1578
.LBB23_1576:
	s_waitcnt vmcnt(0)
	v_mov_b32_e32 v4, 0
	v_mov_b32_e32 v12, 0
	;; [unrolled: 1-line block ×3, first 2 shown]
.LBB23_1577:
	s_cbranch_execnz .LBB23_1580
.LBB23_1578:
	s_load_dwordx4 s[8:11], s[2:3], 0x4
	s_load_dwordx4 s[16:19], s[2:3], 0xc4
	s_cmp_lt_u32 s33, 2
	s_waitcnt vmcnt(0) lgkmcnt(0)
	v_mul_hi_u32 v1, s9, v0
	v_add_u32_e32 v1, v0, v1
	v_lshrrev_b32_e32 v1, s10, v1
	v_mul_lo_u32 v2, v1, s8
	v_sub_u32_e32 v0, v0, v2
	v_mul_lo_u32 v4, v0, s16
	v_mul_lo_u32 v12, v0, s17
	;; [unrolled: 1-line block ×3, first 2 shown]
	s_cbranch_scc1 .LBB23_1580
; %bb.1579:
	s_load_dwordx4 s[8:11], s[2:3], 0x10
	s_load_dwordx4 s[16:19], s[2:3], 0xd0
	s_waitcnt lgkmcnt(0)
	v_mul_hi_u32 v0, s9, v1
	v_add_u32_e32 v0, v1, v0
	v_lshrrev_b32_e32 v0, s10, v0
	v_mul_lo_u32 v0, v0, s8
	v_sub_u32_e32 v0, v1, v0
	v_mad_u64_u32 v[4:5], s[6:7], v0, s16, v[4:5]
	v_mad_u64_u32 v[12:13], s[6:7], v0, s17, v[12:13]
	;; [unrolled: 1-line block ×3, first 2 shown]
.LBB23_1580:
	s_and_b64 vcc, exec, s[0:1]
	v_add_u32_e32 v0, 0x100, v10
	s_cbranch_vccnz .LBB23_1586
; %bb.1581:
	s_cmp_lg_u32 s33, 0
	s_cbranch_scc0 .LBB23_1587
; %bb.1582:
	s_min_u32 s8, s72, 15
	s_add_i32 s6, s8, 1
	s_and_b32 s9, s6, 30
	s_add_u32 s6, s2, 0xffffffe8
	s_addc_u32 s7, s3, -1
	v_mov_b32_e32 v16, 0
	v_mov_b32_e32 v18, 0
	s_waitcnt vmcnt(0)
	v_mov_b32_e32 v2, 0
	v_mov_b32_e32 v1, v0
.LBB23_1583:                            ; =>This Inner Loop Header: Depth=1
	s_load_dwordx4 s[16:19], s[6:7], 0x1c
	s_load_dwordx2 s[10:11], s[6:7], 0x2c
	s_load_dwordx2 s[24:25], s[6:7], 0xec
	s_load_dwordx4 s[20:23], s[6:7], 0xdc
	s_add_u32 s6, s6, 24
	s_waitcnt lgkmcnt(0)
	v_mul_hi_u32 v3, s17, v1
	s_addc_u32 s7, s7, 0
	s_add_i32 s9, s9, -2
	s_cmp_lg_u32 s9, 0
	v_add_u32_e32 v3, v1, v3
	v_lshrrev_b32_e32 v3, s18, v3
	v_mul_lo_u32 v5, v3, s16
	v_mul_hi_u32 v7, s10, v3
	v_sub_u32_e32 v5, v1, v5
	v_add_u32_e32 v1, v3, v7
	v_lshrrev_b32_e32 v1, s11, v1
	v_mul_lo_u32 v10, v1, s19
	v_mul_lo_u32 v7, v5, s20
	;; [unrolled: 1-line block ×4, first 2 shown]
	v_sub_u32_e32 v3, v3, v10
	v_mul_lo_u32 v10, v3, s23
	v_mul_lo_u32 v13, v3, s24
	v_mul_lo_u32 v3, v3, s25
	v_add3_u32 v2, v7, v2, v10
	v_add3_u32 v18, v9, v18, v13
	;; [unrolled: 1-line block ×3, first 2 shown]
	s_cbranch_scc1 .LBB23_1583
; %bb.1584:
	s_bitcmp1_b32 s8, 0
	s_cselect_b64 s[8:9], -1, 0
	s_and_b64 vcc, exec, s[8:9]
	s_cbranch_vccnz .LBB23_1588
; %bb.1585:
	s_load_dwordx2 s[8:9], s[6:7], 0x1c
	s_load_dword s16, s[6:7], 0x24
	s_load_dwordx2 s[10:11], s[6:7], 0xdc
	s_waitcnt lgkmcnt(0)
	v_mul_hi_u32 v3, s9, v1
	v_add_u32_e32 v3, v1, v3
	v_lshrrev_b32_e32 v3, s16, v3
	v_mul_lo_u32 v3, v3, s8
	s_load_dword s8, s[6:7], 0xe4
	v_sub_u32_e32 v1, v1, v3
	v_mad_u64_u32 v[2:3], s[6:7], v1, s10, v[2:3]
	v_mad_u64_u32 v[18:19], s[6:7], v1, s11, v[18:19]
	s_waitcnt lgkmcnt(0)
	v_mad_u64_u32 v[16:17], s[6:7], v1, s8, v[16:17]
	s_cbranch_execz .LBB23_1589
	s_branch .LBB23_1591
.LBB23_1586:
                                        ; implicit-def: $vgpr2
                                        ; implicit-def: $vgpr18
                                        ; implicit-def: $vgpr16
	s_branch .LBB23_1589
.LBB23_1587:
	s_waitcnt vmcnt(0)
	v_mov_b32_e32 v2, 0
	v_mov_b32_e32 v18, 0
	;; [unrolled: 1-line block ×3, first 2 shown]
.LBB23_1588:
	s_cbranch_execnz .LBB23_1591
.LBB23_1589:
	s_load_dwordx4 s[8:11], s[2:3], 0x4
	s_load_dwordx4 s[16:19], s[2:3], 0xc4
	s_cmp_lt_u32 s33, 2
	s_waitcnt vmcnt(0) lgkmcnt(0)
	v_mul_hi_u32 v1, s9, v0
	v_add_u32_e32 v1, v0, v1
	v_lshrrev_b32_e32 v1, s10, v1
	v_mul_lo_u32 v2, v1, s8
	v_sub_u32_e32 v0, v0, v2
	v_mul_lo_u32 v2, v0, s16
	v_mul_lo_u32 v18, v0, s17
	;; [unrolled: 1-line block ×3, first 2 shown]
	s_cbranch_scc1 .LBB23_1591
; %bb.1590:
	s_load_dwordx4 s[8:11], s[2:3], 0x10
	s_load_dwordx4 s[16:19], s[2:3], 0xd0
	s_waitcnt lgkmcnt(0)
	v_mul_hi_u32 v0, s9, v1
	v_add_u32_e32 v0, v1, v0
	v_lshrrev_b32_e32 v0, s10, v0
	v_mul_lo_u32 v0, v0, s8
	v_sub_u32_e32 v0, v1, v0
	v_mad_u64_u32 v[2:3], s[6:7], v0, s16, v[2:3]
	v_mad_u64_u32 v[18:19], s[6:7], v0, s17, v[18:19]
	;; [unrolled: 1-line block ×3, first 2 shown]
.LBB23_1591:
	s_and_b64 vcc, exec, s[0:1]
	s_cbranch_vccnz .LBB23_1597
; %bb.1592:
	s_cmp_lg_u32 s33, 0
	s_cbranch_scc0 .LBB23_1598
; %bb.1593:
	s_min_u32 s6, s72, 15
	s_add_i32 s0, s6, 1
	s_and_b32 s7, s0, 30
	s_add_u32 s0, s2, 0xffffffe8
	s_addc_u32 s1, s3, -1
	v_mov_b32_e32 v9, 0
	v_mov_b32_e32 v13, 0
	;; [unrolled: 1-line block ×3, first 2 shown]
	s_waitcnt vmcnt(0)
	v_mov_b32_e32 v1, v20
.LBB23_1594:                            ; =>This Inner Loop Header: Depth=1
	s_load_dwordx4 s[8:11], s[0:1], 0x1c
	s_load_dwordx2 s[20:21], s[0:1], 0x2c
	s_load_dwordx2 s[22:23], s[0:1], 0xec
	s_load_dwordx4 s[16:19], s[0:1], 0xdc
	s_add_u32 s0, s0, 24
	s_waitcnt lgkmcnt(0)
	v_mul_hi_u32 v3, s9, v1
	s_addc_u32 s1, s1, 0
	s_add_i32 s7, s7, -2
	s_cmp_lg_u32 s7, 0
	v_add_u32_e32 v3, v1, v3
	v_lshrrev_b32_e32 v3, s10, v3
	v_mul_lo_u32 v5, v3, s8
	v_mul_hi_u32 v7, s20, v3
	v_sub_u32_e32 v5, v1, v5
	v_add_u32_e32 v1, v3, v7
	v_lshrrev_b32_e32 v1, s21, v1
	v_mul_lo_u32 v14, v1, s11
	v_mul_lo_u32 v7, v5, s16
	;; [unrolled: 1-line block ×4, first 2 shown]
	v_sub_u32_e32 v3, v3, v14
	v_mul_lo_u32 v14, v3, s19
	v_mul_lo_u32 v17, v3, s22
	;; [unrolled: 1-line block ×3, first 2 shown]
	v_add3_u32 v0, v7, v0, v14
	v_add3_u32 v13, v10, v13, v17
	;; [unrolled: 1-line block ×3, first 2 shown]
	s_cbranch_scc1 .LBB23_1594
; %bb.1595:
	s_bitcmp1_b32 s6, 0
	s_cselect_b64 s[6:7], -1, 0
	s_and_b64 vcc, exec, s[6:7]
	s_cbranch_vccnz .LBB23_1599
; %bb.1596:
	s_load_dwordx2 s[6:7], s[0:1], 0x1c
	s_load_dword s10, s[0:1], 0x24
	s_load_dwordx2 s[8:9], s[0:1], 0xdc
	s_waitcnt lgkmcnt(0)
	v_mul_hi_u32 v3, s7, v1
	v_add_u32_e32 v3, v1, v3
	v_lshrrev_b32_e32 v3, s10, v3
	v_mul_lo_u32 v3, v3, s6
	s_load_dword s6, s[0:1], 0xe4
	v_sub_u32_e32 v3, v1, v3
	v_mad_u64_u32 v[0:1], s[0:1], v3, s8, v[0:1]
	v_mad_u64_u32 v[13:14], s[0:1], v3, s9, v[13:14]
	s_waitcnt lgkmcnt(0)
	v_mad_u64_u32 v[9:10], s[0:1], v3, s6, v[9:10]
	s_cbranch_execz .LBB23_1600
	s_branch .LBB23_1602
.LBB23_1597:
                                        ; implicit-def: $vgpr0
                                        ; implicit-def: $vgpr13
                                        ; implicit-def: $vgpr9
	s_branch .LBB23_1600
.LBB23_1598:
	v_mov_b32_e32 v0, 0
	v_mov_b32_e32 v13, 0
	v_mov_b32_e32 v9, 0
.LBB23_1599:
	s_cbranch_execnz .LBB23_1602
.LBB23_1600:
	s_load_dwordx4 s[8:11], s[2:3], 0x4
	s_load_dwordx4 s[16:19], s[2:3], 0xc4
	s_cmp_lt_u32 s33, 2
	s_waitcnt lgkmcnt(0)
	v_mul_hi_u32 v0, s9, v20
	v_add_u32_e32 v0, v20, v0
	s_waitcnt vmcnt(0)
	v_lshrrev_b32_e32 v1, s10, v0
	v_mul_lo_u32 v0, v1, s8
	v_sub_u32_e32 v3, v20, v0
	v_mul_lo_u32 v0, v3, s16
	v_mul_lo_u32 v13, v3, s17
	v_mul_lo_u32 v9, v3, s18
	s_cbranch_scc1 .LBB23_1602
; %bb.1601:
	s_load_dwordx4 s[8:11], s[2:3], 0x10
	s_load_dwordx4 s[16:19], s[2:3], 0xd0
	s_waitcnt lgkmcnt(0)
	v_mul_hi_u32 v3, s9, v1
	v_add_u32_e32 v3, v1, v3
	v_lshrrev_b32_e32 v3, s10, v3
	v_mul_lo_u32 v3, v3, s8
	v_sub_u32_e32 v3, v1, v3
	v_mad_u64_u32 v[0:1], s[0:1], v3, s16, v[0:1]
	v_mad_u64_u32 v[13:14], s[0:1], v3, s17, v[13:14]
	;; [unrolled: 1-line block ×3, first 2 shown]
.LBB23_1602:
	s_load_dword s22, s[4:5], 0x1a8
	s_load_dwordx4 s[8:11], s[2:3], 0x188
	s_waitcnt lgkmcnt(0)
	s_lshr_b32 s23, s22, 24
	s_waitcnt vmcnt(0)
	v_mov_b32_e32 v1, s11
	v_add_co_u32_e32 v19, vcc, s10, v8
	s_cmp_lt_i32 s23, 11
	v_addc_co_u32_e32 v20, vcc, 0, v1, vcc
	s_cbranch_scc1 .LBB23_1609
; %bb.1603:
	s_and_b32 s18, 0xffff, s23
	s_cmp_gt_i32 s18, 25
	s_mov_b64 s[6:7], 0
	s_cbranch_scc0 .LBB23_1611
; %bb.1604:
	s_cmp_gt_i32 s18, 28
	s_cbranch_scc0 .LBB23_1612
; %bb.1605:
	s_cmp_gt_i32 s18, 43
	;; [unrolled: 3-line block ×3, first 2 shown]
	s_cbranch_scc0 .LBB23_1614
; %bb.1607:
	s_cmp_eq_u32 s18, 46
	s_mov_b64 s[4:5], 0
	s_cbranch_scc0 .LBB23_1617
; %bb.1608:
	global_load_dword v1, v[19:20], off
	s_mov_b32 s0, 0x2f800000
	s_mov_b32 s1, 0xcf800000
	s_mov_b64 s[16:17], -1
	s_waitcnt vmcnt(0)
	v_lshlrev_b32_e32 v1, 16, v1
	v_trunc_f32_e32 v1, v1
	v_mul_f32_e64 v3, |v1|, s0
	v_floor_f32_e32 v3, v3
	v_fma_f32 v3, v3, s1, |v1|
	v_cvt_u32_f32_e32 v3, v3
	v_ashrrev_i32_e32 v1, 31, v1
	s_mov_b64 s[0:1], 0
	v_xor_b32_e32 v3, v3, v1
	v_sub_u32_e32 v7, v3, v1
	s_branch .LBB23_1618
.LBB23_1609:
	s_mov_b64 s[16:17], 0
                                        ; implicit-def: $vgpr7
	s_mov_b64 s[4:5], s[12:13]
	s_cbranch_execnz .LBB23_1676
.LBB23_1610:
	s_andn2_b64 vcc, exec, s[16:17]
	s_cbranch_vccz .LBB23_1721
	s_branch .LBB23_3036
.LBB23_1611:
	s_mov_b64 s[16:17], 0
	s_mov_b64 s[0:1], 0
                                        ; implicit-def: $vgpr7
	s_cbranch_execnz .LBB23_1643
	s_branch .LBB23_1672
.LBB23_1612:
	s_mov_b64 s[16:17], 0
	s_mov_b64 s[0:1], 0
                                        ; implicit-def: $vgpr7
	s_cbranch_execz .LBB23_1642
	s_branch .LBB23_1627
.LBB23_1613:
	s_mov_b64 s[16:17], 0
	s_mov_b64 s[0:1], 0
                                        ; implicit-def: $vgpr7
	s_cbranch_execnz .LBB23_1623
	s_branch .LBB23_1626
.LBB23_1614:
	s_mov_b64 s[4:5], -1
	s_mov_b64 s[16:17], 0
	s_mov_b64 s[0:1], 0
                                        ; implicit-def: $vgpr7
	s_branch .LBB23_1618
.LBB23_1615:
	s_andn2_saveexec_b64 s[16:17], s[16:17]
	s_cbranch_execz .LBB23_1466
.LBB23_1616:
	v_add_f32_e32 v0, 0x46000000, v1
	v_and_b32_e32 v0, 0xff, v0
	v_cmp_ne_u32_e32 vcc, 0, v0
	s_andn2_b64 s[14:15], s[14:15], exec
	s_and_b64 s[18:19], vcc, exec
	s_or_b64 s[14:15], s[14:15], s[18:19]
	s_or_b64 exec, exec, s[16:17]
	v_mov_b32_e32 v5, 0
	s_and_saveexec_b64 s[16:17], s[14:15]
	s_cbranch_execnz .LBB23_1467
	s_branch .LBB23_1468
.LBB23_1617:
	s_mov_b64 s[0:1], -1
                                        ; implicit-def: $vgpr7
	s_mov_b64 s[16:17], 0
.LBB23_1618:
	s_and_b64 vcc, exec, s[4:5]
	s_cbranch_vccz .LBB23_1621
; %bb.1619:
	s_cmp_eq_u32 s18, 44
	s_cbranch_scc0 .LBB23_1622
; %bb.1620:
	global_load_ubyte v1, v[19:20], off
	s_mov_b32 s0, 0x2f800000
	s_mov_b32 s1, 0xcf800000
	s_mov_b64 s[16:17], -1
	s_waitcnt vmcnt(0)
	v_lshlrev_b32_e32 v3, 23, v1
	v_trunc_f32_e32 v3, v3
	v_mul_f32_e64 v5, |v3|, s0
	v_floor_f32_e32 v5, v5
	v_fma_f32 v5, v5, s1, |v3|
	v_cvt_u32_f32_e32 v5, v5
	v_ashrrev_i32_e32 v3, 31, v3
	v_cmp_ne_u32_e32 vcc, 0, v1
	s_mov_b64 s[0:1], 0
	v_xor_b32_e32 v5, v5, v3
	v_sub_u32_e32 v3, v5, v3
	v_cndmask_b32_e32 v7, 0, v3, vcc
.LBB23_1621:
	s_branch .LBB23_1626
.LBB23_1622:
	s_mov_b64 s[0:1], -1
                                        ; implicit-def: $vgpr7
	s_branch .LBB23_1626
.LBB23_1623:
	s_cmp_eq_u32 s18, 29
	s_cbranch_scc0 .LBB23_1625
; %bb.1624:
	global_load_dwordx2 v[7:8], v[19:20], off
	s_mov_b64 s[0:1], 0
	s_mov_b64 s[16:17], -1
	s_branch .LBB23_1626
.LBB23_1625:
	s_mov_b64 s[0:1], -1
                                        ; implicit-def: $vgpr7
.LBB23_1626:
	s_branch .LBB23_1642
.LBB23_1627:
	s_cmp_lt_i32 s18, 27
	s_cbranch_scc1 .LBB23_1630
; %bb.1628:
	s_cmp_gt_i32 s18, 27
	s_cbranch_scc0 .LBB23_1631
; %bb.1629:
	global_load_dword v7, v[19:20], off
	s_mov_b64 s[4:5], 0
	s_branch .LBB23_1632
.LBB23_1630:
	s_mov_b64 s[4:5], -1
                                        ; implicit-def: $vgpr7
	s_branch .LBB23_1635
.LBB23_1631:
	s_mov_b64 s[4:5], -1
                                        ; implicit-def: $vgpr7
.LBB23_1632:
	s_andn2_b64 vcc, exec, s[4:5]
	s_cbranch_vccnz .LBB23_1634
; %bb.1633:
	global_load_ushort v7, v[19:20], off
.LBB23_1634:
	s_mov_b64 s[4:5], 0
.LBB23_1635:
	s_andn2_b64 vcc, exec, s[4:5]
	s_cbranch_vccnz .LBB23_1641
; %bb.1636:
	global_load_ubyte v1, v[19:20], off
	s_movk_i32 s4, 0x7f
	s_mov_b64 s[16:17], 0
	s_waitcnt vmcnt(0)
	v_cmp_lt_i16_e32 vcc, s4, v1
	s_and_saveexec_b64 s[4:5], vcc
	s_xor_b64 s[4:5], exec, s[4:5]
	s_cbranch_execz .LBB23_1652
; %bb.1637:
	s_movk_i32 s16, 0x80
	v_cmp_ne_u16_e32 vcc, s16, v1
	s_and_b64 s[16:17], vcc, exec
	s_andn2_saveexec_b64 s[4:5], s[4:5]
	s_cbranch_execnz .LBB23_1653
.LBB23_1638:
	s_or_b64 exec, exec, s[4:5]
	v_mov_b32_e32 v7, 0
	s_and_saveexec_b64 s[4:5], s[16:17]
	s_cbranch_execz .LBB23_1640
.LBB23_1639:
	v_lshlrev_b32_e32 v3, 24, v1
	v_and_b32_e32 v1, 0xffff, v1
	v_and_b32_e32 v5, 7, v1
	v_ffbh_u32_e32 v8, v5
	v_min_u32_e32 v8, 32, v8
	v_subrev_u32_e32 v10, 28, v8
	v_bfe_u32 v7, v1, 3, 4
	v_lshlrev_b32_e32 v1, v10, v1
	v_sub_u32_e32 v8, 29, v8
	v_and_b32_e32 v1, 7, v1
	v_cmp_eq_u32_e32 vcc, 0, v7
	v_cndmask_b32_e32 v7, v7, v8, vcc
	v_cndmask_b32_e32 v1, v5, v1, vcc
	v_mov_b32_e32 v5, 0x3b800000
	v_lshlrev_b32_e32 v1, 20, v1
	v_and_b32_e32 v3, 0x80000000, v3
	v_lshl_add_u32 v5, v7, 23, v5
	v_or3_b32 v1, v3, v5, v1
	v_trunc_f32_e32 v1, v1
	s_mov_b32 s16, 0x2f800000
	v_mul_f32_e64 v3, |v1|, s16
	v_floor_f32_e32 v3, v3
	s_mov_b32 s16, 0xcf800000
	v_fma_f32 v3, v3, s16, |v1|
	v_cvt_u32_f32_e32 v3, v3
	v_ashrrev_i32_e32 v1, 31, v1
	v_xor_b32_e32 v3, v3, v1
	v_sub_u32_e32 v7, v3, v1
.LBB23_1640:
	s_or_b64 exec, exec, s[4:5]
.LBB23_1641:
	s_mov_b64 s[16:17], -1
.LBB23_1642:
	s_branch .LBB23_1672
.LBB23_1643:
	s_cmp_gt_i32 s18, 22
	s_cbranch_scc0 .LBB23_1651
; %bb.1644:
	s_cmp_lt_i32 s18, 24
	s_cbranch_scc1 .LBB23_1654
; %bb.1645:
	s_cmp_gt_i32 s18, 24
	s_cbranch_scc0 .LBB23_1655
; %bb.1646:
	global_load_ubyte v1, v[19:20], off
	s_movk_i32 s4, 0x7f
	s_waitcnt vmcnt(0)
	v_cmp_lt_i16_e32 vcc, s4, v1
	s_and_saveexec_b64 s[4:5], vcc
	s_xor_b64 s[4:5], exec, s[4:5]
	s_cbranch_execz .LBB23_1666
; %bb.1647:
	s_movk_i32 s6, 0x80
	v_cmp_ne_u16_e32 vcc, s6, v1
	s_and_b64 s[6:7], vcc, exec
	s_andn2_saveexec_b64 s[4:5], s[4:5]
	s_cbranch_execnz .LBB23_1667
.LBB23_1648:
	s_or_b64 exec, exec, s[4:5]
	v_mov_b32_e32 v7, 0
	s_and_saveexec_b64 s[4:5], s[6:7]
	s_cbranch_execz .LBB23_1650
.LBB23_1649:
	v_lshlrev_b32_e32 v3, 24, v1
	v_and_b32_e32 v1, 0xffff, v1
	v_and_b32_e32 v5, 3, v1
	v_ffbh_u32_e32 v8, v5
	v_min_u32_e32 v8, 32, v8
	v_subrev_u32_e32 v10, 29, v8
	v_bfe_u32 v7, v1, 2, 5
	v_lshlrev_b32_e32 v1, v10, v1
	v_sub_u32_e32 v8, 30, v8
	v_and_b32_e32 v1, 3, v1
	v_cmp_eq_u32_e32 vcc, 0, v7
	v_cndmask_b32_e32 v7, v7, v8, vcc
	v_cndmask_b32_e32 v1, v5, v1, vcc
	v_mov_b32_e32 v5, 0x37800000
	v_lshlrev_b32_e32 v1, 21, v1
	v_and_b32_e32 v3, 0x80000000, v3
	v_lshl_add_u32 v5, v7, 23, v5
	v_or3_b32 v1, v3, v5, v1
	v_trunc_f32_e32 v1, v1
	s_mov_b32 s6, 0x2f800000
	v_mul_f32_e64 v3, |v1|, s6
	v_floor_f32_e32 v3, v3
	s_mov_b32 s6, 0xcf800000
	v_fma_f32 v3, v3, s6, |v1|
	v_cvt_u32_f32_e32 v3, v3
	v_ashrrev_i32_e32 v1, 31, v1
	v_xor_b32_e32 v3, v3, v1
	v_sub_u32_e32 v7, v3, v1
.LBB23_1650:
	s_or_b64 exec, exec, s[4:5]
	s_mov_b64 s[4:5], 0
	s_branch .LBB23_1656
.LBB23_1651:
                                        ; implicit-def: $vgpr7
	s_mov_b64 s[6:7], 0
	s_branch .LBB23_1662
.LBB23_1652:
	s_andn2_saveexec_b64 s[4:5], s[4:5]
	s_cbranch_execz .LBB23_1638
.LBB23_1653:
	v_cmp_ne_u16_e32 vcc, 0, v1
	s_andn2_b64 s[16:17], s[16:17], exec
	s_and_b64 s[20:21], vcc, exec
	s_or_b64 s[16:17], s[16:17], s[20:21]
	s_or_b64 exec, exec, s[4:5]
	v_mov_b32_e32 v7, 0
	s_and_saveexec_b64 s[4:5], s[16:17]
	s_cbranch_execnz .LBB23_1639
	s_branch .LBB23_1640
.LBB23_1654:
	s_mov_b64 s[4:5], -1
                                        ; implicit-def: $vgpr7
	s_branch .LBB23_1659
.LBB23_1655:
	s_mov_b64 s[4:5], -1
                                        ; implicit-def: $vgpr7
.LBB23_1656:
	s_and_b64 vcc, exec, s[4:5]
	s_cbranch_vccz .LBB23_1658
; %bb.1657:
	global_load_ubyte v1, v[19:20], off
	s_mov_b32 s4, 0x7f800000
	s_brev_b32 s5, 1
	s_mov_b32 s6, 0x2f800000
	s_waitcnt vmcnt(0)
	v_lshlrev_b32_e32 v1, 24, v1
	v_and_b32_e32 v3, 0x7f000000, v1
	v_ffbh_u32_e32 v5, v3
	v_min_u32_e32 v5, 32, v5
	v_sub_u32_e64 v5, v5, 4 clamp
	v_lshlrev_b32_e32 v8, v5, v3
	v_lshlrev_b32_e32 v5, 23, v5
	v_lshrrev_b32_e32 v8, 4, v8
	v_add_u32_e32 v7, 0x1000000, v3
	v_sub_u32_e32 v5, v8, v5
	v_ashrrev_i32_e32 v7, 8, v7
	v_add_u32_e32 v5, 0x3c000000, v5
	v_and_or_b32 v5, v7, s4, v5
	v_cmp_ne_u32_e32 vcc, 0, v3
	v_cndmask_b32_e32 v3, 0, v5, vcc
	v_and_or_b32 v1, v1, s5, v3
	v_trunc_f32_e32 v1, v1
	v_mul_f32_e64 v3, |v1|, s6
	v_floor_f32_e32 v3, v3
	s_mov_b32 s4, 0xcf800000
	v_fma_f32 v3, v3, s4, |v1|
	v_cvt_u32_f32_e32 v3, v3
	v_ashrrev_i32_e32 v1, 31, v1
	v_xor_b32_e32 v3, v3, v1
	v_sub_u32_e32 v7, v3, v1
.LBB23_1658:
	s_mov_b64 s[4:5], 0
.LBB23_1659:
	s_andn2_b64 vcc, exec, s[4:5]
	s_cbranch_vccnz .LBB23_1661
; %bb.1660:
	global_load_ubyte v1, v[19:20], off
	s_movk_i32 s4, 0x7f00
	s_brev_b32 s5, 16
	s_brev_b32 s6, 1
	s_mov_b32 s7, 0x2f800000
	s_waitcnt vmcnt(0)
	v_lshlrev_b16_e32 v3, 8, v1
	v_lshlrev_b32_e32 v1, 25, v1
	v_lshrrev_b32_e32 v5, 4, v1
	v_and_or_b32 v7, v3, s4, 0.5
	v_or_b32_e32 v5, 0x70000000, v5
	v_add_f32_e32 v7, -0.5, v7
	v_mul_f32_e32 v5, 0x7800000, v5
	v_cmp_gt_u32_e32 vcc, s5, v1
	v_bfe_i32 v3, v3, 0, 16
	v_cndmask_b32_e32 v1, v5, v7, vcc
	v_and_or_b32 v1, v3, s6, v1
	v_trunc_f32_e32 v1, v1
	v_mul_f32_e64 v3, |v1|, s7
	v_floor_f32_e32 v3, v3
	s_mov_b32 s4, 0xcf800000
	v_fma_f32 v3, v3, s4, |v1|
	v_cvt_u32_f32_e32 v3, v3
	v_ashrrev_i32_e32 v1, 31, v1
	v_xor_b32_e32 v3, v3, v1
	v_sub_u32_e32 v7, v3, v1
.LBB23_1661:
	s_mov_b64 s[16:17], -1
	s_mov_b64 s[6:7], 0
	s_cbranch_execnz .LBB23_1672
.LBB23_1662:
	s_cmp_gt_i32 s18, 14
	s_cbranch_scc0 .LBB23_1665
; %bb.1663:
	s_cmp_eq_u32 s18, 15
	s_cbranch_scc0 .LBB23_1668
; %bb.1664:
	global_load_ushort v1, v[19:20], off
	s_mov_b32 s0, 0x2f800000
	s_mov_b32 s1, 0xcf800000
	s_mov_b64 s[16:17], -1
	s_waitcnt vmcnt(0)
	v_lshlrev_b32_e32 v1, 16, v1
	v_trunc_f32_e32 v1, v1
	v_mul_f32_e64 v3, |v1|, s0
	v_floor_f32_e32 v3, v3
	v_fma_f32 v3, v3, s1, |v1|
	v_cvt_u32_f32_e32 v3, v3
	v_ashrrev_i32_e32 v1, 31, v1
	s_mov_b64 s[0:1], 0
	v_xor_b32_e32 v3, v3, v1
	v_sub_u32_e32 v7, v3, v1
	s_branch .LBB23_1669
.LBB23_1665:
	s_mov_b64 s[4:5], -1
                                        ; implicit-def: $vgpr7
	s_branch .LBB23_1670
.LBB23_1666:
	s_andn2_saveexec_b64 s[4:5], s[4:5]
	s_cbranch_execz .LBB23_1648
.LBB23_1667:
	v_cmp_ne_u16_e32 vcc, 0, v1
	s_andn2_b64 s[6:7], s[6:7], exec
	s_and_b64 s[16:17], vcc, exec
	s_or_b64 s[6:7], s[6:7], s[16:17]
	s_or_b64 exec, exec, s[4:5]
	v_mov_b32_e32 v7, 0
	s_and_saveexec_b64 s[4:5], s[6:7]
	s_cbranch_execnz .LBB23_1649
	s_branch .LBB23_1650
.LBB23_1668:
	s_mov_b64 s[0:1], -1
                                        ; implicit-def: $vgpr7
.LBB23_1669:
	s_mov_b64 s[4:5], 0
.LBB23_1670:
	s_and_b64 vcc, exec, s[4:5]
	s_cbranch_vccz .LBB23_1672
; %bb.1671:
	s_cmp_lg_u32 s18, 11
	s_mov_b64 s[6:7], -1
	s_cselect_b64 s[0:1], -1, 0
.LBB23_1672:
	s_and_b64 vcc, exec, s[0:1]
	s_mov_b64 s[4:5], s[12:13]
	s_cbranch_vccnz .LBB23_1733
; %bb.1673:
	s_andn2_b64 vcc, exec, s[6:7]
	s_cbranch_vccnz .LBB23_1675
.LBB23_1674:
	global_load_ubyte v1, v[19:20], off
	s_mov_b64 s[16:17], -1
	s_waitcnt vmcnt(0)
	v_cmp_ne_u16_e32 vcc, 0, v1
	v_cndmask_b32_e64 v7, 0, 1, vcc
.LBB23_1675:
	s_branch .LBB23_1610
.LBB23_1676:
	s_and_b32 s6, 0xffff, s23
	s_cmp_lt_i32 s6, 5
	s_cbranch_scc1 .LBB23_1681
; %bb.1677:
	s_cmp_lt_i32 s6, 8
	s_cbranch_scc1 .LBB23_1682
; %bb.1678:
	;; [unrolled: 3-line block ×3, first 2 shown]
	s_cmp_gt_i32 s6, 9
	s_cbranch_scc0 .LBB23_1684
; %bb.1680:
	global_load_dwordx2 v[7:8], v[19:20], off
	s_movk_i32 s0, 0xffe0
	s_waitcnt vmcnt(0)
	v_trunc_f64_e32 v[7:8], v[7:8]
	v_ldexp_f64 v[21:22], v[7:8], s0
	s_mov_b32 s0, 0
	s_mov_b32 s1, 0xc1f00000
	v_floor_f64_e32 v[21:22], v[21:22]
	v_fma_f64 v[7:8], v[21:22], s[0:1], v[7:8]
	s_mov_b64 s[0:1], 0
	v_cvt_u32_f64_e32 v7, v[7:8]
	s_branch .LBB23_1685
.LBB23_1681:
                                        ; implicit-def: $vgpr7
	s_branch .LBB23_1702
.LBB23_1682:
                                        ; implicit-def: $vgpr7
	s_branch .LBB23_1691
.LBB23_1683:
	s_mov_b64 s[0:1], -1
                                        ; implicit-def: $vgpr7
	s_branch .LBB23_1688
.LBB23_1684:
	s_mov_b64 s[0:1], -1
                                        ; implicit-def: $vgpr7
.LBB23_1685:
	s_andn2_b64 vcc, exec, s[0:1]
	s_cbranch_vccnz .LBB23_1687
; %bb.1686:
	global_load_dword v1, v[19:20], off
	s_mov_b32 s0, 0x2f800000
	s_waitcnt vmcnt(0)
	v_trunc_f32_e32 v1, v1
	v_mul_f32_e64 v3, |v1|, s0
	v_floor_f32_e32 v3, v3
	s_mov_b32 s0, 0xcf800000
	v_fma_f32 v3, v3, s0, |v1|
	v_cvt_u32_f32_e32 v3, v3
	v_ashrrev_i32_e32 v1, 31, v1
	v_xor_b32_e32 v3, v3, v1
	v_sub_u32_e32 v7, v3, v1
.LBB23_1687:
	s_mov_b64 s[0:1], 0
.LBB23_1688:
	s_andn2_b64 vcc, exec, s[0:1]
	s_cbranch_vccnz .LBB23_1690
; %bb.1689:
	global_load_dword v1, v[19:20], off
	s_waitcnt vmcnt(0)
	v_cvt_f32_f16_e32 v1, v1
	v_cvt_i32_f32_e32 v7, v1
.LBB23_1690:
	s_cbranch_execnz .LBB23_1701
.LBB23_1691:
	s_cmp_lt_i32 s6, 6
	s_cbranch_scc1 .LBB23_1694
; %bb.1692:
	s_cmp_gt_i32 s6, 6
	s_cbranch_scc0 .LBB23_1695
; %bb.1693:
	global_load_dwordx2 v[7:8], v[19:20], off
	s_movk_i32 s0, 0xffe0
	s_waitcnt vmcnt(0)
	v_trunc_f64_e32 v[7:8], v[7:8]
	v_ldexp_f64 v[21:22], v[7:8], s0
	s_mov_b32 s0, 0
	s_mov_b32 s1, 0xc1f00000
	v_floor_f64_e32 v[21:22], v[21:22]
	v_fma_f64 v[7:8], v[21:22], s[0:1], v[7:8]
	s_mov_b64 s[0:1], 0
	v_cvt_u32_f64_e32 v7, v[7:8]
	s_branch .LBB23_1696
.LBB23_1694:
	s_mov_b64 s[0:1], -1
                                        ; implicit-def: $vgpr7
	s_branch .LBB23_1699
.LBB23_1695:
	s_mov_b64 s[0:1], -1
                                        ; implicit-def: $vgpr7
.LBB23_1696:
	s_andn2_b64 vcc, exec, s[0:1]
	s_cbranch_vccnz .LBB23_1698
; %bb.1697:
	global_load_dword v1, v[19:20], off
	s_mov_b32 s0, 0x2f800000
	s_waitcnt vmcnt(0)
	v_trunc_f32_e32 v1, v1
	v_mul_f32_e64 v3, |v1|, s0
	v_floor_f32_e32 v3, v3
	s_mov_b32 s0, 0xcf800000
	v_fma_f32 v3, v3, s0, |v1|
	v_cvt_u32_f32_e32 v3, v3
	v_ashrrev_i32_e32 v1, 31, v1
	v_xor_b32_e32 v3, v3, v1
	v_sub_u32_e32 v7, v3, v1
.LBB23_1698:
	s_mov_b64 s[0:1], 0
.LBB23_1699:
	s_andn2_b64 vcc, exec, s[0:1]
	s_cbranch_vccnz .LBB23_1701
; %bb.1700:
	global_load_ushort v1, v[19:20], off
	s_waitcnt vmcnt(0)
	v_cvt_f32_f16_e32 v1, v1
	v_cvt_i32_f32_e32 v7, v1
.LBB23_1701:
	s_cbranch_execnz .LBB23_1720
.LBB23_1702:
	s_cmp_lt_i32 s6, 2
	s_cbranch_scc1 .LBB23_1706
; %bb.1703:
	s_cmp_lt_i32 s6, 3
	s_cbranch_scc1 .LBB23_1707
; %bb.1704:
	s_cmp_gt_i32 s6, 3
	s_cbranch_scc0 .LBB23_1708
; %bb.1705:
	global_load_dwordx2 v[7:8], v[19:20], off
	s_mov_b64 s[0:1], 0
	s_branch .LBB23_1709
.LBB23_1706:
                                        ; implicit-def: $vgpr7
	s_branch .LBB23_1715
.LBB23_1707:
	s_mov_b64 s[0:1], -1
                                        ; implicit-def: $vgpr7
	s_branch .LBB23_1712
.LBB23_1708:
	s_mov_b64 s[0:1], -1
                                        ; implicit-def: $vgpr7
.LBB23_1709:
	s_andn2_b64 vcc, exec, s[0:1]
	s_cbranch_vccnz .LBB23_1711
; %bb.1710:
	global_load_dword v7, v[19:20], off
.LBB23_1711:
	s_mov_b64 s[0:1], 0
.LBB23_1712:
	s_andn2_b64 vcc, exec, s[0:1]
	s_cbranch_vccnz .LBB23_1714
; %bb.1713:
	global_load_ushort v7, v[19:20], off
.LBB23_1714:
	s_cbranch_execnz .LBB23_1720
.LBB23_1715:
	s_cmp_gt_i32 s6, 0
	s_cbranch_scc0 .LBB23_1717
; %bb.1716:
	global_load_ubyte v7, v[19:20], off
	s_mov_b64 s[0:1], 0
	s_branch .LBB23_1718
.LBB23_1717:
	s_mov_b64 s[0:1], -1
                                        ; implicit-def: $vgpr7
.LBB23_1718:
	s_andn2_b64 vcc, exec, s[0:1]
	s_cbranch_vccnz .LBB23_1720
; %bb.1719:
	global_load_ubyte v7, v[19:20], off
.LBB23_1720:
.LBB23_1721:
	s_load_dword s6, s[2:3], 0x1a4
	s_load_dwordx2 s[0:1], s[2:3], 0x198
	s_waitcnt lgkmcnt(0)
	s_and_b32 s24, s6, 0xff
	v_mov_b32_e32 v1, s1
	v_add_co_u32_e32 v19, vcc, s0, v11
	s_cmp_lt_i32 s24, 11
	v_addc_co_u32_e32 v20, vcc, 0, v1, vcc
	s_cbranch_scc1 .LBB23_1728
; %bb.1722:
	s_and_b32 s25, 0xffff, s24
	s_cmp_gt_i32 s25, 25
	s_mov_b64 s[16:17], 0
	s_cbranch_scc0 .LBB23_1730
; %bb.1723:
	s_cmp_gt_i32 s25, 28
	s_cbranch_scc0 .LBB23_1731
; %bb.1724:
	s_cmp_gt_i32 s25, 43
	;; [unrolled: 3-line block ×3, first 2 shown]
	s_cbranch_scc0 .LBB23_1734
; %bb.1726:
	s_cmp_eq_u32 s25, 46
	s_mov_b64 s[20:21], 0
	s_cbranch_scc0 .LBB23_1737
; %bb.1727:
	global_load_dword v1, v[19:20], off
	s_mov_b32 s6, 0x2f800000
	s_mov_b32 s7, 0xcf800000
	s_mov_b64 s[18:19], -1
	s_waitcnt vmcnt(0)
	v_lshlrev_b32_e32 v1, 16, v1
	v_trunc_f32_e32 v1, v1
	v_mul_f32_e64 v3, |v1|, s6
	v_floor_f32_e32 v3, v3
	v_fma_f32 v3, v3, s7, |v1|
	v_cvt_u32_f32_e32 v3, v3
	v_ashrrev_i32_e32 v1, 31, v1
	s_mov_b64 s[6:7], 0
	v_xor_b32_e32 v3, v3, v1
	v_sub_u32_e32 v10, v3, v1
	s_branch .LBB23_1738
.LBB23_1728:
	s_mov_b64 s[18:19], 0
                                        ; implicit-def: $vgpr10
	s_cbranch_execnz .LBB23_1799
.LBB23_1729:
	s_andn2_b64 vcc, exec, s[18:19]
	s_cbranch_vccnz .LBB23_3036
	s_branch .LBB23_1846
.LBB23_1730:
	s_mov_b64 s[18:19], 0
	s_mov_b64 s[6:7], 0
                                        ; implicit-def: $vgpr10
	s_cbranch_execnz .LBB23_1765
	s_branch .LBB23_1795
.LBB23_1731:
	s_mov_b64 s[20:21], -1
	s_mov_b64 s[18:19], 0
	s_mov_b64 s[6:7], 0
                                        ; implicit-def: $vgpr10
	s_branch .LBB23_1748
.LBB23_1732:
	s_mov_b64 s[20:21], -1
	s_mov_b64 s[18:19], 0
	s_mov_b64 s[6:7], 0
                                        ; implicit-def: $vgpr10
	s_branch .LBB23_1743
.LBB23_1733:
	s_or_b64 s[4:5], s[12:13], exec
	s_trap 2
	s_cbranch_execz .LBB23_1674
	s_branch .LBB23_1675
.LBB23_1734:
	s_mov_b64 s[20:21], -1
	s_mov_b64 s[18:19], 0
	s_mov_b64 s[6:7], 0
                                        ; implicit-def: $vgpr10
	s_branch .LBB23_1738
.LBB23_1735:
	s_andn2_saveexec_b64 s[18:19], s[18:19]
	s_cbranch_execz .LBB23_1478
.LBB23_1736:
	v_add_f32_e32 v0, 0x42800000, v1
	v_and_b32_e32 v0, 0xff, v0
	v_cmp_ne_u32_e32 vcc, 0, v0
	s_andn2_b64 s[16:17], s[16:17], exec
	s_and_b64 s[28:29], vcc, exec
	s_or_b64 s[16:17], s[16:17], s[28:29]
	s_or_b64 exec, exec, s[18:19]
	v_mov_b32_e32 v5, 0
	s_and_saveexec_b64 s[18:19], s[16:17]
	s_cbranch_execnz .LBB23_1479
	s_branch .LBB23_1480
.LBB23_1737:
	s_mov_b64 s[6:7], -1
                                        ; implicit-def: $vgpr10
	s_mov_b64 s[18:19], 0
.LBB23_1738:
	s_and_b64 vcc, exec, s[20:21]
	s_cbranch_vccz .LBB23_1742
; %bb.1739:
	s_cmp_eq_u32 s25, 44
	s_cbranch_scc0 .LBB23_1741
; %bb.1740:
	global_load_ubyte v1, v[19:20], off
	s_mov_b32 s6, 0x2f800000
	s_mov_b32 s7, 0xcf800000
	s_mov_b64 s[18:19], -1
	s_waitcnt vmcnt(0)
	v_lshlrev_b32_e32 v3, 23, v1
	v_trunc_f32_e32 v3, v3
	v_mul_f32_e64 v5, |v3|, s6
	v_floor_f32_e32 v5, v5
	v_fma_f32 v5, v5, s7, |v3|
	v_cvt_u32_f32_e32 v5, v5
	v_ashrrev_i32_e32 v3, 31, v3
	v_cmp_ne_u32_e32 vcc, 0, v1
	s_mov_b64 s[6:7], 0
	v_xor_b32_e32 v5, v5, v3
	v_sub_u32_e32 v3, v5, v3
	v_cndmask_b32_e32 v10, 0, v3, vcc
	s_branch .LBB23_1742
.LBB23_1741:
	s_mov_b64 s[6:7], -1
                                        ; implicit-def: $vgpr10
.LBB23_1742:
	s_mov_b64 s[20:21], 0
.LBB23_1743:
	s_and_b64 vcc, exec, s[20:21]
	s_cbranch_vccz .LBB23_1747
; %bb.1744:
	s_cmp_eq_u32 s25, 29
	s_cbranch_scc0 .LBB23_1746
; %bb.1745:
	global_load_dwordx2 v[10:11], v[19:20], off
	s_mov_b64 s[6:7], 0
	s_mov_b64 s[18:19], -1
	s_branch .LBB23_1747
.LBB23_1746:
	s_mov_b64 s[6:7], -1
                                        ; implicit-def: $vgpr10
.LBB23_1747:
	s_mov_b64 s[20:21], 0
.LBB23_1748:
	s_and_b64 vcc, exec, s[20:21]
	s_cbranch_vccz .LBB23_1764
; %bb.1749:
	s_cmp_lt_i32 s25, 27
	s_cbranch_scc1 .LBB23_1752
; %bb.1750:
	s_cmp_gt_i32 s25, 27
	s_cbranch_scc0 .LBB23_1753
; %bb.1751:
	global_load_dword v10, v[19:20], off
	s_mov_b64 s[18:19], 0
	s_branch .LBB23_1754
.LBB23_1752:
	s_mov_b64 s[18:19], -1
                                        ; implicit-def: $vgpr10
	s_branch .LBB23_1757
.LBB23_1753:
	s_mov_b64 s[18:19], -1
                                        ; implicit-def: $vgpr10
.LBB23_1754:
	s_andn2_b64 vcc, exec, s[18:19]
	s_cbranch_vccnz .LBB23_1756
; %bb.1755:
	global_load_ushort v10, v[19:20], off
.LBB23_1756:
	s_mov_b64 s[18:19], 0
.LBB23_1757:
	s_andn2_b64 vcc, exec, s[18:19]
	s_cbranch_vccnz .LBB23_1763
; %bb.1758:
	global_load_ubyte v1, v[19:20], off
	s_movk_i32 s18, 0x7f
	s_mov_b64 s[20:21], 0
	s_waitcnt vmcnt(0)
	v_cmp_lt_i16_e32 vcc, s18, v1
	s_and_saveexec_b64 s[18:19], vcc
	s_xor_b64 s[18:19], exec, s[18:19]
	s_cbranch_execz .LBB23_1774
; %bb.1759:
	s_movk_i32 s20, 0x80
	v_cmp_ne_u16_e32 vcc, s20, v1
	s_and_b64 s[20:21], vcc, exec
	s_andn2_saveexec_b64 s[18:19], s[18:19]
	s_cbranch_execnz .LBB23_1775
.LBB23_1760:
	s_or_b64 exec, exec, s[18:19]
	v_mov_b32_e32 v10, 0
	s_and_saveexec_b64 s[18:19], s[20:21]
	s_cbranch_execz .LBB23_1762
.LBB23_1761:
	v_lshlrev_b32_e32 v3, 24, v1
	v_and_b32_e32 v1, 0xffff, v1
	v_and_b32_e32 v5, 7, v1
	v_ffbh_u32_e32 v10, v5
	v_min_u32_e32 v10, 32, v10
	v_subrev_u32_e32 v11, 28, v10
	v_bfe_u32 v8, v1, 3, 4
	v_lshlrev_b32_e32 v1, v11, v1
	v_sub_u32_e32 v10, 29, v10
	v_and_b32_e32 v1, 7, v1
	v_cmp_eq_u32_e32 vcc, 0, v8
	v_cndmask_b32_e32 v8, v8, v10, vcc
	v_cndmask_b32_e32 v1, v5, v1, vcc
	v_mov_b32_e32 v5, 0x3b800000
	v_lshlrev_b32_e32 v1, 20, v1
	v_and_b32_e32 v3, 0x80000000, v3
	v_lshl_add_u32 v5, v8, 23, v5
	v_or3_b32 v1, v3, v5, v1
	v_trunc_f32_e32 v1, v1
	s_mov_b32 s20, 0x2f800000
	v_mul_f32_e64 v3, |v1|, s20
	v_floor_f32_e32 v3, v3
	s_mov_b32 s20, 0xcf800000
	v_fma_f32 v3, v3, s20, |v1|
	v_cvt_u32_f32_e32 v3, v3
	v_ashrrev_i32_e32 v1, 31, v1
	v_xor_b32_e32 v3, v3, v1
	v_sub_u32_e32 v10, v3, v1
.LBB23_1762:
	s_or_b64 exec, exec, s[18:19]
.LBB23_1763:
	s_mov_b64 s[18:19], -1
.LBB23_1764:
	s_branch .LBB23_1795
.LBB23_1765:
	s_cmp_gt_i32 s25, 22
	s_cbranch_scc0 .LBB23_1773
; %bb.1766:
	s_cmp_lt_i32 s25, 24
	s_cbranch_scc1 .LBB23_1776
; %bb.1767:
	s_cmp_gt_i32 s25, 24
	s_cbranch_scc0 .LBB23_1777
; %bb.1768:
	global_load_ubyte v1, v[19:20], off
	s_movk_i32 s16, 0x7f
	s_mov_b64 s[18:19], 0
	s_waitcnt vmcnt(0)
	v_cmp_lt_i16_e32 vcc, s16, v1
	s_and_saveexec_b64 s[16:17], vcc
	s_xor_b64 s[16:17], exec, s[16:17]
	s_cbranch_execz .LBB23_1789
; %bb.1769:
	s_movk_i32 s18, 0x80
	v_cmp_ne_u16_e32 vcc, s18, v1
	s_and_b64 s[18:19], vcc, exec
	s_andn2_saveexec_b64 s[16:17], s[16:17]
	s_cbranch_execnz .LBB23_1790
.LBB23_1770:
	s_or_b64 exec, exec, s[16:17]
	v_mov_b32_e32 v10, 0
	s_and_saveexec_b64 s[16:17], s[18:19]
	s_cbranch_execz .LBB23_1772
.LBB23_1771:
	v_lshlrev_b32_e32 v3, 24, v1
	v_and_b32_e32 v1, 0xffff, v1
	v_and_b32_e32 v5, 3, v1
	v_ffbh_u32_e32 v10, v5
	v_min_u32_e32 v10, 32, v10
	v_subrev_u32_e32 v11, 29, v10
	v_bfe_u32 v8, v1, 2, 5
	v_lshlrev_b32_e32 v1, v11, v1
	v_sub_u32_e32 v10, 30, v10
	v_and_b32_e32 v1, 3, v1
	v_cmp_eq_u32_e32 vcc, 0, v8
	v_cndmask_b32_e32 v8, v8, v10, vcc
	v_cndmask_b32_e32 v1, v5, v1, vcc
	v_mov_b32_e32 v5, 0x37800000
	v_lshlrev_b32_e32 v1, 21, v1
	v_and_b32_e32 v3, 0x80000000, v3
	v_lshl_add_u32 v5, v8, 23, v5
	v_or3_b32 v1, v3, v5, v1
	v_trunc_f32_e32 v1, v1
	s_mov_b32 s18, 0x2f800000
	v_mul_f32_e64 v3, |v1|, s18
	v_floor_f32_e32 v3, v3
	s_mov_b32 s18, 0xcf800000
	v_fma_f32 v3, v3, s18, |v1|
	v_cvt_u32_f32_e32 v3, v3
	v_ashrrev_i32_e32 v1, 31, v1
	v_xor_b32_e32 v3, v3, v1
	v_sub_u32_e32 v10, v3, v1
.LBB23_1772:
	s_or_b64 exec, exec, s[16:17]
	s_mov_b64 s[16:17], 0
	s_branch .LBB23_1778
.LBB23_1773:
	s_mov_b64 s[16:17], -1
                                        ; implicit-def: $vgpr10
	s_branch .LBB23_1784
.LBB23_1774:
	s_andn2_saveexec_b64 s[18:19], s[18:19]
	s_cbranch_execz .LBB23_1760
.LBB23_1775:
	v_cmp_ne_u16_e32 vcc, 0, v1
	s_andn2_b64 s[20:21], s[20:21], exec
	s_and_b64 s[26:27], vcc, exec
	s_or_b64 s[20:21], s[20:21], s[26:27]
	s_or_b64 exec, exec, s[18:19]
	v_mov_b32_e32 v10, 0
	s_and_saveexec_b64 s[18:19], s[20:21]
	s_cbranch_execnz .LBB23_1761
	s_branch .LBB23_1762
.LBB23_1776:
	s_mov_b64 s[16:17], -1
                                        ; implicit-def: $vgpr10
	s_branch .LBB23_1781
.LBB23_1777:
	s_mov_b64 s[16:17], -1
                                        ; implicit-def: $vgpr10
.LBB23_1778:
	s_and_b64 vcc, exec, s[16:17]
	s_cbranch_vccz .LBB23_1780
; %bb.1779:
	global_load_ubyte v1, v[19:20], off
	s_mov_b32 s16, 0x7f800000
	s_brev_b32 s17, 1
	s_mov_b32 s18, 0x2f800000
	s_waitcnt vmcnt(0)
	v_lshlrev_b32_e32 v1, 24, v1
	v_and_b32_e32 v3, 0x7f000000, v1
	v_ffbh_u32_e32 v5, v3
	v_min_u32_e32 v5, 32, v5
	v_sub_u32_e64 v5, v5, 4 clamp
	v_lshlrev_b32_e32 v10, v5, v3
	v_lshlrev_b32_e32 v5, 23, v5
	v_lshrrev_b32_e32 v10, 4, v10
	v_add_u32_e32 v8, 0x1000000, v3
	v_sub_u32_e32 v5, v10, v5
	v_ashrrev_i32_e32 v8, 8, v8
	v_add_u32_e32 v5, 0x3c000000, v5
	v_and_or_b32 v5, v8, s16, v5
	v_cmp_ne_u32_e32 vcc, 0, v3
	v_cndmask_b32_e32 v3, 0, v5, vcc
	v_and_or_b32 v1, v1, s17, v3
	v_trunc_f32_e32 v1, v1
	v_mul_f32_e64 v3, |v1|, s18
	v_floor_f32_e32 v3, v3
	s_mov_b32 s16, 0xcf800000
	v_fma_f32 v3, v3, s16, |v1|
	v_cvt_u32_f32_e32 v3, v3
	v_ashrrev_i32_e32 v1, 31, v1
	v_xor_b32_e32 v3, v3, v1
	v_sub_u32_e32 v10, v3, v1
.LBB23_1780:
	s_mov_b64 s[16:17], 0
.LBB23_1781:
	s_andn2_b64 vcc, exec, s[16:17]
	s_cbranch_vccnz .LBB23_1783
; %bb.1782:
	global_load_ubyte v1, v[19:20], off
	s_movk_i32 s16, 0x7f00
	s_brev_b32 s17, 16
	s_brev_b32 s18, 1
	s_mov_b32 s19, 0x2f800000
	s_waitcnt vmcnt(0)
	v_lshlrev_b16_e32 v3, 8, v1
	v_lshlrev_b32_e32 v1, 25, v1
	v_lshrrev_b32_e32 v5, 4, v1
	v_and_or_b32 v8, v3, s16, 0.5
	v_or_b32_e32 v5, 0x70000000, v5
	v_add_f32_e32 v8, -0.5, v8
	v_mul_f32_e32 v5, 0x7800000, v5
	v_cmp_gt_u32_e32 vcc, s17, v1
	v_bfe_i32 v3, v3, 0, 16
	v_cndmask_b32_e32 v1, v5, v8, vcc
	v_and_or_b32 v1, v3, s18, v1
	v_trunc_f32_e32 v1, v1
	v_mul_f32_e64 v3, |v1|, s19
	v_floor_f32_e32 v3, v3
	s_mov_b32 s16, 0xcf800000
	v_fma_f32 v3, v3, s16, |v1|
	v_cvt_u32_f32_e32 v3, v3
	v_ashrrev_i32_e32 v1, 31, v1
	v_xor_b32_e32 v3, v3, v1
	v_sub_u32_e32 v10, v3, v1
.LBB23_1783:
	s_mov_b64 s[16:17], 0
	s_mov_b64 s[18:19], -1
.LBB23_1784:
	s_andn2_b64 vcc, exec, s[16:17]
	s_mov_b64 s[16:17], 0
	s_cbranch_vccnz .LBB23_1795
; %bb.1785:
	s_cmp_gt_i32 s25, 14
	s_cbranch_scc0 .LBB23_1788
; %bb.1786:
	s_cmp_eq_u32 s25, 15
	s_cbranch_scc0 .LBB23_1791
; %bb.1787:
	global_load_ushort v1, v[19:20], off
	s_mov_b32 s6, 0x2f800000
	s_mov_b32 s7, 0xcf800000
	s_mov_b64 s[18:19], -1
	s_waitcnt vmcnt(0)
	v_lshlrev_b32_e32 v1, 16, v1
	v_trunc_f32_e32 v1, v1
	v_mul_f32_e64 v3, |v1|, s6
	v_floor_f32_e32 v3, v3
	v_fma_f32 v3, v3, s7, |v1|
	v_cvt_u32_f32_e32 v3, v3
	v_ashrrev_i32_e32 v1, 31, v1
	s_mov_b64 s[6:7], 0
	v_xor_b32_e32 v3, v3, v1
	v_sub_u32_e32 v10, v3, v1
	s_branch .LBB23_1792
.LBB23_1788:
	s_mov_b64 s[20:21], -1
                                        ; implicit-def: $vgpr10
	s_branch .LBB23_1793
.LBB23_1789:
	s_andn2_saveexec_b64 s[16:17], s[16:17]
	s_cbranch_execz .LBB23_1770
.LBB23_1790:
	v_cmp_ne_u16_e32 vcc, 0, v1
	s_andn2_b64 s[18:19], s[18:19], exec
	s_and_b64 s[20:21], vcc, exec
	s_or_b64 s[18:19], s[18:19], s[20:21]
	s_or_b64 exec, exec, s[16:17]
	v_mov_b32_e32 v10, 0
	s_and_saveexec_b64 s[16:17], s[18:19]
	s_cbranch_execnz .LBB23_1771
	s_branch .LBB23_1772
.LBB23_1791:
	s_mov_b64 s[6:7], -1
                                        ; implicit-def: $vgpr10
.LBB23_1792:
	s_mov_b64 s[20:21], 0
.LBB23_1793:
	s_and_b64 vcc, exec, s[20:21]
	s_cbranch_vccz .LBB23_1795
; %bb.1794:
	s_cmp_lg_u32 s25, 11
	s_mov_b64 s[16:17], -1
	s_cselect_b64 s[6:7], -1, 0
.LBB23_1795:
	s_and_b64 vcc, exec, s[6:7]
	s_cbranch_vccnz .LBB23_1858
; %bb.1796:
	s_andn2_b64 vcc, exec, s[16:17]
	s_cbranch_vccnz .LBB23_1798
.LBB23_1797:
	global_load_ubyte v1, v[19:20], off
	s_mov_b64 s[18:19], -1
	s_waitcnt vmcnt(0)
	v_cmp_ne_u16_e32 vcc, 0, v1
	v_cndmask_b32_e64 v10, 0, 1, vcc
.LBB23_1798:
	s_branch .LBB23_1729
.LBB23_1799:
	s_and_b32 s16, 0xffff, s24
	s_cmp_lt_i32 s16, 5
	s_cbranch_scc1 .LBB23_1804
; %bb.1800:
	s_cmp_lt_i32 s16, 8
	s_cbranch_scc1 .LBB23_1805
; %bb.1801:
	;; [unrolled: 3-line block ×3, first 2 shown]
	s_cmp_gt_i32 s16, 9
	s_cbranch_scc0 .LBB23_1807
; %bb.1803:
	global_load_dwordx2 v[10:11], v[19:20], off
	s_movk_i32 s6, 0xffe0
	s_waitcnt vmcnt(0)
	v_trunc_f64_e32 v[10:11], v[10:11]
	v_ldexp_f64 v[21:22], v[10:11], s6
	s_mov_b32 s6, 0
	s_mov_b32 s7, 0xc1f00000
	v_floor_f64_e32 v[21:22], v[21:22]
	v_fma_f64 v[10:11], v[21:22], s[6:7], v[10:11]
	s_mov_b64 s[6:7], 0
	v_cvt_u32_f64_e32 v10, v[10:11]
	s_branch .LBB23_1808
.LBB23_1804:
                                        ; implicit-def: $vgpr10
	s_branch .LBB23_1826
.LBB23_1805:
	s_mov_b64 s[6:7], -1
                                        ; implicit-def: $vgpr10
	s_branch .LBB23_1814
.LBB23_1806:
	s_mov_b64 s[6:7], -1
                                        ; implicit-def: $vgpr10
	s_branch .LBB23_1811
.LBB23_1807:
	s_mov_b64 s[6:7], -1
                                        ; implicit-def: $vgpr10
.LBB23_1808:
	s_andn2_b64 vcc, exec, s[6:7]
	s_cbranch_vccnz .LBB23_1810
; %bb.1809:
	global_load_dword v1, v[19:20], off
	s_mov_b32 s6, 0x2f800000
	s_waitcnt vmcnt(0)
	v_trunc_f32_e32 v1, v1
	v_mul_f32_e64 v3, |v1|, s6
	v_floor_f32_e32 v3, v3
	s_mov_b32 s6, 0xcf800000
	v_fma_f32 v3, v3, s6, |v1|
	v_cvt_u32_f32_e32 v3, v3
	v_ashrrev_i32_e32 v1, 31, v1
	v_xor_b32_e32 v3, v3, v1
	v_sub_u32_e32 v10, v3, v1
.LBB23_1810:
	s_mov_b64 s[6:7], 0
.LBB23_1811:
	s_andn2_b64 vcc, exec, s[6:7]
	s_cbranch_vccnz .LBB23_1813
; %bb.1812:
	global_load_dword v1, v[19:20], off
	s_waitcnt vmcnt(0)
	v_cvt_f32_f16_e32 v1, v1
	v_cvt_i32_f32_e32 v10, v1
.LBB23_1813:
	s_mov_b64 s[6:7], 0
.LBB23_1814:
	s_andn2_b64 vcc, exec, s[6:7]
	s_cbranch_vccnz .LBB23_1825
; %bb.1815:
	s_cmp_lt_i32 s16, 6
	s_cbranch_scc1 .LBB23_1818
; %bb.1816:
	s_cmp_gt_i32 s16, 6
	s_cbranch_scc0 .LBB23_1819
; %bb.1817:
	global_load_dwordx2 v[10:11], v[19:20], off
	s_movk_i32 s6, 0xffe0
	s_waitcnt vmcnt(0)
	v_trunc_f64_e32 v[10:11], v[10:11]
	v_ldexp_f64 v[21:22], v[10:11], s6
	s_mov_b32 s6, 0
	s_mov_b32 s7, 0xc1f00000
	v_floor_f64_e32 v[21:22], v[21:22]
	v_fma_f64 v[10:11], v[21:22], s[6:7], v[10:11]
	s_mov_b64 s[6:7], 0
	v_cvt_u32_f64_e32 v10, v[10:11]
	s_branch .LBB23_1820
.LBB23_1818:
	s_mov_b64 s[6:7], -1
                                        ; implicit-def: $vgpr10
	s_branch .LBB23_1823
.LBB23_1819:
	s_mov_b64 s[6:7], -1
                                        ; implicit-def: $vgpr10
.LBB23_1820:
	s_andn2_b64 vcc, exec, s[6:7]
	s_cbranch_vccnz .LBB23_1822
; %bb.1821:
	global_load_dword v1, v[19:20], off
	s_mov_b32 s6, 0x2f800000
	s_waitcnt vmcnt(0)
	v_trunc_f32_e32 v1, v1
	v_mul_f32_e64 v3, |v1|, s6
	v_floor_f32_e32 v3, v3
	s_mov_b32 s6, 0xcf800000
	v_fma_f32 v3, v3, s6, |v1|
	v_cvt_u32_f32_e32 v3, v3
	v_ashrrev_i32_e32 v1, 31, v1
	v_xor_b32_e32 v3, v3, v1
	v_sub_u32_e32 v10, v3, v1
.LBB23_1822:
	s_mov_b64 s[6:7], 0
.LBB23_1823:
	s_andn2_b64 vcc, exec, s[6:7]
	s_cbranch_vccnz .LBB23_1825
; %bb.1824:
	global_load_ushort v1, v[19:20], off
	s_waitcnt vmcnt(0)
	v_cvt_f32_f16_e32 v1, v1
	v_cvt_i32_f32_e32 v10, v1
.LBB23_1825:
	s_cbranch_execnz .LBB23_1845
.LBB23_1826:
	s_cmp_lt_i32 s16, 2
	s_cbranch_scc1 .LBB23_1830
; %bb.1827:
	s_cmp_lt_i32 s16, 3
	s_cbranch_scc1 .LBB23_1831
; %bb.1828:
	s_cmp_gt_i32 s16, 3
	s_cbranch_scc0 .LBB23_1832
; %bb.1829:
	global_load_dwordx2 v[10:11], v[19:20], off
	s_mov_b64 s[6:7], 0
	s_branch .LBB23_1833
.LBB23_1830:
	s_mov_b64 s[6:7], -1
                                        ; implicit-def: $vgpr10
	s_branch .LBB23_1839
.LBB23_1831:
	s_mov_b64 s[6:7], -1
                                        ; implicit-def: $vgpr10
	s_branch .LBB23_1836
.LBB23_1832:
	s_mov_b64 s[6:7], -1
                                        ; implicit-def: $vgpr10
.LBB23_1833:
	s_andn2_b64 vcc, exec, s[6:7]
	s_cbranch_vccnz .LBB23_1835
; %bb.1834:
	global_load_dword v10, v[19:20], off
.LBB23_1835:
	s_mov_b64 s[6:7], 0
.LBB23_1836:
	s_andn2_b64 vcc, exec, s[6:7]
	s_cbranch_vccnz .LBB23_1838
; %bb.1837:
	global_load_ushort v10, v[19:20], off
.LBB23_1838:
	s_mov_b64 s[6:7], 0
.LBB23_1839:
	s_andn2_b64 vcc, exec, s[6:7]
	s_cbranch_vccnz .LBB23_1845
; %bb.1840:
	s_cmp_gt_i32 s16, 0
	s_cbranch_scc0 .LBB23_1842
; %bb.1841:
	global_load_ubyte v10, v[19:20], off
	s_mov_b64 s[6:7], 0
	s_branch .LBB23_1843
.LBB23_1842:
	s_mov_b64 s[6:7], -1
                                        ; implicit-def: $vgpr10
.LBB23_1843:
	s_andn2_b64 vcc, exec, s[6:7]
	s_cbranch_vccnz .LBB23_1845
; %bb.1844:
	global_load_ubyte v10, v[19:20], off
.LBB23_1845:
.LBB23_1846:
	v_mov_b32_e32 v1, s11
	s_and_b32 s23, 0xffff, s23
	v_add_co_u32_e32 v19, vcc, s10, v12
	s_cmp_lt_i32 s23, 11
	v_addc_co_u32_e32 v20, vcc, 0, v1, vcc
	s_cbranch_scc1 .LBB23_1853
; %bb.1847:
	s_cmp_gt_i32 s23, 25
	s_mov_b64 s[16:17], 0
	s_cbranch_scc0 .LBB23_1855
; %bb.1848:
	s_cmp_gt_i32 s23, 28
	s_cbranch_scc0 .LBB23_1856
; %bb.1849:
	s_cmp_gt_i32 s23, 43
	;; [unrolled: 3-line block ×3, first 2 shown]
	s_cbranch_scc0 .LBB23_1859
; %bb.1851:
	s_cmp_eq_u32 s23, 46
	s_mov_b64 s[20:21], 0
	s_cbranch_scc0 .LBB23_1860
; %bb.1852:
	global_load_dword v1, v[19:20], off
	s_mov_b32 s6, 0x2f800000
	s_mov_b32 s7, 0xcf800000
	s_mov_b64 s[18:19], -1
	s_waitcnt vmcnt(0)
	v_lshlrev_b32_e32 v1, 16, v1
	v_trunc_f32_e32 v1, v1
	v_mul_f32_e64 v3, |v1|, s6
	v_floor_f32_e32 v3, v3
	v_fma_f32 v3, v3, s7, |v1|
	v_cvt_u32_f32_e32 v3, v3
	v_ashrrev_i32_e32 v1, 31, v1
	s_mov_b64 s[6:7], 0
	v_xor_b32_e32 v3, v3, v1
	v_sub_u32_e32 v11, v3, v1
	s_branch .LBB23_1861
.LBB23_1853:
	s_mov_b64 s[18:19], 0
                                        ; implicit-def: $vgpr11
	s_cbranch_execnz .LBB23_1923
.LBB23_1854:
	s_andn2_b64 vcc, exec, s[18:19]
	s_cbranch_vccnz .LBB23_3036
	s_branch .LBB23_1971
.LBB23_1855:
	s_mov_b64 s[20:21], -1
	s_mov_b64 s[18:19], 0
	s_mov_b64 s[6:7], 0
                                        ; implicit-def: $vgpr11
	s_branch .LBB23_1888
.LBB23_1856:
	s_mov_b64 s[20:21], -1
	s_mov_b64 s[18:19], 0
	s_mov_b64 s[6:7], 0
                                        ; implicit-def: $vgpr11
	s_branch .LBB23_1871
.LBB23_1857:
	s_mov_b64 s[20:21], -1
	s_mov_b64 s[18:19], 0
	s_mov_b64 s[6:7], 0
                                        ; implicit-def: $vgpr11
	s_branch .LBB23_1866
.LBB23_1858:
	s_trap 2
	s_or_b64 s[4:5], s[4:5], exec
	s_cbranch_execz .LBB23_1797
	s_branch .LBB23_1798
.LBB23_1859:
	s_mov_b64 s[20:21], -1
	s_mov_b64 s[18:19], 0
	s_mov_b64 s[6:7], 0
                                        ; implicit-def: $vgpr11
	s_branch .LBB23_1861
.LBB23_1860:
	s_mov_b64 s[6:7], -1
                                        ; implicit-def: $vgpr11
	s_mov_b64 s[18:19], 0
.LBB23_1861:
	s_and_b64 vcc, exec, s[20:21]
	s_cbranch_vccz .LBB23_1865
; %bb.1862:
	s_cmp_eq_u32 s23, 44
	s_cbranch_scc0 .LBB23_1864
; %bb.1863:
	global_load_ubyte v1, v[19:20], off
	s_mov_b32 s6, 0x2f800000
	s_mov_b32 s7, 0xcf800000
	s_mov_b64 s[18:19], -1
	s_waitcnt vmcnt(0)
	v_lshlrev_b32_e32 v3, 23, v1
	v_trunc_f32_e32 v3, v3
	v_mul_f32_e64 v5, |v3|, s6
	v_floor_f32_e32 v5, v5
	v_fma_f32 v5, v5, s7, |v3|
	v_cvt_u32_f32_e32 v5, v5
	v_ashrrev_i32_e32 v3, 31, v3
	v_cmp_ne_u32_e32 vcc, 0, v1
	s_mov_b64 s[6:7], 0
	v_xor_b32_e32 v5, v5, v3
	v_sub_u32_e32 v3, v5, v3
	v_cndmask_b32_e32 v11, 0, v3, vcc
	s_branch .LBB23_1865
.LBB23_1864:
	s_mov_b64 s[6:7], -1
                                        ; implicit-def: $vgpr11
.LBB23_1865:
	s_mov_b64 s[20:21], 0
.LBB23_1866:
	s_and_b64 vcc, exec, s[20:21]
	s_cbranch_vccz .LBB23_1870
; %bb.1867:
	s_cmp_eq_u32 s23, 29
	s_cbranch_scc0 .LBB23_1869
; %bb.1868:
	global_load_dwordx2 v[11:12], v[19:20], off
	s_mov_b64 s[6:7], 0
	s_mov_b64 s[18:19], -1
	s_branch .LBB23_1870
.LBB23_1869:
	s_mov_b64 s[6:7], -1
                                        ; implicit-def: $vgpr11
.LBB23_1870:
	s_mov_b64 s[20:21], 0
.LBB23_1871:
	s_and_b64 vcc, exec, s[20:21]
	s_cbranch_vccz .LBB23_1887
; %bb.1872:
	s_cmp_lt_i32 s23, 27
	s_cbranch_scc1 .LBB23_1875
; %bb.1873:
	s_cmp_gt_i32 s23, 27
	s_cbranch_scc0 .LBB23_1876
; %bb.1874:
	global_load_dword v11, v[19:20], off
	s_mov_b64 s[18:19], 0
	s_branch .LBB23_1877
.LBB23_1875:
	s_mov_b64 s[18:19], -1
                                        ; implicit-def: $vgpr11
	s_branch .LBB23_1880
.LBB23_1876:
	s_mov_b64 s[18:19], -1
                                        ; implicit-def: $vgpr11
.LBB23_1877:
	s_andn2_b64 vcc, exec, s[18:19]
	s_cbranch_vccnz .LBB23_1879
; %bb.1878:
	global_load_ushort v11, v[19:20], off
.LBB23_1879:
	s_mov_b64 s[18:19], 0
.LBB23_1880:
	s_andn2_b64 vcc, exec, s[18:19]
	s_cbranch_vccnz .LBB23_1886
; %bb.1881:
	global_load_ubyte v1, v[19:20], off
	s_movk_i32 s18, 0x7f
	s_mov_b64 s[20:21], 0
	s_waitcnt vmcnt(0)
	v_cmp_lt_i16_e32 vcc, s18, v1
	s_and_saveexec_b64 s[18:19], vcc
	s_xor_b64 s[18:19], exec, s[18:19]
	s_cbranch_execz .LBB23_1898
; %bb.1882:
	s_movk_i32 s20, 0x80
	v_cmp_ne_u16_e32 vcc, s20, v1
	s_and_b64 s[20:21], vcc, exec
	s_andn2_saveexec_b64 s[18:19], s[18:19]
	s_cbranch_execnz .LBB23_1899
.LBB23_1883:
	s_or_b64 exec, exec, s[18:19]
	v_mov_b32_e32 v11, 0
	s_and_saveexec_b64 s[18:19], s[20:21]
	s_cbranch_execz .LBB23_1885
.LBB23_1884:
	v_lshlrev_b32_e32 v3, 24, v1
	v_and_b32_e32 v1, 0xffff, v1
	v_and_b32_e32 v5, 7, v1
	v_ffbh_u32_e32 v11, v5
	v_min_u32_e32 v11, 32, v11
	v_subrev_u32_e32 v12, 28, v11
	v_bfe_u32 v8, v1, 3, 4
	v_lshlrev_b32_e32 v1, v12, v1
	v_sub_u32_e32 v11, 29, v11
	v_and_b32_e32 v1, 7, v1
	v_cmp_eq_u32_e32 vcc, 0, v8
	v_cndmask_b32_e32 v8, v8, v11, vcc
	v_cndmask_b32_e32 v1, v5, v1, vcc
	v_mov_b32_e32 v5, 0x3b800000
	v_lshlrev_b32_e32 v1, 20, v1
	v_and_b32_e32 v3, 0x80000000, v3
	v_lshl_add_u32 v5, v8, 23, v5
	v_or3_b32 v1, v3, v5, v1
	v_trunc_f32_e32 v1, v1
	s_mov_b32 s20, 0x2f800000
	v_mul_f32_e64 v3, |v1|, s20
	v_floor_f32_e32 v3, v3
	s_mov_b32 s20, 0xcf800000
	v_fma_f32 v3, v3, s20, |v1|
	v_cvt_u32_f32_e32 v3, v3
	v_ashrrev_i32_e32 v1, 31, v1
	v_xor_b32_e32 v3, v3, v1
	v_sub_u32_e32 v11, v3, v1
.LBB23_1885:
	s_or_b64 exec, exec, s[18:19]
.LBB23_1886:
	s_mov_b64 s[18:19], -1
.LBB23_1887:
	s_mov_b64 s[20:21], 0
.LBB23_1888:
	s_and_b64 vcc, exec, s[20:21]
	s_cbranch_vccz .LBB23_1919
; %bb.1889:
	s_cmp_gt_i32 s23, 22
	s_cbranch_scc0 .LBB23_1897
; %bb.1890:
	s_cmp_lt_i32 s23, 24
	s_cbranch_scc1 .LBB23_1900
; %bb.1891:
	s_cmp_gt_i32 s23, 24
	s_cbranch_scc0 .LBB23_1901
; %bb.1892:
	global_load_ubyte v1, v[19:20], off
	s_movk_i32 s16, 0x7f
	s_mov_b64 s[18:19], 0
	s_waitcnt vmcnt(0)
	v_cmp_lt_i16_e32 vcc, s16, v1
	s_and_saveexec_b64 s[16:17], vcc
	s_xor_b64 s[16:17], exec, s[16:17]
	s_cbranch_execz .LBB23_1913
; %bb.1893:
	s_movk_i32 s18, 0x80
	v_cmp_ne_u16_e32 vcc, s18, v1
	s_and_b64 s[18:19], vcc, exec
	s_andn2_saveexec_b64 s[16:17], s[16:17]
	s_cbranch_execnz .LBB23_1914
.LBB23_1894:
	s_or_b64 exec, exec, s[16:17]
	v_mov_b32_e32 v11, 0
	s_and_saveexec_b64 s[16:17], s[18:19]
	s_cbranch_execz .LBB23_1896
.LBB23_1895:
	v_lshlrev_b32_e32 v3, 24, v1
	v_and_b32_e32 v1, 0xffff, v1
	v_and_b32_e32 v5, 3, v1
	v_ffbh_u32_e32 v11, v5
	v_min_u32_e32 v11, 32, v11
	v_subrev_u32_e32 v12, 29, v11
	v_bfe_u32 v8, v1, 2, 5
	v_lshlrev_b32_e32 v1, v12, v1
	v_sub_u32_e32 v11, 30, v11
	v_and_b32_e32 v1, 3, v1
	v_cmp_eq_u32_e32 vcc, 0, v8
	v_cndmask_b32_e32 v8, v8, v11, vcc
	v_cndmask_b32_e32 v1, v5, v1, vcc
	v_mov_b32_e32 v5, 0x37800000
	v_lshlrev_b32_e32 v1, 21, v1
	v_and_b32_e32 v3, 0x80000000, v3
	v_lshl_add_u32 v5, v8, 23, v5
	v_or3_b32 v1, v3, v5, v1
	v_trunc_f32_e32 v1, v1
	s_mov_b32 s18, 0x2f800000
	v_mul_f32_e64 v3, |v1|, s18
	v_floor_f32_e32 v3, v3
	s_mov_b32 s18, 0xcf800000
	v_fma_f32 v3, v3, s18, |v1|
	v_cvt_u32_f32_e32 v3, v3
	v_ashrrev_i32_e32 v1, 31, v1
	v_xor_b32_e32 v3, v3, v1
	v_sub_u32_e32 v11, v3, v1
.LBB23_1896:
	s_or_b64 exec, exec, s[16:17]
	s_mov_b64 s[16:17], 0
	s_branch .LBB23_1902
.LBB23_1897:
	s_mov_b64 s[16:17], -1
                                        ; implicit-def: $vgpr11
	s_branch .LBB23_1908
.LBB23_1898:
	s_andn2_saveexec_b64 s[18:19], s[18:19]
	s_cbranch_execz .LBB23_1883
.LBB23_1899:
	v_cmp_ne_u16_e32 vcc, 0, v1
	s_andn2_b64 s[20:21], s[20:21], exec
	s_and_b64 s[26:27], vcc, exec
	s_or_b64 s[20:21], s[20:21], s[26:27]
	s_or_b64 exec, exec, s[18:19]
	v_mov_b32_e32 v11, 0
	s_and_saveexec_b64 s[18:19], s[20:21]
	s_cbranch_execnz .LBB23_1884
	s_branch .LBB23_1885
.LBB23_1900:
	s_mov_b64 s[16:17], -1
                                        ; implicit-def: $vgpr11
	s_branch .LBB23_1905
.LBB23_1901:
	s_mov_b64 s[16:17], -1
                                        ; implicit-def: $vgpr11
.LBB23_1902:
	s_and_b64 vcc, exec, s[16:17]
	s_cbranch_vccz .LBB23_1904
; %bb.1903:
	global_load_ubyte v1, v[19:20], off
	s_mov_b32 s16, 0x7f800000
	s_brev_b32 s17, 1
	s_mov_b32 s18, 0x2f800000
	s_waitcnt vmcnt(0)
	v_lshlrev_b32_e32 v1, 24, v1
	v_and_b32_e32 v3, 0x7f000000, v1
	v_ffbh_u32_e32 v5, v3
	v_min_u32_e32 v5, 32, v5
	v_sub_u32_e64 v5, v5, 4 clamp
	v_lshlrev_b32_e32 v11, v5, v3
	v_lshlrev_b32_e32 v5, 23, v5
	v_lshrrev_b32_e32 v11, 4, v11
	v_add_u32_e32 v8, 0x1000000, v3
	v_sub_u32_e32 v5, v11, v5
	v_ashrrev_i32_e32 v8, 8, v8
	v_add_u32_e32 v5, 0x3c000000, v5
	v_and_or_b32 v5, v8, s16, v5
	v_cmp_ne_u32_e32 vcc, 0, v3
	v_cndmask_b32_e32 v3, 0, v5, vcc
	v_and_or_b32 v1, v1, s17, v3
	v_trunc_f32_e32 v1, v1
	v_mul_f32_e64 v3, |v1|, s18
	v_floor_f32_e32 v3, v3
	s_mov_b32 s16, 0xcf800000
	v_fma_f32 v3, v3, s16, |v1|
	v_cvt_u32_f32_e32 v3, v3
	v_ashrrev_i32_e32 v1, 31, v1
	v_xor_b32_e32 v3, v3, v1
	v_sub_u32_e32 v11, v3, v1
.LBB23_1904:
	s_mov_b64 s[16:17], 0
.LBB23_1905:
	s_andn2_b64 vcc, exec, s[16:17]
	s_cbranch_vccnz .LBB23_1907
; %bb.1906:
	global_load_ubyte v1, v[19:20], off
	s_movk_i32 s16, 0x7f00
	s_brev_b32 s17, 16
	s_brev_b32 s18, 1
	s_mov_b32 s19, 0x2f800000
	s_waitcnt vmcnt(0)
	v_lshlrev_b16_e32 v3, 8, v1
	v_lshlrev_b32_e32 v1, 25, v1
	v_lshrrev_b32_e32 v5, 4, v1
	v_and_or_b32 v8, v3, s16, 0.5
	v_or_b32_e32 v5, 0x70000000, v5
	v_add_f32_e32 v8, -0.5, v8
	v_mul_f32_e32 v5, 0x7800000, v5
	v_cmp_gt_u32_e32 vcc, s17, v1
	v_bfe_i32 v3, v3, 0, 16
	v_cndmask_b32_e32 v1, v5, v8, vcc
	v_and_or_b32 v1, v3, s18, v1
	v_trunc_f32_e32 v1, v1
	v_mul_f32_e64 v3, |v1|, s19
	v_floor_f32_e32 v3, v3
	s_mov_b32 s16, 0xcf800000
	v_fma_f32 v3, v3, s16, |v1|
	v_cvt_u32_f32_e32 v3, v3
	v_ashrrev_i32_e32 v1, 31, v1
	v_xor_b32_e32 v3, v3, v1
	v_sub_u32_e32 v11, v3, v1
.LBB23_1907:
	s_mov_b64 s[16:17], 0
	s_mov_b64 s[18:19], -1
.LBB23_1908:
	s_andn2_b64 vcc, exec, s[16:17]
	s_mov_b64 s[16:17], 0
	s_cbranch_vccnz .LBB23_1919
; %bb.1909:
	s_cmp_gt_i32 s23, 14
	s_cbranch_scc0 .LBB23_1912
; %bb.1910:
	s_cmp_eq_u32 s23, 15
	s_cbranch_scc0 .LBB23_1915
; %bb.1911:
	global_load_ushort v1, v[19:20], off
	s_mov_b32 s6, 0x2f800000
	s_mov_b32 s7, 0xcf800000
	s_mov_b64 s[18:19], -1
	s_waitcnt vmcnt(0)
	v_lshlrev_b32_e32 v1, 16, v1
	v_trunc_f32_e32 v1, v1
	v_mul_f32_e64 v3, |v1|, s6
	v_floor_f32_e32 v3, v3
	v_fma_f32 v3, v3, s7, |v1|
	v_cvt_u32_f32_e32 v3, v3
	v_ashrrev_i32_e32 v1, 31, v1
	s_mov_b64 s[6:7], 0
	v_xor_b32_e32 v3, v3, v1
	v_sub_u32_e32 v11, v3, v1
	s_branch .LBB23_1916
.LBB23_1912:
	s_mov_b64 s[20:21], -1
                                        ; implicit-def: $vgpr11
	s_branch .LBB23_1917
.LBB23_1913:
	s_andn2_saveexec_b64 s[16:17], s[16:17]
	s_cbranch_execz .LBB23_1894
.LBB23_1914:
	v_cmp_ne_u16_e32 vcc, 0, v1
	s_andn2_b64 s[18:19], s[18:19], exec
	s_and_b64 s[20:21], vcc, exec
	s_or_b64 s[18:19], s[18:19], s[20:21]
	s_or_b64 exec, exec, s[16:17]
	v_mov_b32_e32 v11, 0
	s_and_saveexec_b64 s[16:17], s[18:19]
	s_cbranch_execnz .LBB23_1895
	s_branch .LBB23_1896
.LBB23_1915:
	s_mov_b64 s[6:7], -1
                                        ; implicit-def: $vgpr11
.LBB23_1916:
	s_mov_b64 s[20:21], 0
.LBB23_1917:
	s_and_b64 vcc, exec, s[20:21]
	s_cbranch_vccz .LBB23_1919
; %bb.1918:
	s_cmp_lg_u32 s23, 11
	s_mov_b64 s[16:17], -1
	s_cselect_b64 s[6:7], -1, 0
.LBB23_1919:
	s_and_b64 vcc, exec, s[6:7]
	s_cbranch_vccnz .LBB23_1982
; %bb.1920:
	s_andn2_b64 vcc, exec, s[16:17]
	s_cbranch_vccnz .LBB23_1922
.LBB23_1921:
	global_load_ubyte v1, v[19:20], off
	s_mov_b64 s[18:19], -1
	s_waitcnt vmcnt(0)
	v_cmp_ne_u16_e32 vcc, 0, v1
	v_cndmask_b32_e64 v11, 0, 1, vcc
.LBB23_1922:
	s_branch .LBB23_1854
.LBB23_1923:
	s_cmp_lt_i32 s23, 5
	s_cbranch_scc1 .LBB23_1928
; %bb.1924:
	s_cmp_lt_i32 s23, 8
	s_cbranch_scc1 .LBB23_1929
; %bb.1925:
	;; [unrolled: 3-line block ×3, first 2 shown]
	s_cmp_gt_i32 s23, 9
	s_cbranch_scc0 .LBB23_1931
; %bb.1927:
	global_load_dwordx2 v[11:12], v[19:20], off
	s_movk_i32 s6, 0xffe0
	s_waitcnt vmcnt(0)
	v_trunc_f64_e32 v[11:12], v[11:12]
	v_ldexp_f64 v[21:22], v[11:12], s6
	s_mov_b32 s6, 0
	s_mov_b32 s7, 0xc1f00000
	v_floor_f64_e32 v[21:22], v[21:22]
	v_fma_f64 v[11:12], v[21:22], s[6:7], v[11:12]
	s_mov_b64 s[6:7], 0
	v_cvt_u32_f64_e32 v11, v[11:12]
	s_branch .LBB23_1932
.LBB23_1928:
	s_mov_b64 s[6:7], -1
                                        ; implicit-def: $vgpr11
	s_branch .LBB23_1950
.LBB23_1929:
	s_mov_b64 s[6:7], -1
                                        ; implicit-def: $vgpr11
	s_branch .LBB23_1938
.LBB23_1930:
	s_mov_b64 s[6:7], -1
                                        ; implicit-def: $vgpr11
	s_branch .LBB23_1935
.LBB23_1931:
	s_mov_b64 s[6:7], -1
                                        ; implicit-def: $vgpr11
.LBB23_1932:
	s_andn2_b64 vcc, exec, s[6:7]
	s_cbranch_vccnz .LBB23_1934
; %bb.1933:
	global_load_dword v1, v[19:20], off
	s_mov_b32 s6, 0x2f800000
	s_waitcnt vmcnt(0)
	v_trunc_f32_e32 v1, v1
	v_mul_f32_e64 v3, |v1|, s6
	v_floor_f32_e32 v3, v3
	s_mov_b32 s6, 0xcf800000
	v_fma_f32 v3, v3, s6, |v1|
	v_cvt_u32_f32_e32 v3, v3
	v_ashrrev_i32_e32 v1, 31, v1
	v_xor_b32_e32 v3, v3, v1
	v_sub_u32_e32 v11, v3, v1
.LBB23_1934:
	s_mov_b64 s[6:7], 0
.LBB23_1935:
	s_andn2_b64 vcc, exec, s[6:7]
	s_cbranch_vccnz .LBB23_1937
; %bb.1936:
	global_load_dword v1, v[19:20], off
	s_waitcnt vmcnt(0)
	v_cvt_f32_f16_e32 v1, v1
	v_cvt_i32_f32_e32 v11, v1
.LBB23_1937:
	s_mov_b64 s[6:7], 0
.LBB23_1938:
	s_andn2_b64 vcc, exec, s[6:7]
	s_cbranch_vccnz .LBB23_1949
; %bb.1939:
	s_cmp_lt_i32 s23, 6
	s_cbranch_scc1 .LBB23_1942
; %bb.1940:
	s_cmp_gt_i32 s23, 6
	s_cbranch_scc0 .LBB23_1943
; %bb.1941:
	global_load_dwordx2 v[11:12], v[19:20], off
	s_movk_i32 s6, 0xffe0
	s_waitcnt vmcnt(0)
	v_trunc_f64_e32 v[11:12], v[11:12]
	v_ldexp_f64 v[21:22], v[11:12], s6
	s_mov_b32 s6, 0
	s_mov_b32 s7, 0xc1f00000
	v_floor_f64_e32 v[21:22], v[21:22]
	v_fma_f64 v[11:12], v[21:22], s[6:7], v[11:12]
	s_mov_b64 s[6:7], 0
	v_cvt_u32_f64_e32 v11, v[11:12]
	s_branch .LBB23_1944
.LBB23_1942:
	s_mov_b64 s[6:7], -1
                                        ; implicit-def: $vgpr11
	s_branch .LBB23_1947
.LBB23_1943:
	s_mov_b64 s[6:7], -1
                                        ; implicit-def: $vgpr11
.LBB23_1944:
	s_andn2_b64 vcc, exec, s[6:7]
	s_cbranch_vccnz .LBB23_1946
; %bb.1945:
	global_load_dword v1, v[19:20], off
	s_mov_b32 s6, 0x2f800000
	s_waitcnt vmcnt(0)
	v_trunc_f32_e32 v1, v1
	v_mul_f32_e64 v3, |v1|, s6
	v_floor_f32_e32 v3, v3
	s_mov_b32 s6, 0xcf800000
	v_fma_f32 v3, v3, s6, |v1|
	v_cvt_u32_f32_e32 v3, v3
	v_ashrrev_i32_e32 v1, 31, v1
	v_xor_b32_e32 v3, v3, v1
	v_sub_u32_e32 v11, v3, v1
.LBB23_1946:
	s_mov_b64 s[6:7], 0
.LBB23_1947:
	s_andn2_b64 vcc, exec, s[6:7]
	s_cbranch_vccnz .LBB23_1949
; %bb.1948:
	global_load_ushort v1, v[19:20], off
	s_waitcnt vmcnt(0)
	v_cvt_f32_f16_e32 v1, v1
	v_cvt_i32_f32_e32 v11, v1
.LBB23_1949:
	s_mov_b64 s[6:7], 0
.LBB23_1950:
	s_andn2_b64 vcc, exec, s[6:7]
	s_cbranch_vccnz .LBB23_1970
; %bb.1951:
	s_cmp_lt_i32 s23, 2
	s_cbranch_scc1 .LBB23_1955
; %bb.1952:
	s_cmp_lt_i32 s23, 3
	s_cbranch_scc1 .LBB23_1956
; %bb.1953:
	s_cmp_gt_i32 s23, 3
	s_cbranch_scc0 .LBB23_1957
; %bb.1954:
	global_load_dwordx2 v[11:12], v[19:20], off
	s_mov_b64 s[6:7], 0
	s_branch .LBB23_1958
.LBB23_1955:
	s_mov_b64 s[6:7], -1
                                        ; implicit-def: $vgpr11
	s_branch .LBB23_1964
.LBB23_1956:
	s_mov_b64 s[6:7], -1
                                        ; implicit-def: $vgpr11
	s_branch .LBB23_1961
.LBB23_1957:
	s_mov_b64 s[6:7], -1
                                        ; implicit-def: $vgpr11
.LBB23_1958:
	s_andn2_b64 vcc, exec, s[6:7]
	s_cbranch_vccnz .LBB23_1960
; %bb.1959:
	global_load_dword v11, v[19:20], off
.LBB23_1960:
	s_mov_b64 s[6:7], 0
.LBB23_1961:
	s_andn2_b64 vcc, exec, s[6:7]
	s_cbranch_vccnz .LBB23_1963
; %bb.1962:
	global_load_ushort v11, v[19:20], off
.LBB23_1963:
	s_mov_b64 s[6:7], 0
.LBB23_1964:
	s_andn2_b64 vcc, exec, s[6:7]
	s_cbranch_vccnz .LBB23_1970
; %bb.1965:
	s_cmp_gt_i32 s23, 0
	s_cbranch_scc0 .LBB23_1967
; %bb.1966:
	global_load_ubyte v11, v[19:20], off
	s_mov_b64 s[6:7], 0
	s_branch .LBB23_1968
.LBB23_1967:
	s_mov_b64 s[6:7], -1
                                        ; implicit-def: $vgpr11
.LBB23_1968:
	s_andn2_b64 vcc, exec, s[6:7]
	s_cbranch_vccnz .LBB23_1970
; %bb.1969:
	global_load_ubyte v11, v[19:20], off
.LBB23_1970:
.LBB23_1971:
	v_mov_b32_e32 v1, s1
	s_and_b32 s24, 0xffff, s24
	v_add_co_u32_e32 v19, vcc, s0, v15
	s_cmp_lt_i32 s24, 11
	v_addc_co_u32_e32 v20, vcc, 0, v1, vcc
	s_cbranch_scc1 .LBB23_1978
; %bb.1972:
	s_cmp_gt_i32 s24, 25
	s_mov_b64 s[16:17], 0
	s_cbranch_scc0 .LBB23_1979
; %bb.1973:
	s_cmp_gt_i32 s24, 28
	s_cbranch_scc0 .LBB23_1980
; %bb.1974:
	s_cmp_gt_i32 s24, 43
	;; [unrolled: 3-line block ×3, first 2 shown]
	s_cbranch_scc0 .LBB23_1983
; %bb.1976:
	s_cmp_eq_u32 s24, 46
	s_mov_b64 s[20:21], 0
	s_cbranch_scc0 .LBB23_1984
; %bb.1977:
	global_load_dword v1, v[19:20], off
	s_mov_b32 s6, 0x2f800000
	s_mov_b32 s7, 0xcf800000
	s_mov_b64 s[18:19], -1
	s_waitcnt vmcnt(0)
	v_lshlrev_b32_e32 v1, 16, v1
	v_trunc_f32_e32 v1, v1
	v_mul_f32_e64 v3, |v1|, s6
	v_floor_f32_e32 v3, v3
	v_fma_f32 v3, v3, s7, |v1|
	v_cvt_u32_f32_e32 v3, v3
	v_ashrrev_i32_e32 v1, 31, v1
	s_mov_b64 s[6:7], 0
	v_xor_b32_e32 v3, v3, v1
	v_sub_u32_e32 v14, v3, v1
	s_branch .LBB23_1985
.LBB23_1978:
	s_mov_b64 s[6:7], -1
	s_mov_b64 s[18:19], 0
                                        ; implicit-def: $vgpr14
	s_branch .LBB23_2047
.LBB23_1979:
	s_mov_b64 s[20:21], -1
	s_mov_b64 s[18:19], 0
	s_mov_b64 s[6:7], 0
                                        ; implicit-def: $vgpr14
	s_branch .LBB23_2012
.LBB23_1980:
	s_mov_b64 s[20:21], -1
	s_mov_b64 s[18:19], 0
	s_mov_b64 s[6:7], 0
                                        ; implicit-def: $vgpr14
	s_branch .LBB23_1995
.LBB23_1981:
	s_mov_b64 s[20:21], -1
	s_mov_b64 s[18:19], 0
	s_mov_b64 s[6:7], 0
                                        ; implicit-def: $vgpr14
	s_branch .LBB23_1990
.LBB23_1982:
	s_trap 2
	s_or_b64 s[4:5], s[4:5], exec
	s_cbranch_execz .LBB23_1921
	s_branch .LBB23_1922
.LBB23_1983:
	s_mov_b64 s[20:21], -1
	s_mov_b64 s[18:19], 0
	s_mov_b64 s[6:7], 0
                                        ; implicit-def: $vgpr14
	s_branch .LBB23_1985
.LBB23_1984:
	s_mov_b64 s[6:7], -1
                                        ; implicit-def: $vgpr14
	s_mov_b64 s[18:19], 0
.LBB23_1985:
	s_and_b64 vcc, exec, s[20:21]
	s_cbranch_vccz .LBB23_1989
; %bb.1986:
	s_cmp_eq_u32 s24, 44
	s_cbranch_scc0 .LBB23_1988
; %bb.1987:
	global_load_ubyte v1, v[19:20], off
	s_mov_b32 s6, 0x2f800000
	s_mov_b32 s7, 0xcf800000
	s_mov_b64 s[18:19], -1
	s_waitcnt vmcnt(0)
	v_lshlrev_b32_e32 v3, 23, v1
	v_trunc_f32_e32 v3, v3
	v_mul_f32_e64 v5, |v3|, s6
	v_floor_f32_e32 v5, v5
	v_fma_f32 v5, v5, s7, |v3|
	v_cvt_u32_f32_e32 v5, v5
	v_ashrrev_i32_e32 v3, 31, v3
	v_cmp_ne_u32_e32 vcc, 0, v1
	s_mov_b64 s[6:7], 0
	v_xor_b32_e32 v5, v5, v3
	v_sub_u32_e32 v3, v5, v3
	v_cndmask_b32_e32 v14, 0, v3, vcc
	s_branch .LBB23_1989
.LBB23_1988:
	s_mov_b64 s[6:7], -1
                                        ; implicit-def: $vgpr14
.LBB23_1989:
	s_mov_b64 s[20:21], 0
.LBB23_1990:
	s_and_b64 vcc, exec, s[20:21]
	s_cbranch_vccz .LBB23_1994
; %bb.1991:
	s_cmp_eq_u32 s24, 29
	s_cbranch_scc0 .LBB23_1993
; %bb.1992:
	global_load_dwordx2 v[14:15], v[19:20], off
	s_mov_b64 s[6:7], 0
	s_mov_b64 s[18:19], -1
	s_branch .LBB23_1994
.LBB23_1993:
	s_mov_b64 s[6:7], -1
                                        ; implicit-def: $vgpr14
.LBB23_1994:
	s_mov_b64 s[20:21], 0
.LBB23_1995:
	s_and_b64 vcc, exec, s[20:21]
	s_cbranch_vccz .LBB23_2011
; %bb.1996:
	s_cmp_lt_i32 s24, 27
	s_cbranch_scc1 .LBB23_1999
; %bb.1997:
	s_cmp_gt_i32 s24, 27
	s_cbranch_scc0 .LBB23_2000
; %bb.1998:
	global_load_dword v14, v[19:20], off
	s_mov_b64 s[18:19], 0
	s_branch .LBB23_2001
.LBB23_1999:
	s_mov_b64 s[18:19], -1
                                        ; implicit-def: $vgpr14
	s_branch .LBB23_2004
.LBB23_2000:
	s_mov_b64 s[18:19], -1
                                        ; implicit-def: $vgpr14
.LBB23_2001:
	s_andn2_b64 vcc, exec, s[18:19]
	s_cbranch_vccnz .LBB23_2003
; %bb.2002:
	global_load_ushort v14, v[19:20], off
.LBB23_2003:
	s_mov_b64 s[18:19], 0
.LBB23_2004:
	s_andn2_b64 vcc, exec, s[18:19]
	s_cbranch_vccnz .LBB23_2010
; %bb.2005:
	global_load_ubyte v1, v[19:20], off
	s_movk_i32 s18, 0x7f
	s_mov_b64 s[20:21], 0
	s_waitcnt vmcnt(0)
	v_cmp_lt_i16_e32 vcc, s18, v1
	s_and_saveexec_b64 s[18:19], vcc
	s_xor_b64 s[18:19], exec, s[18:19]
	s_cbranch_execz .LBB23_2022
; %bb.2006:
	s_movk_i32 s20, 0x80
	v_cmp_ne_u16_e32 vcc, s20, v1
	s_and_b64 s[20:21], vcc, exec
	s_andn2_saveexec_b64 s[18:19], s[18:19]
	s_cbranch_execnz .LBB23_2023
.LBB23_2007:
	s_or_b64 exec, exec, s[18:19]
	v_mov_b32_e32 v14, 0
	s_and_saveexec_b64 s[18:19], s[20:21]
	s_cbranch_execz .LBB23_2009
.LBB23_2008:
	v_lshlrev_b32_e32 v3, 24, v1
	v_and_b32_e32 v1, 0xffff, v1
	v_and_b32_e32 v5, 7, v1
	v_ffbh_u32_e32 v12, v5
	v_min_u32_e32 v12, 32, v12
	v_subrev_u32_e32 v14, 28, v12
	v_bfe_u32 v8, v1, 3, 4
	v_lshlrev_b32_e32 v1, v14, v1
	v_sub_u32_e32 v12, 29, v12
	v_and_b32_e32 v1, 7, v1
	v_cmp_eq_u32_e32 vcc, 0, v8
	v_cndmask_b32_e32 v8, v8, v12, vcc
	v_cndmask_b32_e32 v1, v5, v1, vcc
	v_mov_b32_e32 v5, 0x3b800000
	v_lshlrev_b32_e32 v1, 20, v1
	v_and_b32_e32 v3, 0x80000000, v3
	v_lshl_add_u32 v5, v8, 23, v5
	v_or3_b32 v1, v3, v5, v1
	v_trunc_f32_e32 v1, v1
	s_mov_b32 s20, 0x2f800000
	v_mul_f32_e64 v3, |v1|, s20
	v_floor_f32_e32 v3, v3
	s_mov_b32 s20, 0xcf800000
	v_fma_f32 v3, v3, s20, |v1|
	v_cvt_u32_f32_e32 v3, v3
	v_ashrrev_i32_e32 v1, 31, v1
	v_xor_b32_e32 v3, v3, v1
	v_sub_u32_e32 v14, v3, v1
.LBB23_2009:
	s_or_b64 exec, exec, s[18:19]
.LBB23_2010:
	s_mov_b64 s[18:19], -1
.LBB23_2011:
	s_mov_b64 s[20:21], 0
.LBB23_2012:
	s_and_b64 vcc, exec, s[20:21]
	s_cbranch_vccz .LBB23_2043
; %bb.2013:
	s_cmp_gt_i32 s24, 22
	s_cbranch_scc0 .LBB23_2021
; %bb.2014:
	s_cmp_lt_i32 s24, 24
	s_cbranch_scc1 .LBB23_2024
; %bb.2015:
	s_cmp_gt_i32 s24, 24
	s_cbranch_scc0 .LBB23_2025
; %bb.2016:
	global_load_ubyte v1, v[19:20], off
	s_movk_i32 s16, 0x7f
	s_mov_b64 s[18:19], 0
	s_waitcnt vmcnt(0)
	v_cmp_lt_i16_e32 vcc, s16, v1
	s_and_saveexec_b64 s[16:17], vcc
	s_xor_b64 s[16:17], exec, s[16:17]
	s_cbranch_execz .LBB23_2037
; %bb.2017:
	s_movk_i32 s18, 0x80
	v_cmp_ne_u16_e32 vcc, s18, v1
	s_and_b64 s[18:19], vcc, exec
	s_andn2_saveexec_b64 s[16:17], s[16:17]
	s_cbranch_execnz .LBB23_2038
.LBB23_2018:
	s_or_b64 exec, exec, s[16:17]
	v_mov_b32_e32 v14, 0
	s_and_saveexec_b64 s[16:17], s[18:19]
	s_cbranch_execz .LBB23_2020
.LBB23_2019:
	v_lshlrev_b32_e32 v3, 24, v1
	v_and_b32_e32 v1, 0xffff, v1
	v_and_b32_e32 v5, 3, v1
	v_ffbh_u32_e32 v12, v5
	v_min_u32_e32 v12, 32, v12
	v_subrev_u32_e32 v14, 29, v12
	v_bfe_u32 v8, v1, 2, 5
	v_lshlrev_b32_e32 v1, v14, v1
	v_sub_u32_e32 v12, 30, v12
	v_and_b32_e32 v1, 3, v1
	v_cmp_eq_u32_e32 vcc, 0, v8
	v_cndmask_b32_e32 v8, v8, v12, vcc
	v_cndmask_b32_e32 v1, v5, v1, vcc
	v_mov_b32_e32 v5, 0x37800000
	v_lshlrev_b32_e32 v1, 21, v1
	v_and_b32_e32 v3, 0x80000000, v3
	v_lshl_add_u32 v5, v8, 23, v5
	v_or3_b32 v1, v3, v5, v1
	v_trunc_f32_e32 v1, v1
	s_mov_b32 s18, 0x2f800000
	v_mul_f32_e64 v3, |v1|, s18
	v_floor_f32_e32 v3, v3
	s_mov_b32 s18, 0xcf800000
	v_fma_f32 v3, v3, s18, |v1|
	v_cvt_u32_f32_e32 v3, v3
	v_ashrrev_i32_e32 v1, 31, v1
	v_xor_b32_e32 v3, v3, v1
	v_sub_u32_e32 v14, v3, v1
.LBB23_2020:
	s_or_b64 exec, exec, s[16:17]
	s_mov_b64 s[16:17], 0
	s_branch .LBB23_2026
.LBB23_2021:
	s_mov_b64 s[16:17], -1
                                        ; implicit-def: $vgpr14
	s_branch .LBB23_2032
.LBB23_2022:
	s_andn2_saveexec_b64 s[18:19], s[18:19]
	s_cbranch_execz .LBB23_2007
.LBB23_2023:
	v_cmp_ne_u16_e32 vcc, 0, v1
	s_andn2_b64 s[20:21], s[20:21], exec
	s_and_b64 s[26:27], vcc, exec
	s_or_b64 s[20:21], s[20:21], s[26:27]
	s_or_b64 exec, exec, s[18:19]
	v_mov_b32_e32 v14, 0
	s_and_saveexec_b64 s[18:19], s[20:21]
	s_cbranch_execnz .LBB23_2008
	s_branch .LBB23_2009
.LBB23_2024:
	s_mov_b64 s[16:17], -1
                                        ; implicit-def: $vgpr14
	s_branch .LBB23_2029
.LBB23_2025:
	s_mov_b64 s[16:17], -1
                                        ; implicit-def: $vgpr14
.LBB23_2026:
	s_and_b64 vcc, exec, s[16:17]
	s_cbranch_vccz .LBB23_2028
; %bb.2027:
	global_load_ubyte v1, v[19:20], off
	s_mov_b32 s16, 0x7f800000
	s_brev_b32 s17, 1
	s_mov_b32 s18, 0x2f800000
	s_waitcnt vmcnt(0)
	v_lshlrev_b32_e32 v1, 24, v1
	v_and_b32_e32 v3, 0x7f000000, v1
	v_ffbh_u32_e32 v5, v3
	v_min_u32_e32 v5, 32, v5
	v_sub_u32_e64 v5, v5, 4 clamp
	v_lshlrev_b32_e32 v12, v5, v3
	v_lshlrev_b32_e32 v5, 23, v5
	v_lshrrev_b32_e32 v12, 4, v12
	v_add_u32_e32 v8, 0x1000000, v3
	v_sub_u32_e32 v5, v12, v5
	v_ashrrev_i32_e32 v8, 8, v8
	v_add_u32_e32 v5, 0x3c000000, v5
	v_and_or_b32 v5, v8, s16, v5
	v_cmp_ne_u32_e32 vcc, 0, v3
	v_cndmask_b32_e32 v3, 0, v5, vcc
	v_and_or_b32 v1, v1, s17, v3
	v_trunc_f32_e32 v1, v1
	v_mul_f32_e64 v3, |v1|, s18
	v_floor_f32_e32 v3, v3
	s_mov_b32 s16, 0xcf800000
	v_fma_f32 v3, v3, s16, |v1|
	v_cvt_u32_f32_e32 v3, v3
	v_ashrrev_i32_e32 v1, 31, v1
	v_xor_b32_e32 v3, v3, v1
	v_sub_u32_e32 v14, v3, v1
.LBB23_2028:
	s_mov_b64 s[16:17], 0
.LBB23_2029:
	s_andn2_b64 vcc, exec, s[16:17]
	s_cbranch_vccnz .LBB23_2031
; %bb.2030:
	global_load_ubyte v1, v[19:20], off
	s_movk_i32 s16, 0x7f00
	s_brev_b32 s17, 16
	s_brev_b32 s18, 1
	s_mov_b32 s19, 0x2f800000
	s_waitcnt vmcnt(0)
	v_lshlrev_b16_e32 v3, 8, v1
	v_lshlrev_b32_e32 v1, 25, v1
	v_lshrrev_b32_e32 v5, 4, v1
	v_and_or_b32 v8, v3, s16, 0.5
	v_or_b32_e32 v5, 0x70000000, v5
	v_add_f32_e32 v8, -0.5, v8
	v_mul_f32_e32 v5, 0x7800000, v5
	v_cmp_gt_u32_e32 vcc, s17, v1
	v_bfe_i32 v3, v3, 0, 16
	v_cndmask_b32_e32 v1, v5, v8, vcc
	v_and_or_b32 v1, v3, s18, v1
	v_trunc_f32_e32 v1, v1
	v_mul_f32_e64 v3, |v1|, s19
	v_floor_f32_e32 v3, v3
	s_mov_b32 s16, 0xcf800000
	v_fma_f32 v3, v3, s16, |v1|
	v_cvt_u32_f32_e32 v3, v3
	v_ashrrev_i32_e32 v1, 31, v1
	v_xor_b32_e32 v3, v3, v1
	v_sub_u32_e32 v14, v3, v1
.LBB23_2031:
	s_mov_b64 s[16:17], 0
	s_mov_b64 s[18:19], -1
.LBB23_2032:
	s_andn2_b64 vcc, exec, s[16:17]
	s_mov_b64 s[16:17], 0
	s_cbranch_vccnz .LBB23_2043
; %bb.2033:
	s_cmp_gt_i32 s24, 14
	s_cbranch_scc0 .LBB23_2036
; %bb.2034:
	s_cmp_eq_u32 s24, 15
	s_cbranch_scc0 .LBB23_2039
; %bb.2035:
	global_load_ushort v1, v[19:20], off
	s_mov_b32 s6, 0x2f800000
	s_mov_b32 s7, 0xcf800000
	s_mov_b64 s[18:19], -1
	s_waitcnt vmcnt(0)
	v_lshlrev_b32_e32 v1, 16, v1
	v_trunc_f32_e32 v1, v1
	v_mul_f32_e64 v3, |v1|, s6
	v_floor_f32_e32 v3, v3
	v_fma_f32 v3, v3, s7, |v1|
	v_cvt_u32_f32_e32 v3, v3
	v_ashrrev_i32_e32 v1, 31, v1
	s_mov_b64 s[6:7], 0
	v_xor_b32_e32 v3, v3, v1
	v_sub_u32_e32 v14, v3, v1
	s_branch .LBB23_2040
.LBB23_2036:
	s_mov_b64 s[20:21], -1
                                        ; implicit-def: $vgpr14
	s_branch .LBB23_2041
.LBB23_2037:
	s_andn2_saveexec_b64 s[16:17], s[16:17]
	s_cbranch_execz .LBB23_2018
.LBB23_2038:
	v_cmp_ne_u16_e32 vcc, 0, v1
	s_andn2_b64 s[18:19], s[18:19], exec
	s_and_b64 s[20:21], vcc, exec
	s_or_b64 s[18:19], s[18:19], s[20:21]
	s_or_b64 exec, exec, s[16:17]
	v_mov_b32_e32 v14, 0
	s_and_saveexec_b64 s[16:17], s[18:19]
	s_cbranch_execnz .LBB23_2019
	s_branch .LBB23_2020
.LBB23_2039:
	s_mov_b64 s[6:7], -1
                                        ; implicit-def: $vgpr14
.LBB23_2040:
	s_mov_b64 s[20:21], 0
.LBB23_2041:
	s_and_b64 vcc, exec, s[20:21]
	s_cbranch_vccz .LBB23_2043
; %bb.2042:
	s_cmp_lg_u32 s24, 11
	s_mov_b64 s[16:17], -1
	s_cselect_b64 s[6:7], -1, 0
.LBB23_2043:
	s_and_b64 vcc, exec, s[6:7]
	s_cbranch_vccnz .LBB23_2108
; %bb.2044:
	s_andn2_b64 vcc, exec, s[16:17]
	s_cbranch_vccnz .LBB23_2046
.LBB23_2045:
	global_load_ubyte v1, v[19:20], off
	s_mov_b64 s[18:19], -1
	s_waitcnt vmcnt(0)
	v_cmp_ne_u16_e32 vcc, 0, v1
	v_cndmask_b32_e64 v14, 0, 1, vcc
.LBB23_2046:
	s_mov_b64 s[6:7], 0
.LBB23_2047:
	s_and_b64 vcc, exec, s[6:7]
	s_cbranch_vccz .LBB23_2096
; %bb.2048:
	s_cmp_lt_i32 s24, 5
	s_cbranch_scc1 .LBB23_2053
; %bb.2049:
	s_cmp_lt_i32 s24, 8
	s_cbranch_scc1 .LBB23_2054
	;; [unrolled: 3-line block ×3, first 2 shown]
; %bb.2051:
	s_cmp_gt_i32 s24, 9
	s_cbranch_scc0 .LBB23_2056
; %bb.2052:
	global_load_dwordx2 v[14:15], v[19:20], off
	s_movk_i32 s6, 0xffe0
	s_waitcnt vmcnt(0)
	v_trunc_f64_e32 v[14:15], v[14:15]
	v_ldexp_f64 v[21:22], v[14:15], s6
	s_mov_b32 s6, 0
	s_mov_b32 s7, 0xc1f00000
	v_floor_f64_e32 v[21:22], v[21:22]
	v_fma_f64 v[14:15], v[21:22], s[6:7], v[14:15]
	s_mov_b64 s[6:7], 0
	v_cvt_u32_f64_e32 v14, v[14:15]
	s_branch .LBB23_2057
.LBB23_2053:
	s_mov_b64 s[6:7], -1
                                        ; implicit-def: $vgpr14
	s_branch .LBB23_2075
.LBB23_2054:
	s_mov_b64 s[6:7], -1
                                        ; implicit-def: $vgpr14
	s_branch .LBB23_2063
.LBB23_2055:
	s_mov_b64 s[6:7], -1
                                        ; implicit-def: $vgpr14
	s_branch .LBB23_2060
.LBB23_2056:
	s_mov_b64 s[6:7], -1
                                        ; implicit-def: $vgpr14
.LBB23_2057:
	s_andn2_b64 vcc, exec, s[6:7]
	s_cbranch_vccnz .LBB23_2059
; %bb.2058:
	global_load_dword v1, v[19:20], off
	s_mov_b32 s6, 0x2f800000
	s_waitcnt vmcnt(0)
	v_trunc_f32_e32 v1, v1
	v_mul_f32_e64 v3, |v1|, s6
	v_floor_f32_e32 v3, v3
	s_mov_b32 s6, 0xcf800000
	v_fma_f32 v3, v3, s6, |v1|
	v_cvt_u32_f32_e32 v3, v3
	v_ashrrev_i32_e32 v1, 31, v1
	v_xor_b32_e32 v3, v3, v1
	v_sub_u32_e32 v14, v3, v1
.LBB23_2059:
	s_mov_b64 s[6:7], 0
.LBB23_2060:
	s_andn2_b64 vcc, exec, s[6:7]
	s_cbranch_vccnz .LBB23_2062
; %bb.2061:
	global_load_dword v1, v[19:20], off
	s_waitcnt vmcnt(0)
	v_cvt_f32_f16_e32 v1, v1
	v_cvt_i32_f32_e32 v14, v1
.LBB23_2062:
	s_mov_b64 s[6:7], 0
.LBB23_2063:
	s_andn2_b64 vcc, exec, s[6:7]
	s_cbranch_vccnz .LBB23_2074
; %bb.2064:
	s_cmp_lt_i32 s24, 6
	s_cbranch_scc1 .LBB23_2067
; %bb.2065:
	s_cmp_gt_i32 s24, 6
	s_cbranch_scc0 .LBB23_2068
; %bb.2066:
	global_load_dwordx2 v[14:15], v[19:20], off
	s_movk_i32 s6, 0xffe0
	s_waitcnt vmcnt(0)
	v_trunc_f64_e32 v[14:15], v[14:15]
	v_ldexp_f64 v[21:22], v[14:15], s6
	s_mov_b32 s6, 0
	s_mov_b32 s7, 0xc1f00000
	v_floor_f64_e32 v[21:22], v[21:22]
	v_fma_f64 v[14:15], v[21:22], s[6:7], v[14:15]
	s_mov_b64 s[6:7], 0
	v_cvt_u32_f64_e32 v14, v[14:15]
	s_branch .LBB23_2069
.LBB23_2067:
	s_mov_b64 s[6:7], -1
                                        ; implicit-def: $vgpr14
	s_branch .LBB23_2072
.LBB23_2068:
	s_mov_b64 s[6:7], -1
                                        ; implicit-def: $vgpr14
.LBB23_2069:
	s_andn2_b64 vcc, exec, s[6:7]
	s_cbranch_vccnz .LBB23_2071
; %bb.2070:
	global_load_dword v1, v[19:20], off
	s_mov_b32 s6, 0x2f800000
	s_waitcnt vmcnt(0)
	v_trunc_f32_e32 v1, v1
	v_mul_f32_e64 v3, |v1|, s6
	v_floor_f32_e32 v3, v3
	s_mov_b32 s6, 0xcf800000
	v_fma_f32 v3, v3, s6, |v1|
	v_cvt_u32_f32_e32 v3, v3
	v_ashrrev_i32_e32 v1, 31, v1
	v_xor_b32_e32 v3, v3, v1
	v_sub_u32_e32 v14, v3, v1
.LBB23_2071:
	s_mov_b64 s[6:7], 0
.LBB23_2072:
	s_andn2_b64 vcc, exec, s[6:7]
	s_cbranch_vccnz .LBB23_2074
; %bb.2073:
	global_load_ushort v1, v[19:20], off
	s_waitcnt vmcnt(0)
	v_cvt_f32_f16_e32 v1, v1
	v_cvt_i32_f32_e32 v14, v1
.LBB23_2074:
	s_mov_b64 s[6:7], 0
.LBB23_2075:
	s_andn2_b64 vcc, exec, s[6:7]
	s_cbranch_vccnz .LBB23_2095
; %bb.2076:
	s_cmp_lt_i32 s24, 2
	s_cbranch_scc1 .LBB23_2080
; %bb.2077:
	s_cmp_lt_i32 s24, 3
	s_cbranch_scc1 .LBB23_2081
; %bb.2078:
	s_cmp_gt_i32 s24, 3
	s_cbranch_scc0 .LBB23_2082
; %bb.2079:
	global_load_dwordx2 v[14:15], v[19:20], off
	s_mov_b64 s[6:7], 0
	s_branch .LBB23_2083
.LBB23_2080:
	s_mov_b64 s[6:7], -1
                                        ; implicit-def: $vgpr14
	s_branch .LBB23_2089
.LBB23_2081:
	s_mov_b64 s[6:7], -1
                                        ; implicit-def: $vgpr14
	s_branch .LBB23_2086
.LBB23_2082:
	s_mov_b64 s[6:7], -1
                                        ; implicit-def: $vgpr14
.LBB23_2083:
	s_andn2_b64 vcc, exec, s[6:7]
	s_cbranch_vccnz .LBB23_2085
; %bb.2084:
	global_load_dword v14, v[19:20], off
.LBB23_2085:
	s_mov_b64 s[6:7], 0
.LBB23_2086:
	s_andn2_b64 vcc, exec, s[6:7]
	s_cbranch_vccnz .LBB23_2088
; %bb.2087:
	global_load_ushort v14, v[19:20], off
.LBB23_2088:
	s_mov_b64 s[6:7], 0
.LBB23_2089:
	s_andn2_b64 vcc, exec, s[6:7]
	s_cbranch_vccnz .LBB23_2095
; %bb.2090:
	s_cmp_gt_i32 s24, 0
	s_cbranch_scc0 .LBB23_2092
; %bb.2091:
	global_load_ubyte v14, v[19:20], off
	s_mov_b64 s[6:7], 0
	s_branch .LBB23_2093
.LBB23_2092:
	s_mov_b64 s[6:7], -1
                                        ; implicit-def: $vgpr14
.LBB23_2093:
	s_andn2_b64 vcc, exec, s[6:7]
	s_cbranch_vccnz .LBB23_2095
; %bb.2094:
	global_load_ubyte v14, v[19:20], off
.LBB23_2095:
	s_mov_b64 s[18:19], -1
.LBB23_2096:
	s_andn2_b64 vcc, exec, s[18:19]
	s_cbranch_vccnz .LBB23_3036
; %bb.2097:
	v_mov_b32_e32 v1, s11
	v_add_co_u32_e32 v19, vcc, s10, v18
	s_cmp_lt_i32 s23, 11
	v_addc_co_u32_e32 v20, vcc, 0, v1, vcc
	s_cbranch_scc1 .LBB23_2104
; %bb.2098:
	s_cmp_gt_i32 s23, 25
	s_mov_b64 s[16:17], 0
	s_cbranch_scc0 .LBB23_2105
; %bb.2099:
	s_cmp_gt_i32 s23, 28
	s_cbranch_scc0 .LBB23_2106
; %bb.2100:
	s_cmp_gt_i32 s23, 43
	;; [unrolled: 3-line block ×3, first 2 shown]
	s_cbranch_scc0 .LBB23_2109
; %bb.2102:
	s_cmp_eq_u32 s23, 46
	s_mov_b64 s[20:21], 0
	s_cbranch_scc0 .LBB23_2110
; %bb.2103:
	global_load_dword v1, v[19:20], off
	s_mov_b32 s6, 0x2f800000
	s_mov_b32 s7, 0xcf800000
	s_mov_b64 s[18:19], -1
	s_waitcnt vmcnt(0)
	v_lshlrev_b32_e32 v1, 16, v1
	v_trunc_f32_e32 v1, v1
	v_mul_f32_e64 v3, |v1|, s6
	v_floor_f32_e32 v3, v3
	v_fma_f32 v3, v3, s7, |v1|
	v_cvt_u32_f32_e32 v3, v3
	v_ashrrev_i32_e32 v1, 31, v1
	s_mov_b64 s[6:7], 0
	v_xor_b32_e32 v3, v3, v1
	v_sub_u32_e32 v17, v3, v1
	s_branch .LBB23_2111
.LBB23_2104:
	s_mov_b64 s[6:7], -1
	s_mov_b64 s[18:19], 0
                                        ; implicit-def: $vgpr17
	s_branch .LBB23_2173
.LBB23_2105:
	s_mov_b64 s[20:21], -1
	s_mov_b64 s[18:19], 0
	s_mov_b64 s[6:7], 0
                                        ; implicit-def: $vgpr17
	s_branch .LBB23_2138
.LBB23_2106:
	s_mov_b64 s[20:21], -1
	s_mov_b64 s[18:19], 0
	s_mov_b64 s[6:7], 0
                                        ; implicit-def: $vgpr17
	s_branch .LBB23_2121
.LBB23_2107:
	s_mov_b64 s[20:21], -1
	s_mov_b64 s[18:19], 0
	s_mov_b64 s[6:7], 0
                                        ; implicit-def: $vgpr17
	s_branch .LBB23_2116
.LBB23_2108:
	s_trap 2
	s_or_b64 s[4:5], s[4:5], exec
	s_cbranch_execz .LBB23_2045
	s_branch .LBB23_2046
.LBB23_2109:
	s_mov_b64 s[20:21], -1
	s_mov_b64 s[18:19], 0
	s_mov_b64 s[6:7], 0
                                        ; implicit-def: $vgpr17
	s_branch .LBB23_2111
.LBB23_2110:
	s_mov_b64 s[6:7], -1
                                        ; implicit-def: $vgpr17
	s_mov_b64 s[18:19], 0
.LBB23_2111:
	s_and_b64 vcc, exec, s[20:21]
	s_cbranch_vccz .LBB23_2115
; %bb.2112:
	s_cmp_eq_u32 s23, 44
	s_cbranch_scc0 .LBB23_2114
; %bb.2113:
	global_load_ubyte v1, v[19:20], off
	s_mov_b32 s6, 0x2f800000
	s_mov_b32 s7, 0xcf800000
	s_mov_b64 s[18:19], -1
	s_waitcnt vmcnt(0)
	v_lshlrev_b32_e32 v3, 23, v1
	v_trunc_f32_e32 v3, v3
	v_mul_f32_e64 v5, |v3|, s6
	v_floor_f32_e32 v5, v5
	v_fma_f32 v5, v5, s7, |v3|
	v_cvt_u32_f32_e32 v5, v5
	v_ashrrev_i32_e32 v3, 31, v3
	v_cmp_ne_u32_e32 vcc, 0, v1
	s_mov_b64 s[6:7], 0
	v_xor_b32_e32 v5, v5, v3
	v_sub_u32_e32 v3, v5, v3
	v_cndmask_b32_e32 v17, 0, v3, vcc
	s_branch .LBB23_2115
.LBB23_2114:
	s_mov_b64 s[6:7], -1
                                        ; implicit-def: $vgpr17
.LBB23_2115:
	s_mov_b64 s[20:21], 0
.LBB23_2116:
	s_and_b64 vcc, exec, s[20:21]
	s_cbranch_vccz .LBB23_2120
; %bb.2117:
	s_cmp_eq_u32 s23, 29
	s_cbranch_scc0 .LBB23_2119
; %bb.2118:
	global_load_dwordx2 v[17:18], v[19:20], off
	s_mov_b64 s[6:7], 0
	s_mov_b64 s[18:19], -1
	s_branch .LBB23_2120
.LBB23_2119:
	s_mov_b64 s[6:7], -1
                                        ; implicit-def: $vgpr17
.LBB23_2120:
	s_mov_b64 s[20:21], 0
.LBB23_2121:
	s_and_b64 vcc, exec, s[20:21]
	s_cbranch_vccz .LBB23_2137
; %bb.2122:
	s_cmp_lt_i32 s23, 27
	s_cbranch_scc1 .LBB23_2125
; %bb.2123:
	s_cmp_gt_i32 s23, 27
	s_cbranch_scc0 .LBB23_2126
; %bb.2124:
	global_load_dword v17, v[19:20], off
	s_mov_b64 s[18:19], 0
	s_branch .LBB23_2127
.LBB23_2125:
	s_mov_b64 s[18:19], -1
                                        ; implicit-def: $vgpr17
	s_branch .LBB23_2130
.LBB23_2126:
	s_mov_b64 s[18:19], -1
                                        ; implicit-def: $vgpr17
.LBB23_2127:
	s_andn2_b64 vcc, exec, s[18:19]
	s_cbranch_vccnz .LBB23_2129
; %bb.2128:
	global_load_ushort v17, v[19:20], off
.LBB23_2129:
	s_mov_b64 s[18:19], 0
.LBB23_2130:
	s_andn2_b64 vcc, exec, s[18:19]
	s_cbranch_vccnz .LBB23_2136
; %bb.2131:
	global_load_ubyte v1, v[19:20], off
	s_movk_i32 s18, 0x7f
	s_mov_b64 s[20:21], 0
	s_waitcnt vmcnt(0)
	v_cmp_lt_i16_e32 vcc, s18, v1
	s_and_saveexec_b64 s[18:19], vcc
	s_xor_b64 s[18:19], exec, s[18:19]
	s_cbranch_execz .LBB23_2148
; %bb.2132:
	s_movk_i32 s20, 0x80
	v_cmp_ne_u16_e32 vcc, s20, v1
	s_and_b64 s[20:21], vcc, exec
	s_andn2_saveexec_b64 s[18:19], s[18:19]
	s_cbranch_execnz .LBB23_2149
.LBB23_2133:
	s_or_b64 exec, exec, s[18:19]
	v_mov_b32_e32 v17, 0
	s_and_saveexec_b64 s[18:19], s[20:21]
	s_cbranch_execz .LBB23_2135
.LBB23_2134:
	v_lshlrev_b32_e32 v3, 24, v1
	v_and_b32_e32 v1, 0xffff, v1
	v_and_b32_e32 v5, 7, v1
	v_ffbh_u32_e32 v12, v5
	v_min_u32_e32 v12, 32, v12
	v_subrev_u32_e32 v15, 28, v12
	v_bfe_u32 v8, v1, 3, 4
	v_lshlrev_b32_e32 v1, v15, v1
	v_sub_u32_e32 v12, 29, v12
	v_and_b32_e32 v1, 7, v1
	v_cmp_eq_u32_e32 vcc, 0, v8
	v_cndmask_b32_e32 v8, v8, v12, vcc
	v_cndmask_b32_e32 v1, v5, v1, vcc
	v_mov_b32_e32 v5, 0x3b800000
	v_lshlrev_b32_e32 v1, 20, v1
	v_and_b32_e32 v3, 0x80000000, v3
	v_lshl_add_u32 v5, v8, 23, v5
	v_or3_b32 v1, v3, v5, v1
	v_trunc_f32_e32 v1, v1
	s_mov_b32 s20, 0x2f800000
	v_mul_f32_e64 v3, |v1|, s20
	v_floor_f32_e32 v3, v3
	s_mov_b32 s20, 0xcf800000
	v_fma_f32 v3, v3, s20, |v1|
	v_cvt_u32_f32_e32 v3, v3
	v_ashrrev_i32_e32 v1, 31, v1
	v_xor_b32_e32 v3, v3, v1
	v_sub_u32_e32 v17, v3, v1
.LBB23_2135:
	s_or_b64 exec, exec, s[18:19]
.LBB23_2136:
	s_mov_b64 s[18:19], -1
.LBB23_2137:
	s_mov_b64 s[20:21], 0
.LBB23_2138:
	s_and_b64 vcc, exec, s[20:21]
	s_cbranch_vccz .LBB23_2169
; %bb.2139:
	s_cmp_gt_i32 s23, 22
	s_cbranch_scc0 .LBB23_2147
; %bb.2140:
	s_cmp_lt_i32 s23, 24
	s_cbranch_scc1 .LBB23_2150
; %bb.2141:
	s_cmp_gt_i32 s23, 24
	s_cbranch_scc0 .LBB23_2151
; %bb.2142:
	global_load_ubyte v1, v[19:20], off
	s_movk_i32 s16, 0x7f
	s_mov_b64 s[18:19], 0
	s_waitcnt vmcnt(0)
	v_cmp_lt_i16_e32 vcc, s16, v1
	s_and_saveexec_b64 s[16:17], vcc
	s_xor_b64 s[16:17], exec, s[16:17]
	s_cbranch_execz .LBB23_2163
; %bb.2143:
	s_movk_i32 s18, 0x80
	v_cmp_ne_u16_e32 vcc, s18, v1
	s_and_b64 s[18:19], vcc, exec
	s_andn2_saveexec_b64 s[16:17], s[16:17]
	s_cbranch_execnz .LBB23_2164
.LBB23_2144:
	s_or_b64 exec, exec, s[16:17]
	v_mov_b32_e32 v17, 0
	s_and_saveexec_b64 s[16:17], s[18:19]
	s_cbranch_execz .LBB23_2146
.LBB23_2145:
	v_lshlrev_b32_e32 v3, 24, v1
	v_and_b32_e32 v1, 0xffff, v1
	v_and_b32_e32 v5, 3, v1
	v_ffbh_u32_e32 v12, v5
	v_min_u32_e32 v12, 32, v12
	v_subrev_u32_e32 v15, 29, v12
	v_bfe_u32 v8, v1, 2, 5
	v_lshlrev_b32_e32 v1, v15, v1
	v_sub_u32_e32 v12, 30, v12
	v_and_b32_e32 v1, 3, v1
	v_cmp_eq_u32_e32 vcc, 0, v8
	v_cndmask_b32_e32 v8, v8, v12, vcc
	v_cndmask_b32_e32 v1, v5, v1, vcc
	v_mov_b32_e32 v5, 0x37800000
	v_lshlrev_b32_e32 v1, 21, v1
	v_and_b32_e32 v3, 0x80000000, v3
	v_lshl_add_u32 v5, v8, 23, v5
	v_or3_b32 v1, v3, v5, v1
	v_trunc_f32_e32 v1, v1
	s_mov_b32 s18, 0x2f800000
	v_mul_f32_e64 v3, |v1|, s18
	v_floor_f32_e32 v3, v3
	s_mov_b32 s18, 0xcf800000
	v_fma_f32 v3, v3, s18, |v1|
	v_cvt_u32_f32_e32 v3, v3
	v_ashrrev_i32_e32 v1, 31, v1
	v_xor_b32_e32 v3, v3, v1
	v_sub_u32_e32 v17, v3, v1
.LBB23_2146:
	s_or_b64 exec, exec, s[16:17]
	s_mov_b64 s[16:17], 0
	s_branch .LBB23_2152
.LBB23_2147:
	s_mov_b64 s[16:17], -1
                                        ; implicit-def: $vgpr17
	s_branch .LBB23_2158
.LBB23_2148:
	s_andn2_saveexec_b64 s[18:19], s[18:19]
	s_cbranch_execz .LBB23_2133
.LBB23_2149:
	v_cmp_ne_u16_e32 vcc, 0, v1
	s_andn2_b64 s[20:21], s[20:21], exec
	s_and_b64 s[26:27], vcc, exec
	s_or_b64 s[20:21], s[20:21], s[26:27]
	s_or_b64 exec, exec, s[18:19]
	v_mov_b32_e32 v17, 0
	s_and_saveexec_b64 s[18:19], s[20:21]
	s_cbranch_execnz .LBB23_2134
	s_branch .LBB23_2135
.LBB23_2150:
	s_mov_b64 s[16:17], -1
                                        ; implicit-def: $vgpr17
	s_branch .LBB23_2155
.LBB23_2151:
	s_mov_b64 s[16:17], -1
                                        ; implicit-def: $vgpr17
.LBB23_2152:
	s_and_b64 vcc, exec, s[16:17]
	s_cbranch_vccz .LBB23_2154
; %bb.2153:
	global_load_ubyte v1, v[19:20], off
	s_mov_b32 s16, 0x7f800000
	s_brev_b32 s17, 1
	s_mov_b32 s18, 0x2f800000
	s_waitcnt vmcnt(0)
	v_lshlrev_b32_e32 v1, 24, v1
	v_and_b32_e32 v3, 0x7f000000, v1
	v_ffbh_u32_e32 v5, v3
	v_min_u32_e32 v5, 32, v5
	v_sub_u32_e64 v5, v5, 4 clamp
	v_lshlrev_b32_e32 v12, v5, v3
	v_lshlrev_b32_e32 v5, 23, v5
	v_lshrrev_b32_e32 v12, 4, v12
	v_add_u32_e32 v8, 0x1000000, v3
	v_sub_u32_e32 v5, v12, v5
	v_ashrrev_i32_e32 v8, 8, v8
	v_add_u32_e32 v5, 0x3c000000, v5
	v_and_or_b32 v5, v8, s16, v5
	v_cmp_ne_u32_e32 vcc, 0, v3
	v_cndmask_b32_e32 v3, 0, v5, vcc
	v_and_or_b32 v1, v1, s17, v3
	v_trunc_f32_e32 v1, v1
	v_mul_f32_e64 v3, |v1|, s18
	v_floor_f32_e32 v3, v3
	s_mov_b32 s16, 0xcf800000
	v_fma_f32 v3, v3, s16, |v1|
	v_cvt_u32_f32_e32 v3, v3
	v_ashrrev_i32_e32 v1, 31, v1
	v_xor_b32_e32 v3, v3, v1
	v_sub_u32_e32 v17, v3, v1
.LBB23_2154:
	s_mov_b64 s[16:17], 0
.LBB23_2155:
	s_andn2_b64 vcc, exec, s[16:17]
	s_cbranch_vccnz .LBB23_2157
; %bb.2156:
	global_load_ubyte v1, v[19:20], off
	s_movk_i32 s16, 0x7f00
	s_brev_b32 s17, 16
	s_brev_b32 s18, 1
	s_mov_b32 s19, 0x2f800000
	s_waitcnt vmcnt(0)
	v_lshlrev_b16_e32 v3, 8, v1
	v_lshlrev_b32_e32 v1, 25, v1
	v_lshrrev_b32_e32 v5, 4, v1
	v_and_or_b32 v8, v3, s16, 0.5
	v_or_b32_e32 v5, 0x70000000, v5
	v_add_f32_e32 v8, -0.5, v8
	v_mul_f32_e32 v5, 0x7800000, v5
	v_cmp_gt_u32_e32 vcc, s17, v1
	v_bfe_i32 v3, v3, 0, 16
	v_cndmask_b32_e32 v1, v5, v8, vcc
	v_and_or_b32 v1, v3, s18, v1
	v_trunc_f32_e32 v1, v1
	v_mul_f32_e64 v3, |v1|, s19
	v_floor_f32_e32 v3, v3
	s_mov_b32 s16, 0xcf800000
	v_fma_f32 v3, v3, s16, |v1|
	v_cvt_u32_f32_e32 v3, v3
	v_ashrrev_i32_e32 v1, 31, v1
	v_xor_b32_e32 v3, v3, v1
	v_sub_u32_e32 v17, v3, v1
.LBB23_2157:
	s_mov_b64 s[16:17], 0
	s_mov_b64 s[18:19], -1
.LBB23_2158:
	s_andn2_b64 vcc, exec, s[16:17]
	s_mov_b64 s[16:17], 0
	s_cbranch_vccnz .LBB23_2169
; %bb.2159:
	s_cmp_gt_i32 s23, 14
	s_cbranch_scc0 .LBB23_2162
; %bb.2160:
	s_cmp_eq_u32 s23, 15
	s_cbranch_scc0 .LBB23_2165
; %bb.2161:
	global_load_ushort v1, v[19:20], off
	s_mov_b32 s6, 0x2f800000
	s_mov_b32 s7, 0xcf800000
	s_mov_b64 s[18:19], -1
	s_waitcnt vmcnt(0)
	v_lshlrev_b32_e32 v1, 16, v1
	v_trunc_f32_e32 v1, v1
	v_mul_f32_e64 v3, |v1|, s6
	v_floor_f32_e32 v3, v3
	v_fma_f32 v3, v3, s7, |v1|
	v_cvt_u32_f32_e32 v3, v3
	v_ashrrev_i32_e32 v1, 31, v1
	s_mov_b64 s[6:7], 0
	v_xor_b32_e32 v3, v3, v1
	v_sub_u32_e32 v17, v3, v1
	s_branch .LBB23_2166
.LBB23_2162:
	s_mov_b64 s[20:21], -1
                                        ; implicit-def: $vgpr17
	s_branch .LBB23_2167
.LBB23_2163:
	s_andn2_saveexec_b64 s[16:17], s[16:17]
	s_cbranch_execz .LBB23_2144
.LBB23_2164:
	v_cmp_ne_u16_e32 vcc, 0, v1
	s_andn2_b64 s[18:19], s[18:19], exec
	s_and_b64 s[20:21], vcc, exec
	s_or_b64 s[18:19], s[18:19], s[20:21]
	s_or_b64 exec, exec, s[16:17]
	v_mov_b32_e32 v17, 0
	s_and_saveexec_b64 s[16:17], s[18:19]
	s_cbranch_execnz .LBB23_2145
	s_branch .LBB23_2146
.LBB23_2165:
	s_mov_b64 s[6:7], -1
                                        ; implicit-def: $vgpr17
.LBB23_2166:
	s_mov_b64 s[20:21], 0
.LBB23_2167:
	s_and_b64 vcc, exec, s[20:21]
	s_cbranch_vccz .LBB23_2169
; %bb.2168:
	s_cmp_lg_u32 s23, 11
	s_mov_b64 s[16:17], -1
	s_cselect_b64 s[6:7], -1, 0
.LBB23_2169:
	s_and_b64 vcc, exec, s[6:7]
	s_cbranch_vccnz .LBB23_2234
; %bb.2170:
	s_andn2_b64 vcc, exec, s[16:17]
	s_cbranch_vccnz .LBB23_2172
.LBB23_2171:
	global_load_ubyte v1, v[19:20], off
	s_mov_b64 s[18:19], -1
	s_waitcnt vmcnt(0)
	v_cmp_ne_u16_e32 vcc, 0, v1
	v_cndmask_b32_e64 v17, 0, 1, vcc
.LBB23_2172:
	s_mov_b64 s[6:7], 0
.LBB23_2173:
	s_and_b64 vcc, exec, s[6:7]
	s_cbranch_vccz .LBB23_2222
; %bb.2174:
	s_cmp_lt_i32 s23, 5
	s_cbranch_scc1 .LBB23_2179
; %bb.2175:
	s_cmp_lt_i32 s23, 8
	s_cbranch_scc1 .LBB23_2180
	;; [unrolled: 3-line block ×3, first 2 shown]
; %bb.2177:
	s_cmp_gt_i32 s23, 9
	s_cbranch_scc0 .LBB23_2182
; %bb.2178:
	global_load_dwordx2 v[17:18], v[19:20], off
	s_movk_i32 s6, 0xffe0
	s_waitcnt vmcnt(0)
	v_trunc_f64_e32 v[17:18], v[17:18]
	v_ldexp_f64 v[21:22], v[17:18], s6
	s_mov_b32 s6, 0
	s_mov_b32 s7, 0xc1f00000
	v_floor_f64_e32 v[21:22], v[21:22]
	v_fma_f64 v[17:18], v[21:22], s[6:7], v[17:18]
	s_mov_b64 s[6:7], 0
	v_cvt_u32_f64_e32 v17, v[17:18]
	s_branch .LBB23_2183
.LBB23_2179:
	s_mov_b64 s[6:7], -1
                                        ; implicit-def: $vgpr17
	s_branch .LBB23_2201
.LBB23_2180:
	s_mov_b64 s[6:7], -1
                                        ; implicit-def: $vgpr17
	s_branch .LBB23_2189
.LBB23_2181:
	s_mov_b64 s[6:7], -1
                                        ; implicit-def: $vgpr17
	s_branch .LBB23_2186
.LBB23_2182:
	s_mov_b64 s[6:7], -1
                                        ; implicit-def: $vgpr17
.LBB23_2183:
	s_andn2_b64 vcc, exec, s[6:7]
	s_cbranch_vccnz .LBB23_2185
; %bb.2184:
	global_load_dword v1, v[19:20], off
	s_mov_b32 s6, 0x2f800000
	s_waitcnt vmcnt(0)
	v_trunc_f32_e32 v1, v1
	v_mul_f32_e64 v3, |v1|, s6
	v_floor_f32_e32 v3, v3
	s_mov_b32 s6, 0xcf800000
	v_fma_f32 v3, v3, s6, |v1|
	v_cvt_u32_f32_e32 v3, v3
	v_ashrrev_i32_e32 v1, 31, v1
	v_xor_b32_e32 v3, v3, v1
	v_sub_u32_e32 v17, v3, v1
.LBB23_2185:
	s_mov_b64 s[6:7], 0
.LBB23_2186:
	s_andn2_b64 vcc, exec, s[6:7]
	s_cbranch_vccnz .LBB23_2188
; %bb.2187:
	global_load_dword v1, v[19:20], off
	s_waitcnt vmcnt(0)
	v_cvt_f32_f16_e32 v1, v1
	v_cvt_i32_f32_e32 v17, v1
.LBB23_2188:
	s_mov_b64 s[6:7], 0
.LBB23_2189:
	s_andn2_b64 vcc, exec, s[6:7]
	s_cbranch_vccnz .LBB23_2200
; %bb.2190:
	s_cmp_lt_i32 s23, 6
	s_cbranch_scc1 .LBB23_2193
; %bb.2191:
	s_cmp_gt_i32 s23, 6
	s_cbranch_scc0 .LBB23_2194
; %bb.2192:
	global_load_dwordx2 v[17:18], v[19:20], off
	s_movk_i32 s6, 0xffe0
	s_waitcnt vmcnt(0)
	v_trunc_f64_e32 v[17:18], v[17:18]
	v_ldexp_f64 v[21:22], v[17:18], s6
	s_mov_b32 s6, 0
	s_mov_b32 s7, 0xc1f00000
	v_floor_f64_e32 v[21:22], v[21:22]
	v_fma_f64 v[17:18], v[21:22], s[6:7], v[17:18]
	s_mov_b64 s[6:7], 0
	v_cvt_u32_f64_e32 v17, v[17:18]
	s_branch .LBB23_2195
.LBB23_2193:
	s_mov_b64 s[6:7], -1
                                        ; implicit-def: $vgpr17
	s_branch .LBB23_2198
.LBB23_2194:
	s_mov_b64 s[6:7], -1
                                        ; implicit-def: $vgpr17
.LBB23_2195:
	s_andn2_b64 vcc, exec, s[6:7]
	s_cbranch_vccnz .LBB23_2197
; %bb.2196:
	global_load_dword v1, v[19:20], off
	s_mov_b32 s6, 0x2f800000
	s_waitcnt vmcnt(0)
	v_trunc_f32_e32 v1, v1
	v_mul_f32_e64 v3, |v1|, s6
	v_floor_f32_e32 v3, v3
	s_mov_b32 s6, 0xcf800000
	v_fma_f32 v3, v3, s6, |v1|
	v_cvt_u32_f32_e32 v3, v3
	v_ashrrev_i32_e32 v1, 31, v1
	v_xor_b32_e32 v3, v3, v1
	v_sub_u32_e32 v17, v3, v1
.LBB23_2197:
	s_mov_b64 s[6:7], 0
.LBB23_2198:
	s_andn2_b64 vcc, exec, s[6:7]
	s_cbranch_vccnz .LBB23_2200
; %bb.2199:
	global_load_ushort v1, v[19:20], off
	s_waitcnt vmcnt(0)
	v_cvt_f32_f16_e32 v1, v1
	v_cvt_i32_f32_e32 v17, v1
.LBB23_2200:
	s_mov_b64 s[6:7], 0
.LBB23_2201:
	s_andn2_b64 vcc, exec, s[6:7]
	s_cbranch_vccnz .LBB23_2221
; %bb.2202:
	s_cmp_lt_i32 s23, 2
	s_cbranch_scc1 .LBB23_2206
; %bb.2203:
	s_cmp_lt_i32 s23, 3
	s_cbranch_scc1 .LBB23_2207
; %bb.2204:
	s_cmp_gt_i32 s23, 3
	s_cbranch_scc0 .LBB23_2208
; %bb.2205:
	global_load_dwordx2 v[17:18], v[19:20], off
	s_mov_b64 s[6:7], 0
	s_branch .LBB23_2209
.LBB23_2206:
	s_mov_b64 s[6:7], -1
                                        ; implicit-def: $vgpr17
	s_branch .LBB23_2215
.LBB23_2207:
	s_mov_b64 s[6:7], -1
                                        ; implicit-def: $vgpr17
	s_branch .LBB23_2212
.LBB23_2208:
	s_mov_b64 s[6:7], -1
                                        ; implicit-def: $vgpr17
.LBB23_2209:
	s_andn2_b64 vcc, exec, s[6:7]
	s_cbranch_vccnz .LBB23_2211
; %bb.2210:
	global_load_dword v17, v[19:20], off
.LBB23_2211:
	s_mov_b64 s[6:7], 0
.LBB23_2212:
	s_andn2_b64 vcc, exec, s[6:7]
	s_cbranch_vccnz .LBB23_2214
; %bb.2213:
	global_load_ushort v17, v[19:20], off
.LBB23_2214:
	s_mov_b64 s[6:7], 0
.LBB23_2215:
	s_andn2_b64 vcc, exec, s[6:7]
	s_cbranch_vccnz .LBB23_2221
; %bb.2216:
	s_cmp_gt_i32 s23, 0
	s_cbranch_scc0 .LBB23_2218
; %bb.2217:
	global_load_ubyte v17, v[19:20], off
	s_mov_b64 s[6:7], 0
	s_branch .LBB23_2219
.LBB23_2218:
	s_mov_b64 s[6:7], -1
                                        ; implicit-def: $vgpr17
.LBB23_2219:
	s_andn2_b64 vcc, exec, s[6:7]
	s_cbranch_vccnz .LBB23_2221
; %bb.2220:
	global_load_ubyte v17, v[19:20], off
.LBB23_2221:
	s_mov_b64 s[18:19], -1
.LBB23_2222:
	s_andn2_b64 vcc, exec, s[18:19]
	s_cbranch_vccnz .LBB23_3036
; %bb.2223:
	v_mov_b32_e32 v1, s1
	s_waitcnt vmcnt(0)
	v_add_co_u32_e32 v18, vcc, s0, v16
	s_cmp_lt_i32 s24, 11
	v_addc_co_u32_e32 v19, vcc, 0, v1, vcc
	s_cbranch_scc1 .LBB23_2230
; %bb.2224:
	s_cmp_gt_i32 s24, 25
	s_mov_b64 s[16:17], 0
	s_cbranch_scc0 .LBB23_2231
; %bb.2225:
	s_cmp_gt_i32 s24, 28
	s_cbranch_scc0 .LBB23_2232
; %bb.2226:
	s_cmp_gt_i32 s24, 43
	;; [unrolled: 3-line block ×3, first 2 shown]
	s_cbranch_scc0 .LBB23_2235
; %bb.2228:
	s_cmp_eq_u32 s24, 46
	s_mov_b64 s[20:21], 0
	s_cbranch_scc0 .LBB23_2238
; %bb.2229:
	global_load_dword v1, v[18:19], off
	s_mov_b32 s6, 0x2f800000
	s_mov_b32 s7, 0xcf800000
	s_mov_b64 s[18:19], -1
	s_waitcnt vmcnt(0)
	v_lshlrev_b32_e32 v1, 16, v1
	v_trunc_f32_e32 v1, v1
	v_mul_f32_e64 v3, |v1|, s6
	v_floor_f32_e32 v3, v3
	v_fma_f32 v3, v3, s7, |v1|
	v_cvt_u32_f32_e32 v3, v3
	v_ashrrev_i32_e32 v1, 31, v1
	s_mov_b64 s[6:7], 0
	v_xor_b32_e32 v3, v3, v1
	v_sub_u32_e32 v15, v3, v1
	s_branch .LBB23_2239
.LBB23_2230:
	s_mov_b64 s[6:7], -1
	s_mov_b64 s[18:19], 0
                                        ; implicit-def: $vgpr15
	s_branch .LBB23_2301
.LBB23_2231:
	s_mov_b64 s[20:21], -1
	s_mov_b64 s[18:19], 0
	s_mov_b64 s[6:7], 0
                                        ; implicit-def: $vgpr15
	s_branch .LBB23_2266
.LBB23_2232:
	s_mov_b64 s[20:21], -1
	s_mov_b64 s[18:19], 0
	s_mov_b64 s[6:7], 0
                                        ; implicit-def: $vgpr15
	s_branch .LBB23_2249
.LBB23_2233:
	s_mov_b64 s[20:21], -1
	s_mov_b64 s[18:19], 0
	s_mov_b64 s[6:7], 0
                                        ; implicit-def: $vgpr15
	s_branch .LBB23_2244
.LBB23_2234:
	s_trap 2
	s_or_b64 s[4:5], s[4:5], exec
	s_cbranch_execz .LBB23_2171
	s_branch .LBB23_2172
.LBB23_2235:
	s_mov_b64 s[20:21], -1
	s_mov_b64 s[18:19], 0
	s_mov_b64 s[6:7], 0
                                        ; implicit-def: $vgpr15
	s_branch .LBB23_2239
.LBB23_2236:
	s_andn2_saveexec_b64 s[66:67], s[66:67]
	s_cbranch_execz .LBB23_1095
.LBB23_2237:
	v_add_f32_e32 v3, 0x42800000, v4
	v_and_b32_e32 v3, 0xff, v3
	v_cmp_ne_u32_e32 vcc, 0, v3
	s_andn2_b64 s[64:65], s[64:65], exec
	s_and_b64 s[76:77], vcc, exec
	s_or_b64 s[64:65], s[64:65], s[76:77]
	s_or_b64 exec, exec, s[66:67]
	v_mov_b32_e32 v5, 0
	s_and_saveexec_b64 s[66:67], s[64:65]
	s_cbranch_execnz .LBB23_1096
	s_branch .LBB23_1097
.LBB23_2238:
	s_mov_b64 s[6:7], -1
                                        ; implicit-def: $vgpr15
	s_mov_b64 s[18:19], 0
.LBB23_2239:
	s_and_b64 vcc, exec, s[20:21]
	s_cbranch_vccz .LBB23_2243
; %bb.2240:
	s_cmp_eq_u32 s24, 44
	s_cbranch_scc0 .LBB23_2242
; %bb.2241:
	global_load_ubyte v1, v[18:19], off
	s_mov_b32 s6, 0x2f800000
	s_mov_b32 s7, 0xcf800000
	s_mov_b64 s[18:19], -1
	s_waitcnt vmcnt(0)
	v_lshlrev_b32_e32 v3, 23, v1
	v_trunc_f32_e32 v3, v3
	v_mul_f32_e64 v5, |v3|, s6
	v_floor_f32_e32 v5, v5
	v_fma_f32 v5, v5, s7, |v3|
	v_cvt_u32_f32_e32 v5, v5
	v_ashrrev_i32_e32 v3, 31, v3
	v_cmp_ne_u32_e32 vcc, 0, v1
	s_mov_b64 s[6:7], 0
	v_xor_b32_e32 v5, v5, v3
	v_sub_u32_e32 v3, v5, v3
	v_cndmask_b32_e32 v15, 0, v3, vcc
	s_branch .LBB23_2243
.LBB23_2242:
	s_mov_b64 s[6:7], -1
                                        ; implicit-def: $vgpr15
.LBB23_2243:
	s_mov_b64 s[20:21], 0
.LBB23_2244:
	s_and_b64 vcc, exec, s[20:21]
	s_cbranch_vccz .LBB23_2248
; %bb.2245:
	s_cmp_eq_u32 s24, 29
	s_cbranch_scc0 .LBB23_2247
; %bb.2246:
	global_load_dwordx2 v[15:16], v[18:19], off
	s_mov_b64 s[6:7], 0
	s_mov_b64 s[18:19], -1
	s_branch .LBB23_2248
.LBB23_2247:
	s_mov_b64 s[6:7], -1
                                        ; implicit-def: $vgpr15
.LBB23_2248:
	s_mov_b64 s[20:21], 0
.LBB23_2249:
	s_and_b64 vcc, exec, s[20:21]
	s_cbranch_vccz .LBB23_2265
; %bb.2250:
	s_cmp_lt_i32 s24, 27
	s_cbranch_scc1 .LBB23_2253
; %bb.2251:
	s_cmp_gt_i32 s24, 27
	s_cbranch_scc0 .LBB23_2254
; %bb.2252:
	global_load_dword v15, v[18:19], off
	s_mov_b64 s[18:19], 0
	s_branch .LBB23_2255
.LBB23_2253:
	s_mov_b64 s[18:19], -1
                                        ; implicit-def: $vgpr15
	s_branch .LBB23_2258
.LBB23_2254:
	s_mov_b64 s[18:19], -1
                                        ; implicit-def: $vgpr15
.LBB23_2255:
	s_andn2_b64 vcc, exec, s[18:19]
	s_cbranch_vccnz .LBB23_2257
; %bb.2256:
	global_load_ushort v15, v[18:19], off
.LBB23_2257:
	s_mov_b64 s[18:19], 0
.LBB23_2258:
	s_andn2_b64 vcc, exec, s[18:19]
	s_cbranch_vccnz .LBB23_2264
; %bb.2259:
	global_load_ubyte v1, v[18:19], off
	s_movk_i32 s18, 0x7f
	s_mov_b64 s[20:21], 0
	s_waitcnt vmcnt(0)
	v_cmp_lt_i16_e32 vcc, s18, v1
	s_and_saveexec_b64 s[18:19], vcc
	s_xor_b64 s[18:19], exec, s[18:19]
	s_cbranch_execz .LBB23_2276
; %bb.2260:
	s_movk_i32 s20, 0x80
	v_cmp_ne_u16_e32 vcc, s20, v1
	s_and_b64 s[20:21], vcc, exec
	s_andn2_saveexec_b64 s[18:19], s[18:19]
	s_cbranch_execnz .LBB23_2277
.LBB23_2261:
	s_or_b64 exec, exec, s[18:19]
	v_mov_b32_e32 v15, 0
	s_and_saveexec_b64 s[18:19], s[20:21]
	s_cbranch_execz .LBB23_2263
.LBB23_2262:
	v_lshlrev_b32_e32 v3, 24, v1
	v_and_b32_e32 v1, 0xffff, v1
	v_and_b32_e32 v5, 7, v1
	v_ffbh_u32_e32 v12, v5
	v_min_u32_e32 v12, 32, v12
	v_subrev_u32_e32 v15, 28, v12
	v_bfe_u32 v8, v1, 3, 4
	v_lshlrev_b32_e32 v1, v15, v1
	v_sub_u32_e32 v12, 29, v12
	v_and_b32_e32 v1, 7, v1
	v_cmp_eq_u32_e32 vcc, 0, v8
	v_cndmask_b32_e32 v8, v8, v12, vcc
	v_cndmask_b32_e32 v1, v5, v1, vcc
	v_mov_b32_e32 v5, 0x3b800000
	v_lshlrev_b32_e32 v1, 20, v1
	v_and_b32_e32 v3, 0x80000000, v3
	v_lshl_add_u32 v5, v8, 23, v5
	v_or3_b32 v1, v3, v5, v1
	v_trunc_f32_e32 v1, v1
	s_mov_b32 s20, 0x2f800000
	v_mul_f32_e64 v3, |v1|, s20
	v_floor_f32_e32 v3, v3
	s_mov_b32 s20, 0xcf800000
	v_fma_f32 v3, v3, s20, |v1|
	v_cvt_u32_f32_e32 v3, v3
	v_ashrrev_i32_e32 v1, 31, v1
	v_xor_b32_e32 v3, v3, v1
	v_sub_u32_e32 v15, v3, v1
.LBB23_2263:
	s_or_b64 exec, exec, s[18:19]
.LBB23_2264:
	s_mov_b64 s[18:19], -1
.LBB23_2265:
	s_mov_b64 s[20:21], 0
.LBB23_2266:
	s_and_b64 vcc, exec, s[20:21]
	s_cbranch_vccz .LBB23_2297
; %bb.2267:
	s_cmp_gt_i32 s24, 22
	s_cbranch_scc0 .LBB23_2275
; %bb.2268:
	s_cmp_lt_i32 s24, 24
	s_cbranch_scc1 .LBB23_2278
; %bb.2269:
	s_cmp_gt_i32 s24, 24
	s_cbranch_scc0 .LBB23_2279
; %bb.2270:
	global_load_ubyte v1, v[18:19], off
	s_movk_i32 s16, 0x7f
	s_mov_b64 s[18:19], 0
	s_waitcnt vmcnt(0)
	v_cmp_lt_i16_e32 vcc, s16, v1
	s_and_saveexec_b64 s[16:17], vcc
	s_xor_b64 s[16:17], exec, s[16:17]
	s_cbranch_execz .LBB23_2291
; %bb.2271:
	s_movk_i32 s18, 0x80
	v_cmp_ne_u16_e32 vcc, s18, v1
	s_and_b64 s[18:19], vcc, exec
	s_andn2_saveexec_b64 s[16:17], s[16:17]
	s_cbranch_execnz .LBB23_2292
.LBB23_2272:
	s_or_b64 exec, exec, s[16:17]
	v_mov_b32_e32 v15, 0
	s_and_saveexec_b64 s[16:17], s[18:19]
	s_cbranch_execz .LBB23_2274
.LBB23_2273:
	v_lshlrev_b32_e32 v3, 24, v1
	v_and_b32_e32 v1, 0xffff, v1
	v_and_b32_e32 v5, 3, v1
	v_ffbh_u32_e32 v12, v5
	v_min_u32_e32 v12, 32, v12
	v_subrev_u32_e32 v15, 29, v12
	v_bfe_u32 v8, v1, 2, 5
	v_lshlrev_b32_e32 v1, v15, v1
	v_sub_u32_e32 v12, 30, v12
	v_and_b32_e32 v1, 3, v1
	v_cmp_eq_u32_e32 vcc, 0, v8
	v_cndmask_b32_e32 v8, v8, v12, vcc
	v_cndmask_b32_e32 v1, v5, v1, vcc
	v_mov_b32_e32 v5, 0x37800000
	v_lshlrev_b32_e32 v1, 21, v1
	v_and_b32_e32 v3, 0x80000000, v3
	v_lshl_add_u32 v5, v8, 23, v5
	v_or3_b32 v1, v3, v5, v1
	v_trunc_f32_e32 v1, v1
	s_mov_b32 s18, 0x2f800000
	v_mul_f32_e64 v3, |v1|, s18
	v_floor_f32_e32 v3, v3
	s_mov_b32 s18, 0xcf800000
	v_fma_f32 v3, v3, s18, |v1|
	v_cvt_u32_f32_e32 v3, v3
	v_ashrrev_i32_e32 v1, 31, v1
	v_xor_b32_e32 v3, v3, v1
	v_sub_u32_e32 v15, v3, v1
.LBB23_2274:
	s_or_b64 exec, exec, s[16:17]
	s_mov_b64 s[16:17], 0
	s_branch .LBB23_2280
.LBB23_2275:
	s_mov_b64 s[16:17], -1
                                        ; implicit-def: $vgpr15
	s_branch .LBB23_2286
.LBB23_2276:
	s_andn2_saveexec_b64 s[18:19], s[18:19]
	s_cbranch_execz .LBB23_2261
.LBB23_2277:
	v_cmp_ne_u16_e32 vcc, 0, v1
	s_andn2_b64 s[20:21], s[20:21], exec
	s_and_b64 s[26:27], vcc, exec
	s_or_b64 s[20:21], s[20:21], s[26:27]
	s_or_b64 exec, exec, s[18:19]
	v_mov_b32_e32 v15, 0
	s_and_saveexec_b64 s[18:19], s[20:21]
	s_cbranch_execnz .LBB23_2262
	s_branch .LBB23_2263
.LBB23_2278:
	s_mov_b64 s[16:17], -1
                                        ; implicit-def: $vgpr15
	s_branch .LBB23_2283
.LBB23_2279:
	s_mov_b64 s[16:17], -1
                                        ; implicit-def: $vgpr15
.LBB23_2280:
	s_and_b64 vcc, exec, s[16:17]
	s_cbranch_vccz .LBB23_2282
; %bb.2281:
	global_load_ubyte v1, v[18:19], off
	s_mov_b32 s16, 0x7f800000
	s_brev_b32 s17, 1
	s_mov_b32 s18, 0x2f800000
	s_waitcnt vmcnt(0)
	v_lshlrev_b32_e32 v1, 24, v1
	v_and_b32_e32 v3, 0x7f000000, v1
	v_ffbh_u32_e32 v5, v3
	v_min_u32_e32 v5, 32, v5
	v_sub_u32_e64 v5, v5, 4 clamp
	v_lshlrev_b32_e32 v12, v5, v3
	v_lshlrev_b32_e32 v5, 23, v5
	v_lshrrev_b32_e32 v12, 4, v12
	v_add_u32_e32 v8, 0x1000000, v3
	v_sub_u32_e32 v5, v12, v5
	v_ashrrev_i32_e32 v8, 8, v8
	v_add_u32_e32 v5, 0x3c000000, v5
	v_and_or_b32 v5, v8, s16, v5
	v_cmp_ne_u32_e32 vcc, 0, v3
	v_cndmask_b32_e32 v3, 0, v5, vcc
	v_and_or_b32 v1, v1, s17, v3
	v_trunc_f32_e32 v1, v1
	v_mul_f32_e64 v3, |v1|, s18
	v_floor_f32_e32 v3, v3
	s_mov_b32 s16, 0xcf800000
	v_fma_f32 v3, v3, s16, |v1|
	v_cvt_u32_f32_e32 v3, v3
	v_ashrrev_i32_e32 v1, 31, v1
	v_xor_b32_e32 v3, v3, v1
	v_sub_u32_e32 v15, v3, v1
.LBB23_2282:
	s_mov_b64 s[16:17], 0
.LBB23_2283:
	s_andn2_b64 vcc, exec, s[16:17]
	s_cbranch_vccnz .LBB23_2285
; %bb.2284:
	global_load_ubyte v1, v[18:19], off
	s_movk_i32 s16, 0x7f00
	s_brev_b32 s17, 16
	s_brev_b32 s18, 1
	s_mov_b32 s19, 0x2f800000
	s_waitcnt vmcnt(0)
	v_lshlrev_b16_e32 v3, 8, v1
	v_lshlrev_b32_e32 v1, 25, v1
	v_lshrrev_b32_e32 v5, 4, v1
	v_and_or_b32 v8, v3, s16, 0.5
	v_or_b32_e32 v5, 0x70000000, v5
	v_add_f32_e32 v8, -0.5, v8
	v_mul_f32_e32 v5, 0x7800000, v5
	v_cmp_gt_u32_e32 vcc, s17, v1
	v_bfe_i32 v3, v3, 0, 16
	v_cndmask_b32_e32 v1, v5, v8, vcc
	v_and_or_b32 v1, v3, s18, v1
	v_trunc_f32_e32 v1, v1
	v_mul_f32_e64 v3, |v1|, s19
	v_floor_f32_e32 v3, v3
	s_mov_b32 s16, 0xcf800000
	v_fma_f32 v3, v3, s16, |v1|
	v_cvt_u32_f32_e32 v3, v3
	v_ashrrev_i32_e32 v1, 31, v1
	v_xor_b32_e32 v3, v3, v1
	v_sub_u32_e32 v15, v3, v1
.LBB23_2285:
	s_mov_b64 s[16:17], 0
	s_mov_b64 s[18:19], -1
.LBB23_2286:
	s_andn2_b64 vcc, exec, s[16:17]
	s_mov_b64 s[16:17], 0
	s_cbranch_vccnz .LBB23_2297
; %bb.2287:
	s_cmp_gt_i32 s24, 14
	s_cbranch_scc0 .LBB23_2290
; %bb.2288:
	s_cmp_eq_u32 s24, 15
	s_cbranch_scc0 .LBB23_2293
; %bb.2289:
	global_load_ushort v1, v[18:19], off
	s_mov_b32 s6, 0x2f800000
	s_mov_b32 s7, 0xcf800000
	s_mov_b64 s[18:19], -1
	s_waitcnt vmcnt(0)
	v_lshlrev_b32_e32 v1, 16, v1
	v_trunc_f32_e32 v1, v1
	v_mul_f32_e64 v3, |v1|, s6
	v_floor_f32_e32 v3, v3
	v_fma_f32 v3, v3, s7, |v1|
	v_cvt_u32_f32_e32 v3, v3
	v_ashrrev_i32_e32 v1, 31, v1
	s_mov_b64 s[6:7], 0
	v_xor_b32_e32 v3, v3, v1
	v_sub_u32_e32 v15, v3, v1
	s_branch .LBB23_2294
.LBB23_2290:
	s_mov_b64 s[20:21], -1
                                        ; implicit-def: $vgpr15
	s_branch .LBB23_2295
.LBB23_2291:
	s_andn2_saveexec_b64 s[16:17], s[16:17]
	s_cbranch_execz .LBB23_2272
.LBB23_2292:
	v_cmp_ne_u16_e32 vcc, 0, v1
	s_andn2_b64 s[18:19], s[18:19], exec
	s_and_b64 s[20:21], vcc, exec
	s_or_b64 s[18:19], s[18:19], s[20:21]
	s_or_b64 exec, exec, s[16:17]
	v_mov_b32_e32 v15, 0
	s_and_saveexec_b64 s[16:17], s[18:19]
	s_cbranch_execnz .LBB23_2273
	s_branch .LBB23_2274
.LBB23_2293:
	s_mov_b64 s[6:7], -1
                                        ; implicit-def: $vgpr15
.LBB23_2294:
	s_mov_b64 s[20:21], 0
.LBB23_2295:
	s_and_b64 vcc, exec, s[20:21]
	s_cbranch_vccz .LBB23_2297
; %bb.2296:
	s_cmp_lg_u32 s24, 11
	s_mov_b64 s[16:17], -1
	s_cselect_b64 s[6:7], -1, 0
.LBB23_2297:
	s_and_b64 vcc, exec, s[6:7]
	s_cbranch_vccnz .LBB23_2362
; %bb.2298:
	s_andn2_b64 vcc, exec, s[16:17]
	s_cbranch_vccnz .LBB23_2300
.LBB23_2299:
	global_load_ubyte v1, v[18:19], off
	s_mov_b64 s[18:19], -1
	s_waitcnt vmcnt(0)
	v_cmp_ne_u16_e32 vcc, 0, v1
	v_cndmask_b32_e64 v15, 0, 1, vcc
.LBB23_2300:
	s_mov_b64 s[6:7], 0
.LBB23_2301:
	s_and_b64 vcc, exec, s[6:7]
	s_cbranch_vccz .LBB23_2350
; %bb.2302:
	s_cmp_lt_i32 s24, 5
	s_cbranch_scc1 .LBB23_2307
; %bb.2303:
	s_cmp_lt_i32 s24, 8
	s_cbranch_scc1 .LBB23_2308
; %bb.2304:
	s_cmp_lt_i32 s24, 9
	s_cbranch_scc1 .LBB23_2309
; %bb.2305:
	s_cmp_gt_i32 s24, 9
	s_cbranch_scc0 .LBB23_2310
; %bb.2306:
	global_load_dwordx2 v[15:16], v[18:19], off
	s_movk_i32 s6, 0xffe0
	s_waitcnt vmcnt(0)
	v_trunc_f64_e32 v[15:16], v[15:16]
	v_ldexp_f64 v[20:21], v[15:16], s6
	s_mov_b32 s6, 0
	s_mov_b32 s7, 0xc1f00000
	v_floor_f64_e32 v[20:21], v[20:21]
	v_fma_f64 v[15:16], v[20:21], s[6:7], v[15:16]
	s_mov_b64 s[6:7], 0
	v_cvt_u32_f64_e32 v15, v[15:16]
	s_branch .LBB23_2311
.LBB23_2307:
	s_mov_b64 s[6:7], -1
                                        ; implicit-def: $vgpr15
	s_branch .LBB23_2329
.LBB23_2308:
	s_mov_b64 s[6:7], -1
                                        ; implicit-def: $vgpr15
	s_branch .LBB23_2317
.LBB23_2309:
	s_mov_b64 s[6:7], -1
                                        ; implicit-def: $vgpr15
	s_branch .LBB23_2314
.LBB23_2310:
	s_mov_b64 s[6:7], -1
                                        ; implicit-def: $vgpr15
.LBB23_2311:
	s_andn2_b64 vcc, exec, s[6:7]
	s_cbranch_vccnz .LBB23_2313
; %bb.2312:
	global_load_dword v1, v[18:19], off
	s_mov_b32 s6, 0x2f800000
	s_waitcnt vmcnt(0)
	v_trunc_f32_e32 v1, v1
	v_mul_f32_e64 v3, |v1|, s6
	v_floor_f32_e32 v3, v3
	s_mov_b32 s6, 0xcf800000
	v_fma_f32 v3, v3, s6, |v1|
	v_cvt_u32_f32_e32 v3, v3
	v_ashrrev_i32_e32 v1, 31, v1
	v_xor_b32_e32 v3, v3, v1
	v_sub_u32_e32 v15, v3, v1
.LBB23_2313:
	s_mov_b64 s[6:7], 0
.LBB23_2314:
	s_andn2_b64 vcc, exec, s[6:7]
	s_cbranch_vccnz .LBB23_2316
; %bb.2315:
	global_load_dword v1, v[18:19], off
	s_waitcnt vmcnt(0)
	v_cvt_f32_f16_e32 v1, v1
	v_cvt_i32_f32_e32 v15, v1
.LBB23_2316:
	s_mov_b64 s[6:7], 0
.LBB23_2317:
	s_andn2_b64 vcc, exec, s[6:7]
	s_cbranch_vccnz .LBB23_2328
; %bb.2318:
	s_cmp_lt_i32 s24, 6
	s_cbranch_scc1 .LBB23_2321
; %bb.2319:
	s_cmp_gt_i32 s24, 6
	s_cbranch_scc0 .LBB23_2322
; %bb.2320:
	global_load_dwordx2 v[15:16], v[18:19], off
	s_movk_i32 s6, 0xffe0
	s_waitcnt vmcnt(0)
	v_trunc_f64_e32 v[15:16], v[15:16]
	v_ldexp_f64 v[20:21], v[15:16], s6
	s_mov_b32 s6, 0
	s_mov_b32 s7, 0xc1f00000
	v_floor_f64_e32 v[20:21], v[20:21]
	v_fma_f64 v[15:16], v[20:21], s[6:7], v[15:16]
	s_mov_b64 s[6:7], 0
	v_cvt_u32_f64_e32 v15, v[15:16]
	s_branch .LBB23_2323
.LBB23_2321:
	s_mov_b64 s[6:7], -1
                                        ; implicit-def: $vgpr15
	s_branch .LBB23_2326
.LBB23_2322:
	s_mov_b64 s[6:7], -1
                                        ; implicit-def: $vgpr15
.LBB23_2323:
	s_andn2_b64 vcc, exec, s[6:7]
	s_cbranch_vccnz .LBB23_2325
; %bb.2324:
	global_load_dword v1, v[18:19], off
	s_mov_b32 s6, 0x2f800000
	s_waitcnt vmcnt(0)
	v_trunc_f32_e32 v1, v1
	v_mul_f32_e64 v3, |v1|, s6
	v_floor_f32_e32 v3, v3
	s_mov_b32 s6, 0xcf800000
	v_fma_f32 v3, v3, s6, |v1|
	v_cvt_u32_f32_e32 v3, v3
	v_ashrrev_i32_e32 v1, 31, v1
	v_xor_b32_e32 v3, v3, v1
	v_sub_u32_e32 v15, v3, v1
.LBB23_2325:
	s_mov_b64 s[6:7], 0
.LBB23_2326:
	s_andn2_b64 vcc, exec, s[6:7]
	s_cbranch_vccnz .LBB23_2328
; %bb.2327:
	global_load_ushort v1, v[18:19], off
	s_waitcnt vmcnt(0)
	v_cvt_f32_f16_e32 v1, v1
	v_cvt_i32_f32_e32 v15, v1
.LBB23_2328:
	s_mov_b64 s[6:7], 0
.LBB23_2329:
	s_andn2_b64 vcc, exec, s[6:7]
	s_cbranch_vccnz .LBB23_2349
; %bb.2330:
	s_cmp_lt_i32 s24, 2
	s_cbranch_scc1 .LBB23_2334
; %bb.2331:
	s_cmp_lt_i32 s24, 3
	s_cbranch_scc1 .LBB23_2335
; %bb.2332:
	s_cmp_gt_i32 s24, 3
	s_cbranch_scc0 .LBB23_2336
; %bb.2333:
	global_load_dwordx2 v[15:16], v[18:19], off
	s_mov_b64 s[6:7], 0
	s_branch .LBB23_2337
.LBB23_2334:
	s_mov_b64 s[6:7], -1
                                        ; implicit-def: $vgpr15
	s_branch .LBB23_2343
.LBB23_2335:
	s_mov_b64 s[6:7], -1
                                        ; implicit-def: $vgpr15
	s_branch .LBB23_2340
.LBB23_2336:
	s_mov_b64 s[6:7], -1
                                        ; implicit-def: $vgpr15
.LBB23_2337:
	s_andn2_b64 vcc, exec, s[6:7]
	s_cbranch_vccnz .LBB23_2339
; %bb.2338:
	global_load_dword v15, v[18:19], off
.LBB23_2339:
	s_mov_b64 s[6:7], 0
.LBB23_2340:
	s_andn2_b64 vcc, exec, s[6:7]
	s_cbranch_vccnz .LBB23_2342
; %bb.2341:
	global_load_ushort v15, v[18:19], off
.LBB23_2342:
	s_mov_b64 s[6:7], 0
.LBB23_2343:
	s_andn2_b64 vcc, exec, s[6:7]
	s_cbranch_vccnz .LBB23_2349
; %bb.2344:
	s_cmp_gt_i32 s24, 0
	s_cbranch_scc0 .LBB23_2346
; %bb.2345:
	global_load_ubyte v15, v[18:19], off
	s_mov_b64 s[6:7], 0
	s_branch .LBB23_2347
.LBB23_2346:
	s_mov_b64 s[6:7], -1
                                        ; implicit-def: $vgpr15
.LBB23_2347:
	s_andn2_b64 vcc, exec, s[6:7]
	s_cbranch_vccnz .LBB23_2349
; %bb.2348:
	global_load_ubyte v15, v[18:19], off
.LBB23_2349:
	s_mov_b64 s[18:19], -1
.LBB23_2350:
	s_andn2_b64 vcc, exec, s[18:19]
	s_cbranch_vccnz .LBB23_3036
; %bb.2351:
	v_mov_b32_e32 v1, s11
	v_add_co_u32_e32 v18, vcc, s10, v13
	s_cmp_lt_i32 s23, 11
	v_addc_co_u32_e32 v19, vcc, 0, v1, vcc
	s_cbranch_scc1 .LBB23_2358
; %bb.2352:
	s_cmp_gt_i32 s23, 25
	s_mov_b64 s[10:11], 0
	s_cbranch_scc0 .LBB23_2359
; %bb.2353:
	s_cmp_gt_i32 s23, 28
	s_cbranch_scc0 .LBB23_2360
; %bb.2354:
	s_cmp_gt_i32 s23, 43
	;; [unrolled: 3-line block ×3, first 2 shown]
	s_cbranch_scc0 .LBB23_2363
; %bb.2356:
	s_cmp_eq_u32 s23, 46
	s_mov_b64 s[18:19], 0
	s_cbranch_scc0 .LBB23_2364
; %bb.2357:
	global_load_dword v1, v[18:19], off
	s_mov_b32 s6, 0x2f800000
	s_mov_b32 s7, 0xcf800000
	s_mov_b64 s[16:17], -1
	s_waitcnt vmcnt(0)
	v_lshlrev_b32_e32 v1, 16, v1
	v_trunc_f32_e32 v1, v1
	v_mul_f32_e64 v3, |v1|, s6
	v_floor_f32_e32 v3, v3
	v_fma_f32 v3, v3, s7, |v1|
	v_cvt_u32_f32_e32 v3, v3
	v_ashrrev_i32_e32 v1, 31, v1
	s_mov_b64 s[6:7], 0
	v_xor_b32_e32 v3, v3, v1
	v_sub_u32_e32 v12, v3, v1
	s_branch .LBB23_2365
.LBB23_2358:
	s_mov_b64 s[6:7], -1
	s_mov_b64 s[16:17], 0
                                        ; implicit-def: $vgpr12
	s_branch .LBB23_2427
.LBB23_2359:
	s_mov_b64 s[18:19], -1
	s_mov_b64 s[16:17], 0
	s_mov_b64 s[6:7], 0
                                        ; implicit-def: $vgpr12
	s_branch .LBB23_2392
.LBB23_2360:
	s_mov_b64 s[18:19], -1
	s_mov_b64 s[16:17], 0
	s_mov_b64 s[6:7], 0
                                        ; implicit-def: $vgpr12
	s_branch .LBB23_2375
.LBB23_2361:
	s_mov_b64 s[18:19], -1
	s_mov_b64 s[16:17], 0
	s_mov_b64 s[6:7], 0
                                        ; implicit-def: $vgpr12
	s_branch .LBB23_2370
.LBB23_2362:
	s_trap 2
	s_or_b64 s[4:5], s[4:5], exec
	s_cbranch_execz .LBB23_2299
	s_branch .LBB23_2300
.LBB23_2363:
	s_mov_b64 s[18:19], -1
	s_mov_b64 s[16:17], 0
	s_mov_b64 s[6:7], 0
                                        ; implicit-def: $vgpr12
	s_branch .LBB23_2365
.LBB23_2364:
	s_mov_b64 s[6:7], -1
                                        ; implicit-def: $vgpr12
	s_mov_b64 s[16:17], 0
.LBB23_2365:
	s_and_b64 vcc, exec, s[18:19]
	s_cbranch_vccz .LBB23_2369
; %bb.2366:
	s_cmp_eq_u32 s23, 44
	s_cbranch_scc0 .LBB23_2368
; %bb.2367:
	global_load_ubyte v1, v[18:19], off
	s_mov_b32 s6, 0x2f800000
	s_mov_b32 s7, 0xcf800000
	s_mov_b64 s[16:17], -1
	s_waitcnt vmcnt(0)
	v_lshlrev_b32_e32 v3, 23, v1
	v_trunc_f32_e32 v3, v3
	v_mul_f32_e64 v5, |v3|, s6
	v_floor_f32_e32 v5, v5
	v_fma_f32 v5, v5, s7, |v3|
	v_cvt_u32_f32_e32 v5, v5
	v_ashrrev_i32_e32 v3, 31, v3
	v_cmp_ne_u32_e32 vcc, 0, v1
	s_mov_b64 s[6:7], 0
	v_xor_b32_e32 v5, v5, v3
	v_sub_u32_e32 v3, v5, v3
	v_cndmask_b32_e32 v12, 0, v3, vcc
	s_branch .LBB23_2369
.LBB23_2368:
	s_mov_b64 s[6:7], -1
                                        ; implicit-def: $vgpr12
.LBB23_2369:
	s_mov_b64 s[18:19], 0
.LBB23_2370:
	s_and_b64 vcc, exec, s[18:19]
	s_cbranch_vccz .LBB23_2374
; %bb.2371:
	s_cmp_eq_u32 s23, 29
	s_cbranch_scc0 .LBB23_2373
; %bb.2372:
	global_load_dwordx2 v[12:13], v[18:19], off
	s_mov_b64 s[6:7], 0
	s_mov_b64 s[16:17], -1
	s_branch .LBB23_2374
.LBB23_2373:
	s_mov_b64 s[6:7], -1
                                        ; implicit-def: $vgpr12
.LBB23_2374:
	s_mov_b64 s[18:19], 0
.LBB23_2375:
	s_and_b64 vcc, exec, s[18:19]
	s_cbranch_vccz .LBB23_2391
; %bb.2376:
	s_cmp_lt_i32 s23, 27
	s_cbranch_scc1 .LBB23_2379
; %bb.2377:
	s_cmp_gt_i32 s23, 27
	s_cbranch_scc0 .LBB23_2380
; %bb.2378:
	global_load_dword v12, v[18:19], off
	s_mov_b64 s[16:17], 0
	s_branch .LBB23_2381
.LBB23_2379:
	s_mov_b64 s[16:17], -1
                                        ; implicit-def: $vgpr12
	s_branch .LBB23_2384
.LBB23_2380:
	s_mov_b64 s[16:17], -1
                                        ; implicit-def: $vgpr12
.LBB23_2381:
	s_andn2_b64 vcc, exec, s[16:17]
	s_cbranch_vccnz .LBB23_2383
; %bb.2382:
	global_load_ushort v12, v[18:19], off
.LBB23_2383:
	s_mov_b64 s[16:17], 0
.LBB23_2384:
	s_andn2_b64 vcc, exec, s[16:17]
	s_cbranch_vccnz .LBB23_2390
; %bb.2385:
	global_load_ubyte v1, v[18:19], off
	s_movk_i32 s16, 0x7f
	s_mov_b64 s[18:19], 0
	s_waitcnt vmcnt(0)
	v_cmp_lt_i16_e32 vcc, s16, v1
	s_and_saveexec_b64 s[16:17], vcc
	s_xor_b64 s[16:17], exec, s[16:17]
	s_cbranch_execz .LBB23_2402
; %bb.2386:
	s_movk_i32 s18, 0x80
	v_cmp_ne_u16_e32 vcc, s18, v1
	s_and_b64 s[18:19], vcc, exec
	s_andn2_saveexec_b64 s[16:17], s[16:17]
	s_cbranch_execnz .LBB23_2403
.LBB23_2387:
	s_or_b64 exec, exec, s[16:17]
	v_mov_b32_e32 v12, 0
	s_and_saveexec_b64 s[16:17], s[18:19]
	s_cbranch_execz .LBB23_2389
.LBB23_2388:
	v_lshlrev_b32_e32 v3, 24, v1
	v_and_b32_e32 v1, 0xffff, v1
	v_and_b32_e32 v5, 7, v1
	v_ffbh_u32_e32 v12, v5
	v_min_u32_e32 v12, 32, v12
	v_subrev_u32_e32 v13, 28, v12
	v_bfe_u32 v8, v1, 3, 4
	v_lshlrev_b32_e32 v1, v13, v1
	v_sub_u32_e32 v12, 29, v12
	v_and_b32_e32 v1, 7, v1
	v_cmp_eq_u32_e32 vcc, 0, v8
	v_cndmask_b32_e32 v8, v8, v12, vcc
	v_cndmask_b32_e32 v1, v5, v1, vcc
	v_mov_b32_e32 v5, 0x3b800000
	v_lshlrev_b32_e32 v1, 20, v1
	v_and_b32_e32 v3, 0x80000000, v3
	v_lshl_add_u32 v5, v8, 23, v5
	v_or3_b32 v1, v3, v5, v1
	v_trunc_f32_e32 v1, v1
	s_mov_b32 s18, 0x2f800000
	v_mul_f32_e64 v3, |v1|, s18
	v_floor_f32_e32 v3, v3
	s_mov_b32 s18, 0xcf800000
	v_fma_f32 v3, v3, s18, |v1|
	v_cvt_u32_f32_e32 v3, v3
	v_ashrrev_i32_e32 v1, 31, v1
	v_xor_b32_e32 v3, v3, v1
	v_sub_u32_e32 v12, v3, v1
.LBB23_2389:
	s_or_b64 exec, exec, s[16:17]
.LBB23_2390:
	s_mov_b64 s[16:17], -1
.LBB23_2391:
	s_mov_b64 s[18:19], 0
.LBB23_2392:
	s_and_b64 vcc, exec, s[18:19]
	s_cbranch_vccz .LBB23_2423
; %bb.2393:
	s_cmp_gt_i32 s23, 22
	s_cbranch_scc0 .LBB23_2401
; %bb.2394:
	s_cmp_lt_i32 s23, 24
	s_cbranch_scc1 .LBB23_2404
; %bb.2395:
	s_cmp_gt_i32 s23, 24
	s_cbranch_scc0 .LBB23_2405
; %bb.2396:
	global_load_ubyte v1, v[18:19], off
	s_movk_i32 s10, 0x7f
	s_mov_b64 s[16:17], 0
	s_waitcnt vmcnt(0)
	v_cmp_lt_i16_e32 vcc, s10, v1
	s_and_saveexec_b64 s[10:11], vcc
	s_xor_b64 s[10:11], exec, s[10:11]
	s_cbranch_execz .LBB23_2417
; %bb.2397:
	s_movk_i32 s16, 0x80
	v_cmp_ne_u16_e32 vcc, s16, v1
	s_and_b64 s[16:17], vcc, exec
	s_andn2_saveexec_b64 s[10:11], s[10:11]
	s_cbranch_execnz .LBB23_2418
.LBB23_2398:
	s_or_b64 exec, exec, s[10:11]
	v_mov_b32_e32 v12, 0
	s_and_saveexec_b64 s[10:11], s[16:17]
	s_cbranch_execz .LBB23_2400
.LBB23_2399:
	v_lshlrev_b32_e32 v3, 24, v1
	v_and_b32_e32 v1, 0xffff, v1
	v_and_b32_e32 v5, 3, v1
	v_ffbh_u32_e32 v12, v5
	v_min_u32_e32 v12, 32, v12
	v_subrev_u32_e32 v13, 29, v12
	v_bfe_u32 v8, v1, 2, 5
	v_lshlrev_b32_e32 v1, v13, v1
	v_sub_u32_e32 v12, 30, v12
	v_and_b32_e32 v1, 3, v1
	v_cmp_eq_u32_e32 vcc, 0, v8
	v_cndmask_b32_e32 v8, v8, v12, vcc
	v_cndmask_b32_e32 v1, v5, v1, vcc
	v_mov_b32_e32 v5, 0x37800000
	v_lshlrev_b32_e32 v1, 21, v1
	v_and_b32_e32 v3, 0x80000000, v3
	v_lshl_add_u32 v5, v8, 23, v5
	v_or3_b32 v1, v3, v5, v1
	v_trunc_f32_e32 v1, v1
	s_mov_b32 s16, 0x2f800000
	v_mul_f32_e64 v3, |v1|, s16
	v_floor_f32_e32 v3, v3
	s_mov_b32 s16, 0xcf800000
	v_fma_f32 v3, v3, s16, |v1|
	v_cvt_u32_f32_e32 v3, v3
	v_ashrrev_i32_e32 v1, 31, v1
	v_xor_b32_e32 v3, v3, v1
	v_sub_u32_e32 v12, v3, v1
.LBB23_2400:
	s_or_b64 exec, exec, s[10:11]
	s_mov_b64 s[10:11], 0
	s_branch .LBB23_2406
.LBB23_2401:
	s_mov_b64 s[10:11], -1
                                        ; implicit-def: $vgpr12
	s_branch .LBB23_2412
.LBB23_2402:
	s_andn2_saveexec_b64 s[16:17], s[16:17]
	s_cbranch_execz .LBB23_2387
.LBB23_2403:
	v_cmp_ne_u16_e32 vcc, 0, v1
	s_andn2_b64 s[18:19], s[18:19], exec
	s_and_b64 s[20:21], vcc, exec
	s_or_b64 s[18:19], s[18:19], s[20:21]
	s_or_b64 exec, exec, s[16:17]
	v_mov_b32_e32 v12, 0
	s_and_saveexec_b64 s[16:17], s[18:19]
	s_cbranch_execnz .LBB23_2388
	s_branch .LBB23_2389
.LBB23_2404:
	s_mov_b64 s[10:11], -1
                                        ; implicit-def: $vgpr12
	s_branch .LBB23_2409
.LBB23_2405:
	s_mov_b64 s[10:11], -1
                                        ; implicit-def: $vgpr12
.LBB23_2406:
	s_and_b64 vcc, exec, s[10:11]
	s_cbranch_vccz .LBB23_2408
; %bb.2407:
	global_load_ubyte v1, v[18:19], off
	s_mov_b32 s10, 0x7f800000
	s_brev_b32 s11, 1
	s_mov_b32 s16, 0x2f800000
	s_waitcnt vmcnt(0)
	v_lshlrev_b32_e32 v1, 24, v1
	v_and_b32_e32 v3, 0x7f000000, v1
	v_ffbh_u32_e32 v5, v3
	v_min_u32_e32 v5, 32, v5
	v_sub_u32_e64 v5, v5, 4 clamp
	v_lshlrev_b32_e32 v12, v5, v3
	v_lshlrev_b32_e32 v5, 23, v5
	v_lshrrev_b32_e32 v12, 4, v12
	v_add_u32_e32 v8, 0x1000000, v3
	v_sub_u32_e32 v5, v12, v5
	v_ashrrev_i32_e32 v8, 8, v8
	v_add_u32_e32 v5, 0x3c000000, v5
	v_and_or_b32 v5, v8, s10, v5
	v_cmp_ne_u32_e32 vcc, 0, v3
	v_cndmask_b32_e32 v3, 0, v5, vcc
	v_and_or_b32 v1, v1, s11, v3
	v_trunc_f32_e32 v1, v1
	v_mul_f32_e64 v3, |v1|, s16
	v_floor_f32_e32 v3, v3
	s_mov_b32 s10, 0xcf800000
	v_fma_f32 v3, v3, s10, |v1|
	v_cvt_u32_f32_e32 v3, v3
	v_ashrrev_i32_e32 v1, 31, v1
	v_xor_b32_e32 v3, v3, v1
	v_sub_u32_e32 v12, v3, v1
.LBB23_2408:
	s_mov_b64 s[10:11], 0
.LBB23_2409:
	s_andn2_b64 vcc, exec, s[10:11]
	s_cbranch_vccnz .LBB23_2411
; %bb.2410:
	global_load_ubyte v1, v[18:19], off
	s_movk_i32 s10, 0x7f00
	s_brev_b32 s11, 16
	s_brev_b32 s16, 1
	s_mov_b32 s17, 0x2f800000
	s_waitcnt vmcnt(0)
	v_lshlrev_b16_e32 v3, 8, v1
	v_lshlrev_b32_e32 v1, 25, v1
	v_lshrrev_b32_e32 v5, 4, v1
	v_and_or_b32 v8, v3, s10, 0.5
	v_or_b32_e32 v5, 0x70000000, v5
	v_add_f32_e32 v8, -0.5, v8
	v_mul_f32_e32 v5, 0x7800000, v5
	v_cmp_gt_u32_e32 vcc, s11, v1
	v_bfe_i32 v3, v3, 0, 16
	v_cndmask_b32_e32 v1, v5, v8, vcc
	v_and_or_b32 v1, v3, s16, v1
	v_trunc_f32_e32 v1, v1
	v_mul_f32_e64 v3, |v1|, s17
	v_floor_f32_e32 v3, v3
	s_mov_b32 s10, 0xcf800000
	v_fma_f32 v3, v3, s10, |v1|
	v_cvt_u32_f32_e32 v3, v3
	v_ashrrev_i32_e32 v1, 31, v1
	v_xor_b32_e32 v3, v3, v1
	v_sub_u32_e32 v12, v3, v1
.LBB23_2411:
	s_mov_b64 s[10:11], 0
	s_mov_b64 s[16:17], -1
.LBB23_2412:
	s_andn2_b64 vcc, exec, s[10:11]
	s_mov_b64 s[10:11], 0
	s_cbranch_vccnz .LBB23_2423
; %bb.2413:
	s_cmp_gt_i32 s23, 14
	s_cbranch_scc0 .LBB23_2416
; %bb.2414:
	s_cmp_eq_u32 s23, 15
	s_cbranch_scc0 .LBB23_2419
; %bb.2415:
	global_load_ushort v1, v[18:19], off
	s_mov_b32 s6, 0x2f800000
	s_mov_b32 s7, 0xcf800000
	s_mov_b64 s[16:17], -1
	s_waitcnt vmcnt(0)
	v_lshlrev_b32_e32 v1, 16, v1
	v_trunc_f32_e32 v1, v1
	v_mul_f32_e64 v3, |v1|, s6
	v_floor_f32_e32 v3, v3
	v_fma_f32 v3, v3, s7, |v1|
	v_cvt_u32_f32_e32 v3, v3
	v_ashrrev_i32_e32 v1, 31, v1
	s_mov_b64 s[6:7], 0
	v_xor_b32_e32 v3, v3, v1
	v_sub_u32_e32 v12, v3, v1
	s_branch .LBB23_2420
.LBB23_2416:
	s_mov_b64 s[18:19], -1
                                        ; implicit-def: $vgpr12
	s_branch .LBB23_2421
.LBB23_2417:
	s_andn2_saveexec_b64 s[10:11], s[10:11]
	s_cbranch_execz .LBB23_2398
.LBB23_2418:
	v_cmp_ne_u16_e32 vcc, 0, v1
	s_andn2_b64 s[16:17], s[16:17], exec
	s_and_b64 s[18:19], vcc, exec
	s_or_b64 s[16:17], s[16:17], s[18:19]
	s_or_b64 exec, exec, s[10:11]
	v_mov_b32_e32 v12, 0
	s_and_saveexec_b64 s[10:11], s[16:17]
	s_cbranch_execnz .LBB23_2399
	s_branch .LBB23_2400
.LBB23_2419:
	s_mov_b64 s[6:7], -1
                                        ; implicit-def: $vgpr12
.LBB23_2420:
	s_mov_b64 s[18:19], 0
.LBB23_2421:
	s_and_b64 vcc, exec, s[18:19]
	s_cbranch_vccz .LBB23_2423
; %bb.2422:
	s_cmp_lg_u32 s23, 11
	s_mov_b64 s[10:11], -1
	s_cselect_b64 s[6:7], -1, 0
.LBB23_2423:
	s_and_b64 vcc, exec, s[6:7]
	s_cbranch_vccnz .LBB23_2488
; %bb.2424:
	s_andn2_b64 vcc, exec, s[10:11]
	s_cbranch_vccnz .LBB23_2426
.LBB23_2425:
	global_load_ubyte v1, v[18:19], off
	s_mov_b64 s[16:17], -1
	s_waitcnt vmcnt(0)
	v_cmp_ne_u16_e32 vcc, 0, v1
	v_cndmask_b32_e64 v12, 0, 1, vcc
.LBB23_2426:
	s_mov_b64 s[6:7], 0
.LBB23_2427:
	s_and_b64 vcc, exec, s[6:7]
	s_cbranch_vccz .LBB23_2476
; %bb.2428:
	s_cmp_lt_i32 s23, 5
	s_cbranch_scc1 .LBB23_2433
; %bb.2429:
	s_cmp_lt_i32 s23, 8
	s_cbranch_scc1 .LBB23_2434
	;; [unrolled: 3-line block ×3, first 2 shown]
; %bb.2431:
	s_cmp_gt_i32 s23, 9
	s_cbranch_scc0 .LBB23_2436
; %bb.2432:
	global_load_dwordx2 v[12:13], v[18:19], off
	s_movk_i32 s6, 0xffe0
	s_waitcnt vmcnt(0)
	v_trunc_f64_e32 v[12:13], v[12:13]
	v_ldexp_f64 v[20:21], v[12:13], s6
	s_mov_b32 s6, 0
	s_mov_b32 s7, 0xc1f00000
	v_floor_f64_e32 v[20:21], v[20:21]
	v_fma_f64 v[12:13], v[20:21], s[6:7], v[12:13]
	s_mov_b64 s[6:7], 0
	v_cvt_u32_f64_e32 v12, v[12:13]
	s_branch .LBB23_2437
.LBB23_2433:
	s_mov_b64 s[6:7], -1
                                        ; implicit-def: $vgpr12
	s_branch .LBB23_2455
.LBB23_2434:
	s_mov_b64 s[6:7], -1
                                        ; implicit-def: $vgpr12
	s_branch .LBB23_2443
.LBB23_2435:
	s_mov_b64 s[6:7], -1
                                        ; implicit-def: $vgpr12
	s_branch .LBB23_2440
.LBB23_2436:
	s_mov_b64 s[6:7], -1
                                        ; implicit-def: $vgpr12
.LBB23_2437:
	s_andn2_b64 vcc, exec, s[6:7]
	s_cbranch_vccnz .LBB23_2439
; %bb.2438:
	global_load_dword v1, v[18:19], off
	s_mov_b32 s6, 0x2f800000
	s_waitcnt vmcnt(0)
	v_trunc_f32_e32 v1, v1
	v_mul_f32_e64 v3, |v1|, s6
	v_floor_f32_e32 v3, v3
	s_mov_b32 s6, 0xcf800000
	v_fma_f32 v3, v3, s6, |v1|
	v_cvt_u32_f32_e32 v3, v3
	v_ashrrev_i32_e32 v1, 31, v1
	v_xor_b32_e32 v3, v3, v1
	v_sub_u32_e32 v12, v3, v1
.LBB23_2439:
	s_mov_b64 s[6:7], 0
.LBB23_2440:
	s_andn2_b64 vcc, exec, s[6:7]
	s_cbranch_vccnz .LBB23_2442
; %bb.2441:
	global_load_dword v1, v[18:19], off
	s_waitcnt vmcnt(0)
	v_cvt_f32_f16_e32 v1, v1
	v_cvt_i32_f32_e32 v12, v1
.LBB23_2442:
	s_mov_b64 s[6:7], 0
.LBB23_2443:
	s_andn2_b64 vcc, exec, s[6:7]
	s_cbranch_vccnz .LBB23_2454
; %bb.2444:
	s_cmp_lt_i32 s23, 6
	s_cbranch_scc1 .LBB23_2447
; %bb.2445:
	s_cmp_gt_i32 s23, 6
	s_cbranch_scc0 .LBB23_2448
; %bb.2446:
	global_load_dwordx2 v[12:13], v[18:19], off
	s_movk_i32 s6, 0xffe0
	s_waitcnt vmcnt(0)
	v_trunc_f64_e32 v[12:13], v[12:13]
	v_ldexp_f64 v[20:21], v[12:13], s6
	s_mov_b32 s6, 0
	s_mov_b32 s7, 0xc1f00000
	v_floor_f64_e32 v[20:21], v[20:21]
	v_fma_f64 v[12:13], v[20:21], s[6:7], v[12:13]
	s_mov_b64 s[6:7], 0
	v_cvt_u32_f64_e32 v12, v[12:13]
	s_branch .LBB23_2449
.LBB23_2447:
	s_mov_b64 s[6:7], -1
                                        ; implicit-def: $vgpr12
	s_branch .LBB23_2452
.LBB23_2448:
	s_mov_b64 s[6:7], -1
                                        ; implicit-def: $vgpr12
.LBB23_2449:
	s_andn2_b64 vcc, exec, s[6:7]
	s_cbranch_vccnz .LBB23_2451
; %bb.2450:
	global_load_dword v1, v[18:19], off
	s_mov_b32 s6, 0x2f800000
	s_waitcnt vmcnt(0)
	v_trunc_f32_e32 v1, v1
	v_mul_f32_e64 v3, |v1|, s6
	v_floor_f32_e32 v3, v3
	s_mov_b32 s6, 0xcf800000
	v_fma_f32 v3, v3, s6, |v1|
	v_cvt_u32_f32_e32 v3, v3
	v_ashrrev_i32_e32 v1, 31, v1
	v_xor_b32_e32 v3, v3, v1
	v_sub_u32_e32 v12, v3, v1
.LBB23_2451:
	s_mov_b64 s[6:7], 0
.LBB23_2452:
	s_andn2_b64 vcc, exec, s[6:7]
	s_cbranch_vccnz .LBB23_2454
; %bb.2453:
	global_load_ushort v1, v[18:19], off
	s_waitcnt vmcnt(0)
	v_cvt_f32_f16_e32 v1, v1
	v_cvt_i32_f32_e32 v12, v1
.LBB23_2454:
	s_mov_b64 s[6:7], 0
.LBB23_2455:
	s_andn2_b64 vcc, exec, s[6:7]
	s_cbranch_vccnz .LBB23_2475
; %bb.2456:
	s_cmp_lt_i32 s23, 2
	s_cbranch_scc1 .LBB23_2460
; %bb.2457:
	s_cmp_lt_i32 s23, 3
	s_cbranch_scc1 .LBB23_2461
; %bb.2458:
	s_cmp_gt_i32 s23, 3
	s_cbranch_scc0 .LBB23_2462
; %bb.2459:
	global_load_dwordx2 v[12:13], v[18:19], off
	s_mov_b64 s[6:7], 0
	s_branch .LBB23_2463
.LBB23_2460:
	s_mov_b64 s[6:7], -1
                                        ; implicit-def: $vgpr12
	s_branch .LBB23_2469
.LBB23_2461:
	s_mov_b64 s[6:7], -1
                                        ; implicit-def: $vgpr12
	s_branch .LBB23_2466
.LBB23_2462:
	s_mov_b64 s[6:7], -1
                                        ; implicit-def: $vgpr12
.LBB23_2463:
	s_andn2_b64 vcc, exec, s[6:7]
	s_cbranch_vccnz .LBB23_2465
; %bb.2464:
	global_load_dword v12, v[18:19], off
.LBB23_2465:
	s_mov_b64 s[6:7], 0
.LBB23_2466:
	s_andn2_b64 vcc, exec, s[6:7]
	s_cbranch_vccnz .LBB23_2468
; %bb.2467:
	global_load_ushort v12, v[18:19], off
.LBB23_2468:
	s_mov_b64 s[6:7], 0
.LBB23_2469:
	s_andn2_b64 vcc, exec, s[6:7]
	s_cbranch_vccnz .LBB23_2475
; %bb.2470:
	s_cmp_gt_i32 s23, 0
	s_cbranch_scc0 .LBB23_2472
; %bb.2471:
	global_load_ubyte v12, v[18:19], off
	s_mov_b64 s[6:7], 0
	s_branch .LBB23_2473
.LBB23_2472:
	s_mov_b64 s[6:7], -1
                                        ; implicit-def: $vgpr12
.LBB23_2473:
	s_andn2_b64 vcc, exec, s[6:7]
	s_cbranch_vccnz .LBB23_2475
; %bb.2474:
	global_load_ubyte v12, v[18:19], off
.LBB23_2475:
	s_mov_b64 s[16:17], -1
.LBB23_2476:
	s_andn2_b64 vcc, exec, s[16:17]
	s_cbranch_vccnz .LBB23_3036
; %bb.2477:
	v_mov_b32_e32 v1, s1
	v_add_co_u32_e32 v18, vcc, s0, v9
	s_cmp_lt_i32 s24, 11
	v_addc_co_u32_e32 v19, vcc, 0, v1, vcc
	s_cbranch_scc1 .LBB23_2484
; %bb.2478:
	s_cmp_gt_i32 s24, 25
	s_mov_b64 s[6:7], 0
	s_cbranch_scc0 .LBB23_2485
; %bb.2479:
	s_cmp_gt_i32 s24, 28
	s_cbranch_scc0 .LBB23_2486
; %bb.2480:
	s_cmp_gt_i32 s24, 43
	;; [unrolled: 3-line block ×3, first 2 shown]
	s_cbranch_scc0 .LBB23_2489
; %bb.2482:
	s_cmp_eq_u32 s24, 46
	s_mov_b64 s[16:17], 0
	s_cbranch_scc0 .LBB23_2490
; %bb.2483:
	global_load_dword v1, v[18:19], off
	s_mov_b32 s0, 0x2f800000
	s_mov_b32 s1, 0xcf800000
	s_mov_b64 s[10:11], -1
	s_waitcnt vmcnt(0)
	v_lshlrev_b32_e32 v1, 16, v1
	v_trunc_f32_e32 v1, v1
	v_mul_f32_e64 v3, |v1|, s0
	v_floor_f32_e32 v3, v3
	v_fma_f32 v3, v3, s1, |v1|
	v_cvt_u32_f32_e32 v3, v3
	v_ashrrev_i32_e32 v1, 31, v1
	s_mov_b64 s[0:1], 0
	v_xor_b32_e32 v3, v3, v1
	v_sub_u32_e32 v8, v3, v1
	s_branch .LBB23_2491
.LBB23_2484:
	s_mov_b64 s[0:1], -1
	s_mov_b64 s[10:11], 0
                                        ; implicit-def: $vgpr8
	s_branch .LBB23_2553
.LBB23_2485:
	s_mov_b64 s[16:17], -1
	s_mov_b64 s[10:11], 0
	s_mov_b64 s[0:1], 0
                                        ; implicit-def: $vgpr8
	s_branch .LBB23_2518
.LBB23_2486:
	s_mov_b64 s[16:17], -1
	s_mov_b64 s[10:11], 0
	s_mov_b64 s[0:1], 0
                                        ; implicit-def: $vgpr8
	s_branch .LBB23_2501
.LBB23_2487:
	s_mov_b64 s[16:17], -1
	s_mov_b64 s[10:11], 0
	s_mov_b64 s[0:1], 0
                                        ; implicit-def: $vgpr8
	s_branch .LBB23_2496
.LBB23_2488:
	s_trap 2
	s_or_b64 s[4:5], s[4:5], exec
	s_cbranch_execz .LBB23_2425
	s_branch .LBB23_2426
.LBB23_2489:
	s_mov_b64 s[16:17], -1
	s_mov_b64 s[10:11], 0
	s_mov_b64 s[0:1], 0
                                        ; implicit-def: $vgpr8
	s_branch .LBB23_2491
.LBB23_2490:
	s_mov_b64 s[0:1], -1
                                        ; implicit-def: $vgpr8
	s_mov_b64 s[10:11], 0
.LBB23_2491:
	s_and_b64 vcc, exec, s[16:17]
	s_cbranch_vccz .LBB23_2495
; %bb.2492:
	s_cmp_eq_u32 s24, 44
	s_cbranch_scc0 .LBB23_2494
; %bb.2493:
	global_load_ubyte v1, v[18:19], off
	s_mov_b32 s0, 0x2f800000
	s_mov_b32 s1, 0xcf800000
	s_mov_b64 s[10:11], -1
	s_waitcnt vmcnt(0)
	v_lshlrev_b32_e32 v3, 23, v1
	v_trunc_f32_e32 v3, v3
	v_mul_f32_e64 v5, |v3|, s0
	v_floor_f32_e32 v5, v5
	v_fma_f32 v5, v5, s1, |v3|
	v_cvt_u32_f32_e32 v5, v5
	v_ashrrev_i32_e32 v3, 31, v3
	v_cmp_ne_u32_e32 vcc, 0, v1
	s_mov_b64 s[0:1], 0
	v_xor_b32_e32 v5, v5, v3
	v_sub_u32_e32 v3, v5, v3
	v_cndmask_b32_e32 v8, 0, v3, vcc
	s_branch .LBB23_2495
.LBB23_2494:
	s_mov_b64 s[0:1], -1
                                        ; implicit-def: $vgpr8
.LBB23_2495:
	s_mov_b64 s[16:17], 0
.LBB23_2496:
	s_and_b64 vcc, exec, s[16:17]
	s_cbranch_vccz .LBB23_2500
; %bb.2497:
	s_cmp_eq_u32 s24, 29
	s_cbranch_scc0 .LBB23_2499
; %bb.2498:
	global_load_dwordx2 v[8:9], v[18:19], off
	s_mov_b64 s[0:1], 0
	s_mov_b64 s[10:11], -1
	s_branch .LBB23_2500
.LBB23_2499:
	s_mov_b64 s[0:1], -1
                                        ; implicit-def: $vgpr8
.LBB23_2500:
	s_mov_b64 s[16:17], 0
.LBB23_2501:
	s_and_b64 vcc, exec, s[16:17]
	s_cbranch_vccz .LBB23_2517
; %bb.2502:
	s_cmp_lt_i32 s24, 27
	s_cbranch_scc1 .LBB23_2505
; %bb.2503:
	s_cmp_gt_i32 s24, 27
	s_cbranch_scc0 .LBB23_2506
; %bb.2504:
	global_load_dword v8, v[18:19], off
	s_mov_b64 s[10:11], 0
	s_branch .LBB23_2507
.LBB23_2505:
	s_mov_b64 s[10:11], -1
                                        ; implicit-def: $vgpr8
	s_branch .LBB23_2510
.LBB23_2506:
	s_mov_b64 s[10:11], -1
                                        ; implicit-def: $vgpr8
.LBB23_2507:
	s_andn2_b64 vcc, exec, s[10:11]
	s_cbranch_vccnz .LBB23_2509
; %bb.2508:
	global_load_ushort v8, v[18:19], off
.LBB23_2509:
	s_mov_b64 s[10:11], 0
.LBB23_2510:
	s_andn2_b64 vcc, exec, s[10:11]
	s_cbranch_vccnz .LBB23_2516
; %bb.2511:
	global_load_ubyte v1, v[18:19], off
	s_movk_i32 s10, 0x7f
	s_mov_b64 s[16:17], 0
	s_waitcnt vmcnt(0)
	v_cmp_lt_i16_e32 vcc, s10, v1
	s_and_saveexec_b64 s[10:11], vcc
	s_xor_b64 s[10:11], exec, s[10:11]
	s_cbranch_execz .LBB23_2528
; %bb.2512:
	s_movk_i32 s16, 0x80
	v_cmp_ne_u16_e32 vcc, s16, v1
	s_and_b64 s[16:17], vcc, exec
	s_andn2_saveexec_b64 s[10:11], s[10:11]
	s_cbranch_execnz .LBB23_2529
.LBB23_2513:
	s_or_b64 exec, exec, s[10:11]
	v_mov_b32_e32 v8, 0
	s_and_saveexec_b64 s[10:11], s[16:17]
	s_cbranch_execz .LBB23_2515
.LBB23_2514:
	v_lshlrev_b32_e32 v3, 24, v1
	v_and_b32_e32 v1, 0xffff, v1
	v_and_b32_e32 v5, 7, v1
	v_ffbh_u32_e32 v9, v5
	v_min_u32_e32 v9, 32, v9
	v_subrev_u32_e32 v13, 28, v9
	v_bfe_u32 v8, v1, 3, 4
	v_lshlrev_b32_e32 v1, v13, v1
	v_sub_u32_e32 v9, 29, v9
	v_and_b32_e32 v1, 7, v1
	v_cmp_eq_u32_e32 vcc, 0, v8
	v_cndmask_b32_e32 v8, v8, v9, vcc
	v_cndmask_b32_e32 v1, v5, v1, vcc
	v_mov_b32_e32 v5, 0x3b800000
	v_lshlrev_b32_e32 v1, 20, v1
	v_and_b32_e32 v3, 0x80000000, v3
	v_lshl_add_u32 v5, v8, 23, v5
	v_or3_b32 v1, v3, v5, v1
	v_trunc_f32_e32 v1, v1
	s_mov_b32 s16, 0x2f800000
	v_mul_f32_e64 v3, |v1|, s16
	v_floor_f32_e32 v3, v3
	s_mov_b32 s16, 0xcf800000
	v_fma_f32 v3, v3, s16, |v1|
	v_cvt_u32_f32_e32 v3, v3
	v_ashrrev_i32_e32 v1, 31, v1
	v_xor_b32_e32 v3, v3, v1
	v_sub_u32_e32 v8, v3, v1
.LBB23_2515:
	s_or_b64 exec, exec, s[10:11]
.LBB23_2516:
	s_mov_b64 s[10:11], -1
.LBB23_2517:
	s_mov_b64 s[16:17], 0
.LBB23_2518:
	s_and_b64 vcc, exec, s[16:17]
	s_cbranch_vccz .LBB23_2549
; %bb.2519:
	s_cmp_gt_i32 s24, 22
	s_cbranch_scc0 .LBB23_2527
; %bb.2520:
	s_cmp_lt_i32 s24, 24
	s_cbranch_scc1 .LBB23_2530
; %bb.2521:
	s_cmp_gt_i32 s24, 24
	s_cbranch_scc0 .LBB23_2531
; %bb.2522:
	global_load_ubyte v1, v[18:19], off
	s_movk_i32 s6, 0x7f
	s_mov_b64 s[10:11], 0
	s_waitcnt vmcnt(0)
	v_cmp_lt_i16_e32 vcc, s6, v1
	s_and_saveexec_b64 s[6:7], vcc
	s_xor_b64 s[6:7], exec, s[6:7]
	s_cbranch_execz .LBB23_2543
; %bb.2523:
	s_movk_i32 s10, 0x80
	v_cmp_ne_u16_e32 vcc, s10, v1
	s_and_b64 s[10:11], vcc, exec
	s_andn2_saveexec_b64 s[6:7], s[6:7]
	s_cbranch_execnz .LBB23_2544
.LBB23_2524:
	s_or_b64 exec, exec, s[6:7]
	v_mov_b32_e32 v8, 0
	s_and_saveexec_b64 s[6:7], s[10:11]
	s_cbranch_execz .LBB23_2526
.LBB23_2525:
	v_lshlrev_b32_e32 v3, 24, v1
	v_and_b32_e32 v1, 0xffff, v1
	v_and_b32_e32 v5, 3, v1
	v_ffbh_u32_e32 v9, v5
	v_min_u32_e32 v9, 32, v9
	v_subrev_u32_e32 v13, 29, v9
	v_bfe_u32 v8, v1, 2, 5
	v_lshlrev_b32_e32 v1, v13, v1
	v_sub_u32_e32 v9, 30, v9
	v_and_b32_e32 v1, 3, v1
	v_cmp_eq_u32_e32 vcc, 0, v8
	v_cndmask_b32_e32 v8, v8, v9, vcc
	v_cndmask_b32_e32 v1, v5, v1, vcc
	v_mov_b32_e32 v5, 0x37800000
	v_lshlrev_b32_e32 v1, 21, v1
	v_and_b32_e32 v3, 0x80000000, v3
	v_lshl_add_u32 v5, v8, 23, v5
	v_or3_b32 v1, v3, v5, v1
	v_trunc_f32_e32 v1, v1
	s_mov_b32 s10, 0x2f800000
	v_mul_f32_e64 v3, |v1|, s10
	v_floor_f32_e32 v3, v3
	s_mov_b32 s10, 0xcf800000
	v_fma_f32 v3, v3, s10, |v1|
	v_cvt_u32_f32_e32 v3, v3
	v_ashrrev_i32_e32 v1, 31, v1
	v_xor_b32_e32 v3, v3, v1
	v_sub_u32_e32 v8, v3, v1
.LBB23_2526:
	s_or_b64 exec, exec, s[6:7]
	s_mov_b64 s[6:7], 0
	s_branch .LBB23_2532
.LBB23_2527:
	s_mov_b64 s[6:7], -1
                                        ; implicit-def: $vgpr8
	s_branch .LBB23_2538
.LBB23_2528:
	s_andn2_saveexec_b64 s[10:11], s[10:11]
	s_cbranch_execz .LBB23_2513
.LBB23_2529:
	v_cmp_ne_u16_e32 vcc, 0, v1
	s_andn2_b64 s[16:17], s[16:17], exec
	s_and_b64 s[18:19], vcc, exec
	s_or_b64 s[16:17], s[16:17], s[18:19]
	s_or_b64 exec, exec, s[10:11]
	v_mov_b32_e32 v8, 0
	s_and_saveexec_b64 s[10:11], s[16:17]
	s_cbranch_execnz .LBB23_2514
	s_branch .LBB23_2515
.LBB23_2530:
	s_mov_b64 s[6:7], -1
                                        ; implicit-def: $vgpr8
	s_branch .LBB23_2535
.LBB23_2531:
	s_mov_b64 s[6:7], -1
                                        ; implicit-def: $vgpr8
.LBB23_2532:
	s_and_b64 vcc, exec, s[6:7]
	s_cbranch_vccz .LBB23_2534
; %bb.2533:
	global_load_ubyte v1, v[18:19], off
	s_mov_b32 s6, 0x7f800000
	s_brev_b32 s7, 1
	s_mov_b32 s10, 0x2f800000
	s_waitcnt vmcnt(0)
	v_lshlrev_b32_e32 v1, 24, v1
	v_and_b32_e32 v3, 0x7f000000, v1
	v_ffbh_u32_e32 v5, v3
	v_min_u32_e32 v5, 32, v5
	v_sub_u32_e64 v5, v5, 4 clamp
	v_lshlrev_b32_e32 v9, v5, v3
	v_lshlrev_b32_e32 v5, 23, v5
	v_lshrrev_b32_e32 v9, 4, v9
	v_add_u32_e32 v8, 0x1000000, v3
	v_sub_u32_e32 v5, v9, v5
	v_ashrrev_i32_e32 v8, 8, v8
	v_add_u32_e32 v5, 0x3c000000, v5
	v_and_or_b32 v5, v8, s6, v5
	v_cmp_ne_u32_e32 vcc, 0, v3
	v_cndmask_b32_e32 v3, 0, v5, vcc
	v_and_or_b32 v1, v1, s7, v3
	v_trunc_f32_e32 v1, v1
	v_mul_f32_e64 v3, |v1|, s10
	v_floor_f32_e32 v3, v3
	s_mov_b32 s6, 0xcf800000
	v_fma_f32 v3, v3, s6, |v1|
	v_cvt_u32_f32_e32 v3, v3
	v_ashrrev_i32_e32 v1, 31, v1
	v_xor_b32_e32 v3, v3, v1
	v_sub_u32_e32 v8, v3, v1
.LBB23_2534:
	s_mov_b64 s[6:7], 0
.LBB23_2535:
	s_andn2_b64 vcc, exec, s[6:7]
	s_cbranch_vccnz .LBB23_2537
; %bb.2536:
	global_load_ubyte v1, v[18:19], off
	s_movk_i32 s6, 0x7f00
	s_brev_b32 s7, 16
	s_brev_b32 s10, 1
	s_mov_b32 s11, 0x2f800000
	s_waitcnt vmcnt(0)
	v_lshlrev_b16_e32 v3, 8, v1
	v_lshlrev_b32_e32 v1, 25, v1
	v_lshrrev_b32_e32 v5, 4, v1
	v_and_or_b32 v8, v3, s6, 0.5
	v_or_b32_e32 v5, 0x70000000, v5
	v_add_f32_e32 v8, -0.5, v8
	v_mul_f32_e32 v5, 0x7800000, v5
	v_cmp_gt_u32_e32 vcc, s7, v1
	v_bfe_i32 v3, v3, 0, 16
	v_cndmask_b32_e32 v1, v5, v8, vcc
	v_and_or_b32 v1, v3, s10, v1
	v_trunc_f32_e32 v1, v1
	v_mul_f32_e64 v3, |v1|, s11
	v_floor_f32_e32 v3, v3
	s_mov_b32 s6, 0xcf800000
	v_fma_f32 v3, v3, s6, |v1|
	v_cvt_u32_f32_e32 v3, v3
	v_ashrrev_i32_e32 v1, 31, v1
	v_xor_b32_e32 v3, v3, v1
	v_sub_u32_e32 v8, v3, v1
.LBB23_2537:
	s_mov_b64 s[6:7], 0
	s_mov_b64 s[10:11], -1
.LBB23_2538:
	s_andn2_b64 vcc, exec, s[6:7]
	s_mov_b64 s[6:7], 0
	s_cbranch_vccnz .LBB23_2549
; %bb.2539:
	s_cmp_gt_i32 s24, 14
	s_cbranch_scc0 .LBB23_2542
; %bb.2540:
	s_cmp_eq_u32 s24, 15
	s_cbranch_scc0 .LBB23_2545
; %bb.2541:
	global_load_ushort v1, v[18:19], off
	s_mov_b32 s0, 0x2f800000
	s_mov_b32 s1, 0xcf800000
	s_mov_b64 s[10:11], -1
	s_waitcnt vmcnt(0)
	v_lshlrev_b32_e32 v1, 16, v1
	v_trunc_f32_e32 v1, v1
	v_mul_f32_e64 v3, |v1|, s0
	v_floor_f32_e32 v3, v3
	v_fma_f32 v3, v3, s1, |v1|
	v_cvt_u32_f32_e32 v3, v3
	v_ashrrev_i32_e32 v1, 31, v1
	s_mov_b64 s[0:1], 0
	v_xor_b32_e32 v3, v3, v1
	v_sub_u32_e32 v8, v3, v1
	s_branch .LBB23_2546
.LBB23_2542:
	s_mov_b64 s[16:17], -1
                                        ; implicit-def: $vgpr8
	s_branch .LBB23_2547
.LBB23_2543:
	s_andn2_saveexec_b64 s[6:7], s[6:7]
	s_cbranch_execz .LBB23_2524
.LBB23_2544:
	v_cmp_ne_u16_e32 vcc, 0, v1
	s_andn2_b64 s[10:11], s[10:11], exec
	s_and_b64 s[16:17], vcc, exec
	s_or_b64 s[10:11], s[10:11], s[16:17]
	s_or_b64 exec, exec, s[6:7]
	v_mov_b32_e32 v8, 0
	s_and_saveexec_b64 s[6:7], s[10:11]
	s_cbranch_execnz .LBB23_2525
	s_branch .LBB23_2526
.LBB23_2545:
	s_mov_b64 s[0:1], -1
                                        ; implicit-def: $vgpr8
.LBB23_2546:
	s_mov_b64 s[16:17], 0
.LBB23_2547:
	s_and_b64 vcc, exec, s[16:17]
	s_cbranch_vccz .LBB23_2549
; %bb.2548:
	s_cmp_lg_u32 s24, 11
	s_mov_b64 s[6:7], -1
	s_cselect_b64 s[0:1], -1, 0
.LBB23_2549:
	s_and_b64 vcc, exec, s[0:1]
	s_cbranch_vccnz .LBB23_3082
; %bb.2550:
	s_andn2_b64 vcc, exec, s[6:7]
	s_cbranch_vccnz .LBB23_2552
.LBB23_2551:
	global_load_ubyte v1, v[18:19], off
	s_mov_b64 s[10:11], -1
	s_waitcnt vmcnt(0)
	v_cmp_ne_u16_e32 vcc, 0, v1
	v_cndmask_b32_e64 v8, 0, 1, vcc
.LBB23_2552:
	s_mov_b64 s[0:1], 0
.LBB23_2553:
	s_and_b64 vcc, exec, s[0:1]
	s_cbranch_vccz .LBB23_2602
; %bb.2554:
	s_cmp_lt_i32 s24, 5
	s_cbranch_scc1 .LBB23_2559
; %bb.2555:
	s_cmp_lt_i32 s24, 8
	s_cbranch_scc1 .LBB23_2560
	;; [unrolled: 3-line block ×3, first 2 shown]
; %bb.2557:
	s_cmp_gt_i32 s24, 9
	s_cbranch_scc0 .LBB23_2562
; %bb.2558:
	global_load_dwordx2 v[8:9], v[18:19], off
	s_movk_i32 s0, 0xffe0
	s_waitcnt vmcnt(0)
	v_trunc_f64_e32 v[8:9], v[8:9]
	v_ldexp_f64 v[20:21], v[8:9], s0
	s_mov_b32 s0, 0
	s_mov_b32 s1, 0xc1f00000
	v_floor_f64_e32 v[20:21], v[20:21]
	v_fma_f64 v[8:9], v[20:21], s[0:1], v[8:9]
	s_mov_b64 s[0:1], 0
	v_cvt_u32_f64_e32 v8, v[8:9]
	s_branch .LBB23_2563
.LBB23_2559:
	s_mov_b64 s[0:1], -1
                                        ; implicit-def: $vgpr8
	s_branch .LBB23_2581
.LBB23_2560:
	s_mov_b64 s[0:1], -1
                                        ; implicit-def: $vgpr8
	s_branch .LBB23_2569
.LBB23_2561:
	s_mov_b64 s[0:1], -1
                                        ; implicit-def: $vgpr8
	s_branch .LBB23_2566
.LBB23_2562:
	s_mov_b64 s[0:1], -1
                                        ; implicit-def: $vgpr8
.LBB23_2563:
	s_andn2_b64 vcc, exec, s[0:1]
	s_cbranch_vccnz .LBB23_2565
; %bb.2564:
	global_load_dword v1, v[18:19], off
	s_mov_b32 s0, 0x2f800000
	s_waitcnt vmcnt(0)
	v_trunc_f32_e32 v1, v1
	v_mul_f32_e64 v3, |v1|, s0
	v_floor_f32_e32 v3, v3
	s_mov_b32 s0, 0xcf800000
	v_fma_f32 v3, v3, s0, |v1|
	v_cvt_u32_f32_e32 v3, v3
	v_ashrrev_i32_e32 v1, 31, v1
	v_xor_b32_e32 v3, v3, v1
	v_sub_u32_e32 v8, v3, v1
.LBB23_2565:
	s_mov_b64 s[0:1], 0
.LBB23_2566:
	s_andn2_b64 vcc, exec, s[0:1]
	s_cbranch_vccnz .LBB23_2568
; %bb.2567:
	global_load_dword v1, v[18:19], off
	s_waitcnt vmcnt(0)
	v_cvt_f32_f16_e32 v1, v1
	v_cvt_i32_f32_e32 v8, v1
.LBB23_2568:
	s_mov_b64 s[0:1], 0
.LBB23_2569:
	s_andn2_b64 vcc, exec, s[0:1]
	s_cbranch_vccnz .LBB23_2580
; %bb.2570:
	s_cmp_lt_i32 s24, 6
	s_cbranch_scc1 .LBB23_2573
; %bb.2571:
	s_cmp_gt_i32 s24, 6
	s_cbranch_scc0 .LBB23_2574
; %bb.2572:
	global_load_dwordx2 v[8:9], v[18:19], off
	s_movk_i32 s0, 0xffe0
	s_waitcnt vmcnt(0)
	v_trunc_f64_e32 v[8:9], v[8:9]
	v_ldexp_f64 v[20:21], v[8:9], s0
	s_mov_b32 s0, 0
	s_mov_b32 s1, 0xc1f00000
	v_floor_f64_e32 v[20:21], v[20:21]
	v_fma_f64 v[8:9], v[20:21], s[0:1], v[8:9]
	s_mov_b64 s[0:1], 0
	v_cvt_u32_f64_e32 v8, v[8:9]
	s_branch .LBB23_2575
.LBB23_2573:
	s_mov_b64 s[0:1], -1
                                        ; implicit-def: $vgpr8
	s_branch .LBB23_2578
.LBB23_2574:
	s_mov_b64 s[0:1], -1
                                        ; implicit-def: $vgpr8
.LBB23_2575:
	s_andn2_b64 vcc, exec, s[0:1]
	s_cbranch_vccnz .LBB23_2577
; %bb.2576:
	global_load_dword v1, v[18:19], off
	s_mov_b32 s0, 0x2f800000
	s_waitcnt vmcnt(0)
	v_trunc_f32_e32 v1, v1
	v_mul_f32_e64 v3, |v1|, s0
	v_floor_f32_e32 v3, v3
	s_mov_b32 s0, 0xcf800000
	v_fma_f32 v3, v3, s0, |v1|
	v_cvt_u32_f32_e32 v3, v3
	v_ashrrev_i32_e32 v1, 31, v1
	v_xor_b32_e32 v3, v3, v1
	v_sub_u32_e32 v8, v3, v1
.LBB23_2577:
	s_mov_b64 s[0:1], 0
.LBB23_2578:
	s_andn2_b64 vcc, exec, s[0:1]
	s_cbranch_vccnz .LBB23_2580
; %bb.2579:
	global_load_ushort v1, v[18:19], off
	s_waitcnt vmcnt(0)
	v_cvt_f32_f16_e32 v1, v1
	v_cvt_i32_f32_e32 v8, v1
.LBB23_2580:
	s_mov_b64 s[0:1], 0
.LBB23_2581:
	s_andn2_b64 vcc, exec, s[0:1]
	s_cbranch_vccnz .LBB23_2601
; %bb.2582:
	s_cmp_lt_i32 s24, 2
	s_cbranch_scc1 .LBB23_2586
; %bb.2583:
	s_cmp_lt_i32 s24, 3
	s_cbranch_scc1 .LBB23_2587
; %bb.2584:
	s_cmp_gt_i32 s24, 3
	s_cbranch_scc0 .LBB23_2588
; %bb.2585:
	global_load_dwordx2 v[8:9], v[18:19], off
	s_mov_b64 s[0:1], 0
	s_branch .LBB23_2589
.LBB23_2586:
	s_mov_b64 s[0:1], -1
                                        ; implicit-def: $vgpr8
	s_branch .LBB23_2595
.LBB23_2587:
	s_mov_b64 s[0:1], -1
                                        ; implicit-def: $vgpr8
	s_branch .LBB23_2592
.LBB23_2588:
	s_mov_b64 s[0:1], -1
                                        ; implicit-def: $vgpr8
.LBB23_2589:
	s_andn2_b64 vcc, exec, s[0:1]
	s_cbranch_vccnz .LBB23_2591
; %bb.2590:
	global_load_dword v8, v[18:19], off
.LBB23_2591:
	s_mov_b64 s[0:1], 0
.LBB23_2592:
	s_andn2_b64 vcc, exec, s[0:1]
	s_cbranch_vccnz .LBB23_2594
; %bb.2593:
	global_load_ushort v8, v[18:19], off
.LBB23_2594:
	s_mov_b64 s[0:1], 0
.LBB23_2595:
	s_andn2_b64 vcc, exec, s[0:1]
	s_cbranch_vccnz .LBB23_2601
; %bb.2596:
	s_cmp_gt_i32 s24, 0
	s_cbranch_scc0 .LBB23_2598
; %bb.2597:
	global_load_ubyte v8, v[18:19], off
	s_mov_b64 s[0:1], 0
	s_branch .LBB23_2599
.LBB23_2598:
	s_mov_b64 s[0:1], -1
                                        ; implicit-def: $vgpr8
.LBB23_2599:
	s_andn2_b64 vcc, exec, s[0:1]
	s_cbranch_vccnz .LBB23_2601
; %bb.2600:
	global_load_ubyte v8, v[18:19], off
.LBB23_2601:
	s_mov_b64 s[10:11], -1
.LBB23_2602:
	s_andn2_b64 vcc, exec, s[10:11]
	s_cbranch_vccnz .LBB23_3036
; %bb.2603:
	s_load_dword s0, s[2:3], 0x1a0
	s_bfe_u32 s18, s22, 0x80010
	v_mov_b32_e32 v3, s9
	s_waitcnt lgkmcnt(0)
	s_bfe_u32 s19, s0, 0x80008
	s_and_b32 s20, s0, 0xff
	v_mov_b32_e32 v1, s19
	v_cmp_gt_u16_sdwa vcc, v7, s20 src0_sel:BYTE_0 src1_sel:DWORD
	v_cndmask_b32_e32 v1, v1, v10, vcc
	v_add_co_u32_e32 v5, vcc, s8, v6
	s_cmp_lt_i32 s18, 11
	v_addc_co_u32_e32 v6, vcc, 0, v3, vcc
	s_cbranch_scc1 .LBB23_2681
; %bb.2604:
	s_and_b32 s21, 0xffff, s18
	s_mov_b64 s[10:11], -1
	s_mov_b64 s[2:3], 0
	s_cmp_gt_i32 s21, 25
	s_mov_b64 s[6:7], 0
	s_mov_b64 s[0:1], 0
	s_cbranch_scc0 .LBB23_2637
; %bb.2605:
	s_cmp_gt_i32 s21, 28
	s_cbranch_scc0 .LBB23_2620
; %bb.2606:
	s_cmp_gt_i32 s21, 43
	;; [unrolled: 3-line block ×3, first 2 shown]
	s_cbranch_scc0 .LBB23_2610
; %bb.2608:
	s_mov_b64 s[0:1], -1
	s_mov_b64 s[10:11], 0
	s_cmp_eq_u32 s21, 46
	s_cbranch_scc0 .LBB23_2610
; %bb.2609:
	v_cvt_f32_ubyte0_e32 v3, v1
	v_bfe_u32 v7, v3, 16, 1
	s_movk_i32 s0, 0x7fff
	v_add3_u32 v3, v3, v7, s0
	v_lshrrev_b32_e32 v3, 16, v3
	global_store_dword v[5:6], v3, off
	s_mov_b64 s[0:1], 0
	s_mov_b64 s[6:7], -1
.LBB23_2610:
	s_and_b64 vcc, exec, s[10:11]
	s_cbranch_vccz .LBB23_2615
; %bb.2611:
	s_cmp_eq_u32 s21, 44
	s_mov_b64 s[0:1], -1
	s_cbranch_scc0 .LBB23_2615
; %bb.2612:
	v_cvt_f32_ubyte0_e32 v7, v1
	v_lshrrev_b32_e32 v3, 23, v7
	s_movk_i32 s0, 0xff
	v_cmp_ne_u32_e32 vcc, s0, v3
	s_waitcnt vmcnt(0)
	v_mov_b32_e32 v9, 0xff
	s_and_saveexec_b64 s[6:7], vcc
; %bb.2613:
	s_mov_b32 s0, 0x3fffff
	v_and_b32_e32 v9, 0x400000, v7
	v_and_or_b32 v7, v7, s0, v3
	v_cmp_ne_u32_e32 vcc, 0, v9
	v_cmp_ne_u32_e64 s[0:1], 0, v7
	s_and_b64 s[0:1], vcc, s[0:1]
	v_cndmask_b32_e64 v7, 0, 1, s[0:1]
	v_add_u32_e32 v9, v3, v7
; %bb.2614:
	s_or_b64 exec, exec, s[6:7]
	s_mov_b64 s[0:1], 0
	s_mov_b64 s[6:7], -1
	global_store_byte v[5:6], v9, off
.LBB23_2615:
	s_mov_b64 s[10:11], 0
.LBB23_2616:
	s_and_b64 vcc, exec, s[10:11]
	s_cbranch_vccz .LBB23_2619
; %bb.2617:
	s_cmp_eq_u32 s21, 29
	s_mov_b64 s[0:1], -1
	s_cbranch_scc0 .LBB23_2619
; %bb.2618:
	s_waitcnt vmcnt(0)
	v_and_b32_e32 v9, 0xff, v1
	v_mov_b32_e32 v10, 0
	global_store_dwordx2 v[5:6], v[9:10], off
	s_mov_b64 s[0:1], 0
	s_mov_b64 s[6:7], -1
.LBB23_2619:
	s_mov_b64 s[10:11], 0
.LBB23_2620:
	s_and_b64 vcc, exec, s[10:11]
	s_cbranch_vccz .LBB23_2636
; %bb.2621:
	s_cmp_lt_i32 s21, 27
	s_mov_b64 s[6:7], -1
	s_cbranch_scc1 .LBB23_2627
; %bb.2622:
	s_cmp_gt_i32 s21, 27
	s_cbranch_scc0 .LBB23_2624
; %bb.2623:
	v_and_b32_e32 v3, 0xff, v1
	s_mov_b64 s[6:7], 0
	global_store_dword v[5:6], v3, off
.LBB23_2624:
	s_andn2_b64 vcc, exec, s[6:7]
	s_cbranch_vccnz .LBB23_2626
; %bb.2625:
	v_and_b32_e32 v3, 0xff, v1
	global_store_short v[5:6], v3, off
.LBB23_2626:
	s_mov_b64 s[6:7], 0
.LBB23_2627:
	s_andn2_b64 vcc, exec, s[6:7]
	s_cbranch_vccnz .LBB23_2635
; %bb.2628:
	v_cvt_f32_ubyte0_e32 v7, v1
	s_mov_b32 s6, 0x43800000
	v_cmp_gt_u32_e32 vcc, s6, v7
	s_waitcnt vmcnt(0)
	v_mov_b32_e32 v9, 0x80
	s_and_saveexec_b64 s[6:7], vcc
	s_cbranch_execz .LBB23_2634
; %bb.2629:
	s_mov_b32 s10, 0x3bffffff
	v_cmp_lt_u32_e32 vcc, s10, v7
	s_mov_b64 s[10:11], 0
                                        ; implicit-def: $vgpr3
	s_and_saveexec_b64 s[16:17], vcc
	s_xor_b64 s[16:17], exec, s[16:17]
	s_cbranch_execz .LBB23_3083
; %bb.2630:
	v_bfe_u32 v3, v7, 20, 1
	s_mov_b32 s23, 0x487ffff
	v_add3_u32 v3, v7, v3, s23
	s_mov_b64 s[10:11], exec
	v_lshrrev_b32_e32 v3, 20, v3
                                        ; implicit-def: $vgpr7
	s_andn2_saveexec_b64 s[16:17], s[16:17]
	s_cbranch_execnz .LBB23_3084
.LBB23_2631:
	s_or_b64 exec, exec, s[16:17]
	v_mov_b32_e32 v9, 0
	s_and_saveexec_b64 s[16:17], s[10:11]
.LBB23_2632:
	v_mov_b32_e32 v9, v3
.LBB23_2633:
	s_or_b64 exec, exec, s[16:17]
.LBB23_2634:
	s_or_b64 exec, exec, s[6:7]
	global_store_byte v[5:6], v9, off
.LBB23_2635:
	s_mov_b64 s[6:7], -1
.LBB23_2636:
	s_mov_b64 s[10:11], 0
.LBB23_2637:
	s_and_b64 vcc, exec, s[10:11]
	s_cbranch_vccz .LBB23_2677
; %bb.2638:
	s_cmp_gt_i32 s21, 22
	s_mov_b64 s[2:3], -1
	s_cbranch_scc0 .LBB23_2670
; %bb.2639:
	s_cmp_lt_i32 s21, 24
	s_cbranch_scc1 .LBB23_2659
; %bb.2640:
	s_cmp_gt_i32 s21, 24
	s_cbranch_scc0 .LBB23_2648
; %bb.2641:
	v_cvt_f32_ubyte0_e32 v7, v1
	s_mov_b32 s2, 0x47800000
	v_cmp_gt_u32_e32 vcc, s2, v7
	s_waitcnt vmcnt(0)
	v_mov_b32_e32 v9, 0x80
	s_and_saveexec_b64 s[2:3], vcc
	s_cbranch_execz .LBB23_2647
; %bb.2642:
	s_mov_b32 s6, 0x37ffffff
	v_cmp_lt_u32_e32 vcc, s6, v7
	s_mov_b64 s[6:7], 0
                                        ; implicit-def: $vgpr3
	s_and_saveexec_b64 s[10:11], vcc
	s_xor_b64 s[10:11], exec, s[10:11]
	s_cbranch_execz .LBB23_3086
; %bb.2643:
	v_bfe_u32 v3, v7, 21, 1
	s_mov_b32 s16, 0x88fffff
	v_add3_u32 v3, v7, v3, s16
	s_mov_b64 s[6:7], exec
	v_lshrrev_b32_e32 v3, 21, v3
                                        ; implicit-def: $vgpr7
	s_andn2_saveexec_b64 s[10:11], s[10:11]
	s_cbranch_execnz .LBB23_3087
.LBB23_2644:
	s_or_b64 exec, exec, s[10:11]
	v_mov_b32_e32 v9, 0
	s_and_saveexec_b64 s[10:11], s[6:7]
.LBB23_2645:
	v_mov_b32_e32 v9, v3
.LBB23_2646:
	s_or_b64 exec, exec, s[10:11]
.LBB23_2647:
	s_or_b64 exec, exec, s[2:3]
	s_mov_b64 s[2:3], 0
	global_store_byte v[5:6], v9, off
.LBB23_2648:
	s_and_b64 vcc, exec, s[2:3]
	s_cbranch_vccz .LBB23_2658
; %bb.2649:
	v_cvt_f32_ubyte0_e32 v3, v1
	s_mov_b32 s2, 0x43f00000
	v_cmp_gt_u32_e32 vcc, s2, v3
                                        ; implicit-def: $vgpr7
	s_and_saveexec_b64 s[2:3], vcc
	s_xor_b64 s[2:3], exec, s[2:3]
	s_cbranch_execz .LBB23_2655
; %bb.2650:
	s_mov_b32 s6, 0x3c7fffff
	v_cmp_lt_u32_e32 vcc, s6, v3
                                        ; implicit-def: $vgpr7
	s_and_saveexec_b64 s[6:7], vcc
	s_xor_b64 s[6:7], exec, s[6:7]
	s_cbranch_execz .LBB23_2652
; %bb.2651:
	v_bfe_u32 v7, v3, 20, 1
	s_mov_b32 s10, 0x407ffff
	v_add3_u32 v3, v3, v7, s10
	v_lshrrev_b32_e32 v7, 20, v3
	v_and_b32_e32 v3, 0xff00000, v3
	s_mov_b32 s10, 0x7f00000
	s_waitcnt vmcnt(0)
	v_mov_b32_e32 v9, 0x7e
	v_cmp_ne_u32_e32 vcc, s10, v3
	v_cndmask_b32_e32 v7, v9, v7, vcc
                                        ; implicit-def: $vgpr3
.LBB23_2652:
	s_andn2_saveexec_b64 s[6:7], s[6:7]
; %bb.2653:
	v_add_f32_e32 v7, 0x46800000, v3
; %bb.2654:
	s_or_b64 exec, exec, s[6:7]
                                        ; implicit-def: $vgpr3
.LBB23_2655:
	s_andn2_saveexec_b64 s[2:3], s[2:3]
	s_cbranch_execz .LBB23_2657
; %bb.2656:
	s_mov_b32 s6, 0x7f800000
	v_mov_b32_e32 v7, 0x7e
	s_waitcnt vmcnt(0)
	v_mov_b32_e32 v9, 0x7f
	v_cmp_lt_u32_e32 vcc, s6, v3
	v_cndmask_b32_e32 v7, v7, v9, vcc
.LBB23_2657:
	s_or_b64 exec, exec, s[2:3]
	global_store_byte v[5:6], v7, off
.LBB23_2658:
	s_mov_b64 s[2:3], 0
.LBB23_2659:
	s_andn2_b64 vcc, exec, s[2:3]
	s_cbranch_vccnz .LBB23_2669
; %bb.2660:
	v_cvt_f32_ubyte0_e32 v3, v1
	s_mov_b32 s2, 0x47800000
	v_cmp_gt_u32_e32 vcc, s2, v3
                                        ; implicit-def: $vgpr7
	s_and_saveexec_b64 s[2:3], vcc
	s_xor_b64 s[2:3], exec, s[2:3]
	s_cbranch_execz .LBB23_2666
; %bb.2661:
	s_mov_b32 s6, 0x387fffff
	v_cmp_lt_u32_e32 vcc, s6, v3
                                        ; implicit-def: $vgpr7
	s_and_saveexec_b64 s[6:7], vcc
	s_xor_b64 s[6:7], exec, s[6:7]
; %bb.2662:
	v_bfe_u32 v7, v3, 21, 1
	s_mov_b32 s10, 0x80fffff
	v_add3_u32 v3, v3, v7, s10
	v_lshrrev_b32_e32 v7, 21, v3
                                        ; implicit-def: $vgpr3
; %bb.2663:
	s_andn2_saveexec_b64 s[6:7], s[6:7]
; %bb.2664:
	v_add_f32_e32 v7, 0x43000000, v3
; %bb.2665:
	s_or_b64 exec, exec, s[6:7]
                                        ; implicit-def: $vgpr3
.LBB23_2666:
	s_andn2_saveexec_b64 s[2:3], s[2:3]
	s_cbranch_execz .LBB23_2668
; %bb.2667:
	s_mov_b32 s6, 0x7f800000
	v_mov_b32_e32 v7, 0x7c
	s_waitcnt vmcnt(0)
	v_mov_b32_e32 v9, 0x7f
	v_cmp_lt_u32_e32 vcc, s6, v3
	v_cndmask_b32_e32 v7, v7, v9, vcc
.LBB23_2668:
	s_or_b64 exec, exec, s[2:3]
	global_store_byte v[5:6], v7, off
.LBB23_2669:
	s_mov_b64 s[2:3], 0
	s_mov_b64 s[6:7], -1
.LBB23_2670:
	s_andn2_b64 vcc, exec, s[2:3]
	s_mov_b64 s[2:3], 0
	s_cbranch_vccnz .LBB23_2677
; %bb.2671:
	s_cmp_gt_i32 s21, 14
	s_mov_b64 s[10:11], -1
	s_cbranch_scc0 .LBB23_2675
; %bb.2672:
	s_cmp_eq_u32 s21, 15
	s_mov_b64 s[0:1], -1
	s_cbranch_scc0 .LBB23_2674
; %bb.2673:
	v_cvt_f32_ubyte0_e32 v3, v1
	v_bfe_u32 v7, v3, 16, 1
	s_movk_i32 s0, 0x7fff
	v_add3_u32 v3, v3, v7, s0
	global_store_short_d16_hi v[5:6], v3, off
	s_mov_b64 s[0:1], 0
	s_mov_b64 s[6:7], -1
.LBB23_2674:
	s_mov_b64 s[10:11], 0
.LBB23_2675:
	s_and_b64 vcc, exec, s[10:11]
	s_cbranch_vccz .LBB23_2677
; %bb.2676:
	s_cmp_lg_u32 s21, 11
	s_mov_b64 s[2:3], -1
	s_cselect_b64 s[0:1], -1, 0
.LBB23_2677:
	s_and_b64 vcc, exec, s[0:1]
	s_cbranch_vccnz .LBB23_3085
; %bb.2678:
	s_andn2_b64 vcc, exec, s[2:3]
	s_cbranch_vccnz .LBB23_2680
.LBB23_2679:
	v_mov_b32_e32 v3, 0
	v_cmp_ne_u16_sdwa s[0:1], v1, v3 src0_sel:BYTE_0 src1_sel:DWORD
	v_cndmask_b32_e64 v3, 0, 1, s[0:1]
	s_mov_b64 s[6:7], -1
	global_store_byte v[5:6], v3, off
.LBB23_2680:
	s_mov_b64 s[0:1], 0
	s_branch .LBB23_2682
.LBB23_2681:
	s_mov_b64 s[0:1], -1
	s_mov_b64 s[6:7], 0
.LBB23_2682:
	s_and_b64 vcc, exec, s[0:1]
	s_cbranch_vccz .LBB23_2721
; %bb.2683:
	s_and_b32 s2, 0xffff, s18
	s_cmp_lt_i32 s2, 5
	s_mov_b64 s[0:1], -1
	s_cbranch_scc1 .LBB23_2704
; %bb.2684:
	s_cmp_lt_i32 s2, 8
	s_cbranch_scc1 .LBB23_2694
; %bb.2685:
	s_cmp_lt_i32 s2, 9
	s_cbranch_scc1 .LBB23_2691
; %bb.2686:
	s_cmp_gt_i32 s2, 9
	s_cbranch_scc0 .LBB23_2688
; %bb.2687:
	s_mov_b32 s0, 0xffff
	v_and_b32_sdwa v3, s0, v1 dst_sel:DWORD dst_unused:UNUSED_PAD src0_sel:DWORD src1_sel:BYTE_0
	v_cvt_f64_u32_e32 v[18:19], v3
	v_mov_b32_e32 v20, 0
	v_mov_b32_e32 v21, v20
	s_mov_b64 s[0:1], 0
	global_store_dwordx4 v[5:6], v[18:21], off
.LBB23_2688:
	s_andn2_b64 vcc, exec, s[0:1]
	s_cbranch_vccnz .LBB23_2690
; %bb.2689:
	s_waitcnt vmcnt(0)
	v_cvt_f32_ubyte0_e32 v9, v1
	v_mov_b32_e32 v10, 0
	global_store_dwordx2 v[5:6], v[9:10], off
.LBB23_2690:
	s_mov_b64 s[0:1], 0
.LBB23_2691:
	s_andn2_b64 vcc, exec, s[0:1]
	s_cbranch_vccnz .LBB23_2693
; %bb.2692:
	v_cvt_f16_u16_sdwa v3, v1 dst_sel:DWORD dst_unused:UNUSED_PAD src0_sel:BYTE_0
	global_store_dword v[5:6], v3, off
.LBB23_2693:
	s_mov_b64 s[0:1], 0
.LBB23_2694:
	s_andn2_b64 vcc, exec, s[0:1]
	s_cbranch_vccnz .LBB23_2703
; %bb.2695:
	s_cmp_lt_i32 s2, 6
	s_mov_b64 s[0:1], -1
	s_cbranch_scc1 .LBB23_2701
; %bb.2696:
	s_cmp_gt_i32 s2, 6
	s_cbranch_scc0 .LBB23_2698
; %bb.2697:
	s_mov_b32 s0, 0xffff
	v_and_b32_sdwa v3, s0, v1 dst_sel:DWORD dst_unused:UNUSED_PAD src0_sel:DWORD src1_sel:BYTE_0
	s_waitcnt vmcnt(0)
	v_cvt_f64_u32_e32 v[9:10], v3
	s_mov_b64 s[0:1], 0
	global_store_dwordx2 v[5:6], v[9:10], off
.LBB23_2698:
	s_andn2_b64 vcc, exec, s[0:1]
	s_cbranch_vccnz .LBB23_2700
; %bb.2699:
	v_cvt_f32_ubyte0_e32 v3, v1
	global_store_dword v[5:6], v3, off
.LBB23_2700:
	s_mov_b64 s[0:1], 0
.LBB23_2701:
	s_andn2_b64 vcc, exec, s[0:1]
	s_cbranch_vccnz .LBB23_2703
; %bb.2702:
	v_cvt_f16_u16_sdwa v3, v1 dst_sel:DWORD dst_unused:UNUSED_PAD src0_sel:BYTE_0
	global_store_short v[5:6], v3, off
.LBB23_2703:
	s_mov_b64 s[0:1], 0
.LBB23_2704:
	s_andn2_b64 vcc, exec, s[0:1]
	s_cbranch_vccnz .LBB23_2720
; %bb.2705:
	s_cmp_lt_i32 s2, 2
	s_mov_b64 s[0:1], -1
	s_cbranch_scc1 .LBB23_2715
; %bb.2706:
	s_cmp_lt_i32 s2, 3
	s_cbranch_scc1 .LBB23_2712
; %bb.2707:
	s_cmp_gt_i32 s2, 3
	s_cbranch_scc0 .LBB23_2709
; %bb.2708:
	s_waitcnt vmcnt(0)
	v_and_b32_e32 v9, 0xff, v1
	v_mov_b32_e32 v10, 0
	global_store_dwordx2 v[5:6], v[9:10], off
	s_mov_b64 s[0:1], 0
.LBB23_2709:
	s_andn2_b64 vcc, exec, s[0:1]
	s_cbranch_vccnz .LBB23_2711
; %bb.2710:
	v_and_b32_e32 v3, 0xff, v1
	global_store_dword v[5:6], v3, off
.LBB23_2711:
	s_mov_b64 s[0:1], 0
.LBB23_2712:
	s_andn2_b64 vcc, exec, s[0:1]
	s_cbranch_vccnz .LBB23_2714
; %bb.2713:
	v_and_b32_e32 v3, 0xff, v1
	global_store_short v[5:6], v3, off
.LBB23_2714:
	s_mov_b64 s[0:1], 0
.LBB23_2715:
	s_andn2_b64 vcc, exec, s[0:1]
	s_cbranch_vccnz .LBB23_2720
; %bb.2716:
	s_cmp_gt_i32 s2, 0
	s_mov_b64 s[0:1], -1
	s_cbranch_scc0 .LBB23_2718
; %bb.2717:
	global_store_byte v[5:6], v1, off
	s_mov_b64 s[0:1], 0
.LBB23_2718:
	s_andn2_b64 vcc, exec, s[0:1]
	s_cbranch_vccnz .LBB23_2720
; %bb.2719:
	global_store_byte v[5:6], v1, off
.LBB23_2720:
	s_mov_b64 s[6:7], -1
.LBB23_2721:
	s_andn2_b64 vcc, exec, s[6:7]
	s_cbranch_vccnz .LBB23_3036
; %bb.2722:
	s_lshr_b32 s0, s22, 16
	v_mov_b32_e32 v1, s19
	v_cmp_gt_u16_sdwa vcc, v11, s20 src0_sel:BYTE_0 src1_sel:DWORD
	s_and_b32 s18, s0, 0xff
	v_cndmask_b32_e32 v1, v1, v14, vcc
	v_mov_b32_e32 v5, s9
	v_add_co_u32_e32 v3, vcc, s8, v4
	s_cmp_lt_i32 s18, 11
	v_addc_co_u32_e32 v4, vcc, 0, v5, vcc
	s_cbranch_scc1 .LBB23_2800
; %bb.2723:
	s_and_b32 s21, 0xffff, s18
	s_mov_b64 s[10:11], -1
	s_mov_b64 s[2:3], 0
	s_cmp_gt_i32 s21, 25
	s_mov_b64 s[6:7], 0
	s_mov_b64 s[0:1], 0
	s_cbranch_scc0 .LBB23_2756
; %bb.2724:
	s_cmp_gt_i32 s21, 28
	s_cbranch_scc0 .LBB23_2739
; %bb.2725:
	s_cmp_gt_i32 s21, 43
	;; [unrolled: 3-line block ×3, first 2 shown]
	s_cbranch_scc0 .LBB23_2729
; %bb.2727:
	s_mov_b64 s[0:1], -1
	s_mov_b64 s[10:11], 0
	s_cmp_eq_u32 s21, 46
	s_cbranch_scc0 .LBB23_2729
; %bb.2728:
	v_cvt_f32_ubyte0_e32 v5, v1
	v_bfe_u32 v6, v5, 16, 1
	s_movk_i32 s0, 0x7fff
	v_add3_u32 v5, v5, v6, s0
	v_lshrrev_b32_e32 v5, 16, v5
	global_store_dword v[3:4], v5, off
	s_mov_b64 s[0:1], 0
	s_mov_b64 s[6:7], -1
.LBB23_2729:
	s_and_b64 vcc, exec, s[10:11]
	s_cbranch_vccz .LBB23_2734
; %bb.2730:
	s_cmp_eq_u32 s21, 44
	s_mov_b64 s[0:1], -1
	s_cbranch_scc0 .LBB23_2734
; %bb.2731:
	v_cvt_f32_ubyte0_e32 v6, v1
	v_lshrrev_b32_e32 v5, 23, v6
	s_movk_i32 s0, 0xff
	v_cmp_ne_u32_e32 vcc, s0, v5
	v_mov_b32_e32 v7, 0xff
	s_and_saveexec_b64 s[6:7], vcc
; %bb.2732:
	s_mov_b32 s0, 0x3fffff
	v_and_b32_e32 v7, 0x400000, v6
	v_and_or_b32 v6, v6, s0, v5
	v_cmp_ne_u32_e32 vcc, 0, v7
	v_cmp_ne_u32_e64 s[0:1], 0, v6
	s_and_b64 s[0:1], vcc, s[0:1]
	v_cndmask_b32_e64 v6, 0, 1, s[0:1]
	v_add_u32_e32 v7, v5, v6
; %bb.2733:
	s_or_b64 exec, exec, s[6:7]
	s_mov_b64 s[0:1], 0
	s_mov_b64 s[6:7], -1
	global_store_byte v[3:4], v7, off
.LBB23_2734:
	s_mov_b64 s[10:11], 0
.LBB23_2735:
	s_and_b64 vcc, exec, s[10:11]
	s_cbranch_vccz .LBB23_2738
; %bb.2736:
	s_cmp_eq_u32 s21, 29
	s_mov_b64 s[0:1], -1
	s_cbranch_scc0 .LBB23_2738
; %bb.2737:
	v_and_b32_e32 v5, 0xff, v1
	v_mov_b32_e32 v6, 0
	global_store_dwordx2 v[3:4], v[5:6], off
	s_mov_b64 s[0:1], 0
	s_mov_b64 s[6:7], -1
.LBB23_2738:
	s_mov_b64 s[10:11], 0
.LBB23_2739:
	s_and_b64 vcc, exec, s[10:11]
	s_cbranch_vccz .LBB23_2755
; %bb.2740:
	s_cmp_lt_i32 s21, 27
	s_mov_b64 s[6:7], -1
	s_cbranch_scc1 .LBB23_2746
; %bb.2741:
	s_cmp_gt_i32 s21, 27
	s_cbranch_scc0 .LBB23_2743
; %bb.2742:
	v_and_b32_e32 v5, 0xff, v1
	s_mov_b64 s[6:7], 0
	global_store_dword v[3:4], v5, off
.LBB23_2743:
	s_andn2_b64 vcc, exec, s[6:7]
	s_cbranch_vccnz .LBB23_2745
; %bb.2744:
	v_and_b32_e32 v5, 0xff, v1
	global_store_short v[3:4], v5, off
.LBB23_2745:
	s_mov_b64 s[6:7], 0
.LBB23_2746:
	s_andn2_b64 vcc, exec, s[6:7]
	s_cbranch_vccnz .LBB23_2754
; %bb.2747:
	v_cvt_f32_ubyte0_e32 v6, v1
	s_mov_b32 s6, 0x43800000
	v_cmp_gt_u32_e32 vcc, s6, v6
	v_mov_b32_e32 v7, 0x80
	s_and_saveexec_b64 s[6:7], vcc
	s_cbranch_execz .LBB23_2753
; %bb.2748:
	s_mov_b32 s10, 0x3bffffff
	v_cmp_lt_u32_e32 vcc, s10, v6
	s_mov_b64 s[10:11], 0
                                        ; implicit-def: $vgpr5
	s_and_saveexec_b64 s[16:17], vcc
	s_xor_b64 s[16:17], exec, s[16:17]
	s_cbranch_execz .LBB23_3088
; %bb.2749:
	v_bfe_u32 v5, v6, 20, 1
	s_mov_b32 s22, 0x487ffff
	v_add3_u32 v5, v6, v5, s22
	s_mov_b64 s[10:11], exec
	v_lshrrev_b32_e32 v5, 20, v5
                                        ; implicit-def: $vgpr6
	s_andn2_saveexec_b64 s[16:17], s[16:17]
	s_cbranch_execnz .LBB23_3089
.LBB23_2750:
	s_or_b64 exec, exec, s[16:17]
	v_mov_b32_e32 v7, 0
	s_and_saveexec_b64 s[16:17], s[10:11]
.LBB23_2751:
	v_mov_b32_e32 v7, v5
.LBB23_2752:
	s_or_b64 exec, exec, s[16:17]
.LBB23_2753:
	s_or_b64 exec, exec, s[6:7]
	global_store_byte v[3:4], v7, off
.LBB23_2754:
	s_mov_b64 s[6:7], -1
.LBB23_2755:
	s_mov_b64 s[10:11], 0
.LBB23_2756:
	s_and_b64 vcc, exec, s[10:11]
	s_cbranch_vccz .LBB23_2796
; %bb.2757:
	s_cmp_gt_i32 s21, 22
	s_mov_b64 s[2:3], -1
	s_cbranch_scc0 .LBB23_2789
; %bb.2758:
	s_cmp_lt_i32 s21, 24
	s_cbranch_scc1 .LBB23_2778
; %bb.2759:
	s_cmp_gt_i32 s21, 24
	s_cbranch_scc0 .LBB23_2767
; %bb.2760:
	v_cvt_f32_ubyte0_e32 v6, v1
	s_mov_b32 s2, 0x47800000
	v_cmp_gt_u32_e32 vcc, s2, v6
	v_mov_b32_e32 v7, 0x80
	s_and_saveexec_b64 s[2:3], vcc
	s_cbranch_execz .LBB23_2766
; %bb.2761:
	s_mov_b32 s6, 0x37ffffff
	v_cmp_lt_u32_e32 vcc, s6, v6
	s_mov_b64 s[6:7], 0
                                        ; implicit-def: $vgpr5
	s_and_saveexec_b64 s[10:11], vcc
	s_xor_b64 s[10:11], exec, s[10:11]
	s_cbranch_execz .LBB23_3091
; %bb.2762:
	v_bfe_u32 v5, v6, 21, 1
	s_mov_b32 s16, 0x88fffff
	v_add3_u32 v5, v6, v5, s16
	s_mov_b64 s[6:7], exec
	v_lshrrev_b32_e32 v5, 21, v5
                                        ; implicit-def: $vgpr6
	s_andn2_saveexec_b64 s[10:11], s[10:11]
	s_cbranch_execnz .LBB23_3092
.LBB23_2763:
	s_or_b64 exec, exec, s[10:11]
	v_mov_b32_e32 v7, 0
	s_and_saveexec_b64 s[10:11], s[6:7]
.LBB23_2764:
	v_mov_b32_e32 v7, v5
.LBB23_2765:
	s_or_b64 exec, exec, s[10:11]
.LBB23_2766:
	s_or_b64 exec, exec, s[2:3]
	s_mov_b64 s[2:3], 0
	global_store_byte v[3:4], v7, off
.LBB23_2767:
	s_and_b64 vcc, exec, s[2:3]
	s_cbranch_vccz .LBB23_2777
; %bb.2768:
	v_cvt_f32_ubyte0_e32 v5, v1
	s_mov_b32 s2, 0x43f00000
	v_cmp_gt_u32_e32 vcc, s2, v5
                                        ; implicit-def: $vgpr6
	s_and_saveexec_b64 s[2:3], vcc
	s_xor_b64 s[2:3], exec, s[2:3]
	s_cbranch_execz .LBB23_2774
; %bb.2769:
	s_mov_b32 s6, 0x3c7fffff
	v_cmp_lt_u32_e32 vcc, s6, v5
                                        ; implicit-def: $vgpr6
	s_and_saveexec_b64 s[6:7], vcc
	s_xor_b64 s[6:7], exec, s[6:7]
; %bb.2770:
	v_bfe_u32 v6, v5, 20, 1
	s_mov_b32 s10, 0x407ffff
	v_add3_u32 v5, v5, v6, s10
	v_lshrrev_b32_e32 v6, 20, v5
	v_and_b32_e32 v5, 0xff00000, v5
	s_mov_b32 s10, 0x7f00000
	v_mov_b32_e32 v7, 0x7e
	v_cmp_ne_u32_e32 vcc, s10, v5
	v_cndmask_b32_e32 v6, v7, v6, vcc
                                        ; implicit-def: $vgpr5
; %bb.2771:
	s_andn2_saveexec_b64 s[6:7], s[6:7]
; %bb.2772:
	v_add_f32_e32 v6, 0x46800000, v5
; %bb.2773:
	s_or_b64 exec, exec, s[6:7]
                                        ; implicit-def: $vgpr5
.LBB23_2774:
	s_andn2_saveexec_b64 s[2:3], s[2:3]
; %bb.2775:
	s_mov_b32 s6, 0x7f800000
	v_mov_b32_e32 v6, 0x7e
	v_mov_b32_e32 v7, 0x7f
	v_cmp_lt_u32_e32 vcc, s6, v5
	v_cndmask_b32_e32 v6, v6, v7, vcc
; %bb.2776:
	s_or_b64 exec, exec, s[2:3]
	global_store_byte v[3:4], v6, off
.LBB23_2777:
	s_mov_b64 s[2:3], 0
.LBB23_2778:
	s_andn2_b64 vcc, exec, s[2:3]
	s_cbranch_vccnz .LBB23_2788
; %bb.2779:
	v_cvt_f32_ubyte0_e32 v5, v1
	s_mov_b32 s2, 0x47800000
	v_cmp_gt_u32_e32 vcc, s2, v5
                                        ; implicit-def: $vgpr6
	s_and_saveexec_b64 s[2:3], vcc
	s_xor_b64 s[2:3], exec, s[2:3]
	s_cbranch_execz .LBB23_2785
; %bb.2780:
	s_mov_b32 s6, 0x387fffff
	v_cmp_lt_u32_e32 vcc, s6, v5
                                        ; implicit-def: $vgpr6
	s_and_saveexec_b64 s[6:7], vcc
	s_xor_b64 s[6:7], exec, s[6:7]
; %bb.2781:
	v_bfe_u32 v6, v5, 21, 1
	s_mov_b32 s10, 0x80fffff
	v_add3_u32 v5, v5, v6, s10
	v_lshrrev_b32_e32 v6, 21, v5
                                        ; implicit-def: $vgpr5
; %bb.2782:
	s_andn2_saveexec_b64 s[6:7], s[6:7]
; %bb.2783:
	v_add_f32_e32 v6, 0x43000000, v5
; %bb.2784:
	s_or_b64 exec, exec, s[6:7]
                                        ; implicit-def: $vgpr5
.LBB23_2785:
	s_andn2_saveexec_b64 s[2:3], s[2:3]
; %bb.2786:
	s_mov_b32 s6, 0x7f800000
	v_mov_b32_e32 v6, 0x7c
	v_mov_b32_e32 v7, 0x7f
	v_cmp_lt_u32_e32 vcc, s6, v5
	v_cndmask_b32_e32 v6, v6, v7, vcc
; %bb.2787:
	s_or_b64 exec, exec, s[2:3]
	global_store_byte v[3:4], v6, off
.LBB23_2788:
	s_mov_b64 s[2:3], 0
	s_mov_b64 s[6:7], -1
.LBB23_2789:
	s_andn2_b64 vcc, exec, s[2:3]
	s_mov_b64 s[2:3], 0
	s_cbranch_vccnz .LBB23_2796
; %bb.2790:
	s_cmp_gt_i32 s21, 14
	s_mov_b64 s[10:11], -1
	s_cbranch_scc0 .LBB23_2794
; %bb.2791:
	s_cmp_eq_u32 s21, 15
	s_mov_b64 s[0:1], -1
	s_cbranch_scc0 .LBB23_2793
; %bb.2792:
	v_cvt_f32_ubyte0_e32 v5, v1
	v_bfe_u32 v6, v5, 16, 1
	s_movk_i32 s0, 0x7fff
	v_add3_u32 v5, v5, v6, s0
	global_store_short_d16_hi v[3:4], v5, off
	s_mov_b64 s[0:1], 0
	s_mov_b64 s[6:7], -1
.LBB23_2793:
	s_mov_b64 s[10:11], 0
.LBB23_2794:
	s_and_b64 vcc, exec, s[10:11]
	s_cbranch_vccz .LBB23_2796
; %bb.2795:
	s_cmp_lg_u32 s21, 11
	s_mov_b64 s[2:3], -1
	s_cselect_b64 s[0:1], -1, 0
.LBB23_2796:
	s_and_b64 vcc, exec, s[0:1]
	s_cbranch_vccnz .LBB23_3090
; %bb.2797:
	s_andn2_b64 vcc, exec, s[2:3]
	s_cbranch_vccnz .LBB23_2799
.LBB23_2798:
	v_mov_b32_e32 v5, 0
	v_cmp_ne_u16_sdwa s[0:1], v1, v5 src0_sel:BYTE_0 src1_sel:DWORD
	v_cndmask_b32_e64 v5, 0, 1, s[0:1]
	s_mov_b64 s[6:7], -1
	global_store_byte v[3:4], v5, off
.LBB23_2799:
	s_mov_b64 s[0:1], 0
	s_branch .LBB23_2801
.LBB23_2800:
	s_mov_b64 s[0:1], -1
	s_mov_b64 s[6:7], 0
.LBB23_2801:
	s_and_b64 vcc, exec, s[0:1]
	s_cbranch_vccz .LBB23_2840
; %bb.2802:
	s_and_b32 s2, 0xffff, s18
	s_cmp_lt_i32 s2, 5
	s_mov_b64 s[0:1], -1
	s_cbranch_scc1 .LBB23_2823
; %bb.2803:
	s_cmp_lt_i32 s2, 8
	s_cbranch_scc1 .LBB23_2813
; %bb.2804:
	s_cmp_lt_i32 s2, 9
	s_cbranch_scc1 .LBB23_2810
; %bb.2805:
	s_cmp_gt_i32 s2, 9
	s_cbranch_scc0 .LBB23_2807
; %bb.2806:
	s_mov_b32 s0, 0xffff
	v_and_b32_sdwa v5, s0, v1 dst_sel:DWORD dst_unused:UNUSED_PAD src0_sel:DWORD src1_sel:BYTE_0
	v_cvt_f64_u32_e32 v[18:19], v5
	v_mov_b32_e32 v20, 0
	v_mov_b32_e32 v21, v20
	s_mov_b64 s[0:1], 0
	global_store_dwordx4 v[3:4], v[18:21], off
.LBB23_2807:
	s_andn2_b64 vcc, exec, s[0:1]
	s_cbranch_vccnz .LBB23_2809
; %bb.2808:
	v_cvt_f32_ubyte0_e32 v5, v1
	v_mov_b32_e32 v6, 0
	global_store_dwordx2 v[3:4], v[5:6], off
.LBB23_2809:
	s_mov_b64 s[0:1], 0
.LBB23_2810:
	s_andn2_b64 vcc, exec, s[0:1]
	s_cbranch_vccnz .LBB23_2812
; %bb.2811:
	v_cvt_f16_u16_sdwa v5, v1 dst_sel:DWORD dst_unused:UNUSED_PAD src0_sel:BYTE_0
	global_store_dword v[3:4], v5, off
.LBB23_2812:
	s_mov_b64 s[0:1], 0
.LBB23_2813:
	s_andn2_b64 vcc, exec, s[0:1]
	s_cbranch_vccnz .LBB23_2822
; %bb.2814:
	s_cmp_lt_i32 s2, 6
	s_mov_b64 s[0:1], -1
	s_cbranch_scc1 .LBB23_2820
; %bb.2815:
	s_cmp_gt_i32 s2, 6
	s_cbranch_scc0 .LBB23_2817
; %bb.2816:
	s_mov_b32 s0, 0xffff
	v_and_b32_sdwa v5, s0, v1 dst_sel:DWORD dst_unused:UNUSED_PAD src0_sel:DWORD src1_sel:BYTE_0
	v_cvt_f64_u32_e32 v[5:6], v5
	s_mov_b64 s[0:1], 0
	global_store_dwordx2 v[3:4], v[5:6], off
.LBB23_2817:
	s_andn2_b64 vcc, exec, s[0:1]
	s_cbranch_vccnz .LBB23_2819
; %bb.2818:
	v_cvt_f32_ubyte0_e32 v5, v1
	global_store_dword v[3:4], v5, off
.LBB23_2819:
	s_mov_b64 s[0:1], 0
.LBB23_2820:
	s_andn2_b64 vcc, exec, s[0:1]
	s_cbranch_vccnz .LBB23_2822
; %bb.2821:
	v_cvt_f16_u16_sdwa v5, v1 dst_sel:DWORD dst_unused:UNUSED_PAD src0_sel:BYTE_0
	global_store_short v[3:4], v5, off
.LBB23_2822:
	s_mov_b64 s[0:1], 0
.LBB23_2823:
	s_andn2_b64 vcc, exec, s[0:1]
	s_cbranch_vccnz .LBB23_2839
; %bb.2824:
	s_cmp_lt_i32 s2, 2
	s_mov_b64 s[0:1], -1
	s_cbranch_scc1 .LBB23_2834
; %bb.2825:
	s_cmp_lt_i32 s2, 3
	s_cbranch_scc1 .LBB23_2831
; %bb.2826:
	s_cmp_gt_i32 s2, 3
	s_cbranch_scc0 .LBB23_2828
; %bb.2827:
	v_and_b32_e32 v5, 0xff, v1
	v_mov_b32_e32 v6, 0
	global_store_dwordx2 v[3:4], v[5:6], off
	s_mov_b64 s[0:1], 0
.LBB23_2828:
	s_andn2_b64 vcc, exec, s[0:1]
	s_cbranch_vccnz .LBB23_2830
; %bb.2829:
	v_and_b32_e32 v5, 0xff, v1
	global_store_dword v[3:4], v5, off
.LBB23_2830:
	s_mov_b64 s[0:1], 0
.LBB23_2831:
	s_andn2_b64 vcc, exec, s[0:1]
	s_cbranch_vccnz .LBB23_2833
; %bb.2832:
	v_and_b32_e32 v5, 0xff, v1
	global_store_short v[3:4], v5, off
.LBB23_2833:
	s_mov_b64 s[0:1], 0
.LBB23_2834:
	s_andn2_b64 vcc, exec, s[0:1]
	s_cbranch_vccnz .LBB23_2839
; %bb.2835:
	s_cmp_gt_i32 s2, 0
	s_mov_b64 s[0:1], -1
	s_cbranch_scc0 .LBB23_2837
; %bb.2836:
	global_store_byte v[3:4], v1, off
	s_mov_b64 s[0:1], 0
.LBB23_2837:
	s_andn2_b64 vcc, exec, s[0:1]
	s_cbranch_vccnz .LBB23_2839
; %bb.2838:
	global_store_byte v[3:4], v1, off
.LBB23_2839:
	s_mov_b64 s[6:7], -1
.LBB23_2840:
	s_andn2_b64 vcc, exec, s[6:7]
	s_cbranch_vccnz .LBB23_3036
; %bb.2841:
	v_mov_b32_e32 v1, s19
	v_cmp_gt_u16_sdwa vcc, v17, s20 src0_sel:BYTE_0 src1_sel:DWORD
	s_waitcnt vmcnt(0)
	v_cndmask_b32_e32 v3, v1, v15, vcc
	v_mov_b32_e32 v4, s9
	v_add_co_u32_e32 v1, vcc, s8, v2
	s_cmp_lt_i32 s18, 11
	v_addc_co_u32_e32 v2, vcc, 0, v4, vcc
	s_cbranch_scc1 .LBB23_2919
; %bb.2842:
	s_and_b32 s21, 0xffff, s18
	s_mov_b64 s[10:11], -1
	s_mov_b64 s[2:3], 0
	s_cmp_gt_i32 s21, 25
	s_mov_b64 s[6:7], 0
	s_mov_b64 s[0:1], 0
	s_cbranch_scc0 .LBB23_2875
; %bb.2843:
	s_cmp_gt_i32 s21, 28
	s_cbranch_scc0 .LBB23_2858
; %bb.2844:
	s_cmp_gt_i32 s21, 43
	;; [unrolled: 3-line block ×3, first 2 shown]
	s_cbranch_scc0 .LBB23_2848
; %bb.2846:
	s_mov_b64 s[0:1], -1
	s_mov_b64 s[10:11], 0
	s_cmp_eq_u32 s21, 46
	s_cbranch_scc0 .LBB23_2848
; %bb.2847:
	v_cvt_f32_ubyte0_e32 v4, v3
	v_bfe_u32 v5, v4, 16, 1
	s_movk_i32 s0, 0x7fff
	v_add3_u32 v4, v4, v5, s0
	v_lshrrev_b32_e32 v4, 16, v4
	global_store_dword v[1:2], v4, off
	s_mov_b64 s[0:1], 0
	s_mov_b64 s[6:7], -1
.LBB23_2848:
	s_and_b64 vcc, exec, s[10:11]
	s_cbranch_vccz .LBB23_2853
; %bb.2849:
	s_cmp_eq_u32 s21, 44
	s_mov_b64 s[0:1], -1
	s_cbranch_scc0 .LBB23_2853
; %bb.2850:
	v_cvt_f32_ubyte0_e32 v5, v3
	v_lshrrev_b32_e32 v4, 23, v5
	s_movk_i32 s0, 0xff
	v_cmp_ne_u32_e32 vcc, s0, v4
	v_mov_b32_e32 v6, 0xff
	s_and_saveexec_b64 s[6:7], vcc
; %bb.2851:
	s_mov_b32 s0, 0x3fffff
	v_and_b32_e32 v6, 0x400000, v5
	v_and_or_b32 v5, v5, s0, v4
	v_cmp_ne_u32_e32 vcc, 0, v6
	v_cmp_ne_u32_e64 s[0:1], 0, v5
	s_and_b64 s[0:1], vcc, s[0:1]
	v_cndmask_b32_e64 v5, 0, 1, s[0:1]
	v_add_u32_e32 v6, v4, v5
; %bb.2852:
	s_or_b64 exec, exec, s[6:7]
	s_mov_b64 s[0:1], 0
	s_mov_b64 s[6:7], -1
	global_store_byte v[1:2], v6, off
.LBB23_2853:
	s_mov_b64 s[10:11], 0
.LBB23_2854:
	s_and_b64 vcc, exec, s[10:11]
	s_cbranch_vccz .LBB23_2857
; %bb.2855:
	s_cmp_eq_u32 s21, 29
	s_mov_b64 s[0:1], -1
	s_cbranch_scc0 .LBB23_2857
; %bb.2856:
	v_and_b32_e32 v4, 0xff, v3
	v_mov_b32_e32 v5, 0
	global_store_dwordx2 v[1:2], v[4:5], off
	s_mov_b64 s[0:1], 0
	s_mov_b64 s[6:7], -1
.LBB23_2857:
	s_mov_b64 s[10:11], 0
.LBB23_2858:
	s_and_b64 vcc, exec, s[10:11]
	s_cbranch_vccz .LBB23_2874
; %bb.2859:
	s_cmp_lt_i32 s21, 27
	s_mov_b64 s[6:7], -1
	s_cbranch_scc1 .LBB23_2865
; %bb.2860:
	s_cmp_gt_i32 s21, 27
	s_cbranch_scc0 .LBB23_2862
; %bb.2861:
	v_and_b32_e32 v4, 0xff, v3
	s_mov_b64 s[6:7], 0
	global_store_dword v[1:2], v4, off
.LBB23_2862:
	s_andn2_b64 vcc, exec, s[6:7]
	s_cbranch_vccnz .LBB23_2864
; %bb.2863:
	v_and_b32_e32 v4, 0xff, v3
	global_store_short v[1:2], v4, off
.LBB23_2864:
	s_mov_b64 s[6:7], 0
.LBB23_2865:
	s_andn2_b64 vcc, exec, s[6:7]
	s_cbranch_vccnz .LBB23_2873
; %bb.2866:
	v_cvt_f32_ubyte0_e32 v5, v3
	s_mov_b32 s6, 0x43800000
	v_cmp_gt_u32_e32 vcc, s6, v5
	v_mov_b32_e32 v6, 0x80
	s_and_saveexec_b64 s[6:7], vcc
	s_cbranch_execz .LBB23_2872
; %bb.2867:
	s_mov_b32 s10, 0x3bffffff
	v_cmp_lt_u32_e32 vcc, s10, v5
	s_mov_b64 s[10:11], 0
                                        ; implicit-def: $vgpr4
	s_and_saveexec_b64 s[16:17], vcc
	s_xor_b64 s[16:17], exec, s[16:17]
	s_cbranch_execz .LBB23_3093
; %bb.2868:
	v_bfe_u32 v4, v5, 20, 1
	s_mov_b32 s22, 0x487ffff
	v_add3_u32 v4, v5, v4, s22
	s_mov_b64 s[10:11], exec
	v_lshrrev_b32_e32 v4, 20, v4
                                        ; implicit-def: $vgpr5
	s_andn2_saveexec_b64 s[16:17], s[16:17]
	s_cbranch_execnz .LBB23_3094
.LBB23_2869:
	s_or_b64 exec, exec, s[16:17]
	v_mov_b32_e32 v6, 0
	s_and_saveexec_b64 s[16:17], s[10:11]
.LBB23_2870:
	v_mov_b32_e32 v6, v4
.LBB23_2871:
	s_or_b64 exec, exec, s[16:17]
.LBB23_2872:
	s_or_b64 exec, exec, s[6:7]
	global_store_byte v[1:2], v6, off
.LBB23_2873:
	s_mov_b64 s[6:7], -1
.LBB23_2874:
	s_mov_b64 s[10:11], 0
.LBB23_2875:
	s_and_b64 vcc, exec, s[10:11]
	s_cbranch_vccz .LBB23_2915
; %bb.2876:
	s_cmp_gt_i32 s21, 22
	s_mov_b64 s[2:3], -1
	s_cbranch_scc0 .LBB23_2908
; %bb.2877:
	s_cmp_lt_i32 s21, 24
	s_cbranch_scc1 .LBB23_2897
; %bb.2878:
	s_cmp_gt_i32 s21, 24
	s_cbranch_scc0 .LBB23_2886
; %bb.2879:
	v_cvt_f32_ubyte0_e32 v5, v3
	s_mov_b32 s2, 0x47800000
	v_cmp_gt_u32_e32 vcc, s2, v5
	v_mov_b32_e32 v6, 0x80
	s_and_saveexec_b64 s[2:3], vcc
	s_cbranch_execz .LBB23_2885
; %bb.2880:
	s_mov_b32 s6, 0x37ffffff
	v_cmp_lt_u32_e32 vcc, s6, v5
	s_mov_b64 s[6:7], 0
                                        ; implicit-def: $vgpr4
	s_and_saveexec_b64 s[10:11], vcc
	s_xor_b64 s[10:11], exec, s[10:11]
	s_cbranch_execz .LBB23_3096
; %bb.2881:
	v_bfe_u32 v4, v5, 21, 1
	s_mov_b32 s16, 0x88fffff
	v_add3_u32 v4, v5, v4, s16
	s_mov_b64 s[6:7], exec
	v_lshrrev_b32_e32 v4, 21, v4
                                        ; implicit-def: $vgpr5
	s_andn2_saveexec_b64 s[10:11], s[10:11]
	s_cbranch_execnz .LBB23_3097
.LBB23_2882:
	s_or_b64 exec, exec, s[10:11]
	v_mov_b32_e32 v6, 0
	s_and_saveexec_b64 s[10:11], s[6:7]
.LBB23_2883:
	v_mov_b32_e32 v6, v4
.LBB23_2884:
	s_or_b64 exec, exec, s[10:11]
.LBB23_2885:
	s_or_b64 exec, exec, s[2:3]
	s_mov_b64 s[2:3], 0
	global_store_byte v[1:2], v6, off
.LBB23_2886:
	s_and_b64 vcc, exec, s[2:3]
	s_cbranch_vccz .LBB23_2896
; %bb.2887:
	v_cvt_f32_ubyte0_e32 v4, v3
	s_mov_b32 s2, 0x43f00000
	v_cmp_gt_u32_e32 vcc, s2, v4
                                        ; implicit-def: $vgpr5
	s_and_saveexec_b64 s[2:3], vcc
	s_xor_b64 s[2:3], exec, s[2:3]
	s_cbranch_execz .LBB23_2893
; %bb.2888:
	s_mov_b32 s6, 0x3c7fffff
	v_cmp_lt_u32_e32 vcc, s6, v4
                                        ; implicit-def: $vgpr5
	s_and_saveexec_b64 s[6:7], vcc
	s_xor_b64 s[6:7], exec, s[6:7]
; %bb.2889:
	v_bfe_u32 v5, v4, 20, 1
	s_mov_b32 s10, 0x407ffff
	v_add3_u32 v4, v4, v5, s10
	v_lshrrev_b32_e32 v5, 20, v4
	v_and_b32_e32 v4, 0xff00000, v4
	s_mov_b32 s10, 0x7f00000
	v_mov_b32_e32 v6, 0x7e
	v_cmp_ne_u32_e32 vcc, s10, v4
	v_cndmask_b32_e32 v5, v6, v5, vcc
                                        ; implicit-def: $vgpr4
; %bb.2890:
	s_andn2_saveexec_b64 s[6:7], s[6:7]
; %bb.2891:
	v_add_f32_e32 v5, 0x46800000, v4
; %bb.2892:
	s_or_b64 exec, exec, s[6:7]
                                        ; implicit-def: $vgpr4
.LBB23_2893:
	s_andn2_saveexec_b64 s[2:3], s[2:3]
; %bb.2894:
	s_mov_b32 s6, 0x7f800000
	v_mov_b32_e32 v5, 0x7e
	v_mov_b32_e32 v6, 0x7f
	v_cmp_lt_u32_e32 vcc, s6, v4
	v_cndmask_b32_e32 v5, v5, v6, vcc
; %bb.2895:
	s_or_b64 exec, exec, s[2:3]
	global_store_byte v[1:2], v5, off
.LBB23_2896:
	s_mov_b64 s[2:3], 0
.LBB23_2897:
	s_andn2_b64 vcc, exec, s[2:3]
	s_cbranch_vccnz .LBB23_2907
; %bb.2898:
	v_cvt_f32_ubyte0_e32 v4, v3
	s_mov_b32 s2, 0x47800000
	v_cmp_gt_u32_e32 vcc, s2, v4
                                        ; implicit-def: $vgpr5
	s_and_saveexec_b64 s[2:3], vcc
	s_xor_b64 s[2:3], exec, s[2:3]
	s_cbranch_execz .LBB23_2904
; %bb.2899:
	s_mov_b32 s6, 0x387fffff
	v_cmp_lt_u32_e32 vcc, s6, v4
                                        ; implicit-def: $vgpr5
	s_and_saveexec_b64 s[6:7], vcc
	s_xor_b64 s[6:7], exec, s[6:7]
; %bb.2900:
	v_bfe_u32 v5, v4, 21, 1
	s_mov_b32 s10, 0x80fffff
	v_add3_u32 v4, v4, v5, s10
	v_lshrrev_b32_e32 v5, 21, v4
                                        ; implicit-def: $vgpr4
; %bb.2901:
	s_andn2_saveexec_b64 s[6:7], s[6:7]
; %bb.2902:
	v_add_f32_e32 v5, 0x43000000, v4
; %bb.2903:
	s_or_b64 exec, exec, s[6:7]
                                        ; implicit-def: $vgpr4
.LBB23_2904:
	s_andn2_saveexec_b64 s[2:3], s[2:3]
; %bb.2905:
	s_mov_b32 s6, 0x7f800000
	v_mov_b32_e32 v5, 0x7c
	v_mov_b32_e32 v6, 0x7f
	v_cmp_lt_u32_e32 vcc, s6, v4
	v_cndmask_b32_e32 v5, v5, v6, vcc
; %bb.2906:
	s_or_b64 exec, exec, s[2:3]
	global_store_byte v[1:2], v5, off
.LBB23_2907:
	s_mov_b64 s[2:3], 0
	s_mov_b64 s[6:7], -1
.LBB23_2908:
	s_andn2_b64 vcc, exec, s[2:3]
	s_mov_b64 s[2:3], 0
	s_cbranch_vccnz .LBB23_2915
; %bb.2909:
	s_cmp_gt_i32 s21, 14
	s_mov_b64 s[10:11], -1
	s_cbranch_scc0 .LBB23_2913
; %bb.2910:
	s_cmp_eq_u32 s21, 15
	s_mov_b64 s[0:1], -1
	s_cbranch_scc0 .LBB23_2912
; %bb.2911:
	v_cvt_f32_ubyte0_e32 v4, v3
	v_bfe_u32 v5, v4, 16, 1
	s_movk_i32 s0, 0x7fff
	v_add3_u32 v4, v4, v5, s0
	global_store_short_d16_hi v[1:2], v4, off
	s_mov_b64 s[0:1], 0
	s_mov_b64 s[6:7], -1
.LBB23_2912:
	s_mov_b64 s[10:11], 0
.LBB23_2913:
	s_and_b64 vcc, exec, s[10:11]
	s_cbranch_vccz .LBB23_2915
; %bb.2914:
	s_cmp_lg_u32 s21, 11
	s_mov_b64 s[2:3], -1
	s_cselect_b64 s[0:1], -1, 0
.LBB23_2915:
	s_and_b64 vcc, exec, s[0:1]
	s_cbranch_vccnz .LBB23_3095
; %bb.2916:
	s_andn2_b64 vcc, exec, s[2:3]
	s_cbranch_vccnz .LBB23_2918
.LBB23_2917:
	v_mov_b32_e32 v4, 0
	v_cmp_ne_u16_sdwa s[0:1], v3, v4 src0_sel:BYTE_0 src1_sel:DWORD
	v_cndmask_b32_e64 v4, 0, 1, s[0:1]
	s_mov_b64 s[6:7], -1
	global_store_byte v[1:2], v4, off
.LBB23_2918:
	s_mov_b64 s[0:1], 0
	s_branch .LBB23_2920
.LBB23_2919:
	s_mov_b64 s[0:1], -1
	s_mov_b64 s[6:7], 0
.LBB23_2920:
	s_and_b64 vcc, exec, s[0:1]
	s_cbranch_vccz .LBB23_2959
; %bb.2921:
	s_and_b32 s2, 0xffff, s18
	s_cmp_lt_i32 s2, 5
	s_mov_b64 s[0:1], -1
	s_cbranch_scc1 .LBB23_2942
; %bb.2922:
	s_cmp_lt_i32 s2, 8
	s_cbranch_scc1 .LBB23_2932
; %bb.2923:
	s_cmp_lt_i32 s2, 9
	s_cbranch_scc1 .LBB23_2929
; %bb.2924:
	s_cmp_gt_i32 s2, 9
	s_cbranch_scc0 .LBB23_2926
; %bb.2925:
	s_mov_b32 s0, 0xffff
	v_and_b32_sdwa v4, s0, v3 dst_sel:DWORD dst_unused:UNUSED_PAD src0_sel:DWORD src1_sel:BYTE_0
	v_cvt_f64_u32_e32 v[4:5], v4
	v_mov_b32_e32 v6, 0
	v_mov_b32_e32 v7, v6
	s_mov_b64 s[0:1], 0
	global_store_dwordx4 v[1:2], v[4:7], off
.LBB23_2926:
	s_andn2_b64 vcc, exec, s[0:1]
	s_cbranch_vccnz .LBB23_2928
; %bb.2927:
	v_cvt_f32_ubyte0_e32 v4, v3
	v_mov_b32_e32 v5, 0
	global_store_dwordx2 v[1:2], v[4:5], off
.LBB23_2928:
	s_mov_b64 s[0:1], 0
.LBB23_2929:
	s_andn2_b64 vcc, exec, s[0:1]
	s_cbranch_vccnz .LBB23_2931
; %bb.2930:
	v_cvt_f16_u16_sdwa v4, v3 dst_sel:DWORD dst_unused:UNUSED_PAD src0_sel:BYTE_0
	global_store_dword v[1:2], v4, off
.LBB23_2931:
	s_mov_b64 s[0:1], 0
.LBB23_2932:
	s_andn2_b64 vcc, exec, s[0:1]
	s_cbranch_vccnz .LBB23_2941
; %bb.2933:
	s_cmp_lt_i32 s2, 6
	s_mov_b64 s[0:1], -1
	s_cbranch_scc1 .LBB23_2939
; %bb.2934:
	s_cmp_gt_i32 s2, 6
	s_cbranch_scc0 .LBB23_2936
; %bb.2935:
	s_mov_b32 s0, 0xffff
	v_and_b32_sdwa v4, s0, v3 dst_sel:DWORD dst_unused:UNUSED_PAD src0_sel:DWORD src1_sel:BYTE_0
	v_cvt_f64_u32_e32 v[4:5], v4
	s_mov_b64 s[0:1], 0
	global_store_dwordx2 v[1:2], v[4:5], off
.LBB23_2936:
	s_andn2_b64 vcc, exec, s[0:1]
	s_cbranch_vccnz .LBB23_2938
; %bb.2937:
	v_cvt_f32_ubyte0_e32 v4, v3
	global_store_dword v[1:2], v4, off
.LBB23_2938:
	s_mov_b64 s[0:1], 0
.LBB23_2939:
	s_andn2_b64 vcc, exec, s[0:1]
	s_cbranch_vccnz .LBB23_2941
; %bb.2940:
	v_cvt_f16_u16_sdwa v4, v3 dst_sel:DWORD dst_unused:UNUSED_PAD src0_sel:BYTE_0
	global_store_short v[1:2], v4, off
.LBB23_2941:
	s_mov_b64 s[0:1], 0
.LBB23_2942:
	s_andn2_b64 vcc, exec, s[0:1]
	s_cbranch_vccnz .LBB23_2958
; %bb.2943:
	s_cmp_lt_i32 s2, 2
	s_mov_b64 s[0:1], -1
	s_cbranch_scc1 .LBB23_2953
; %bb.2944:
	s_cmp_lt_i32 s2, 3
	s_cbranch_scc1 .LBB23_2950
; %bb.2945:
	s_cmp_gt_i32 s2, 3
	s_cbranch_scc0 .LBB23_2947
; %bb.2946:
	v_and_b32_e32 v4, 0xff, v3
	v_mov_b32_e32 v5, 0
	global_store_dwordx2 v[1:2], v[4:5], off
	s_mov_b64 s[0:1], 0
.LBB23_2947:
	s_andn2_b64 vcc, exec, s[0:1]
	s_cbranch_vccnz .LBB23_2949
; %bb.2948:
	v_and_b32_e32 v4, 0xff, v3
	global_store_dword v[1:2], v4, off
.LBB23_2949:
	s_mov_b64 s[0:1], 0
.LBB23_2950:
	s_andn2_b64 vcc, exec, s[0:1]
	s_cbranch_vccnz .LBB23_2952
; %bb.2951:
	v_and_b32_e32 v4, 0xff, v3
	global_store_short v[1:2], v4, off
.LBB23_2952:
	s_mov_b64 s[0:1], 0
.LBB23_2953:
	s_andn2_b64 vcc, exec, s[0:1]
	s_cbranch_vccnz .LBB23_2958
; %bb.2954:
	s_cmp_gt_i32 s2, 0
	s_mov_b64 s[0:1], -1
	s_cbranch_scc0 .LBB23_2956
; %bb.2955:
	global_store_byte v[1:2], v3, off
	s_mov_b64 s[0:1], 0
.LBB23_2956:
	s_andn2_b64 vcc, exec, s[0:1]
	s_cbranch_vccnz .LBB23_2958
; %bb.2957:
	global_store_byte v[1:2], v3, off
.LBB23_2958:
	s_mov_b64 s[6:7], -1
.LBB23_2959:
	s_andn2_b64 vcc, exec, s[6:7]
	s_cbranch_vccnz .LBB23_3036
; %bb.2960:
	v_mov_b32_e32 v1, s19
	v_cmp_gt_u16_sdwa vcc, v12, s20 src0_sel:BYTE_0 src1_sel:DWORD
	v_cndmask_b32_e32 v2, v1, v8, vcc
	v_mov_b32_e32 v1, s9
	v_add_co_u32_e32 v0, vcc, s8, v0
	s_cmp_lt_i32 s18, 11
	v_addc_co_u32_e32 v1, vcc, 0, v1, vcc
	s_cbranch_scc1 .LBB23_3081
; %bb.2961:
	s_and_b32 s16, 0xffff, s18
	s_mov_b64 s[6:7], -1
	s_mov_b64 s[2:3], 0
	s_cmp_gt_i32 s16, 25
	s_mov_b64 s[0:1], 0
	s_cbranch_scc0 .LBB23_2994
; %bb.2962:
	s_cmp_gt_i32 s16, 28
	s_cbranch_scc0 .LBB23_2978
; %bb.2963:
	s_cmp_gt_i32 s16, 43
	;; [unrolled: 3-line block ×3, first 2 shown]
	s_cbranch_scc0 .LBB23_2968
; %bb.2965:
	s_cmp_eq_u32 s16, 46
	s_mov_b64 s[0:1], -1
	s_cbranch_scc0 .LBB23_2967
; %bb.2966:
	v_cvt_f32_ubyte0_e32 v3, v2
	v_bfe_u32 v4, v3, 16, 1
	s_movk_i32 s0, 0x7fff
	v_add3_u32 v3, v3, v4, s0
	v_lshrrev_b32_e32 v3, 16, v3
	global_store_dword v[0:1], v3, off
	s_mov_b64 s[0:1], 0
.LBB23_2967:
	s_mov_b64 s[6:7], 0
.LBB23_2968:
	s_and_b64 vcc, exec, s[6:7]
	s_cbranch_vccz .LBB23_2973
; %bb.2969:
	s_cmp_eq_u32 s16, 44
	s_mov_b64 s[0:1], -1
	s_cbranch_scc0 .LBB23_2973
; %bb.2970:
	v_cvt_f32_ubyte0_e32 v4, v2
	v_lshrrev_b32_e32 v3, 23, v4
	s_movk_i32 s0, 0xff
	v_cmp_ne_u32_e32 vcc, s0, v3
	v_mov_b32_e32 v5, 0xff
	s_and_saveexec_b64 s[6:7], vcc
; %bb.2971:
	s_mov_b32 s0, 0x3fffff
	v_and_b32_e32 v5, 0x400000, v4
	v_and_or_b32 v4, v4, s0, v3
	v_cmp_ne_u32_e32 vcc, 0, v5
	v_cmp_ne_u32_e64 s[0:1], 0, v4
	s_and_b64 s[0:1], vcc, s[0:1]
	v_cndmask_b32_e64 v4, 0, 1, s[0:1]
	v_add_u32_e32 v5, v3, v4
; %bb.2972:
	s_or_b64 exec, exec, s[6:7]
	s_mov_b64 s[0:1], 0
	global_store_byte v[0:1], v5, off
.LBB23_2973:
	s_mov_b64 s[6:7], 0
.LBB23_2974:
	s_and_b64 vcc, exec, s[6:7]
	s_cbranch_vccz .LBB23_2977
; %bb.2975:
	s_cmp_eq_u32 s16, 29
	s_mov_b64 s[0:1], -1
	s_cbranch_scc0 .LBB23_2977
; %bb.2976:
	v_and_b32_e32 v3, 0xff, v2
	v_mov_b32_e32 v4, 0
	global_store_dwordx2 v[0:1], v[3:4], off
	s_mov_b64 s[0:1], 0
.LBB23_2977:
	s_mov_b64 s[6:7], 0
.LBB23_2978:
	s_and_b64 vcc, exec, s[6:7]
	s_cbranch_vccz .LBB23_2993
; %bb.2979:
	s_cmp_lt_i32 s16, 27
	s_mov_b64 s[6:7], -1
	s_cbranch_scc1 .LBB23_2985
; %bb.2980:
	s_cmp_gt_i32 s16, 27
	s_cbranch_scc0 .LBB23_2982
; %bb.2981:
	v_and_b32_e32 v3, 0xff, v2
	global_store_dword v[0:1], v3, off
	s_mov_b64 s[6:7], 0
.LBB23_2982:
	s_andn2_b64 vcc, exec, s[6:7]
	s_cbranch_vccnz .LBB23_2984
; %bb.2983:
	v_and_b32_e32 v3, 0xff, v2
	global_store_short v[0:1], v3, off
.LBB23_2984:
	s_mov_b64 s[6:7], 0
.LBB23_2985:
	s_andn2_b64 vcc, exec, s[6:7]
	s_cbranch_vccnz .LBB23_2993
; %bb.2986:
	v_cvt_f32_ubyte0_e32 v4, v2
	s_mov_b32 s6, 0x43800000
	v_cmp_gt_u32_e32 vcc, s6, v4
	v_mov_b32_e32 v5, 0x80
	s_and_saveexec_b64 s[6:7], vcc
	s_cbranch_execz .LBB23_2992
; %bb.2987:
	s_mov_b32 s8, 0x3bffffff
	v_cmp_lt_u32_e32 vcc, s8, v4
	s_mov_b64 s[8:9], 0
                                        ; implicit-def: $vgpr3
	s_and_saveexec_b64 s[10:11], vcc
	s_xor_b64 s[10:11], exec, s[10:11]
	s_cbranch_execz .LBB23_3098
; %bb.2988:
	v_bfe_u32 v3, v4, 20, 1
	s_mov_b32 s17, 0x487ffff
	v_add3_u32 v3, v4, v3, s17
	s_mov_b64 s[8:9], exec
	v_lshrrev_b32_e32 v3, 20, v3
                                        ; implicit-def: $vgpr4
	s_andn2_saveexec_b64 s[10:11], s[10:11]
	s_cbranch_execnz .LBB23_3099
.LBB23_2989:
	s_or_b64 exec, exec, s[10:11]
	v_mov_b32_e32 v5, 0
	s_and_saveexec_b64 s[10:11], s[8:9]
.LBB23_2990:
	v_mov_b32_e32 v5, v3
.LBB23_2991:
	s_or_b64 exec, exec, s[10:11]
.LBB23_2992:
	s_or_b64 exec, exec, s[6:7]
	global_store_byte v[0:1], v5, off
.LBB23_2993:
	s_mov_b64 s[6:7], 0
.LBB23_2994:
	s_and_b64 vcc, exec, s[6:7]
	s_cbranch_vccz .LBB23_3034
; %bb.2995:
	s_cmp_gt_i32 s16, 22
	s_mov_b64 s[2:3], -1
	s_cbranch_scc0 .LBB23_3027
; %bb.2996:
	s_cmp_lt_i32 s16, 24
	s_cbranch_scc1 .LBB23_3016
; %bb.2997:
	s_cmp_gt_i32 s16, 24
	s_cbranch_scc0 .LBB23_3005
; %bb.2998:
	v_cvt_f32_ubyte0_e32 v4, v2
	s_mov_b32 s2, 0x47800000
	v_cmp_gt_u32_e32 vcc, s2, v4
	v_mov_b32_e32 v5, 0x80
	s_and_saveexec_b64 s[2:3], vcc
	s_cbranch_execz .LBB23_3004
; %bb.2999:
	s_mov_b32 s6, 0x37ffffff
	v_cmp_lt_u32_e32 vcc, s6, v4
	s_mov_b64 s[6:7], 0
                                        ; implicit-def: $vgpr3
	s_and_saveexec_b64 s[8:9], vcc
	s_xor_b64 s[8:9], exec, s[8:9]
	s_cbranch_execz .LBB23_3101
; %bb.3000:
	v_bfe_u32 v3, v4, 21, 1
	s_mov_b32 s10, 0x88fffff
	v_add3_u32 v3, v4, v3, s10
	s_mov_b64 s[6:7], exec
	v_lshrrev_b32_e32 v3, 21, v3
                                        ; implicit-def: $vgpr4
	s_andn2_saveexec_b64 s[8:9], s[8:9]
	s_cbranch_execnz .LBB23_3102
.LBB23_3001:
	s_or_b64 exec, exec, s[8:9]
	v_mov_b32_e32 v5, 0
	s_and_saveexec_b64 s[8:9], s[6:7]
.LBB23_3002:
	v_mov_b32_e32 v5, v3
.LBB23_3003:
	s_or_b64 exec, exec, s[8:9]
.LBB23_3004:
	s_or_b64 exec, exec, s[2:3]
	s_mov_b64 s[2:3], 0
	global_store_byte v[0:1], v5, off
.LBB23_3005:
	s_and_b64 vcc, exec, s[2:3]
	s_cbranch_vccz .LBB23_3015
; %bb.3006:
	v_cvt_f32_ubyte0_e32 v3, v2
	s_mov_b32 s2, 0x43f00000
	v_cmp_gt_u32_e32 vcc, s2, v3
                                        ; implicit-def: $vgpr4
	s_and_saveexec_b64 s[2:3], vcc
	s_xor_b64 s[2:3], exec, s[2:3]
	s_cbranch_execz .LBB23_3012
; %bb.3007:
	s_mov_b32 s6, 0x3c7fffff
	v_cmp_lt_u32_e32 vcc, s6, v3
                                        ; implicit-def: $vgpr4
	s_and_saveexec_b64 s[6:7], vcc
	s_xor_b64 s[6:7], exec, s[6:7]
; %bb.3008:
	v_bfe_u32 v4, v3, 20, 1
	s_mov_b32 s8, 0x407ffff
	v_add3_u32 v3, v3, v4, s8
	v_lshrrev_b32_e32 v4, 20, v3
	v_and_b32_e32 v3, 0xff00000, v3
	s_mov_b32 s8, 0x7f00000
	v_mov_b32_e32 v5, 0x7e
	v_cmp_ne_u32_e32 vcc, s8, v3
	v_cndmask_b32_e32 v4, v5, v4, vcc
                                        ; implicit-def: $vgpr3
; %bb.3009:
	s_andn2_saveexec_b64 s[6:7], s[6:7]
; %bb.3010:
	v_add_f32_e32 v4, 0x46800000, v3
; %bb.3011:
	s_or_b64 exec, exec, s[6:7]
                                        ; implicit-def: $vgpr3
.LBB23_3012:
	s_andn2_saveexec_b64 s[2:3], s[2:3]
; %bb.3013:
	s_mov_b32 s6, 0x7f800000
	v_mov_b32_e32 v4, 0x7e
	v_mov_b32_e32 v5, 0x7f
	v_cmp_lt_u32_e32 vcc, s6, v3
	v_cndmask_b32_e32 v4, v4, v5, vcc
; %bb.3014:
	s_or_b64 exec, exec, s[2:3]
	global_store_byte v[0:1], v4, off
.LBB23_3015:
	s_mov_b64 s[2:3], 0
.LBB23_3016:
	s_andn2_b64 vcc, exec, s[2:3]
	s_cbranch_vccnz .LBB23_3026
; %bb.3017:
	v_cvt_f32_ubyte0_e32 v3, v2
	s_mov_b32 s2, 0x47800000
	v_cmp_gt_u32_e32 vcc, s2, v3
                                        ; implicit-def: $vgpr4
	s_and_saveexec_b64 s[2:3], vcc
	s_xor_b64 s[2:3], exec, s[2:3]
	s_cbranch_execz .LBB23_3023
; %bb.3018:
	s_mov_b32 s6, 0x387fffff
	v_cmp_lt_u32_e32 vcc, s6, v3
                                        ; implicit-def: $vgpr4
	s_and_saveexec_b64 s[6:7], vcc
	s_xor_b64 s[6:7], exec, s[6:7]
; %bb.3019:
	v_bfe_u32 v4, v3, 21, 1
	s_mov_b32 s8, 0x80fffff
	v_add3_u32 v3, v3, v4, s8
	v_lshrrev_b32_e32 v4, 21, v3
                                        ; implicit-def: $vgpr3
; %bb.3020:
	s_andn2_saveexec_b64 s[6:7], s[6:7]
; %bb.3021:
	v_add_f32_e32 v4, 0x43000000, v3
; %bb.3022:
	s_or_b64 exec, exec, s[6:7]
                                        ; implicit-def: $vgpr3
.LBB23_3023:
	s_andn2_saveexec_b64 s[2:3], s[2:3]
; %bb.3024:
	s_mov_b32 s6, 0x7f800000
	v_mov_b32_e32 v4, 0x7c
	v_mov_b32_e32 v5, 0x7f
	v_cmp_lt_u32_e32 vcc, s6, v3
	v_cndmask_b32_e32 v4, v4, v5, vcc
; %bb.3025:
	s_or_b64 exec, exec, s[2:3]
	global_store_byte v[0:1], v4, off
.LBB23_3026:
	s_mov_b64 s[2:3], 0
.LBB23_3027:
	s_andn2_b64 vcc, exec, s[2:3]
	s_mov_b64 s[2:3], 0
	s_cbranch_vccnz .LBB23_3034
; %bb.3028:
	s_cmp_gt_i32 s16, 14
	s_mov_b64 s[6:7], -1
	s_cbranch_scc0 .LBB23_3032
; %bb.3029:
	s_cmp_eq_u32 s16, 15
	s_mov_b64 s[0:1], -1
	s_cbranch_scc0 .LBB23_3031
; %bb.3030:
	v_cvt_f32_ubyte0_e32 v3, v2
	v_bfe_u32 v4, v3, 16, 1
	s_movk_i32 s0, 0x7fff
	v_add3_u32 v3, v3, v4, s0
	global_store_short_d16_hi v[0:1], v3, off
	s_mov_b64 s[0:1], 0
.LBB23_3031:
	s_mov_b64 s[6:7], 0
.LBB23_3032:
	s_and_b64 vcc, exec, s[6:7]
	s_cbranch_vccz .LBB23_3034
; %bb.3033:
	s_cmp_lg_u32 s16, 11
	s_mov_b64 s[2:3], -1
	s_cselect_b64 s[0:1], -1, 0
.LBB23_3034:
	s_and_b64 vcc, exec, s[0:1]
	s_cbranch_vccnz .LBB23_3100
.LBB23_3035:
	s_mov_b64 s[0:1], 0
	s_branch .LBB23_3037
.LBB23_3036:
	s_mov_b64 s[0:1], 0
	s_mov_b64 s[2:3], 0
                                        ; implicit-def: $vgpr0_vgpr1
                                        ; implicit-def: $sgpr18
                                        ; implicit-def: $vgpr2
.LBB23_3037:
	s_and_b64 s[6:7], s[2:3], exec
	s_andn2_b64 s[2:3], s[12:13], exec
	s_and_b64 s[4:5], s[4:5], exec
	s_and_b64 s[0:1], s[0:1], exec
	s_or_b64 s[12:13], s[2:3], s[4:5]
.LBB23_3038:
	s_or_b64 exec, exec, s[14:15]
	s_and_saveexec_b64 s[2:3], s[12:13]
	s_cbranch_execz .LBB23_3041
; %bb.3039:
	; divergent unreachable
	s_or_b64 exec, exec, s[2:3]
	s_and_saveexec_b64 s[2:3], s[6:7]
	s_xor_b64 s[2:3], exec, s[2:3]
	s_cbranch_execnz .LBB23_3042
.LBB23_3040:
	s_or_b64 exec, exec, s[2:3]
	s_and_saveexec_b64 s[2:3], s[0:1]
	s_cbranch_execnz .LBB23_3043
	s_branch .LBB23_3080
.LBB23_3041:
	s_or_b64 exec, exec, s[2:3]
	s_and_saveexec_b64 s[2:3], s[6:7]
	s_xor_b64 s[2:3], exec, s[2:3]
	s_cbranch_execz .LBB23_3040
.LBB23_3042:
	v_mov_b32_e32 v3, 0
	s_waitcnt vmcnt(0)
	v_cmp_ne_u16_sdwa s[4:5], v2, v3 src0_sel:BYTE_0 src1_sel:DWORD
	v_cndmask_b32_e64 v3, 0, 1, s[4:5]
	global_store_byte v[0:1], v3, off
	s_or_b64 exec, exec, s[2:3]
	s_and_saveexec_b64 s[2:3], s[0:1]
	s_cbranch_execz .LBB23_3080
.LBB23_3043:
	s_sext_i32_i16 s2, s18
	s_cmp_lt_i32 s2, 5
	s_mov_b64 s[0:1], -1
	s_cbranch_scc1 .LBB23_3064
; %bb.3044:
	s_cmp_lt_i32 s2, 8
	s_cbranch_scc1 .LBB23_3054
; %bb.3045:
	s_cmp_lt_i32 s2, 9
	s_cbranch_scc1 .LBB23_3051
; %bb.3046:
	s_cmp_gt_i32 s2, 9
	s_cbranch_scc0 .LBB23_3048
; %bb.3047:
	s_mov_b32 s0, 0xffff
	s_waitcnt vmcnt(0)
	v_and_b32_sdwa v3, s0, v2 dst_sel:DWORD dst_unused:UNUSED_PAD src0_sel:DWORD src1_sel:BYTE_0
	v_cvt_f64_u32_e32 v[3:4], v3
	v_mov_b32_e32 v5, 0
	v_mov_b32_e32 v6, v5
	s_mov_b64 s[0:1], 0
	global_store_dwordx4 v[0:1], v[3:6], off
.LBB23_3048:
	s_andn2_b64 vcc, exec, s[0:1]
	s_cbranch_vccnz .LBB23_3050
; %bb.3049:
	s_waitcnt vmcnt(0)
	v_cvt_f32_ubyte0_e32 v3, v2
	v_mov_b32_e32 v4, 0
	global_store_dwordx2 v[0:1], v[3:4], off
.LBB23_3050:
	s_mov_b64 s[0:1], 0
.LBB23_3051:
	s_andn2_b64 vcc, exec, s[0:1]
	s_cbranch_vccnz .LBB23_3053
; %bb.3052:
	s_waitcnt vmcnt(0)
	v_cvt_f16_u16_sdwa v3, v2 dst_sel:DWORD dst_unused:UNUSED_PAD src0_sel:BYTE_0
	global_store_dword v[0:1], v3, off
.LBB23_3053:
	s_mov_b64 s[0:1], 0
.LBB23_3054:
	s_andn2_b64 vcc, exec, s[0:1]
	s_cbranch_vccnz .LBB23_3063
; %bb.3055:
	s_sext_i32_i16 s2, s18
	s_cmp_lt_i32 s2, 6
	s_mov_b64 s[0:1], -1
	s_cbranch_scc1 .LBB23_3061
; %bb.3056:
	s_cmp_gt_i32 s2, 6
	s_cbranch_scc0 .LBB23_3058
; %bb.3057:
	s_mov_b32 s0, 0xffff
	s_waitcnt vmcnt(0)
	v_and_b32_sdwa v3, s0, v2 dst_sel:DWORD dst_unused:UNUSED_PAD src0_sel:DWORD src1_sel:BYTE_0
	v_cvt_f64_u32_e32 v[3:4], v3
	s_mov_b64 s[0:1], 0
	global_store_dwordx2 v[0:1], v[3:4], off
.LBB23_3058:
	s_andn2_b64 vcc, exec, s[0:1]
	s_cbranch_vccnz .LBB23_3060
; %bb.3059:
	s_waitcnt vmcnt(0)
	v_cvt_f32_ubyte0_e32 v3, v2
	global_store_dword v[0:1], v3, off
.LBB23_3060:
	s_mov_b64 s[0:1], 0
.LBB23_3061:
	s_andn2_b64 vcc, exec, s[0:1]
	s_cbranch_vccnz .LBB23_3063
; %bb.3062:
	s_waitcnt vmcnt(0)
	v_cvt_f16_u16_sdwa v3, v2 dst_sel:DWORD dst_unused:UNUSED_PAD src0_sel:BYTE_0
	global_store_short v[0:1], v3, off
.LBB23_3063:
	s_mov_b64 s[0:1], 0
.LBB23_3064:
	s_andn2_b64 vcc, exec, s[0:1]
	s_cbranch_vccnz .LBB23_3080
; %bb.3065:
	s_sext_i32_i16 s2, s18
	s_cmp_lt_i32 s2, 2
	s_mov_b64 s[0:1], -1
	s_cbranch_scc1 .LBB23_3075
; %bb.3066:
	s_cmp_lt_i32 s2, 3
	s_cbranch_scc1 .LBB23_3072
; %bb.3067:
	s_cmp_gt_i32 s2, 3
	s_cbranch_scc0 .LBB23_3069
; %bb.3068:
	s_waitcnt vmcnt(0)
	v_and_b32_e32 v3, 0xff, v2
	v_mov_b32_e32 v4, 0
	global_store_dwordx2 v[0:1], v[3:4], off
	s_mov_b64 s[0:1], 0
.LBB23_3069:
	s_andn2_b64 vcc, exec, s[0:1]
	s_cbranch_vccnz .LBB23_3071
; %bb.3070:
	s_waitcnt vmcnt(0)
	v_and_b32_e32 v3, 0xff, v2
	global_store_dword v[0:1], v3, off
.LBB23_3071:
	s_mov_b64 s[0:1], 0
.LBB23_3072:
	s_andn2_b64 vcc, exec, s[0:1]
	s_cbranch_vccnz .LBB23_3074
; %bb.3073:
	s_waitcnt vmcnt(0)
	v_and_b32_e32 v3, 0xff, v2
	global_store_short v[0:1], v3, off
.LBB23_3074:
	s_mov_b64 s[0:1], 0
.LBB23_3075:
	s_andn2_b64 vcc, exec, s[0:1]
	s_cbranch_vccnz .LBB23_3080
; %bb.3076:
	s_sext_i32_i16 s0, s18
	s_cmp_gt_i32 s0, 0
	s_mov_b64 s[0:1], -1
	s_cbranch_scc0 .LBB23_3078
; %bb.3077:
	s_waitcnt vmcnt(0)
	global_store_byte v[0:1], v2, off
	s_mov_b64 s[0:1], 0
.LBB23_3078:
	s_andn2_b64 vcc, exec, s[0:1]
	s_cbranch_vccnz .LBB23_3080
; %bb.3079:
	s_waitcnt vmcnt(0)
	global_store_byte v[0:1], v2, off
	s_endpgm
.LBB23_3080:
	s_endpgm
.LBB23_3081:
	s_mov_b64 s[2:3], 0
	s_mov_b64 s[0:1], -1
	s_branch .LBB23_3037
.LBB23_3082:
	s_trap 2
	s_or_b64 s[4:5], s[4:5], exec
	s_cbranch_execz .LBB23_2551
	s_branch .LBB23_2552
.LBB23_3083:
	s_andn2_saveexec_b64 s[16:17], s[16:17]
	s_cbranch_execz .LBB23_2631
.LBB23_3084:
	v_add_f32_e32 v3, 0x46000000, v7
	v_and_b32_e32 v3, 0xff, v3
	v_cmp_ne_u32_e32 vcc, 0, v3
	s_andn2_b64 s[10:11], s[10:11], exec
	s_and_b64 s[24:25], vcc, exec
	s_or_b64 s[10:11], s[10:11], s[24:25]
	s_or_b64 exec, exec, s[16:17]
	v_mov_b32_e32 v9, 0
	s_and_saveexec_b64 s[16:17], s[10:11]
	s_cbranch_execnz .LBB23_2632
	s_branch .LBB23_2633
.LBB23_3085:
	s_trap 2
	s_or_b64 s[4:5], s[4:5], exec
	s_cbranch_execz .LBB23_2679
	s_branch .LBB23_2680
.LBB23_3086:
	s_andn2_saveexec_b64 s[10:11], s[10:11]
	s_cbranch_execz .LBB23_2644
.LBB23_3087:
	v_add_f32_e32 v3, 0x42800000, v7
	v_and_b32_e32 v3, 0xff, v3
	v_cmp_ne_u32_e32 vcc, 0, v3
	s_andn2_b64 s[6:7], s[6:7], exec
	s_and_b64 s[16:17], vcc, exec
	s_or_b64 s[6:7], s[6:7], s[16:17]
	s_or_b64 exec, exec, s[10:11]
	v_mov_b32_e32 v9, 0
	s_and_saveexec_b64 s[10:11], s[6:7]
	s_cbranch_execnz .LBB23_2645
	s_branch .LBB23_2646
.LBB23_3088:
	s_andn2_saveexec_b64 s[16:17], s[16:17]
	s_cbranch_execz .LBB23_2750
.LBB23_3089:
	v_add_f32_e32 v5, 0x46000000, v6
	v_and_b32_e32 v5, 0xff, v5
	v_cmp_ne_u32_e32 vcc, 0, v5
	s_andn2_b64 s[10:11], s[10:11], exec
	s_and_b64 s[22:23], vcc, exec
	s_or_b64 s[10:11], s[10:11], s[22:23]
	s_or_b64 exec, exec, s[16:17]
	v_mov_b32_e32 v7, 0
	s_and_saveexec_b64 s[16:17], s[10:11]
	s_cbranch_execnz .LBB23_2751
	s_branch .LBB23_2752
.LBB23_3090:
	s_trap 2
	s_or_b64 s[4:5], s[4:5], exec
	s_cbranch_execz .LBB23_2798
	s_branch .LBB23_2799
.LBB23_3091:
	s_andn2_saveexec_b64 s[10:11], s[10:11]
	s_cbranch_execz .LBB23_2763
.LBB23_3092:
	v_add_f32_e32 v5, 0x42800000, v6
	v_and_b32_e32 v5, 0xff, v5
	v_cmp_ne_u32_e32 vcc, 0, v5
	s_andn2_b64 s[6:7], s[6:7], exec
	s_and_b64 s[16:17], vcc, exec
	s_or_b64 s[6:7], s[6:7], s[16:17]
	s_or_b64 exec, exec, s[10:11]
	v_mov_b32_e32 v7, 0
	s_and_saveexec_b64 s[10:11], s[6:7]
	s_cbranch_execnz .LBB23_2764
	s_branch .LBB23_2765
.LBB23_3093:
	s_andn2_saveexec_b64 s[16:17], s[16:17]
	s_cbranch_execz .LBB23_2869
.LBB23_3094:
	v_add_f32_e32 v4, 0x46000000, v5
	v_and_b32_e32 v4, 0xff, v4
	v_cmp_ne_u32_e32 vcc, 0, v4
	s_andn2_b64 s[10:11], s[10:11], exec
	s_and_b64 s[22:23], vcc, exec
	s_or_b64 s[10:11], s[10:11], s[22:23]
	s_or_b64 exec, exec, s[16:17]
	v_mov_b32_e32 v6, 0
	s_and_saveexec_b64 s[16:17], s[10:11]
	s_cbranch_execnz .LBB23_2870
	s_branch .LBB23_2871
.LBB23_3095:
	s_trap 2
	s_or_b64 s[4:5], s[4:5], exec
	s_cbranch_execz .LBB23_2917
	s_branch .LBB23_2918
.LBB23_3096:
	s_andn2_saveexec_b64 s[10:11], s[10:11]
	s_cbranch_execz .LBB23_2882
.LBB23_3097:
	v_add_f32_e32 v4, 0x42800000, v5
	v_and_b32_e32 v4, 0xff, v4
	v_cmp_ne_u32_e32 vcc, 0, v4
	s_andn2_b64 s[6:7], s[6:7], exec
	s_and_b64 s[16:17], vcc, exec
	s_or_b64 s[6:7], s[6:7], s[16:17]
	s_or_b64 exec, exec, s[10:11]
	v_mov_b32_e32 v6, 0
	s_and_saveexec_b64 s[10:11], s[6:7]
	s_cbranch_execnz .LBB23_2883
	s_branch .LBB23_2884
.LBB23_3098:
	s_andn2_saveexec_b64 s[10:11], s[10:11]
	s_cbranch_execz .LBB23_2989
.LBB23_3099:
	v_add_f32_e32 v3, 0x46000000, v4
	v_and_b32_e32 v3, 0xff, v3
	v_cmp_ne_u32_e32 vcc, 0, v3
	s_andn2_b64 s[8:9], s[8:9], exec
	s_and_b64 s[20:21], vcc, exec
	s_or_b64 s[8:9], s[8:9], s[20:21]
	s_or_b64 exec, exec, s[10:11]
	v_mov_b32_e32 v5, 0
	s_and_saveexec_b64 s[10:11], s[8:9]
	s_cbranch_execnz .LBB23_2990
	s_branch .LBB23_2991
.LBB23_3100:
	s_mov_b64 s[2:3], 0
	s_or_b64 s[4:5], s[4:5], exec
	s_trap 2
	s_branch .LBB23_3035
.LBB23_3101:
	s_andn2_saveexec_b64 s[8:9], s[8:9]
	s_cbranch_execz .LBB23_3001
.LBB23_3102:
	v_add_f32_e32 v3, 0x42800000, v4
	v_and_b32_e32 v3, 0xff, v3
	v_cmp_ne_u32_e32 vcc, 0, v3
	s_andn2_b64 s[6:7], s[6:7], exec
	s_and_b64 s[10:11], vcc, exec
	s_or_b64 s[6:7], s[6:7], s[10:11]
	s_or_b64 exec, exec, s[8:9]
	v_mov_b32_e32 v5, 0
	s_and_saveexec_b64 s[8:9], s[6:7]
	s_cbranch_execnz .LBB23_3002
	s_branch .LBB23_3003
	.section	.rodata,"a",@progbits
	.p2align	6, 0x0
	.amdhsa_kernel _ZN2at6native32elementwise_kernel_manual_unrollILi128ELi4EZNS0_15gpu_kernel_implINS0_13BinaryFunctorIhhhZNS0_12_GLOBAL__N_121threshold_kernel_implIhEEvRNS_18TensorIteratorBaseET_S8_EUlhhE_EEEEvS7_RKS8_EUlibE0_EEviT1_
		.amdhsa_group_segment_fixed_size 0
		.amdhsa_private_segment_fixed_size 0
		.amdhsa_kernarg_size 432
		.amdhsa_user_sgpr_count 6
		.amdhsa_user_sgpr_private_segment_buffer 1
		.amdhsa_user_sgpr_dispatch_ptr 0
		.amdhsa_user_sgpr_queue_ptr 0
		.amdhsa_user_sgpr_kernarg_segment_ptr 1
		.amdhsa_user_sgpr_dispatch_id 0
		.amdhsa_user_sgpr_flat_scratch_init 0
		.amdhsa_user_sgpr_private_segment_size 0
		.amdhsa_uses_dynamic_stack 0
		.amdhsa_system_sgpr_private_segment_wavefront_offset 0
		.amdhsa_system_sgpr_workgroup_id_x 1
		.amdhsa_system_sgpr_workgroup_id_y 0
		.amdhsa_system_sgpr_workgroup_id_z 0
		.amdhsa_system_sgpr_workgroup_info 0
		.amdhsa_system_vgpr_workitem_id 0
		.amdhsa_next_free_vgpr 23
		.amdhsa_next_free_sgpr 80
		.amdhsa_reserve_vcc 1
		.amdhsa_reserve_flat_scratch 0
		.amdhsa_float_round_mode_32 0
		.amdhsa_float_round_mode_16_64 0
		.amdhsa_float_denorm_mode_32 3
		.amdhsa_float_denorm_mode_16_64 3
		.amdhsa_dx10_clamp 1
		.amdhsa_ieee_mode 1
		.amdhsa_fp16_overflow 0
		.amdhsa_exception_fp_ieee_invalid_op 0
		.amdhsa_exception_fp_denorm_src 0
		.amdhsa_exception_fp_ieee_div_zero 0
		.amdhsa_exception_fp_ieee_overflow 0
		.amdhsa_exception_fp_ieee_underflow 0
		.amdhsa_exception_fp_ieee_inexact 0
		.amdhsa_exception_int_div_zero 0
	.end_amdhsa_kernel
	.section	.text._ZN2at6native32elementwise_kernel_manual_unrollILi128ELi4EZNS0_15gpu_kernel_implINS0_13BinaryFunctorIhhhZNS0_12_GLOBAL__N_121threshold_kernel_implIhEEvRNS_18TensorIteratorBaseET_S8_EUlhhE_EEEEvS7_RKS8_EUlibE0_EEviT1_,"axG",@progbits,_ZN2at6native32elementwise_kernel_manual_unrollILi128ELi4EZNS0_15gpu_kernel_implINS0_13BinaryFunctorIhhhZNS0_12_GLOBAL__N_121threshold_kernel_implIhEEvRNS_18TensorIteratorBaseET_S8_EUlhhE_EEEEvS7_RKS8_EUlibE0_EEviT1_,comdat
.Lfunc_end23:
	.size	_ZN2at6native32elementwise_kernel_manual_unrollILi128ELi4EZNS0_15gpu_kernel_implINS0_13BinaryFunctorIhhhZNS0_12_GLOBAL__N_121threshold_kernel_implIhEEvRNS_18TensorIteratorBaseET_S8_EUlhhE_EEEEvS7_RKS8_EUlibE0_EEviT1_, .Lfunc_end23-_ZN2at6native32elementwise_kernel_manual_unrollILi128ELi4EZNS0_15gpu_kernel_implINS0_13BinaryFunctorIhhhZNS0_12_GLOBAL__N_121threshold_kernel_implIhEEvRNS_18TensorIteratorBaseET_S8_EUlhhE_EEEEvS7_RKS8_EUlibE0_EEviT1_
                                        ; -- End function
	.set _ZN2at6native32elementwise_kernel_manual_unrollILi128ELi4EZNS0_15gpu_kernel_implINS0_13BinaryFunctorIhhhZNS0_12_GLOBAL__N_121threshold_kernel_implIhEEvRNS_18TensorIteratorBaseET_S8_EUlhhE_EEEEvS7_RKS8_EUlibE0_EEviT1_.num_vgpr, 23
	.set _ZN2at6native32elementwise_kernel_manual_unrollILi128ELi4EZNS0_15gpu_kernel_implINS0_13BinaryFunctorIhhhZNS0_12_GLOBAL__N_121threshold_kernel_implIhEEvRNS_18TensorIteratorBaseET_S8_EUlhhE_EEEEvS7_RKS8_EUlibE0_EEviT1_.num_agpr, 0
	.set _ZN2at6native32elementwise_kernel_manual_unrollILi128ELi4EZNS0_15gpu_kernel_implINS0_13BinaryFunctorIhhhZNS0_12_GLOBAL__N_121threshold_kernel_implIhEEvRNS_18TensorIteratorBaseET_S8_EUlhhE_EEEEvS7_RKS8_EUlibE0_EEviT1_.numbered_sgpr, 80
	.set _ZN2at6native32elementwise_kernel_manual_unrollILi128ELi4EZNS0_15gpu_kernel_implINS0_13BinaryFunctorIhhhZNS0_12_GLOBAL__N_121threshold_kernel_implIhEEvRNS_18TensorIteratorBaseET_S8_EUlhhE_EEEEvS7_RKS8_EUlibE0_EEviT1_.num_named_barrier, 0
	.set _ZN2at6native32elementwise_kernel_manual_unrollILi128ELi4EZNS0_15gpu_kernel_implINS0_13BinaryFunctorIhhhZNS0_12_GLOBAL__N_121threshold_kernel_implIhEEvRNS_18TensorIteratorBaseET_S8_EUlhhE_EEEEvS7_RKS8_EUlibE0_EEviT1_.private_seg_size, 0
	.set _ZN2at6native32elementwise_kernel_manual_unrollILi128ELi4EZNS0_15gpu_kernel_implINS0_13BinaryFunctorIhhhZNS0_12_GLOBAL__N_121threshold_kernel_implIhEEvRNS_18TensorIteratorBaseET_S8_EUlhhE_EEEEvS7_RKS8_EUlibE0_EEviT1_.uses_vcc, 1
	.set _ZN2at6native32elementwise_kernel_manual_unrollILi128ELi4EZNS0_15gpu_kernel_implINS0_13BinaryFunctorIhhhZNS0_12_GLOBAL__N_121threshold_kernel_implIhEEvRNS_18TensorIteratorBaseET_S8_EUlhhE_EEEEvS7_RKS8_EUlibE0_EEviT1_.uses_flat_scratch, 0
	.set _ZN2at6native32elementwise_kernel_manual_unrollILi128ELi4EZNS0_15gpu_kernel_implINS0_13BinaryFunctorIhhhZNS0_12_GLOBAL__N_121threshold_kernel_implIhEEvRNS_18TensorIteratorBaseET_S8_EUlhhE_EEEEvS7_RKS8_EUlibE0_EEviT1_.has_dyn_sized_stack, 0
	.set _ZN2at6native32elementwise_kernel_manual_unrollILi128ELi4EZNS0_15gpu_kernel_implINS0_13BinaryFunctorIhhhZNS0_12_GLOBAL__N_121threshold_kernel_implIhEEvRNS_18TensorIteratorBaseET_S8_EUlhhE_EEEEvS7_RKS8_EUlibE0_EEviT1_.has_recursion, 0
	.set _ZN2at6native32elementwise_kernel_manual_unrollILi128ELi4EZNS0_15gpu_kernel_implINS0_13BinaryFunctorIhhhZNS0_12_GLOBAL__N_121threshold_kernel_implIhEEvRNS_18TensorIteratorBaseET_S8_EUlhhE_EEEEvS7_RKS8_EUlibE0_EEviT1_.has_indirect_call, 0
	.section	.AMDGPU.csdata,"",@progbits
; Kernel info:
; codeLenInByte = 56304
; TotalNumSgprs: 84
; NumVgprs: 23
; ScratchSize: 0
; MemoryBound: 1
; FloatMode: 240
; IeeeMode: 1
; LDSByteSize: 0 bytes/workgroup (compile time only)
; SGPRBlocks: 10
; VGPRBlocks: 5
; NumSGPRsForWavesPerEU: 84
; NumVGPRsForWavesPerEU: 23
; Occupancy: 9
; WaveLimiterHint : 1
; COMPUTE_PGM_RSRC2:SCRATCH_EN: 0
; COMPUTE_PGM_RSRC2:USER_SGPR: 6
; COMPUTE_PGM_RSRC2:TRAP_HANDLER: 0
; COMPUTE_PGM_RSRC2:TGID_X_EN: 1
; COMPUTE_PGM_RSRC2:TGID_Y_EN: 0
; COMPUTE_PGM_RSRC2:TGID_Z_EN: 0
; COMPUTE_PGM_RSRC2:TIDIG_COMP_CNT: 0
	.section	.text._ZN2at6native29vectorized_elementwise_kernelILi16ENS0_13AUnaryFunctorIaaaZNS0_12_GLOBAL__N_121threshold_kernel_implIaEEvRNS_18TensorIteratorBaseET_S7_EUlaaE_EESt5arrayIPcLm2EEEEviT0_T1_,"axG",@progbits,_ZN2at6native29vectorized_elementwise_kernelILi16ENS0_13AUnaryFunctorIaaaZNS0_12_GLOBAL__N_121threshold_kernel_implIaEEvRNS_18TensorIteratorBaseET_S7_EUlaaE_EESt5arrayIPcLm2EEEEviT0_T1_,comdat
	.globl	_ZN2at6native29vectorized_elementwise_kernelILi16ENS0_13AUnaryFunctorIaaaZNS0_12_GLOBAL__N_121threshold_kernel_implIaEEvRNS_18TensorIteratorBaseET_S7_EUlaaE_EESt5arrayIPcLm2EEEEviT0_T1_ ; -- Begin function _ZN2at6native29vectorized_elementwise_kernelILi16ENS0_13AUnaryFunctorIaaaZNS0_12_GLOBAL__N_121threshold_kernel_implIaEEvRNS_18TensorIteratorBaseET_S7_EUlaaE_EESt5arrayIPcLm2EEEEviT0_T1_
	.p2align	8
	.type	_ZN2at6native29vectorized_elementwise_kernelILi16ENS0_13AUnaryFunctorIaaaZNS0_12_GLOBAL__N_121threshold_kernel_implIaEEvRNS_18TensorIteratorBaseET_S7_EUlaaE_EESt5arrayIPcLm2EEEEviT0_T1_,@function
_ZN2at6native29vectorized_elementwise_kernelILi16ENS0_13AUnaryFunctorIaaaZNS0_12_GLOBAL__N_121threshold_kernel_implIaEEvRNS_18TensorIteratorBaseET_S7_EUlaaE_EESt5arrayIPcLm2EEEEviT0_T1_: ; @_ZN2at6native29vectorized_elementwise_kernelILi16ENS0_13AUnaryFunctorIaaaZNS0_12_GLOBAL__N_121threshold_kernel_implIaEEvRNS_18TensorIteratorBaseET_S7_EUlaaE_EESt5arrayIPcLm2EEEEviT0_T1_
; %bb.0:
	v_mov_b32_e32 v1, 0
	global_load_ubyte v2, v1, s[4:5] offset:6
	global_load_ushort v3, v1, s[4:5] offset:4
	s_load_dword s2, s[4:5], 0x0
	s_load_dwordx4 s[8:11], s[4:5], 0x8
	s_lshl_b32 s33, s6, 12
	s_mov_b64 s[0:1], -1
	s_waitcnt lgkmcnt(0)
	s_sub_i32 s38, s2, s33
	s_cmpk_gt_i32 s38, 0xfff
	s_waitcnt vmcnt(1)
	v_lshlrev_b32_e32 v1, 16, v2
	s_waitcnt vmcnt(0)
	v_or_b32_e32 v6, v3, v1
	v_lshrrev_b32_e32 v3, 8, v6
	v_cmp_gt_i32_sdwa vcc, sext(v6), sext(v6) src0_sel:BYTE_2 src1_sel:BYTE_0
	s_cbranch_scc0 .LBB24_2
; %bb.1:
	s_ashr_i32 s2, s33, 31
	s_add_u32 s0, s10, s33
	s_addc_u32 s1, s11, s2
	v_lshlrev_b32_e32 v1, 4, v0
	global_load_dwordx4 v[7:10], v1, s[0:1]
	s_add_u32 s0, s8, s33
	s_addc_u32 s1, s9, s2
	s_waitcnt vmcnt(0)
	v_lshrrev_b32_e32 v2, 8, v7
	v_lshrrev_b32_e32 v5, 24, v7
	;; [unrolled: 1-line block ×12, first 2 shown]
	v_cndmask_b32_e32 v2, v3, v2, vcc
	v_cndmask_b32_e32 v5, v3, v5, vcc
	;; [unrolled: 1-line block ×16, first 2 shown]
	v_lshlrev_b16_e32 v17, 8, v17
	v_lshlrev_b16_e32 v19, 8, v19
	v_lshlrev_b16_e32 v14, 8, v14
	v_lshlrev_b16_e32 v16, 8, v16
	v_lshlrev_b16_e32 v11, 8, v11
	v_lshlrev_b16_e32 v13, 8, v13
	v_lshlrev_b16_e32 v2, 8, v2
	v_lshlrev_b16_e32 v5, 8, v5
	v_or_b32_sdwa v10, v10, v17 dst_sel:DWORD dst_unused:UNUSED_PAD src0_sel:BYTE_0 src1_sel:DWORD
	v_or_b32_sdwa v17, v18, v19 dst_sel:WORD_1 dst_unused:UNUSED_PAD src0_sel:BYTE_0 src1_sel:DWORD
	v_or_b32_sdwa v9, v9, v14 dst_sel:DWORD dst_unused:UNUSED_PAD src0_sel:BYTE_0 src1_sel:DWORD
	v_or_b32_sdwa v14, v15, v16 dst_sel:WORD_1 dst_unused:UNUSED_PAD src0_sel:BYTE_0 src1_sel:DWORD
	;; [unrolled: 2-line block ×4, first 2 shown]
	v_or_b32_sdwa v10, v10, v17 dst_sel:DWORD dst_unused:UNUSED_PAD src0_sel:WORD_0 src1_sel:DWORD
	v_or_b32_sdwa v9, v9, v14 dst_sel:DWORD dst_unused:UNUSED_PAD src0_sel:WORD_0 src1_sel:DWORD
	;; [unrolled: 1-line block ×4, first 2 shown]
	global_store_dwordx4 v1, v[7:10], s[0:1]
	s_mov_b64 s[0:1], 0
.LBB24_2:
	s_andn2_b64 vcc, exec, s[0:1]
	s_cbranch_vccnz .LBB24_52
; %bb.3:
	v_cmp_gt_i32_e64 s[0:1], s38, v0
	v_or_b32_e32 v4, 0x100, v0
	v_mov_b32_e32 v22, 0
	v_or_b32_e32 v5, s33, v0
	v_mov_b32_e32 v21, 0
	v_mov_b32_e32 v20, 0
	;; [unrolled: 1-line block ×15, first 2 shown]
	s_and_saveexec_b64 s[2:3], s[0:1]
	s_cbranch_execz .LBB24_35
; %bb.4:
	global_load_ubyte v8, v5, s[10:11]
	v_cmp_gt_u32_e32 vcc, s38, v4
	v_mov_b32_e32 v7, 0
	v_mov_b32_e32 v10, 0
	;; [unrolled: 1-line block ×15, first 2 shown]
	s_and_saveexec_b64 s[4:5], vcc
	s_cbranch_execz .LBB24_34
; %bb.5:
	v_add_u32_e32 v1, s33, v0
	global_load_ubyte v7, v1, s[10:11] offset:256
	v_or_b32_e32 v2, 0x200, v0
	v_mov_b32_e32 v10, 0
	v_cmp_gt_u32_e32 vcc, s38, v2
	v_mov_b32_e32 v9, 0
	v_mov_b32_e32 v11, 0
	;; [unrolled: 1-line block ×13, first 2 shown]
	s_and_saveexec_b64 s[6:7], vcc
	s_cbranch_execz .LBB24_33
; %bb.6:
	v_mov_b32_e32 v2, s11
	v_add_co_u32_e32 v1, vcc, s10, v1
	v_addc_co_u32_e32 v2, vcc, 0, v2, vcc
	global_load_ubyte v10, v[1:2], off offset:512
	v_or_b32_e32 v9, 0x300, v0
	v_cmp_gt_u32_e32 vcc, s38, v9
	v_mov_b32_e32 v9, 0
	v_mov_b32_e32 v11, 0
	;; [unrolled: 1-line block ×13, first 2 shown]
	s_and_saveexec_b64 s[10:11], vcc
	s_cbranch_execz .LBB24_32
; %bb.7:
	global_load_ubyte v9, v[1:2], off offset:768
	v_or_b32_e32 v11, 0x400, v0
	v_cmp_gt_u32_e32 vcc, s38, v11
	v_mov_b32_e32 v11, 0
	v_mov_b32_e32 v13, 0
	;; [unrolled: 1-line block ×12, first 2 shown]
	s_and_saveexec_b64 s[12:13], vcc
	s_cbranch_execz .LBB24_31
; %bb.8:
	global_load_ubyte v11, v[1:2], off offset:1024
	v_or_b32_e32 v12, 0x500, v0
	v_cmp_gt_u32_e32 vcc, s38, v12
	v_mov_b32_e32 v13, 0
	v_mov_b32_e32 v12, 0
	;; [unrolled: 1-line block ×11, first 2 shown]
	s_and_saveexec_b64 s[14:15], vcc
	s_cbranch_execz .LBB24_30
; %bb.9:
	global_load_ubyte v13, v[1:2], off offset:1280
	v_or_b32_e32 v12, 0x600, v0
	v_cmp_gt_u32_e32 vcc, s38, v12
	v_mov_b32_e32 v12, 0
	v_mov_b32_e32 v14, 0
	;; [unrolled: 1-line block ×10, first 2 shown]
	s_and_saveexec_b64 s[16:17], vcc
	s_cbranch_execz .LBB24_29
; %bb.10:
	global_load_ubyte v12, v[1:2], off offset:1536
	v_or_b32_e32 v14, 0x700, v0
	v_cmp_gt_u32_e32 vcc, s38, v14
	v_mov_b32_e32 v14, 0
	v_mov_b32_e32 v15, 0
	;; [unrolled: 1-line block ×9, first 2 shown]
	s_and_saveexec_b64 s[18:19], vcc
	s_cbranch_execz .LBB24_28
; %bb.11:
	global_load_ubyte v14, v[1:2], off offset:1792
	v_or_b32_e32 v15, 0x800, v0
	v_cmp_gt_u32_e32 vcc, s38, v15
	v_mov_b32_e32 v15, 0
	v_mov_b32_e32 v16, 0
	v_mov_b32_e32 v17, 0
	v_mov_b32_e32 v18, 0
	v_mov_b32_e32 v19, 0
	v_mov_b32_e32 v20, 0
	v_mov_b32_e32 v21, 0
	v_mov_b32_e32 v22, 0
	s_and_saveexec_b64 s[20:21], vcc
	s_cbranch_execz .LBB24_27
; %bb.12:
	global_load_ubyte v15, v[1:2], off offset:2048
	v_or_b32_e32 v16, 0x900, v0
	v_cmp_gt_u32_e32 vcc, s38, v16
	v_mov_b32_e32 v16, 0
	v_mov_b32_e32 v17, 0
	;; [unrolled: 1-line block ×7, first 2 shown]
	s_and_saveexec_b64 s[22:23], vcc
	s_cbranch_execz .LBB24_26
; %bb.13:
	global_load_ubyte v16, v[1:2], off offset:2304
	v_or_b32_e32 v17, 0xa00, v0
	v_cmp_gt_u32_e32 vcc, s38, v17
	v_mov_b32_e32 v17, 0
	v_mov_b32_e32 v18, 0
	;; [unrolled: 1-line block ×6, first 2 shown]
	s_and_saveexec_b64 s[24:25], vcc
	s_cbranch_execz .LBB24_25
; %bb.14:
	global_load_ubyte v17, v[1:2], off offset:2560
	v_or_b32_e32 v18, 0xb00, v0
	v_cmp_gt_u32_e32 vcc, s38, v18
	v_mov_b32_e32 v18, 0
	v_mov_b32_e32 v19, 0
	;; [unrolled: 1-line block ×5, first 2 shown]
	s_and_saveexec_b64 s[26:27], vcc
	s_cbranch_execz .LBB24_24
; %bb.15:
	global_load_ubyte v18, v[1:2], off offset:2816
	v_or_b32_e32 v19, 0xc00, v0
	v_cmp_gt_u32_e32 vcc, s38, v19
	v_mov_b32_e32 v19, 0
	v_mov_b32_e32 v20, 0
	;; [unrolled: 1-line block ×4, first 2 shown]
	s_and_saveexec_b64 s[28:29], vcc
	s_cbranch_execz .LBB24_23
; %bb.16:
	global_load_ubyte v19, v[1:2], off offset:3072
	v_or_b32_e32 v20, 0xd00, v0
	v_cmp_gt_u32_e32 vcc, s38, v20
	v_mov_b32_e32 v20, 0
	v_mov_b32_e32 v21, 0
	;; [unrolled: 1-line block ×3, first 2 shown]
	s_and_saveexec_b64 s[30:31], vcc
	s_cbranch_execz .LBB24_22
; %bb.17:
	global_load_ubyte v20, v[1:2], off offset:3328
	v_or_b32_e32 v21, 0xe00, v0
	v_cmp_gt_u32_e32 vcc, s38, v21
	v_mov_b32_e32 v21, 0
	v_mov_b32_e32 v22, 0
	s_and_saveexec_b64 s[34:35], vcc
	s_cbranch_execz .LBB24_21
; %bb.18:
	global_load_ubyte v21, v[1:2], off offset:3584
	v_or_b32_e32 v22, 0xf00, v0
	v_cmp_gt_u32_e32 vcc, s38, v22
	v_mov_b32_e32 v22, 0
	s_and_saveexec_b64 s[36:37], vcc
	s_cbranch_execz .LBB24_20
; %bb.19:
	global_load_ubyte v22, v[1:2], off offset:3840
.LBB24_20:
	s_or_b64 exec, exec, s[36:37]
.LBB24_21:
	s_or_b64 exec, exec, s[34:35]
.LBB24_22:
	s_or_b64 exec, exec, s[30:31]
.LBB24_23:
	s_or_b64 exec, exec, s[28:29]
.LBB24_24:
	s_or_b64 exec, exec, s[26:27]
.LBB24_25:
	s_or_b64 exec, exec, s[24:25]
.LBB24_26:
	s_or_b64 exec, exec, s[22:23]
.LBB24_27:
	s_or_b64 exec, exec, s[20:21]
.LBB24_28:
	s_or_b64 exec, exec, s[18:19]
.LBB24_29:
	s_or_b64 exec, exec, s[16:17]
.LBB24_30:
	s_or_b64 exec, exec, s[14:15]
.LBB24_31:
	s_or_b64 exec, exec, s[12:13]
.LBB24_32:
	s_or_b64 exec, exec, s[10:11]
.LBB24_33:
	s_or_b64 exec, exec, s[6:7]
.LBB24_34:
	s_or_b64 exec, exec, s[4:5]
.LBB24_35:
	s_or_b64 exec, exec, s[2:3]
	v_cmp_gt_i32_sdwa vcc, sext(v6), sext(v6) src0_sel:BYTE_2 src1_sel:BYTE_0
	s_waitcnt vmcnt(0)
	v_cndmask_b32_e32 v1, v3, v8, vcc
	s_mov_b32 s5, 0xffff
	v_and_b32_sdwa v1, s5, v1 dst_sel:DWORD dst_unused:UNUSED_PAD src0_sel:DWORD src1_sel:BYTE_0
	v_cndmask_b32_e32 v2, v3, v7, vcc
	v_cndmask_b32_e64 v1, 0, v1, s[0:1]
	v_lshlrev_b16_e32 v2, 8, v2
	v_or_b32_e32 v2, v1, v2
	v_and_b32_e32 v2, 0xffff, v2
	v_cmp_gt_i32_e64 s[2:3], s38, v4
	v_cndmask_b32_e64 v1, v1, v2, s[2:3]
	v_cndmask_b32_e32 v6, v3, v10, vcc
	s_mov_b32 s6, 0xc0c0304
	v_or_b32_e32 v2, 0x200, v0
	v_perm_b32 v6, v6, v1, s6
	v_lshl_or_b32 v6, v6, 16, v1
	v_cmp_gt_i32_e64 s[2:3], s38, v2
	s_movk_i32 s4, 0xff
	v_cndmask_b32_e64 v1, v1, v6, s[2:3]
	v_cndmask_b32_e32 v7, v3, v9, vcc
	v_and_b32_sdwa v2, v1, s4 dst_sel:DWORD dst_unused:UNUSED_PAD src0_sel:WORD_1 src1_sel:DWORD
	v_lshlrev_b16_e32 v7, 8, v7
	v_or_b32_e32 v6, 0x300, v0
	v_or_b32_sdwa v2, v2, v7 dst_sel:WORD_1 dst_unused:UNUSED_PAD src0_sel:DWORD src1_sel:DWORD
	v_and_or_b32 v2, v1, s5, v2
	v_cmp_gt_i32_e64 s[2:3], s38, v6
	v_cndmask_b32_e64 v7, v1, v2, s[2:3]
	v_cndmask_b32_e32 v1, v3, v11, vcc
	s_mov_b32 s7, 0x3020104
	v_or_b32_e32 v2, 0x400, v0
	v_perm_b32 v1, v1, 0, s7
	v_cmp_gt_i32_e64 s[2:3], s38, v2
	v_cndmask_b32_e32 v2, v3, v13, vcc
	v_cndmask_b32_e64 v1, 0, v1, s[2:3]
	v_lshlrev_b16_e32 v2, 8, v2
	v_or_b32_sdwa v2, v1, v2 dst_sel:DWORD dst_unused:UNUSED_PAD src0_sel:BYTE_0 src1_sel:DWORD
	v_and_b32_e32 v2, 0xffff, v2
	s_mov_b32 s10, 0xffff0000
	v_or_b32_e32 v6, 0x500, v0
	v_and_or_b32 v2, v1, s10, v2
	v_cmp_gt_i32_e64 s[2:3], s38, v6
	v_cndmask_b32_e64 v1, v1, v2, s[2:3]
	v_or_b32_e32 v2, 0x600, v0
	v_cndmask_b32_e32 v6, v3, v12, vcc
	s_mov_b32 s11, 0x7000504
	v_perm_b32 v6, v1, v6, s11
	v_cmp_gt_i32_e64 s[2:3], s38, v2
	v_cndmask_b32_e64 v1, v1, v6, s[2:3]
	v_cndmask_b32_e32 v8, v3, v14, vcc
	v_and_b32_sdwa v2, v1, s4 dst_sel:DWORD dst_unused:UNUSED_PAD src0_sel:WORD_1 src1_sel:DWORD
	v_lshlrev_b16_e32 v8, 8, v8
	v_or_b32_e32 v6, 0x700, v0
	v_or_b32_sdwa v2, v2, v8 dst_sel:WORD_1 dst_unused:UNUSED_PAD src0_sel:DWORD src1_sel:DWORD
	v_and_or_b32 v2, v1, s5, v2
	v_cmp_gt_i32_e64 s[2:3], s38, v6
	v_cndmask_b32_e64 v6, v1, v2, s[2:3]
	v_or_b32_e32 v1, 0x800, v0
	v_cndmask_b32_e32 v2, v3, v15, vcc
	v_and_b32_sdwa v2, s5, v2 dst_sel:DWORD dst_unused:UNUSED_PAD src0_sel:DWORD src1_sel:BYTE_0
	v_cmp_gt_i32_e64 s[2:3], s38, v1
	v_cndmask_b32_e32 v8, v3, v16, vcc
	v_cndmask_b32_e64 v1, 0, v2, s[2:3]
	v_lshlrev_b16_e32 v8, 8, v8
	v_or_b32_e32 v2, 0x900, v0
	v_or_b32_e32 v8, v1, v8
	v_and_b32_e32 v8, 0xffff, v8
	v_cmp_gt_i32_e64 s[2:3], s38, v2
	v_cndmask_b32_e64 v1, v1, v8, s[2:3]
	v_cndmask_b32_e32 v8, v3, v17, vcc
	v_or_b32_e32 v2, 0xa00, v0
	v_perm_b32 v8, v8, v1, s6
	v_lshl_or_b32 v8, v8, 16, v1
	v_cmp_gt_i32_e64 s[2:3], s38, v2
	v_cndmask_b32_e64 v1, v1, v8, s[2:3]
	v_cndmask_b32_e32 v9, v3, v18, vcc
	v_and_b32_sdwa v2, v1, s4 dst_sel:DWORD dst_unused:UNUSED_PAD src0_sel:WORD_1 src1_sel:DWORD
	v_lshlrev_b16_e32 v9, 8, v9
	v_or_b32_e32 v8, 0xb00, v0
	v_or_b32_sdwa v2, v2, v9 dst_sel:WORD_1 dst_unused:UNUSED_PAD src0_sel:DWORD src1_sel:DWORD
	v_and_or_b32 v2, v1, s5, v2
	v_cmp_gt_i32_e64 s[2:3], s38, v8
	v_cndmask_b32_e64 v2, v1, v2, s[2:3]
	v_cndmask_b32_e32 v1, v3, v19, vcc
	v_or_b32_e32 v8, 0xc00, v0
	v_perm_b32 v1, v1, 0, s7
	v_cmp_gt_i32_e64 s[2:3], s38, v8
	v_cndmask_b32_e32 v8, v3, v20, vcc
	v_cndmask_b32_e64 v1, 0, v1, s[2:3]
	v_lshlrev_b16_e32 v8, 8, v8
	v_or_b32_sdwa v8, v1, v8 dst_sel:DWORD dst_unused:UNUSED_PAD src0_sel:BYTE_0 src1_sel:DWORD
	v_and_b32_e32 v8, 0xffff, v8
	v_or_b32_e32 v9, 0xd00, v0
	v_and_or_b32 v8, v1, s10, v8
	v_cmp_gt_i32_e64 s[2:3], s38, v9
	v_cndmask_b32_e64 v1, v1, v8, s[2:3]
	v_or_b32_e32 v8, 0xe00, v0
	v_cndmask_b32_e32 v9, v3, v21, vcc
	v_perm_b32 v9, v1, v9, s11
	v_cmp_gt_i32_e64 s[2:3], s38, v8
	v_cndmask_b32_e64 v1, v1, v9, s[2:3]
	v_and_b32_sdwa v8, v1, s4 dst_sel:DWORD dst_unused:UNUSED_PAD src0_sel:WORD_1 src1_sel:DWORD
	v_cndmask_b32_sdwa v3, v3, v22, vcc dst_sel:BYTE_1 dst_unused:UNUSED_PAD src0_sel:DWORD src1_sel:DWORD
	v_or_b32_e32 v9, 0xf00, v0
	v_or_b32_sdwa v3, v8, v3 dst_sel:WORD_1 dst_unused:UNUSED_PAD src0_sel:DWORD src1_sel:DWORD
	v_and_or_b32 v3, v1, s5, v3
	v_cmp_gt_i32_e32 vcc, s38, v9
	v_cndmask_b32_e32 v1, v1, v3, vcc
	s_and_saveexec_b64 s[2:3], s[0:1]
	s_cbranch_execnz .LBB24_53
; %bb.36:
	s_or_b64 exec, exec, s[2:3]
	v_cmp_gt_i32_e32 vcc, s38, v0
	s_and_saveexec_b64 s[0:1], vcc
	s_cbranch_execnz .LBB24_54
.LBB24_37:
	s_or_b64 exec, exec, s[0:1]
	v_cmp_gt_i32_e32 vcc, s38, v0
	s_and_saveexec_b64 s[0:1], vcc
	s_cbranch_execnz .LBB24_55
.LBB24_38:
	s_or_b64 exec, exec, s[0:1]
	v_cmp_gt_i32_e32 vcc, s38, v0
	s_and_saveexec_b64 s[0:1], vcc
	s_cbranch_execnz .LBB24_56
.LBB24_39:
	s_or_b64 exec, exec, s[0:1]
	v_cmp_gt_i32_e32 vcc, s38, v0
	s_and_saveexec_b64 s[0:1], vcc
	s_cbranch_execnz .LBB24_57
.LBB24_40:
	s_or_b64 exec, exec, s[0:1]
	v_cmp_gt_i32_e32 vcc, s38, v0
	s_and_saveexec_b64 s[0:1], vcc
	s_cbranch_execnz .LBB24_58
.LBB24_41:
	s_or_b64 exec, exec, s[0:1]
	v_cmp_gt_i32_e32 vcc, s38, v0
	s_and_saveexec_b64 s[0:1], vcc
	s_cbranch_execnz .LBB24_59
.LBB24_42:
	s_or_b64 exec, exec, s[0:1]
	v_cmp_gt_i32_e32 vcc, s38, v0
	s_and_saveexec_b64 s[0:1], vcc
	s_cbranch_execnz .LBB24_60
.LBB24_43:
	s_or_b64 exec, exec, s[0:1]
	v_cmp_gt_i32_e32 vcc, s38, v0
	s_and_saveexec_b64 s[0:1], vcc
	s_cbranch_execnz .LBB24_61
.LBB24_44:
	s_or_b64 exec, exec, s[0:1]
	v_cmp_gt_i32_e32 vcc, s38, v0
	s_and_saveexec_b64 s[0:1], vcc
	s_cbranch_execnz .LBB24_62
.LBB24_45:
	s_or_b64 exec, exec, s[0:1]
	v_cmp_gt_i32_e32 vcc, s38, v0
	s_and_saveexec_b64 s[0:1], vcc
	s_cbranch_execnz .LBB24_63
.LBB24_46:
	s_or_b64 exec, exec, s[0:1]
	v_cmp_gt_i32_e32 vcc, s38, v0
	s_and_saveexec_b64 s[0:1], vcc
	s_cbranch_execnz .LBB24_64
.LBB24_47:
	s_or_b64 exec, exec, s[0:1]
	v_cmp_gt_i32_e32 vcc, s38, v0
	s_and_saveexec_b64 s[0:1], vcc
	s_cbranch_execnz .LBB24_65
.LBB24_48:
	s_or_b64 exec, exec, s[0:1]
	v_cmp_gt_i32_e32 vcc, s38, v0
	s_and_saveexec_b64 s[0:1], vcc
	s_cbranch_execnz .LBB24_66
.LBB24_49:
	s_or_b64 exec, exec, s[0:1]
	v_cmp_gt_i32_e32 vcc, s38, v0
	s_and_saveexec_b64 s[0:1], vcc
	s_cbranch_execnz .LBB24_67
.LBB24_50:
	s_or_b64 exec, exec, s[0:1]
	v_cmp_gt_i32_e32 vcc, s38, v0
	s_and_saveexec_b64 s[0:1], vcc
	s_cbranch_execz .LBB24_52
.LBB24_51:
	v_lshrrev_b32_e32 v1, 24, v1
	v_add_u32_e32 v0, s33, v0
	global_store_byte v0, v1, s[8:9]
.LBB24_52:
	s_endpgm
.LBB24_53:
	v_mov_b32_e32 v0, v4
	global_store_byte v5, v7, s[8:9]
	s_or_b64 exec, exec, s[2:3]
	v_cmp_gt_i32_e32 vcc, s38, v0
	s_and_saveexec_b64 s[0:1], vcc
	s_cbranch_execz .LBB24_37
.LBB24_54:
	v_lshrrev_b32_e32 v3, 8, v7
	v_add_u32_e32 v4, s33, v0
	v_add_u32_e32 v0, 0x100, v0
	global_store_byte v4, v3, s[8:9]
	s_or_b64 exec, exec, s[0:1]
	v_cmp_gt_i32_e32 vcc, s38, v0
	s_and_saveexec_b64 s[0:1], vcc
	s_cbranch_execz .LBB24_38
.LBB24_55:
	v_add_u32_e32 v3, s33, v0
	v_add_u32_e32 v0, 0x100, v0
	global_store_byte_d16_hi v3, v7, s[8:9]
	s_or_b64 exec, exec, s[0:1]
	v_cmp_gt_i32_e32 vcc, s38, v0
	s_and_saveexec_b64 s[0:1], vcc
	s_cbranch_execz .LBB24_39
.LBB24_56:
	v_lshrrev_b32_e32 v3, 24, v7
	v_add_u32_e32 v4, s33, v0
	v_add_u32_e32 v0, 0x100, v0
	global_store_byte v4, v3, s[8:9]
	s_or_b64 exec, exec, s[0:1]
	v_cmp_gt_i32_e32 vcc, s38, v0
	s_and_saveexec_b64 s[0:1], vcc
	s_cbranch_execz .LBB24_40
.LBB24_57:
	v_add_u32_e32 v3, s33, v0
	v_add_u32_e32 v0, 0x100, v0
	global_store_byte v3, v6, s[8:9]
	s_or_b64 exec, exec, s[0:1]
	v_cmp_gt_i32_e32 vcc, s38, v0
	s_and_saveexec_b64 s[0:1], vcc
	s_cbranch_execz .LBB24_41
.LBB24_58:
	v_lshrrev_b32_e32 v3, 8, v6
	v_add_u32_e32 v4, s33, v0
	v_add_u32_e32 v0, 0x100, v0
	global_store_byte v4, v3, s[8:9]
	s_or_b64 exec, exec, s[0:1]
	v_cmp_gt_i32_e32 vcc, s38, v0
	s_and_saveexec_b64 s[0:1], vcc
	s_cbranch_execz .LBB24_42
.LBB24_59:
	v_add_u32_e32 v3, s33, v0
	v_add_u32_e32 v0, 0x100, v0
	global_store_byte_d16_hi v3, v6, s[8:9]
	s_or_b64 exec, exec, s[0:1]
	v_cmp_gt_i32_e32 vcc, s38, v0
	s_and_saveexec_b64 s[0:1], vcc
	s_cbranch_execz .LBB24_43
.LBB24_60:
	v_lshrrev_b32_e32 v3, 24, v6
	v_add_u32_e32 v4, s33, v0
	v_add_u32_e32 v0, 0x100, v0
	global_store_byte v4, v3, s[8:9]
	s_or_b64 exec, exec, s[0:1]
	v_cmp_gt_i32_e32 vcc, s38, v0
	s_and_saveexec_b64 s[0:1], vcc
	s_cbranch_execz .LBB24_44
.LBB24_61:
	v_add_u32_e32 v3, s33, v0
	v_add_u32_e32 v0, 0x100, v0
	global_store_byte v3, v2, s[8:9]
	s_or_b64 exec, exec, s[0:1]
	v_cmp_gt_i32_e32 vcc, s38, v0
	s_and_saveexec_b64 s[0:1], vcc
	s_cbranch_execz .LBB24_45
.LBB24_62:
	v_lshrrev_b32_e32 v3, 8, v2
	v_add_u32_e32 v4, s33, v0
	v_add_u32_e32 v0, 0x100, v0
	global_store_byte v4, v3, s[8:9]
	s_or_b64 exec, exec, s[0:1]
	v_cmp_gt_i32_e32 vcc, s38, v0
	s_and_saveexec_b64 s[0:1], vcc
	s_cbranch_execz .LBB24_46
.LBB24_63:
	v_add_u32_e32 v3, s33, v0
	v_add_u32_e32 v0, 0x100, v0
	global_store_byte_d16_hi v3, v2, s[8:9]
	s_or_b64 exec, exec, s[0:1]
	v_cmp_gt_i32_e32 vcc, s38, v0
	s_and_saveexec_b64 s[0:1], vcc
	s_cbranch_execz .LBB24_47
.LBB24_64:
	v_lshrrev_b32_e32 v2, 24, v2
	v_add_u32_e32 v3, s33, v0
	v_add_u32_e32 v0, 0x100, v0
	global_store_byte v3, v2, s[8:9]
	s_or_b64 exec, exec, s[0:1]
	v_cmp_gt_i32_e32 vcc, s38, v0
	s_and_saveexec_b64 s[0:1], vcc
	s_cbranch_execz .LBB24_48
.LBB24_65:
	v_add_u32_e32 v2, s33, v0
	v_add_u32_e32 v0, 0x100, v0
	global_store_byte v2, v1, s[8:9]
	s_or_b64 exec, exec, s[0:1]
	v_cmp_gt_i32_e32 vcc, s38, v0
	s_and_saveexec_b64 s[0:1], vcc
	s_cbranch_execz .LBB24_49
.LBB24_66:
	v_lshrrev_b32_e32 v2, 8, v1
	v_add_u32_e32 v3, s33, v0
	v_add_u32_e32 v0, 0x100, v0
	global_store_byte v3, v2, s[8:9]
	s_or_b64 exec, exec, s[0:1]
	v_cmp_gt_i32_e32 vcc, s38, v0
	s_and_saveexec_b64 s[0:1], vcc
	s_cbranch_execz .LBB24_50
.LBB24_67:
	v_add_u32_e32 v2, s33, v0
	v_add_u32_e32 v0, 0x100, v0
	global_store_byte_d16_hi v2, v1, s[8:9]
	s_or_b64 exec, exec, s[0:1]
	v_cmp_gt_i32_e32 vcc, s38, v0
	s_and_saveexec_b64 s[0:1], vcc
	s_cbranch_execnz .LBB24_51
	s_branch .LBB24_52
	.section	.rodata,"a",@progbits
	.p2align	6, 0x0
	.amdhsa_kernel _ZN2at6native29vectorized_elementwise_kernelILi16ENS0_13AUnaryFunctorIaaaZNS0_12_GLOBAL__N_121threshold_kernel_implIaEEvRNS_18TensorIteratorBaseET_S7_EUlaaE_EESt5arrayIPcLm2EEEEviT0_T1_
		.amdhsa_group_segment_fixed_size 0
		.amdhsa_private_segment_fixed_size 0
		.amdhsa_kernarg_size 24
		.amdhsa_user_sgpr_count 6
		.amdhsa_user_sgpr_private_segment_buffer 1
		.amdhsa_user_sgpr_dispatch_ptr 0
		.amdhsa_user_sgpr_queue_ptr 0
		.amdhsa_user_sgpr_kernarg_segment_ptr 1
		.amdhsa_user_sgpr_dispatch_id 0
		.amdhsa_user_sgpr_flat_scratch_init 0
		.amdhsa_user_sgpr_private_segment_size 0
		.amdhsa_uses_dynamic_stack 0
		.amdhsa_system_sgpr_private_segment_wavefront_offset 0
		.amdhsa_system_sgpr_workgroup_id_x 1
		.amdhsa_system_sgpr_workgroup_id_y 0
		.amdhsa_system_sgpr_workgroup_id_z 0
		.amdhsa_system_sgpr_workgroup_info 0
		.amdhsa_system_vgpr_workitem_id 0
		.amdhsa_next_free_vgpr 23
		.amdhsa_next_free_sgpr 39
		.amdhsa_reserve_vcc 1
		.amdhsa_reserve_flat_scratch 0
		.amdhsa_float_round_mode_32 0
		.amdhsa_float_round_mode_16_64 0
		.amdhsa_float_denorm_mode_32 3
		.amdhsa_float_denorm_mode_16_64 3
		.amdhsa_dx10_clamp 1
		.amdhsa_ieee_mode 1
		.amdhsa_fp16_overflow 0
		.amdhsa_exception_fp_ieee_invalid_op 0
		.amdhsa_exception_fp_denorm_src 0
		.amdhsa_exception_fp_ieee_div_zero 0
		.amdhsa_exception_fp_ieee_overflow 0
		.amdhsa_exception_fp_ieee_underflow 0
		.amdhsa_exception_fp_ieee_inexact 0
		.amdhsa_exception_int_div_zero 0
	.end_amdhsa_kernel
	.section	.text._ZN2at6native29vectorized_elementwise_kernelILi16ENS0_13AUnaryFunctorIaaaZNS0_12_GLOBAL__N_121threshold_kernel_implIaEEvRNS_18TensorIteratorBaseET_S7_EUlaaE_EESt5arrayIPcLm2EEEEviT0_T1_,"axG",@progbits,_ZN2at6native29vectorized_elementwise_kernelILi16ENS0_13AUnaryFunctorIaaaZNS0_12_GLOBAL__N_121threshold_kernel_implIaEEvRNS_18TensorIteratorBaseET_S7_EUlaaE_EESt5arrayIPcLm2EEEEviT0_T1_,comdat
.Lfunc_end24:
	.size	_ZN2at6native29vectorized_elementwise_kernelILi16ENS0_13AUnaryFunctorIaaaZNS0_12_GLOBAL__N_121threshold_kernel_implIaEEvRNS_18TensorIteratorBaseET_S7_EUlaaE_EESt5arrayIPcLm2EEEEviT0_T1_, .Lfunc_end24-_ZN2at6native29vectorized_elementwise_kernelILi16ENS0_13AUnaryFunctorIaaaZNS0_12_GLOBAL__N_121threshold_kernel_implIaEEvRNS_18TensorIteratorBaseET_S7_EUlaaE_EESt5arrayIPcLm2EEEEviT0_T1_
                                        ; -- End function
	.set _ZN2at6native29vectorized_elementwise_kernelILi16ENS0_13AUnaryFunctorIaaaZNS0_12_GLOBAL__N_121threshold_kernel_implIaEEvRNS_18TensorIteratorBaseET_S7_EUlaaE_EESt5arrayIPcLm2EEEEviT0_T1_.num_vgpr, 23
	.set _ZN2at6native29vectorized_elementwise_kernelILi16ENS0_13AUnaryFunctorIaaaZNS0_12_GLOBAL__N_121threshold_kernel_implIaEEvRNS_18TensorIteratorBaseET_S7_EUlaaE_EESt5arrayIPcLm2EEEEviT0_T1_.num_agpr, 0
	.set _ZN2at6native29vectorized_elementwise_kernelILi16ENS0_13AUnaryFunctorIaaaZNS0_12_GLOBAL__N_121threshold_kernel_implIaEEvRNS_18TensorIteratorBaseET_S7_EUlaaE_EESt5arrayIPcLm2EEEEviT0_T1_.numbered_sgpr, 39
	.set _ZN2at6native29vectorized_elementwise_kernelILi16ENS0_13AUnaryFunctorIaaaZNS0_12_GLOBAL__N_121threshold_kernel_implIaEEvRNS_18TensorIteratorBaseET_S7_EUlaaE_EESt5arrayIPcLm2EEEEviT0_T1_.num_named_barrier, 0
	.set _ZN2at6native29vectorized_elementwise_kernelILi16ENS0_13AUnaryFunctorIaaaZNS0_12_GLOBAL__N_121threshold_kernel_implIaEEvRNS_18TensorIteratorBaseET_S7_EUlaaE_EESt5arrayIPcLm2EEEEviT0_T1_.private_seg_size, 0
	.set _ZN2at6native29vectorized_elementwise_kernelILi16ENS0_13AUnaryFunctorIaaaZNS0_12_GLOBAL__N_121threshold_kernel_implIaEEvRNS_18TensorIteratorBaseET_S7_EUlaaE_EESt5arrayIPcLm2EEEEviT0_T1_.uses_vcc, 1
	.set _ZN2at6native29vectorized_elementwise_kernelILi16ENS0_13AUnaryFunctorIaaaZNS0_12_GLOBAL__N_121threshold_kernel_implIaEEvRNS_18TensorIteratorBaseET_S7_EUlaaE_EESt5arrayIPcLm2EEEEviT0_T1_.uses_flat_scratch, 0
	.set _ZN2at6native29vectorized_elementwise_kernelILi16ENS0_13AUnaryFunctorIaaaZNS0_12_GLOBAL__N_121threshold_kernel_implIaEEvRNS_18TensorIteratorBaseET_S7_EUlaaE_EESt5arrayIPcLm2EEEEviT0_T1_.has_dyn_sized_stack, 0
	.set _ZN2at6native29vectorized_elementwise_kernelILi16ENS0_13AUnaryFunctorIaaaZNS0_12_GLOBAL__N_121threshold_kernel_implIaEEvRNS_18TensorIteratorBaseET_S7_EUlaaE_EESt5arrayIPcLm2EEEEviT0_T1_.has_recursion, 0
	.set _ZN2at6native29vectorized_elementwise_kernelILi16ENS0_13AUnaryFunctorIaaaZNS0_12_GLOBAL__N_121threshold_kernel_implIaEEvRNS_18TensorIteratorBaseET_S7_EUlaaE_EESt5arrayIPcLm2EEEEviT0_T1_.has_indirect_call, 0
	.section	.AMDGPU.csdata,"",@progbits
; Kernel info:
; codeLenInByte = 3040
; TotalNumSgprs: 43
; NumVgprs: 23
; ScratchSize: 0
; MemoryBound: 0
; FloatMode: 240
; IeeeMode: 1
; LDSByteSize: 0 bytes/workgroup (compile time only)
; SGPRBlocks: 5
; VGPRBlocks: 5
; NumSGPRsForWavesPerEU: 43
; NumVGPRsForWavesPerEU: 23
; Occupancy: 10
; WaveLimiterHint : 0
; COMPUTE_PGM_RSRC2:SCRATCH_EN: 0
; COMPUTE_PGM_RSRC2:USER_SGPR: 6
; COMPUTE_PGM_RSRC2:TRAP_HANDLER: 0
; COMPUTE_PGM_RSRC2:TGID_X_EN: 1
; COMPUTE_PGM_RSRC2:TGID_Y_EN: 0
; COMPUTE_PGM_RSRC2:TGID_Z_EN: 0
; COMPUTE_PGM_RSRC2:TIDIG_COMP_CNT: 0
	.section	.text._ZN2at6native29vectorized_elementwise_kernelILi8ENS0_13AUnaryFunctorIaaaZNS0_12_GLOBAL__N_121threshold_kernel_implIaEEvRNS_18TensorIteratorBaseET_S7_EUlaaE_EESt5arrayIPcLm2EEEEviT0_T1_,"axG",@progbits,_ZN2at6native29vectorized_elementwise_kernelILi8ENS0_13AUnaryFunctorIaaaZNS0_12_GLOBAL__N_121threshold_kernel_implIaEEvRNS_18TensorIteratorBaseET_S7_EUlaaE_EESt5arrayIPcLm2EEEEviT0_T1_,comdat
	.globl	_ZN2at6native29vectorized_elementwise_kernelILi8ENS0_13AUnaryFunctorIaaaZNS0_12_GLOBAL__N_121threshold_kernel_implIaEEvRNS_18TensorIteratorBaseET_S7_EUlaaE_EESt5arrayIPcLm2EEEEviT0_T1_ ; -- Begin function _ZN2at6native29vectorized_elementwise_kernelILi8ENS0_13AUnaryFunctorIaaaZNS0_12_GLOBAL__N_121threshold_kernel_implIaEEvRNS_18TensorIteratorBaseET_S7_EUlaaE_EESt5arrayIPcLm2EEEEviT0_T1_
	.p2align	8
	.type	_ZN2at6native29vectorized_elementwise_kernelILi8ENS0_13AUnaryFunctorIaaaZNS0_12_GLOBAL__N_121threshold_kernel_implIaEEvRNS_18TensorIteratorBaseET_S7_EUlaaE_EESt5arrayIPcLm2EEEEviT0_T1_,@function
_ZN2at6native29vectorized_elementwise_kernelILi8ENS0_13AUnaryFunctorIaaaZNS0_12_GLOBAL__N_121threshold_kernel_implIaEEvRNS_18TensorIteratorBaseET_S7_EUlaaE_EESt5arrayIPcLm2EEEEviT0_T1_: ; @_ZN2at6native29vectorized_elementwise_kernelILi8ENS0_13AUnaryFunctorIaaaZNS0_12_GLOBAL__N_121threshold_kernel_implIaEEvRNS_18TensorIteratorBaseET_S7_EUlaaE_EESt5arrayIPcLm2EEEEviT0_T1_
; %bb.0:
	v_mov_b32_e32 v1, 0
	global_load_ubyte v2, v1, s[4:5] offset:6
	global_load_ushort v3, v1, s[4:5] offset:4
	s_load_dword s2, s[4:5], 0x0
	s_load_dwordx4 s[8:11], s[4:5], 0x8
	s_lshl_b32 s33, s6, 12
	s_mov_b64 s[0:1], -1
	s_waitcnt lgkmcnt(0)
	s_sub_i32 s38, s2, s33
	s_cmpk_gt_i32 s38, 0xfff
	s_waitcnt vmcnt(1)
	v_lshlrev_b32_e32 v1, 16, v2
	s_waitcnt vmcnt(0)
	v_or_b32_e32 v4, v3, v1
	v_lshrrev_b32_e32 v3, 8, v4
	v_cmp_gt_i32_sdwa vcc, sext(v4), sext(v4) src0_sel:BYTE_2 src1_sel:BYTE_0
	s_cbranch_scc0 .LBB25_2
; %bb.1:
	s_ashr_i32 s2, s33, 31
	s_add_u32 s0, s10, s33
	s_addc_u32 s1, s11, s2
	v_lshlrev_b32_e32 v7, 3, v0
	global_load_dwordx2 v[1:2], v7, s[0:1]
	global_load_dwordx2 v[5:6], v7, s[0:1] offset:2048
	s_add_u32 s0, s8, s33
	s_addc_u32 s1, s9, s2
	s_waitcnt vmcnt(1)
	v_cndmask_b32_e32 v8, v3, v1, vcc
	v_lshrrev_b32_e32 v9, 8, v1
	v_lshrrev_b32_e32 v10, 16, v1
	;; [unrolled: 1-line block ×3, first 2 shown]
	v_cndmask_b32_e32 v11, v3, v2, vcc
	v_lshrrev_b32_e32 v12, 8, v2
	v_lshrrev_b32_e32 v13, 16, v2
	;; [unrolled: 1-line block ×3, first 2 shown]
	s_waitcnt vmcnt(0)
	v_cndmask_b32_e32 v14, v3, v5, vcc
	v_lshrrev_b32_e32 v15, 8, v5
	v_lshrrev_b32_e32 v16, 16, v5
	;; [unrolled: 1-line block ×3, first 2 shown]
	v_cndmask_b32_e32 v17, v3, v6, vcc
	v_lshrrev_b32_e32 v18, 8, v6
	v_lshrrev_b32_e32 v19, 16, v6
	;; [unrolled: 1-line block ×3, first 2 shown]
	v_cndmask_b32_e32 v9, v3, v9, vcc
	v_cndmask_b32_e32 v1, v3, v1, vcc
	;; [unrolled: 1-line block ×12, first 2 shown]
	v_lshlrev_b16_e32 v18, 8, v18
	v_lshlrev_b16_e32 v6, 8, v6
	;; [unrolled: 1-line block ×8, first 2 shown]
	v_or_b32_sdwa v17, v17, v18 dst_sel:DWORD dst_unused:UNUSED_PAD src0_sel:BYTE_0 src1_sel:DWORD
	v_or_b32_sdwa v6, v19, v6 dst_sel:WORD_1 dst_unused:UNUSED_PAD src0_sel:BYTE_0 src1_sel:DWORD
	v_or_b32_sdwa v14, v14, v15 dst_sel:DWORD dst_unused:UNUSED_PAD src0_sel:BYTE_0 src1_sel:DWORD
	v_or_b32_sdwa v5, v16, v5 dst_sel:WORD_1 dst_unused:UNUSED_PAD src0_sel:BYTE_0 src1_sel:DWORD
	;; [unrolled: 2-line block ×4, first 2 shown]
	v_or_b32_sdwa v2, v17, v6 dst_sel:DWORD dst_unused:UNUSED_PAD src0_sel:WORD_0 src1_sel:DWORD
	v_or_b32_sdwa v1, v14, v5 dst_sel:DWORD dst_unused:UNUSED_PAD src0_sel:WORD_0 src1_sel:DWORD
	;; [unrolled: 1-line block ×4, first 2 shown]
	global_store_dwordx2 v7, v[5:6], s[0:1]
	global_store_dwordx2 v7, v[1:2], s[0:1] offset:2048
	s_mov_b64 s[0:1], 0
.LBB25_2:
	s_andn2_b64 vcc, exec, s[0:1]
	s_cbranch_vccnz .LBB25_52
; %bb.3:
	v_cmp_gt_i32_e64 s[0:1], s38, v0
	v_or_b32_e32 v5, 0x100, v0
	v_mov_b32_e32 v22, 0
	v_or_b32_e32 v6, s33, v0
	v_mov_b32_e32 v21, 0
	v_mov_b32_e32 v20, 0
	;; [unrolled: 1-line block ×15, first 2 shown]
	s_and_saveexec_b64 s[2:3], s[0:1]
	s_cbranch_execz .LBB25_35
; %bb.4:
	global_load_ubyte v8, v6, s[10:11]
	v_cmp_gt_u32_e32 vcc, s38, v5
	v_mov_b32_e32 v7, 0
	v_mov_b32_e32 v10, 0
	;; [unrolled: 1-line block ×15, first 2 shown]
	s_and_saveexec_b64 s[4:5], vcc
	s_cbranch_execz .LBB25_34
; %bb.5:
	v_add_u32_e32 v1, s33, v0
	global_load_ubyte v7, v1, s[10:11] offset:256
	v_or_b32_e32 v2, 0x200, v0
	v_mov_b32_e32 v10, 0
	v_cmp_gt_u32_e32 vcc, s38, v2
	v_mov_b32_e32 v9, 0
	v_mov_b32_e32 v11, 0
	;; [unrolled: 1-line block ×13, first 2 shown]
	s_and_saveexec_b64 s[6:7], vcc
	s_cbranch_execz .LBB25_33
; %bb.6:
	v_mov_b32_e32 v2, s11
	v_add_co_u32_e32 v1, vcc, s10, v1
	v_addc_co_u32_e32 v2, vcc, 0, v2, vcc
	global_load_ubyte v10, v[1:2], off offset:512
	v_or_b32_e32 v9, 0x300, v0
	v_cmp_gt_u32_e32 vcc, s38, v9
	v_mov_b32_e32 v9, 0
	v_mov_b32_e32 v11, 0
	;; [unrolled: 1-line block ×13, first 2 shown]
	s_and_saveexec_b64 s[10:11], vcc
	s_cbranch_execz .LBB25_32
; %bb.7:
	global_load_ubyte v9, v[1:2], off offset:768
	v_or_b32_e32 v11, 0x400, v0
	v_cmp_gt_u32_e32 vcc, s38, v11
	v_mov_b32_e32 v11, 0
	v_mov_b32_e32 v13, 0
	;; [unrolled: 1-line block ×12, first 2 shown]
	s_and_saveexec_b64 s[12:13], vcc
	s_cbranch_execz .LBB25_31
; %bb.8:
	global_load_ubyte v11, v[1:2], off offset:1024
	v_or_b32_e32 v12, 0x500, v0
	v_cmp_gt_u32_e32 vcc, s38, v12
	v_mov_b32_e32 v13, 0
	v_mov_b32_e32 v12, 0
	;; [unrolled: 1-line block ×11, first 2 shown]
	s_and_saveexec_b64 s[14:15], vcc
	s_cbranch_execz .LBB25_30
; %bb.9:
	global_load_ubyte v13, v[1:2], off offset:1280
	v_or_b32_e32 v12, 0x600, v0
	v_cmp_gt_u32_e32 vcc, s38, v12
	v_mov_b32_e32 v12, 0
	v_mov_b32_e32 v14, 0
	;; [unrolled: 1-line block ×10, first 2 shown]
	s_and_saveexec_b64 s[16:17], vcc
	s_cbranch_execz .LBB25_29
; %bb.10:
	global_load_ubyte v12, v[1:2], off offset:1536
	v_or_b32_e32 v14, 0x700, v0
	v_cmp_gt_u32_e32 vcc, s38, v14
	v_mov_b32_e32 v14, 0
	v_mov_b32_e32 v15, 0
	v_mov_b32_e32 v16, 0
	v_mov_b32_e32 v17, 0
	v_mov_b32_e32 v18, 0
	v_mov_b32_e32 v19, 0
	v_mov_b32_e32 v20, 0
	v_mov_b32_e32 v21, 0
	v_mov_b32_e32 v22, 0
	s_and_saveexec_b64 s[18:19], vcc
	s_cbranch_execz .LBB25_28
; %bb.11:
	global_load_ubyte v14, v[1:2], off offset:1792
	v_or_b32_e32 v15, 0x800, v0
	v_cmp_gt_u32_e32 vcc, s38, v15
	v_mov_b32_e32 v15, 0
	v_mov_b32_e32 v16, 0
	;; [unrolled: 1-line block ×8, first 2 shown]
	s_and_saveexec_b64 s[20:21], vcc
	s_cbranch_execz .LBB25_27
; %bb.12:
	global_load_ubyte v15, v[1:2], off offset:2048
	v_or_b32_e32 v16, 0x900, v0
	v_cmp_gt_u32_e32 vcc, s38, v16
	v_mov_b32_e32 v16, 0
	v_mov_b32_e32 v17, 0
	;; [unrolled: 1-line block ×7, first 2 shown]
	s_and_saveexec_b64 s[22:23], vcc
	s_cbranch_execz .LBB25_26
; %bb.13:
	global_load_ubyte v16, v[1:2], off offset:2304
	v_or_b32_e32 v17, 0xa00, v0
	v_cmp_gt_u32_e32 vcc, s38, v17
	v_mov_b32_e32 v17, 0
	v_mov_b32_e32 v18, 0
	v_mov_b32_e32 v19, 0
	v_mov_b32_e32 v20, 0
	v_mov_b32_e32 v21, 0
	v_mov_b32_e32 v22, 0
	s_and_saveexec_b64 s[24:25], vcc
	s_cbranch_execz .LBB25_25
; %bb.14:
	global_load_ubyte v17, v[1:2], off offset:2560
	v_or_b32_e32 v18, 0xb00, v0
	v_cmp_gt_u32_e32 vcc, s38, v18
	v_mov_b32_e32 v18, 0
	v_mov_b32_e32 v19, 0
	;; [unrolled: 1-line block ×5, first 2 shown]
	s_and_saveexec_b64 s[26:27], vcc
	s_cbranch_execz .LBB25_24
; %bb.15:
	global_load_ubyte v18, v[1:2], off offset:2816
	v_or_b32_e32 v19, 0xc00, v0
	v_cmp_gt_u32_e32 vcc, s38, v19
	v_mov_b32_e32 v19, 0
	v_mov_b32_e32 v20, 0
	;; [unrolled: 1-line block ×4, first 2 shown]
	s_and_saveexec_b64 s[28:29], vcc
	s_cbranch_execz .LBB25_23
; %bb.16:
	global_load_ubyte v19, v[1:2], off offset:3072
	v_or_b32_e32 v20, 0xd00, v0
	v_cmp_gt_u32_e32 vcc, s38, v20
	v_mov_b32_e32 v20, 0
	v_mov_b32_e32 v21, 0
	;; [unrolled: 1-line block ×3, first 2 shown]
	s_and_saveexec_b64 s[30:31], vcc
	s_cbranch_execz .LBB25_22
; %bb.17:
	global_load_ubyte v20, v[1:2], off offset:3328
	v_or_b32_e32 v21, 0xe00, v0
	v_cmp_gt_u32_e32 vcc, s38, v21
	v_mov_b32_e32 v21, 0
	v_mov_b32_e32 v22, 0
	s_and_saveexec_b64 s[34:35], vcc
	s_cbranch_execz .LBB25_21
; %bb.18:
	global_load_ubyte v21, v[1:2], off offset:3584
	v_or_b32_e32 v22, 0xf00, v0
	v_cmp_gt_u32_e32 vcc, s38, v22
	v_mov_b32_e32 v22, 0
	s_and_saveexec_b64 s[36:37], vcc
	s_cbranch_execz .LBB25_20
; %bb.19:
	global_load_ubyte v22, v[1:2], off offset:3840
.LBB25_20:
	s_or_b64 exec, exec, s[36:37]
.LBB25_21:
	s_or_b64 exec, exec, s[34:35]
.LBB25_22:
	s_or_b64 exec, exec, s[30:31]
.LBB25_23:
	s_or_b64 exec, exec, s[28:29]
.LBB25_24:
	s_or_b64 exec, exec, s[26:27]
.LBB25_25:
	s_or_b64 exec, exec, s[24:25]
.LBB25_26:
	s_or_b64 exec, exec, s[22:23]
.LBB25_27:
	s_or_b64 exec, exec, s[20:21]
.LBB25_28:
	s_or_b64 exec, exec, s[18:19]
.LBB25_29:
	s_or_b64 exec, exec, s[16:17]
.LBB25_30:
	s_or_b64 exec, exec, s[14:15]
.LBB25_31:
	s_or_b64 exec, exec, s[12:13]
.LBB25_32:
	s_or_b64 exec, exec, s[10:11]
.LBB25_33:
	s_or_b64 exec, exec, s[6:7]
.LBB25_34:
	s_or_b64 exec, exec, s[4:5]
.LBB25_35:
	s_or_b64 exec, exec, s[2:3]
	v_cmp_gt_i32_sdwa vcc, sext(v4), sext(v4) src0_sel:BYTE_2 src1_sel:BYTE_0
	s_waitcnt vmcnt(0)
	v_cndmask_b32_e32 v1, v3, v8, vcc
	s_mov_b32 s5, 0xffff
	v_and_b32_sdwa v1, s5, v1 dst_sel:DWORD dst_unused:UNUSED_PAD src0_sel:DWORD src1_sel:BYTE_0
	v_cndmask_b32_e32 v2, v3, v7, vcc
	v_cndmask_b32_e64 v1, 0, v1, s[0:1]
	v_lshlrev_b16_e32 v2, 8, v2
	v_or_b32_e32 v2, v1, v2
	v_and_b32_e32 v2, 0xffff, v2
	v_cmp_gt_i32_e64 s[2:3], s38, v5
	v_cndmask_b32_e64 v1, v1, v2, s[2:3]
	v_cndmask_b32_e32 v4, v3, v10, vcc
	s_mov_b32 s6, 0xc0c0304
	v_or_b32_e32 v2, 0x200, v0
	v_perm_b32 v4, v4, v1, s6
	v_lshl_or_b32 v4, v4, 16, v1
	v_cmp_gt_i32_e64 s[2:3], s38, v2
	s_movk_i32 s4, 0xff
	v_cndmask_b32_e64 v1, v1, v4, s[2:3]
	v_cndmask_b32_e32 v7, v3, v9, vcc
	v_and_b32_sdwa v2, v1, s4 dst_sel:DWORD dst_unused:UNUSED_PAD src0_sel:WORD_1 src1_sel:DWORD
	v_lshlrev_b16_e32 v7, 8, v7
	v_or_b32_e32 v4, 0x300, v0
	v_or_b32_sdwa v2, v2, v7 dst_sel:WORD_1 dst_unused:UNUSED_PAD src0_sel:DWORD src1_sel:DWORD
	v_and_or_b32 v2, v1, s5, v2
	v_cmp_gt_i32_e64 s[2:3], s38, v4
	v_cndmask_b32_e64 v7, v1, v2, s[2:3]
	v_cndmask_b32_e32 v1, v3, v11, vcc
	s_mov_b32 s7, 0x3020104
	v_or_b32_e32 v2, 0x400, v0
	v_perm_b32 v1, v1, 0, s7
	v_cmp_gt_i32_e64 s[2:3], s38, v2
	v_cndmask_b32_e32 v2, v3, v13, vcc
	v_cndmask_b32_e64 v1, 0, v1, s[2:3]
	v_lshlrev_b16_e32 v2, 8, v2
	v_or_b32_sdwa v2, v1, v2 dst_sel:DWORD dst_unused:UNUSED_PAD src0_sel:BYTE_0 src1_sel:DWORD
	v_and_b32_e32 v2, 0xffff, v2
	s_mov_b32 s10, 0xffff0000
	v_or_b32_e32 v4, 0x500, v0
	v_and_or_b32 v2, v1, s10, v2
	v_cmp_gt_i32_e64 s[2:3], s38, v4
	v_cndmask_b32_e64 v1, v1, v2, s[2:3]
	v_or_b32_e32 v2, 0x600, v0
	v_cndmask_b32_e32 v4, v3, v12, vcc
	s_mov_b32 s11, 0x7000504
	v_perm_b32 v4, v1, v4, s11
	v_cmp_gt_i32_e64 s[2:3], s38, v2
	v_cndmask_b32_e64 v1, v1, v4, s[2:3]
	v_cndmask_b32_e32 v8, v3, v14, vcc
	v_and_b32_sdwa v2, v1, s4 dst_sel:DWORD dst_unused:UNUSED_PAD src0_sel:WORD_1 src1_sel:DWORD
	v_lshlrev_b16_e32 v8, 8, v8
	v_or_b32_e32 v4, 0x700, v0
	v_or_b32_sdwa v2, v2, v8 dst_sel:WORD_1 dst_unused:UNUSED_PAD src0_sel:DWORD src1_sel:DWORD
	v_and_or_b32 v2, v1, s5, v2
	v_cmp_gt_i32_e64 s[2:3], s38, v4
	v_cndmask_b32_e64 v4, v1, v2, s[2:3]
	v_or_b32_e32 v1, 0x800, v0
	v_cndmask_b32_e32 v2, v3, v15, vcc
	v_and_b32_sdwa v2, s5, v2 dst_sel:DWORD dst_unused:UNUSED_PAD src0_sel:DWORD src1_sel:BYTE_0
	v_cmp_gt_i32_e64 s[2:3], s38, v1
	v_cndmask_b32_e32 v8, v3, v16, vcc
	v_cndmask_b32_e64 v1, 0, v2, s[2:3]
	v_lshlrev_b16_e32 v8, 8, v8
	v_or_b32_e32 v2, 0x900, v0
	v_or_b32_e32 v8, v1, v8
	v_and_b32_e32 v8, 0xffff, v8
	v_cmp_gt_i32_e64 s[2:3], s38, v2
	v_cndmask_b32_e64 v1, v1, v8, s[2:3]
	v_cndmask_b32_e32 v8, v3, v17, vcc
	v_or_b32_e32 v2, 0xa00, v0
	v_perm_b32 v8, v8, v1, s6
	v_lshl_or_b32 v8, v8, 16, v1
	v_cmp_gt_i32_e64 s[2:3], s38, v2
	v_cndmask_b32_e64 v1, v1, v8, s[2:3]
	v_cndmask_b32_e32 v9, v3, v18, vcc
	v_and_b32_sdwa v2, v1, s4 dst_sel:DWORD dst_unused:UNUSED_PAD src0_sel:WORD_1 src1_sel:DWORD
	v_lshlrev_b16_e32 v9, 8, v9
	v_or_b32_e32 v8, 0xb00, v0
	v_or_b32_sdwa v2, v2, v9 dst_sel:WORD_1 dst_unused:UNUSED_PAD src0_sel:DWORD src1_sel:DWORD
	v_and_or_b32 v2, v1, s5, v2
	v_cmp_gt_i32_e64 s[2:3], s38, v8
	v_cndmask_b32_e64 v2, v1, v2, s[2:3]
	v_cndmask_b32_e32 v1, v3, v19, vcc
	v_or_b32_e32 v8, 0xc00, v0
	v_perm_b32 v1, v1, 0, s7
	v_cmp_gt_i32_e64 s[2:3], s38, v8
	v_cndmask_b32_e32 v8, v3, v20, vcc
	v_cndmask_b32_e64 v1, 0, v1, s[2:3]
	v_lshlrev_b16_e32 v8, 8, v8
	v_or_b32_sdwa v8, v1, v8 dst_sel:DWORD dst_unused:UNUSED_PAD src0_sel:BYTE_0 src1_sel:DWORD
	v_and_b32_e32 v8, 0xffff, v8
	v_or_b32_e32 v9, 0xd00, v0
	v_and_or_b32 v8, v1, s10, v8
	v_cmp_gt_i32_e64 s[2:3], s38, v9
	v_cndmask_b32_e64 v1, v1, v8, s[2:3]
	v_or_b32_e32 v8, 0xe00, v0
	v_cndmask_b32_e32 v9, v3, v21, vcc
	v_perm_b32 v9, v1, v9, s11
	v_cmp_gt_i32_e64 s[2:3], s38, v8
	v_cndmask_b32_e64 v1, v1, v9, s[2:3]
	v_and_b32_sdwa v8, v1, s4 dst_sel:DWORD dst_unused:UNUSED_PAD src0_sel:WORD_1 src1_sel:DWORD
	v_cndmask_b32_sdwa v3, v3, v22, vcc dst_sel:BYTE_1 dst_unused:UNUSED_PAD src0_sel:DWORD src1_sel:DWORD
	v_or_b32_e32 v9, 0xf00, v0
	v_or_b32_sdwa v3, v8, v3 dst_sel:WORD_1 dst_unused:UNUSED_PAD src0_sel:DWORD src1_sel:DWORD
	v_and_or_b32 v3, v1, s5, v3
	v_cmp_gt_i32_e32 vcc, s38, v9
	v_cndmask_b32_e32 v1, v1, v3, vcc
	s_and_saveexec_b64 s[2:3], s[0:1]
	s_cbranch_execnz .LBB25_53
; %bb.36:
	s_or_b64 exec, exec, s[2:3]
	v_cmp_gt_i32_e32 vcc, s38, v0
	s_and_saveexec_b64 s[0:1], vcc
	s_cbranch_execnz .LBB25_54
.LBB25_37:
	s_or_b64 exec, exec, s[0:1]
	v_cmp_gt_i32_e32 vcc, s38, v0
	s_and_saveexec_b64 s[0:1], vcc
	s_cbranch_execnz .LBB25_55
.LBB25_38:
	s_or_b64 exec, exec, s[0:1]
	v_cmp_gt_i32_e32 vcc, s38, v0
	s_and_saveexec_b64 s[0:1], vcc
	s_cbranch_execnz .LBB25_56
.LBB25_39:
	s_or_b64 exec, exec, s[0:1]
	v_cmp_gt_i32_e32 vcc, s38, v0
	s_and_saveexec_b64 s[0:1], vcc
	s_cbranch_execnz .LBB25_57
.LBB25_40:
	s_or_b64 exec, exec, s[0:1]
	v_cmp_gt_i32_e32 vcc, s38, v0
	s_and_saveexec_b64 s[0:1], vcc
	s_cbranch_execnz .LBB25_58
.LBB25_41:
	s_or_b64 exec, exec, s[0:1]
	v_cmp_gt_i32_e32 vcc, s38, v0
	s_and_saveexec_b64 s[0:1], vcc
	s_cbranch_execnz .LBB25_59
.LBB25_42:
	s_or_b64 exec, exec, s[0:1]
	v_cmp_gt_i32_e32 vcc, s38, v0
	s_and_saveexec_b64 s[0:1], vcc
	s_cbranch_execnz .LBB25_60
.LBB25_43:
	s_or_b64 exec, exec, s[0:1]
	v_cmp_gt_i32_e32 vcc, s38, v0
	s_and_saveexec_b64 s[0:1], vcc
	s_cbranch_execnz .LBB25_61
.LBB25_44:
	s_or_b64 exec, exec, s[0:1]
	v_cmp_gt_i32_e32 vcc, s38, v0
	s_and_saveexec_b64 s[0:1], vcc
	s_cbranch_execnz .LBB25_62
.LBB25_45:
	s_or_b64 exec, exec, s[0:1]
	v_cmp_gt_i32_e32 vcc, s38, v0
	s_and_saveexec_b64 s[0:1], vcc
	s_cbranch_execnz .LBB25_63
.LBB25_46:
	s_or_b64 exec, exec, s[0:1]
	v_cmp_gt_i32_e32 vcc, s38, v0
	s_and_saveexec_b64 s[0:1], vcc
	s_cbranch_execnz .LBB25_64
.LBB25_47:
	s_or_b64 exec, exec, s[0:1]
	v_cmp_gt_i32_e32 vcc, s38, v0
	s_and_saveexec_b64 s[0:1], vcc
	s_cbranch_execnz .LBB25_65
.LBB25_48:
	s_or_b64 exec, exec, s[0:1]
	v_cmp_gt_i32_e32 vcc, s38, v0
	s_and_saveexec_b64 s[0:1], vcc
	s_cbranch_execnz .LBB25_66
.LBB25_49:
	s_or_b64 exec, exec, s[0:1]
	v_cmp_gt_i32_e32 vcc, s38, v0
	s_and_saveexec_b64 s[0:1], vcc
	s_cbranch_execnz .LBB25_67
.LBB25_50:
	s_or_b64 exec, exec, s[0:1]
	v_cmp_gt_i32_e32 vcc, s38, v0
	s_and_saveexec_b64 s[0:1], vcc
	s_cbranch_execz .LBB25_52
.LBB25_51:
	v_lshrrev_b32_e32 v1, 24, v1
	v_add_u32_e32 v0, s33, v0
	global_store_byte v0, v1, s[8:9]
.LBB25_52:
	s_endpgm
.LBB25_53:
	v_mov_b32_e32 v0, v5
	global_store_byte v6, v7, s[8:9]
	s_or_b64 exec, exec, s[2:3]
	v_cmp_gt_i32_e32 vcc, s38, v0
	s_and_saveexec_b64 s[0:1], vcc
	s_cbranch_execz .LBB25_37
.LBB25_54:
	v_lshrrev_b32_e32 v3, 8, v7
	v_add_u32_e32 v5, s33, v0
	v_add_u32_e32 v0, 0x100, v0
	global_store_byte v5, v3, s[8:9]
	s_or_b64 exec, exec, s[0:1]
	v_cmp_gt_i32_e32 vcc, s38, v0
	s_and_saveexec_b64 s[0:1], vcc
	s_cbranch_execz .LBB25_38
.LBB25_55:
	v_add_u32_e32 v3, s33, v0
	v_add_u32_e32 v0, 0x100, v0
	global_store_byte_d16_hi v3, v7, s[8:9]
	s_or_b64 exec, exec, s[0:1]
	v_cmp_gt_i32_e32 vcc, s38, v0
	s_and_saveexec_b64 s[0:1], vcc
	s_cbranch_execz .LBB25_39
.LBB25_56:
	v_lshrrev_b32_e32 v3, 24, v7
	v_add_u32_e32 v5, s33, v0
	v_add_u32_e32 v0, 0x100, v0
	global_store_byte v5, v3, s[8:9]
	s_or_b64 exec, exec, s[0:1]
	v_cmp_gt_i32_e32 vcc, s38, v0
	s_and_saveexec_b64 s[0:1], vcc
	s_cbranch_execz .LBB25_40
.LBB25_57:
	v_add_u32_e32 v3, s33, v0
	v_add_u32_e32 v0, 0x100, v0
	global_store_byte v3, v4, s[8:9]
	s_or_b64 exec, exec, s[0:1]
	v_cmp_gt_i32_e32 vcc, s38, v0
	s_and_saveexec_b64 s[0:1], vcc
	s_cbranch_execz .LBB25_41
.LBB25_58:
	v_lshrrev_b32_e32 v3, 8, v4
	v_add_u32_e32 v5, s33, v0
	v_add_u32_e32 v0, 0x100, v0
	global_store_byte v5, v3, s[8:9]
	s_or_b64 exec, exec, s[0:1]
	v_cmp_gt_i32_e32 vcc, s38, v0
	s_and_saveexec_b64 s[0:1], vcc
	s_cbranch_execz .LBB25_42
.LBB25_59:
	v_add_u32_e32 v3, s33, v0
	v_add_u32_e32 v0, 0x100, v0
	global_store_byte_d16_hi v3, v4, s[8:9]
	s_or_b64 exec, exec, s[0:1]
	v_cmp_gt_i32_e32 vcc, s38, v0
	s_and_saveexec_b64 s[0:1], vcc
	s_cbranch_execz .LBB25_43
.LBB25_60:
	v_lshrrev_b32_e32 v3, 24, v4
	v_add_u32_e32 v4, s33, v0
	v_add_u32_e32 v0, 0x100, v0
	global_store_byte v4, v3, s[8:9]
	s_or_b64 exec, exec, s[0:1]
	v_cmp_gt_i32_e32 vcc, s38, v0
	s_and_saveexec_b64 s[0:1], vcc
	s_cbranch_execz .LBB25_44
.LBB25_61:
	v_add_u32_e32 v3, s33, v0
	v_add_u32_e32 v0, 0x100, v0
	global_store_byte v3, v2, s[8:9]
	s_or_b64 exec, exec, s[0:1]
	v_cmp_gt_i32_e32 vcc, s38, v0
	s_and_saveexec_b64 s[0:1], vcc
	s_cbranch_execz .LBB25_45
.LBB25_62:
	v_lshrrev_b32_e32 v3, 8, v2
	v_add_u32_e32 v4, s33, v0
	v_add_u32_e32 v0, 0x100, v0
	global_store_byte v4, v3, s[8:9]
	s_or_b64 exec, exec, s[0:1]
	v_cmp_gt_i32_e32 vcc, s38, v0
	s_and_saveexec_b64 s[0:1], vcc
	s_cbranch_execz .LBB25_46
.LBB25_63:
	v_add_u32_e32 v3, s33, v0
	v_add_u32_e32 v0, 0x100, v0
	global_store_byte_d16_hi v3, v2, s[8:9]
	s_or_b64 exec, exec, s[0:1]
	v_cmp_gt_i32_e32 vcc, s38, v0
	s_and_saveexec_b64 s[0:1], vcc
	s_cbranch_execz .LBB25_47
.LBB25_64:
	v_lshrrev_b32_e32 v2, 24, v2
	v_add_u32_e32 v3, s33, v0
	v_add_u32_e32 v0, 0x100, v0
	global_store_byte v3, v2, s[8:9]
	s_or_b64 exec, exec, s[0:1]
	v_cmp_gt_i32_e32 vcc, s38, v0
	s_and_saveexec_b64 s[0:1], vcc
	s_cbranch_execz .LBB25_48
.LBB25_65:
	v_add_u32_e32 v2, s33, v0
	v_add_u32_e32 v0, 0x100, v0
	global_store_byte v2, v1, s[8:9]
	s_or_b64 exec, exec, s[0:1]
	v_cmp_gt_i32_e32 vcc, s38, v0
	s_and_saveexec_b64 s[0:1], vcc
	s_cbranch_execz .LBB25_49
.LBB25_66:
	v_lshrrev_b32_e32 v2, 8, v1
	v_add_u32_e32 v3, s33, v0
	v_add_u32_e32 v0, 0x100, v0
	global_store_byte v3, v2, s[8:9]
	s_or_b64 exec, exec, s[0:1]
	v_cmp_gt_i32_e32 vcc, s38, v0
	s_and_saveexec_b64 s[0:1], vcc
	s_cbranch_execz .LBB25_50
.LBB25_67:
	v_add_u32_e32 v2, s33, v0
	v_add_u32_e32 v0, 0x100, v0
	global_store_byte_d16_hi v2, v1, s[8:9]
	s_or_b64 exec, exec, s[0:1]
	v_cmp_gt_i32_e32 vcc, s38, v0
	s_and_saveexec_b64 s[0:1], vcc
	s_cbranch_execnz .LBB25_51
	s_branch .LBB25_52
	.section	.rodata,"a",@progbits
	.p2align	6, 0x0
	.amdhsa_kernel _ZN2at6native29vectorized_elementwise_kernelILi8ENS0_13AUnaryFunctorIaaaZNS0_12_GLOBAL__N_121threshold_kernel_implIaEEvRNS_18TensorIteratorBaseET_S7_EUlaaE_EESt5arrayIPcLm2EEEEviT0_T1_
		.amdhsa_group_segment_fixed_size 0
		.amdhsa_private_segment_fixed_size 0
		.amdhsa_kernarg_size 24
		.amdhsa_user_sgpr_count 6
		.amdhsa_user_sgpr_private_segment_buffer 1
		.amdhsa_user_sgpr_dispatch_ptr 0
		.amdhsa_user_sgpr_queue_ptr 0
		.amdhsa_user_sgpr_kernarg_segment_ptr 1
		.amdhsa_user_sgpr_dispatch_id 0
		.amdhsa_user_sgpr_flat_scratch_init 0
		.amdhsa_user_sgpr_private_segment_size 0
		.amdhsa_uses_dynamic_stack 0
		.amdhsa_system_sgpr_private_segment_wavefront_offset 0
		.amdhsa_system_sgpr_workgroup_id_x 1
		.amdhsa_system_sgpr_workgroup_id_y 0
		.amdhsa_system_sgpr_workgroup_id_z 0
		.amdhsa_system_sgpr_workgroup_info 0
		.amdhsa_system_vgpr_workitem_id 0
		.amdhsa_next_free_vgpr 23
		.amdhsa_next_free_sgpr 39
		.amdhsa_reserve_vcc 1
		.amdhsa_reserve_flat_scratch 0
		.amdhsa_float_round_mode_32 0
		.amdhsa_float_round_mode_16_64 0
		.amdhsa_float_denorm_mode_32 3
		.amdhsa_float_denorm_mode_16_64 3
		.amdhsa_dx10_clamp 1
		.amdhsa_ieee_mode 1
		.amdhsa_fp16_overflow 0
		.amdhsa_exception_fp_ieee_invalid_op 0
		.amdhsa_exception_fp_denorm_src 0
		.amdhsa_exception_fp_ieee_div_zero 0
		.amdhsa_exception_fp_ieee_overflow 0
		.amdhsa_exception_fp_ieee_underflow 0
		.amdhsa_exception_fp_ieee_inexact 0
		.amdhsa_exception_int_div_zero 0
	.end_amdhsa_kernel
	.section	.text._ZN2at6native29vectorized_elementwise_kernelILi8ENS0_13AUnaryFunctorIaaaZNS0_12_GLOBAL__N_121threshold_kernel_implIaEEvRNS_18TensorIteratorBaseET_S7_EUlaaE_EESt5arrayIPcLm2EEEEviT0_T1_,"axG",@progbits,_ZN2at6native29vectorized_elementwise_kernelILi8ENS0_13AUnaryFunctorIaaaZNS0_12_GLOBAL__N_121threshold_kernel_implIaEEvRNS_18TensorIteratorBaseET_S7_EUlaaE_EESt5arrayIPcLm2EEEEviT0_T1_,comdat
.Lfunc_end25:
	.size	_ZN2at6native29vectorized_elementwise_kernelILi8ENS0_13AUnaryFunctorIaaaZNS0_12_GLOBAL__N_121threshold_kernel_implIaEEvRNS_18TensorIteratorBaseET_S7_EUlaaE_EESt5arrayIPcLm2EEEEviT0_T1_, .Lfunc_end25-_ZN2at6native29vectorized_elementwise_kernelILi8ENS0_13AUnaryFunctorIaaaZNS0_12_GLOBAL__N_121threshold_kernel_implIaEEvRNS_18TensorIteratorBaseET_S7_EUlaaE_EESt5arrayIPcLm2EEEEviT0_T1_
                                        ; -- End function
	.set _ZN2at6native29vectorized_elementwise_kernelILi8ENS0_13AUnaryFunctorIaaaZNS0_12_GLOBAL__N_121threshold_kernel_implIaEEvRNS_18TensorIteratorBaseET_S7_EUlaaE_EESt5arrayIPcLm2EEEEviT0_T1_.num_vgpr, 23
	.set _ZN2at6native29vectorized_elementwise_kernelILi8ENS0_13AUnaryFunctorIaaaZNS0_12_GLOBAL__N_121threshold_kernel_implIaEEvRNS_18TensorIteratorBaseET_S7_EUlaaE_EESt5arrayIPcLm2EEEEviT0_T1_.num_agpr, 0
	.set _ZN2at6native29vectorized_elementwise_kernelILi8ENS0_13AUnaryFunctorIaaaZNS0_12_GLOBAL__N_121threshold_kernel_implIaEEvRNS_18TensorIteratorBaseET_S7_EUlaaE_EESt5arrayIPcLm2EEEEviT0_T1_.numbered_sgpr, 39
	.set _ZN2at6native29vectorized_elementwise_kernelILi8ENS0_13AUnaryFunctorIaaaZNS0_12_GLOBAL__N_121threshold_kernel_implIaEEvRNS_18TensorIteratorBaseET_S7_EUlaaE_EESt5arrayIPcLm2EEEEviT0_T1_.num_named_barrier, 0
	.set _ZN2at6native29vectorized_elementwise_kernelILi8ENS0_13AUnaryFunctorIaaaZNS0_12_GLOBAL__N_121threshold_kernel_implIaEEvRNS_18TensorIteratorBaseET_S7_EUlaaE_EESt5arrayIPcLm2EEEEviT0_T1_.private_seg_size, 0
	.set _ZN2at6native29vectorized_elementwise_kernelILi8ENS0_13AUnaryFunctorIaaaZNS0_12_GLOBAL__N_121threshold_kernel_implIaEEvRNS_18TensorIteratorBaseET_S7_EUlaaE_EESt5arrayIPcLm2EEEEviT0_T1_.uses_vcc, 1
	.set _ZN2at6native29vectorized_elementwise_kernelILi8ENS0_13AUnaryFunctorIaaaZNS0_12_GLOBAL__N_121threshold_kernel_implIaEEvRNS_18TensorIteratorBaseET_S7_EUlaaE_EESt5arrayIPcLm2EEEEviT0_T1_.uses_flat_scratch, 0
	.set _ZN2at6native29vectorized_elementwise_kernelILi8ENS0_13AUnaryFunctorIaaaZNS0_12_GLOBAL__N_121threshold_kernel_implIaEEvRNS_18TensorIteratorBaseET_S7_EUlaaE_EESt5arrayIPcLm2EEEEviT0_T1_.has_dyn_sized_stack, 0
	.set _ZN2at6native29vectorized_elementwise_kernelILi8ENS0_13AUnaryFunctorIaaaZNS0_12_GLOBAL__N_121threshold_kernel_implIaEEvRNS_18TensorIteratorBaseET_S7_EUlaaE_EESt5arrayIPcLm2EEEEviT0_T1_.has_recursion, 0
	.set _ZN2at6native29vectorized_elementwise_kernelILi8ENS0_13AUnaryFunctorIaaaZNS0_12_GLOBAL__N_121threshold_kernel_implIaEEvRNS_18TensorIteratorBaseET_S7_EUlaaE_EESt5arrayIPcLm2EEEEviT0_T1_.has_indirect_call, 0
	.section	.AMDGPU.csdata,"",@progbits
; Kernel info:
; codeLenInByte = 3060
; TotalNumSgprs: 43
; NumVgprs: 23
; ScratchSize: 0
; MemoryBound: 0
; FloatMode: 240
; IeeeMode: 1
; LDSByteSize: 0 bytes/workgroup (compile time only)
; SGPRBlocks: 5
; VGPRBlocks: 5
; NumSGPRsForWavesPerEU: 43
; NumVGPRsForWavesPerEU: 23
; Occupancy: 10
; WaveLimiterHint : 1
; COMPUTE_PGM_RSRC2:SCRATCH_EN: 0
; COMPUTE_PGM_RSRC2:USER_SGPR: 6
; COMPUTE_PGM_RSRC2:TRAP_HANDLER: 0
; COMPUTE_PGM_RSRC2:TGID_X_EN: 1
; COMPUTE_PGM_RSRC2:TGID_Y_EN: 0
; COMPUTE_PGM_RSRC2:TGID_Z_EN: 0
; COMPUTE_PGM_RSRC2:TIDIG_COMP_CNT: 0
	.section	.text._ZN2at6native29vectorized_elementwise_kernelILi4ENS0_13AUnaryFunctorIaaaZNS0_12_GLOBAL__N_121threshold_kernel_implIaEEvRNS_18TensorIteratorBaseET_S7_EUlaaE_EESt5arrayIPcLm2EEEEviT0_T1_,"axG",@progbits,_ZN2at6native29vectorized_elementwise_kernelILi4ENS0_13AUnaryFunctorIaaaZNS0_12_GLOBAL__N_121threshold_kernel_implIaEEvRNS_18TensorIteratorBaseET_S7_EUlaaE_EESt5arrayIPcLm2EEEEviT0_T1_,comdat
	.globl	_ZN2at6native29vectorized_elementwise_kernelILi4ENS0_13AUnaryFunctorIaaaZNS0_12_GLOBAL__N_121threshold_kernel_implIaEEvRNS_18TensorIteratorBaseET_S7_EUlaaE_EESt5arrayIPcLm2EEEEviT0_T1_ ; -- Begin function _ZN2at6native29vectorized_elementwise_kernelILi4ENS0_13AUnaryFunctorIaaaZNS0_12_GLOBAL__N_121threshold_kernel_implIaEEvRNS_18TensorIteratorBaseET_S7_EUlaaE_EESt5arrayIPcLm2EEEEviT0_T1_
	.p2align	8
	.type	_ZN2at6native29vectorized_elementwise_kernelILi4ENS0_13AUnaryFunctorIaaaZNS0_12_GLOBAL__N_121threshold_kernel_implIaEEvRNS_18TensorIteratorBaseET_S7_EUlaaE_EESt5arrayIPcLm2EEEEviT0_T1_,@function
_ZN2at6native29vectorized_elementwise_kernelILi4ENS0_13AUnaryFunctorIaaaZNS0_12_GLOBAL__N_121threshold_kernel_implIaEEvRNS_18TensorIteratorBaseET_S7_EUlaaE_EESt5arrayIPcLm2EEEEviT0_T1_: ; @_ZN2at6native29vectorized_elementwise_kernelILi4ENS0_13AUnaryFunctorIaaaZNS0_12_GLOBAL__N_121threshold_kernel_implIaEEvRNS_18TensorIteratorBaseET_S7_EUlaaE_EESt5arrayIPcLm2EEEEviT0_T1_
; %bb.0:
	v_mov_b32_e32 v1, 0
	global_load_ubyte v2, v1, s[4:5] offset:6
	global_load_ushort v3, v1, s[4:5] offset:4
	s_load_dword s2, s[4:5], 0x0
	s_load_dwordx4 s[8:11], s[4:5], 0x8
	s_lshl_b32 s33, s6, 12
	s_mov_b64 s[0:1], -1
	s_waitcnt lgkmcnt(0)
	s_sub_i32 s38, s2, s33
	s_cmpk_gt_i32 s38, 0xfff
	s_waitcnt vmcnt(1)
	v_lshlrev_b32_e32 v1, 16, v2
	s_waitcnt vmcnt(0)
	v_or_b32_e32 v4, v3, v1
	v_lshrrev_b32_e32 v3, 8, v4
	v_cmp_gt_i32_sdwa vcc, sext(v4), sext(v4) src0_sel:BYTE_2 src1_sel:BYTE_0
	s_cbranch_scc0 .LBB26_2
; %bb.1:
	s_ashr_i32 s2, s33, 31
	s_add_u32 s0, s10, s33
	s_addc_u32 s1, s11, s2
	v_lshlrev_b32_e32 v1, 2, v0
	global_load_dword v2, v1, s[0:1]
	global_load_dword v5, v1, s[0:1] offset:1024
	global_load_dword v6, v1, s[0:1] offset:2048
	;; [unrolled: 1-line block ×3, first 2 shown]
	s_add_u32 s0, s8, s33
	s_addc_u32 s1, s9, s2
	s_waitcnt vmcnt(3)
	v_cndmask_b32_e32 v8, v3, v2, vcc
	v_lshrrev_b32_e32 v9, 8, v2
	v_lshrrev_b32_e32 v10, 16, v2
	v_lshrrev_b32_e32 v2, 24, v2
	s_waitcnt vmcnt(2)
	v_cndmask_b32_e32 v11, v3, v5, vcc
	v_lshrrev_b32_e32 v12, 8, v5
	v_lshrrev_b32_e32 v13, 16, v5
	v_lshrrev_b32_e32 v5, 24, v5
	;; [unrolled: 5-line block ×4, first 2 shown]
	v_cndmask_b32_e32 v9, v3, v9, vcc
	v_cndmask_b32_e32 v2, v3, v2, vcc
	;; [unrolled: 1-line block ×9, first 2 shown]
	v_lshlrev_b16_e32 v9, 8, v9
	v_lshlrev_b16_e32 v2, 8, v2
	v_cndmask_b32_e32 v13, v3, v13, vcc
	v_cndmask_b32_e32 v16, v3, v16, vcc
	;; [unrolled: 1-line block ×3, first 2 shown]
	v_lshlrev_b16_e32 v18, 8, v18
	v_lshlrev_b16_e32 v7, 8, v7
	v_lshlrev_b16_e32 v15, 8, v15
	v_lshlrev_b16_e32 v6, 8, v6
	v_lshlrev_b16_e32 v12, 8, v12
	v_lshlrev_b16_e32 v5, 8, v5
	v_or_b32_sdwa v8, v8, v9 dst_sel:DWORD dst_unused:UNUSED_PAD src0_sel:BYTE_0 src1_sel:DWORD
	v_or_b32_sdwa v2, v10, v2 dst_sel:WORD_1 dst_unused:UNUSED_PAD src0_sel:BYTE_0 src1_sel:DWORD
	v_or_b32_sdwa v17, v17, v18 dst_sel:DWORD dst_unused:UNUSED_PAD src0_sel:BYTE_0 src1_sel:DWORD
	v_or_b32_sdwa v7, v19, v7 dst_sel:WORD_1 dst_unused:UNUSED_PAD src0_sel:BYTE_0 src1_sel:DWORD
	;; [unrolled: 2-line block ×4, first 2 shown]
	v_or_b32_sdwa v2, v8, v2 dst_sel:DWORD dst_unused:UNUSED_PAD src0_sel:WORD_0 src1_sel:DWORD
	v_or_b32_sdwa v7, v17, v7 dst_sel:DWORD dst_unused:UNUSED_PAD src0_sel:WORD_0 src1_sel:DWORD
	;; [unrolled: 1-line block ×4, first 2 shown]
	global_store_dword v1, v2, s[0:1]
	global_store_dword v1, v5, s[0:1] offset:1024
	global_store_dword v1, v6, s[0:1] offset:2048
	;; [unrolled: 1-line block ×3, first 2 shown]
	s_mov_b64 s[0:1], 0
.LBB26_2:
	s_andn2_b64 vcc, exec, s[0:1]
	s_cbranch_vccnz .LBB26_52
; %bb.3:
	v_cmp_gt_i32_e64 s[0:1], s38, v0
	v_or_b32_e32 v5, 0x100, v0
	v_mov_b32_e32 v22, 0
	v_or_b32_e32 v6, s33, v0
	v_mov_b32_e32 v21, 0
	v_mov_b32_e32 v20, 0
	;; [unrolled: 1-line block ×15, first 2 shown]
	s_and_saveexec_b64 s[2:3], s[0:1]
	s_cbranch_execz .LBB26_35
; %bb.4:
	global_load_ubyte v8, v6, s[10:11]
	v_cmp_gt_u32_e32 vcc, s38, v5
	v_mov_b32_e32 v7, 0
	v_mov_b32_e32 v10, 0
	;; [unrolled: 1-line block ×15, first 2 shown]
	s_and_saveexec_b64 s[4:5], vcc
	s_cbranch_execz .LBB26_34
; %bb.5:
	v_add_u32_e32 v1, s33, v0
	global_load_ubyte v7, v1, s[10:11] offset:256
	v_or_b32_e32 v2, 0x200, v0
	v_mov_b32_e32 v10, 0
	v_cmp_gt_u32_e32 vcc, s38, v2
	v_mov_b32_e32 v9, 0
	v_mov_b32_e32 v11, 0
	;; [unrolled: 1-line block ×13, first 2 shown]
	s_and_saveexec_b64 s[6:7], vcc
	s_cbranch_execz .LBB26_33
; %bb.6:
	v_mov_b32_e32 v2, s11
	v_add_co_u32_e32 v1, vcc, s10, v1
	v_addc_co_u32_e32 v2, vcc, 0, v2, vcc
	global_load_ubyte v10, v[1:2], off offset:512
	v_or_b32_e32 v9, 0x300, v0
	v_cmp_gt_u32_e32 vcc, s38, v9
	v_mov_b32_e32 v9, 0
	v_mov_b32_e32 v11, 0
	;; [unrolled: 1-line block ×13, first 2 shown]
	s_and_saveexec_b64 s[10:11], vcc
	s_cbranch_execz .LBB26_32
; %bb.7:
	global_load_ubyte v9, v[1:2], off offset:768
	v_or_b32_e32 v11, 0x400, v0
	v_cmp_gt_u32_e32 vcc, s38, v11
	v_mov_b32_e32 v11, 0
	v_mov_b32_e32 v13, 0
	;; [unrolled: 1-line block ×12, first 2 shown]
	s_and_saveexec_b64 s[12:13], vcc
	s_cbranch_execz .LBB26_31
; %bb.8:
	global_load_ubyte v11, v[1:2], off offset:1024
	v_or_b32_e32 v12, 0x500, v0
	v_cmp_gt_u32_e32 vcc, s38, v12
	v_mov_b32_e32 v13, 0
	v_mov_b32_e32 v12, 0
	;; [unrolled: 1-line block ×11, first 2 shown]
	s_and_saveexec_b64 s[14:15], vcc
	s_cbranch_execz .LBB26_30
; %bb.9:
	global_load_ubyte v13, v[1:2], off offset:1280
	v_or_b32_e32 v12, 0x600, v0
	v_cmp_gt_u32_e32 vcc, s38, v12
	v_mov_b32_e32 v12, 0
	v_mov_b32_e32 v14, 0
	;; [unrolled: 1-line block ×10, first 2 shown]
	s_and_saveexec_b64 s[16:17], vcc
	s_cbranch_execz .LBB26_29
; %bb.10:
	global_load_ubyte v12, v[1:2], off offset:1536
	v_or_b32_e32 v14, 0x700, v0
	v_cmp_gt_u32_e32 vcc, s38, v14
	v_mov_b32_e32 v14, 0
	v_mov_b32_e32 v15, 0
	;; [unrolled: 1-line block ×9, first 2 shown]
	s_and_saveexec_b64 s[18:19], vcc
	s_cbranch_execz .LBB26_28
; %bb.11:
	global_load_ubyte v14, v[1:2], off offset:1792
	v_or_b32_e32 v15, 0x800, v0
	v_cmp_gt_u32_e32 vcc, s38, v15
	v_mov_b32_e32 v15, 0
	v_mov_b32_e32 v16, 0
	;; [unrolled: 1-line block ×8, first 2 shown]
	s_and_saveexec_b64 s[20:21], vcc
	s_cbranch_execz .LBB26_27
; %bb.12:
	global_load_ubyte v15, v[1:2], off offset:2048
	v_or_b32_e32 v16, 0x900, v0
	v_cmp_gt_u32_e32 vcc, s38, v16
	v_mov_b32_e32 v16, 0
	v_mov_b32_e32 v17, 0
	;; [unrolled: 1-line block ×7, first 2 shown]
	s_and_saveexec_b64 s[22:23], vcc
	s_cbranch_execz .LBB26_26
; %bb.13:
	global_load_ubyte v16, v[1:2], off offset:2304
	v_or_b32_e32 v17, 0xa00, v0
	v_cmp_gt_u32_e32 vcc, s38, v17
	v_mov_b32_e32 v17, 0
	v_mov_b32_e32 v18, 0
	;; [unrolled: 1-line block ×6, first 2 shown]
	s_and_saveexec_b64 s[24:25], vcc
	s_cbranch_execz .LBB26_25
; %bb.14:
	global_load_ubyte v17, v[1:2], off offset:2560
	v_or_b32_e32 v18, 0xb00, v0
	v_cmp_gt_u32_e32 vcc, s38, v18
	v_mov_b32_e32 v18, 0
	v_mov_b32_e32 v19, 0
	;; [unrolled: 1-line block ×5, first 2 shown]
	s_and_saveexec_b64 s[26:27], vcc
	s_cbranch_execz .LBB26_24
; %bb.15:
	global_load_ubyte v18, v[1:2], off offset:2816
	v_or_b32_e32 v19, 0xc00, v0
	v_cmp_gt_u32_e32 vcc, s38, v19
	v_mov_b32_e32 v19, 0
	v_mov_b32_e32 v20, 0
	;; [unrolled: 1-line block ×4, first 2 shown]
	s_and_saveexec_b64 s[28:29], vcc
	s_cbranch_execz .LBB26_23
; %bb.16:
	global_load_ubyte v19, v[1:2], off offset:3072
	v_or_b32_e32 v20, 0xd00, v0
	v_cmp_gt_u32_e32 vcc, s38, v20
	v_mov_b32_e32 v20, 0
	v_mov_b32_e32 v21, 0
	;; [unrolled: 1-line block ×3, first 2 shown]
	s_and_saveexec_b64 s[30:31], vcc
	s_cbranch_execz .LBB26_22
; %bb.17:
	global_load_ubyte v20, v[1:2], off offset:3328
	v_or_b32_e32 v21, 0xe00, v0
	v_cmp_gt_u32_e32 vcc, s38, v21
	v_mov_b32_e32 v21, 0
	v_mov_b32_e32 v22, 0
	s_and_saveexec_b64 s[34:35], vcc
	s_cbranch_execz .LBB26_21
; %bb.18:
	global_load_ubyte v21, v[1:2], off offset:3584
	v_or_b32_e32 v22, 0xf00, v0
	v_cmp_gt_u32_e32 vcc, s38, v22
	v_mov_b32_e32 v22, 0
	s_and_saveexec_b64 s[36:37], vcc
	s_cbranch_execz .LBB26_20
; %bb.19:
	global_load_ubyte v22, v[1:2], off offset:3840
.LBB26_20:
	s_or_b64 exec, exec, s[36:37]
.LBB26_21:
	s_or_b64 exec, exec, s[34:35]
.LBB26_22:
	s_or_b64 exec, exec, s[30:31]
.LBB26_23:
	s_or_b64 exec, exec, s[28:29]
.LBB26_24:
	s_or_b64 exec, exec, s[26:27]
.LBB26_25:
	s_or_b64 exec, exec, s[24:25]
.LBB26_26:
	s_or_b64 exec, exec, s[22:23]
.LBB26_27:
	s_or_b64 exec, exec, s[20:21]
.LBB26_28:
	s_or_b64 exec, exec, s[18:19]
.LBB26_29:
	s_or_b64 exec, exec, s[16:17]
.LBB26_30:
	s_or_b64 exec, exec, s[14:15]
.LBB26_31:
	s_or_b64 exec, exec, s[12:13]
.LBB26_32:
	s_or_b64 exec, exec, s[10:11]
.LBB26_33:
	s_or_b64 exec, exec, s[6:7]
.LBB26_34:
	s_or_b64 exec, exec, s[4:5]
.LBB26_35:
	s_or_b64 exec, exec, s[2:3]
	v_cmp_gt_i32_sdwa vcc, sext(v4), sext(v4) src0_sel:BYTE_2 src1_sel:BYTE_0
	s_waitcnt vmcnt(0)
	v_cndmask_b32_e32 v1, v3, v8, vcc
	s_mov_b32 s5, 0xffff
	v_and_b32_sdwa v1, s5, v1 dst_sel:DWORD dst_unused:UNUSED_PAD src0_sel:DWORD src1_sel:BYTE_0
	v_cndmask_b32_e32 v2, v3, v7, vcc
	v_cndmask_b32_e64 v1, 0, v1, s[0:1]
	v_lshlrev_b16_e32 v2, 8, v2
	v_or_b32_e32 v2, v1, v2
	v_and_b32_e32 v2, 0xffff, v2
	v_cmp_gt_i32_e64 s[2:3], s38, v5
	v_cndmask_b32_e64 v1, v1, v2, s[2:3]
	v_cndmask_b32_e32 v4, v3, v10, vcc
	s_mov_b32 s6, 0xc0c0304
	v_or_b32_e32 v2, 0x200, v0
	v_perm_b32 v4, v4, v1, s6
	v_lshl_or_b32 v4, v4, 16, v1
	v_cmp_gt_i32_e64 s[2:3], s38, v2
	s_movk_i32 s4, 0xff
	v_cndmask_b32_e64 v1, v1, v4, s[2:3]
	v_cndmask_b32_e32 v7, v3, v9, vcc
	v_and_b32_sdwa v2, v1, s4 dst_sel:DWORD dst_unused:UNUSED_PAD src0_sel:WORD_1 src1_sel:DWORD
	v_lshlrev_b16_e32 v7, 8, v7
	v_or_b32_e32 v4, 0x300, v0
	v_or_b32_sdwa v2, v2, v7 dst_sel:WORD_1 dst_unused:UNUSED_PAD src0_sel:DWORD src1_sel:DWORD
	v_and_or_b32 v2, v1, s5, v2
	v_cmp_gt_i32_e64 s[2:3], s38, v4
	v_cndmask_b32_e64 v7, v1, v2, s[2:3]
	v_cndmask_b32_e32 v1, v3, v11, vcc
	s_mov_b32 s7, 0x3020104
	v_or_b32_e32 v2, 0x400, v0
	v_perm_b32 v1, v1, 0, s7
	v_cmp_gt_i32_e64 s[2:3], s38, v2
	v_cndmask_b32_e32 v2, v3, v13, vcc
	v_cndmask_b32_e64 v1, 0, v1, s[2:3]
	v_lshlrev_b16_e32 v2, 8, v2
	v_or_b32_sdwa v2, v1, v2 dst_sel:DWORD dst_unused:UNUSED_PAD src0_sel:BYTE_0 src1_sel:DWORD
	v_and_b32_e32 v2, 0xffff, v2
	s_mov_b32 s10, 0xffff0000
	v_or_b32_e32 v4, 0x500, v0
	v_and_or_b32 v2, v1, s10, v2
	v_cmp_gt_i32_e64 s[2:3], s38, v4
	v_cndmask_b32_e64 v1, v1, v2, s[2:3]
	v_or_b32_e32 v2, 0x600, v0
	v_cndmask_b32_e32 v4, v3, v12, vcc
	s_mov_b32 s11, 0x7000504
	v_perm_b32 v4, v1, v4, s11
	v_cmp_gt_i32_e64 s[2:3], s38, v2
	v_cndmask_b32_e64 v1, v1, v4, s[2:3]
	v_cndmask_b32_e32 v8, v3, v14, vcc
	v_and_b32_sdwa v2, v1, s4 dst_sel:DWORD dst_unused:UNUSED_PAD src0_sel:WORD_1 src1_sel:DWORD
	v_lshlrev_b16_e32 v8, 8, v8
	v_or_b32_e32 v4, 0x700, v0
	v_or_b32_sdwa v2, v2, v8 dst_sel:WORD_1 dst_unused:UNUSED_PAD src0_sel:DWORD src1_sel:DWORD
	v_and_or_b32 v2, v1, s5, v2
	v_cmp_gt_i32_e64 s[2:3], s38, v4
	v_cndmask_b32_e64 v4, v1, v2, s[2:3]
	v_or_b32_e32 v1, 0x800, v0
	v_cndmask_b32_e32 v2, v3, v15, vcc
	v_and_b32_sdwa v2, s5, v2 dst_sel:DWORD dst_unused:UNUSED_PAD src0_sel:DWORD src1_sel:BYTE_0
	v_cmp_gt_i32_e64 s[2:3], s38, v1
	v_cndmask_b32_e32 v8, v3, v16, vcc
	v_cndmask_b32_e64 v1, 0, v2, s[2:3]
	v_lshlrev_b16_e32 v8, 8, v8
	v_or_b32_e32 v2, 0x900, v0
	v_or_b32_e32 v8, v1, v8
	v_and_b32_e32 v8, 0xffff, v8
	v_cmp_gt_i32_e64 s[2:3], s38, v2
	v_cndmask_b32_e64 v1, v1, v8, s[2:3]
	v_cndmask_b32_e32 v8, v3, v17, vcc
	v_or_b32_e32 v2, 0xa00, v0
	v_perm_b32 v8, v8, v1, s6
	v_lshl_or_b32 v8, v8, 16, v1
	v_cmp_gt_i32_e64 s[2:3], s38, v2
	v_cndmask_b32_e64 v1, v1, v8, s[2:3]
	v_cndmask_b32_e32 v9, v3, v18, vcc
	v_and_b32_sdwa v2, v1, s4 dst_sel:DWORD dst_unused:UNUSED_PAD src0_sel:WORD_1 src1_sel:DWORD
	v_lshlrev_b16_e32 v9, 8, v9
	v_or_b32_e32 v8, 0xb00, v0
	v_or_b32_sdwa v2, v2, v9 dst_sel:WORD_1 dst_unused:UNUSED_PAD src0_sel:DWORD src1_sel:DWORD
	v_and_or_b32 v2, v1, s5, v2
	v_cmp_gt_i32_e64 s[2:3], s38, v8
	v_cndmask_b32_e64 v2, v1, v2, s[2:3]
	v_cndmask_b32_e32 v1, v3, v19, vcc
	v_or_b32_e32 v8, 0xc00, v0
	v_perm_b32 v1, v1, 0, s7
	v_cmp_gt_i32_e64 s[2:3], s38, v8
	v_cndmask_b32_e32 v8, v3, v20, vcc
	v_cndmask_b32_e64 v1, 0, v1, s[2:3]
	v_lshlrev_b16_e32 v8, 8, v8
	v_or_b32_sdwa v8, v1, v8 dst_sel:DWORD dst_unused:UNUSED_PAD src0_sel:BYTE_0 src1_sel:DWORD
	v_and_b32_e32 v8, 0xffff, v8
	v_or_b32_e32 v9, 0xd00, v0
	v_and_or_b32 v8, v1, s10, v8
	v_cmp_gt_i32_e64 s[2:3], s38, v9
	v_cndmask_b32_e64 v1, v1, v8, s[2:3]
	v_or_b32_e32 v8, 0xe00, v0
	v_cndmask_b32_e32 v9, v3, v21, vcc
	v_perm_b32 v9, v1, v9, s11
	v_cmp_gt_i32_e64 s[2:3], s38, v8
	v_cndmask_b32_e64 v1, v1, v9, s[2:3]
	v_and_b32_sdwa v8, v1, s4 dst_sel:DWORD dst_unused:UNUSED_PAD src0_sel:WORD_1 src1_sel:DWORD
	v_cndmask_b32_sdwa v3, v3, v22, vcc dst_sel:BYTE_1 dst_unused:UNUSED_PAD src0_sel:DWORD src1_sel:DWORD
	v_or_b32_e32 v9, 0xf00, v0
	v_or_b32_sdwa v3, v8, v3 dst_sel:WORD_1 dst_unused:UNUSED_PAD src0_sel:DWORD src1_sel:DWORD
	v_and_or_b32 v3, v1, s5, v3
	v_cmp_gt_i32_e32 vcc, s38, v9
	v_cndmask_b32_e32 v1, v1, v3, vcc
	s_and_saveexec_b64 s[2:3], s[0:1]
	s_cbranch_execnz .LBB26_53
; %bb.36:
	s_or_b64 exec, exec, s[2:3]
	v_cmp_gt_i32_e32 vcc, s38, v0
	s_and_saveexec_b64 s[0:1], vcc
	s_cbranch_execnz .LBB26_54
.LBB26_37:
	s_or_b64 exec, exec, s[0:1]
	v_cmp_gt_i32_e32 vcc, s38, v0
	s_and_saveexec_b64 s[0:1], vcc
	s_cbranch_execnz .LBB26_55
.LBB26_38:
	s_or_b64 exec, exec, s[0:1]
	v_cmp_gt_i32_e32 vcc, s38, v0
	s_and_saveexec_b64 s[0:1], vcc
	s_cbranch_execnz .LBB26_56
.LBB26_39:
	s_or_b64 exec, exec, s[0:1]
	v_cmp_gt_i32_e32 vcc, s38, v0
	s_and_saveexec_b64 s[0:1], vcc
	s_cbranch_execnz .LBB26_57
.LBB26_40:
	s_or_b64 exec, exec, s[0:1]
	v_cmp_gt_i32_e32 vcc, s38, v0
	s_and_saveexec_b64 s[0:1], vcc
	s_cbranch_execnz .LBB26_58
.LBB26_41:
	s_or_b64 exec, exec, s[0:1]
	v_cmp_gt_i32_e32 vcc, s38, v0
	s_and_saveexec_b64 s[0:1], vcc
	s_cbranch_execnz .LBB26_59
.LBB26_42:
	s_or_b64 exec, exec, s[0:1]
	v_cmp_gt_i32_e32 vcc, s38, v0
	s_and_saveexec_b64 s[0:1], vcc
	s_cbranch_execnz .LBB26_60
.LBB26_43:
	s_or_b64 exec, exec, s[0:1]
	v_cmp_gt_i32_e32 vcc, s38, v0
	s_and_saveexec_b64 s[0:1], vcc
	s_cbranch_execnz .LBB26_61
.LBB26_44:
	s_or_b64 exec, exec, s[0:1]
	v_cmp_gt_i32_e32 vcc, s38, v0
	s_and_saveexec_b64 s[0:1], vcc
	s_cbranch_execnz .LBB26_62
.LBB26_45:
	s_or_b64 exec, exec, s[0:1]
	v_cmp_gt_i32_e32 vcc, s38, v0
	s_and_saveexec_b64 s[0:1], vcc
	s_cbranch_execnz .LBB26_63
.LBB26_46:
	s_or_b64 exec, exec, s[0:1]
	v_cmp_gt_i32_e32 vcc, s38, v0
	s_and_saveexec_b64 s[0:1], vcc
	s_cbranch_execnz .LBB26_64
.LBB26_47:
	s_or_b64 exec, exec, s[0:1]
	v_cmp_gt_i32_e32 vcc, s38, v0
	s_and_saveexec_b64 s[0:1], vcc
	s_cbranch_execnz .LBB26_65
.LBB26_48:
	s_or_b64 exec, exec, s[0:1]
	v_cmp_gt_i32_e32 vcc, s38, v0
	s_and_saveexec_b64 s[0:1], vcc
	s_cbranch_execnz .LBB26_66
.LBB26_49:
	s_or_b64 exec, exec, s[0:1]
	v_cmp_gt_i32_e32 vcc, s38, v0
	s_and_saveexec_b64 s[0:1], vcc
	s_cbranch_execnz .LBB26_67
.LBB26_50:
	s_or_b64 exec, exec, s[0:1]
	v_cmp_gt_i32_e32 vcc, s38, v0
	s_and_saveexec_b64 s[0:1], vcc
	s_cbranch_execz .LBB26_52
.LBB26_51:
	v_lshrrev_b32_e32 v1, 24, v1
	v_add_u32_e32 v0, s33, v0
	global_store_byte v0, v1, s[8:9]
.LBB26_52:
	s_endpgm
.LBB26_53:
	v_mov_b32_e32 v0, v5
	global_store_byte v6, v7, s[8:9]
	s_or_b64 exec, exec, s[2:3]
	v_cmp_gt_i32_e32 vcc, s38, v0
	s_and_saveexec_b64 s[0:1], vcc
	s_cbranch_execz .LBB26_37
.LBB26_54:
	v_lshrrev_b32_e32 v3, 8, v7
	v_add_u32_e32 v5, s33, v0
	v_add_u32_e32 v0, 0x100, v0
	global_store_byte v5, v3, s[8:9]
	s_or_b64 exec, exec, s[0:1]
	v_cmp_gt_i32_e32 vcc, s38, v0
	s_and_saveexec_b64 s[0:1], vcc
	s_cbranch_execz .LBB26_38
.LBB26_55:
	v_add_u32_e32 v3, s33, v0
	v_add_u32_e32 v0, 0x100, v0
	global_store_byte_d16_hi v3, v7, s[8:9]
	s_or_b64 exec, exec, s[0:1]
	v_cmp_gt_i32_e32 vcc, s38, v0
	s_and_saveexec_b64 s[0:1], vcc
	s_cbranch_execz .LBB26_39
.LBB26_56:
	v_lshrrev_b32_e32 v3, 24, v7
	v_add_u32_e32 v5, s33, v0
	v_add_u32_e32 v0, 0x100, v0
	global_store_byte v5, v3, s[8:9]
	s_or_b64 exec, exec, s[0:1]
	v_cmp_gt_i32_e32 vcc, s38, v0
	s_and_saveexec_b64 s[0:1], vcc
	s_cbranch_execz .LBB26_40
.LBB26_57:
	v_add_u32_e32 v3, s33, v0
	v_add_u32_e32 v0, 0x100, v0
	global_store_byte v3, v4, s[8:9]
	s_or_b64 exec, exec, s[0:1]
	v_cmp_gt_i32_e32 vcc, s38, v0
	s_and_saveexec_b64 s[0:1], vcc
	s_cbranch_execz .LBB26_41
.LBB26_58:
	v_lshrrev_b32_e32 v3, 8, v4
	v_add_u32_e32 v5, s33, v0
	v_add_u32_e32 v0, 0x100, v0
	global_store_byte v5, v3, s[8:9]
	s_or_b64 exec, exec, s[0:1]
	v_cmp_gt_i32_e32 vcc, s38, v0
	s_and_saveexec_b64 s[0:1], vcc
	s_cbranch_execz .LBB26_42
.LBB26_59:
	v_add_u32_e32 v3, s33, v0
	v_add_u32_e32 v0, 0x100, v0
	global_store_byte_d16_hi v3, v4, s[8:9]
	s_or_b64 exec, exec, s[0:1]
	v_cmp_gt_i32_e32 vcc, s38, v0
	s_and_saveexec_b64 s[0:1], vcc
	s_cbranch_execz .LBB26_43
.LBB26_60:
	v_lshrrev_b32_e32 v3, 24, v4
	v_add_u32_e32 v4, s33, v0
	v_add_u32_e32 v0, 0x100, v0
	global_store_byte v4, v3, s[8:9]
	s_or_b64 exec, exec, s[0:1]
	v_cmp_gt_i32_e32 vcc, s38, v0
	s_and_saveexec_b64 s[0:1], vcc
	s_cbranch_execz .LBB26_44
.LBB26_61:
	v_add_u32_e32 v3, s33, v0
	v_add_u32_e32 v0, 0x100, v0
	global_store_byte v3, v2, s[8:9]
	s_or_b64 exec, exec, s[0:1]
	v_cmp_gt_i32_e32 vcc, s38, v0
	s_and_saveexec_b64 s[0:1], vcc
	s_cbranch_execz .LBB26_45
.LBB26_62:
	v_lshrrev_b32_e32 v3, 8, v2
	v_add_u32_e32 v4, s33, v0
	v_add_u32_e32 v0, 0x100, v0
	global_store_byte v4, v3, s[8:9]
	s_or_b64 exec, exec, s[0:1]
	v_cmp_gt_i32_e32 vcc, s38, v0
	s_and_saveexec_b64 s[0:1], vcc
	s_cbranch_execz .LBB26_46
.LBB26_63:
	v_add_u32_e32 v3, s33, v0
	v_add_u32_e32 v0, 0x100, v0
	global_store_byte_d16_hi v3, v2, s[8:9]
	s_or_b64 exec, exec, s[0:1]
	v_cmp_gt_i32_e32 vcc, s38, v0
	s_and_saveexec_b64 s[0:1], vcc
	s_cbranch_execz .LBB26_47
.LBB26_64:
	v_lshrrev_b32_e32 v2, 24, v2
	v_add_u32_e32 v3, s33, v0
	v_add_u32_e32 v0, 0x100, v0
	global_store_byte v3, v2, s[8:9]
	s_or_b64 exec, exec, s[0:1]
	v_cmp_gt_i32_e32 vcc, s38, v0
	s_and_saveexec_b64 s[0:1], vcc
	s_cbranch_execz .LBB26_48
.LBB26_65:
	v_add_u32_e32 v2, s33, v0
	v_add_u32_e32 v0, 0x100, v0
	global_store_byte v2, v1, s[8:9]
	s_or_b64 exec, exec, s[0:1]
	v_cmp_gt_i32_e32 vcc, s38, v0
	s_and_saveexec_b64 s[0:1], vcc
	s_cbranch_execz .LBB26_49
.LBB26_66:
	v_lshrrev_b32_e32 v2, 8, v1
	v_add_u32_e32 v3, s33, v0
	v_add_u32_e32 v0, 0x100, v0
	global_store_byte v3, v2, s[8:9]
	s_or_b64 exec, exec, s[0:1]
	v_cmp_gt_i32_e32 vcc, s38, v0
	s_and_saveexec_b64 s[0:1], vcc
	s_cbranch_execz .LBB26_50
.LBB26_67:
	v_add_u32_e32 v2, s33, v0
	v_add_u32_e32 v0, 0x100, v0
	global_store_byte_d16_hi v2, v1, s[8:9]
	s_or_b64 exec, exec, s[0:1]
	v_cmp_gt_i32_e32 vcc, s38, v0
	s_and_saveexec_b64 s[0:1], vcc
	s_cbranch_execnz .LBB26_51
	s_branch .LBB26_52
	.section	.rodata,"a",@progbits
	.p2align	6, 0x0
	.amdhsa_kernel _ZN2at6native29vectorized_elementwise_kernelILi4ENS0_13AUnaryFunctorIaaaZNS0_12_GLOBAL__N_121threshold_kernel_implIaEEvRNS_18TensorIteratorBaseET_S7_EUlaaE_EESt5arrayIPcLm2EEEEviT0_T1_
		.amdhsa_group_segment_fixed_size 0
		.amdhsa_private_segment_fixed_size 0
		.amdhsa_kernarg_size 24
		.amdhsa_user_sgpr_count 6
		.amdhsa_user_sgpr_private_segment_buffer 1
		.amdhsa_user_sgpr_dispatch_ptr 0
		.amdhsa_user_sgpr_queue_ptr 0
		.amdhsa_user_sgpr_kernarg_segment_ptr 1
		.amdhsa_user_sgpr_dispatch_id 0
		.amdhsa_user_sgpr_flat_scratch_init 0
		.amdhsa_user_sgpr_private_segment_size 0
		.amdhsa_uses_dynamic_stack 0
		.amdhsa_system_sgpr_private_segment_wavefront_offset 0
		.amdhsa_system_sgpr_workgroup_id_x 1
		.amdhsa_system_sgpr_workgroup_id_y 0
		.amdhsa_system_sgpr_workgroup_id_z 0
		.amdhsa_system_sgpr_workgroup_info 0
		.amdhsa_system_vgpr_workitem_id 0
		.amdhsa_next_free_vgpr 23
		.amdhsa_next_free_sgpr 39
		.amdhsa_reserve_vcc 1
		.amdhsa_reserve_flat_scratch 0
		.amdhsa_float_round_mode_32 0
		.amdhsa_float_round_mode_16_64 0
		.amdhsa_float_denorm_mode_32 3
		.amdhsa_float_denorm_mode_16_64 3
		.amdhsa_dx10_clamp 1
		.amdhsa_ieee_mode 1
		.amdhsa_fp16_overflow 0
		.amdhsa_exception_fp_ieee_invalid_op 0
		.amdhsa_exception_fp_denorm_src 0
		.amdhsa_exception_fp_ieee_div_zero 0
		.amdhsa_exception_fp_ieee_overflow 0
		.amdhsa_exception_fp_ieee_underflow 0
		.amdhsa_exception_fp_ieee_inexact 0
		.amdhsa_exception_int_div_zero 0
	.end_amdhsa_kernel
	.section	.text._ZN2at6native29vectorized_elementwise_kernelILi4ENS0_13AUnaryFunctorIaaaZNS0_12_GLOBAL__N_121threshold_kernel_implIaEEvRNS_18TensorIteratorBaseET_S7_EUlaaE_EESt5arrayIPcLm2EEEEviT0_T1_,"axG",@progbits,_ZN2at6native29vectorized_elementwise_kernelILi4ENS0_13AUnaryFunctorIaaaZNS0_12_GLOBAL__N_121threshold_kernel_implIaEEvRNS_18TensorIteratorBaseET_S7_EUlaaE_EESt5arrayIPcLm2EEEEviT0_T1_,comdat
.Lfunc_end26:
	.size	_ZN2at6native29vectorized_elementwise_kernelILi4ENS0_13AUnaryFunctorIaaaZNS0_12_GLOBAL__N_121threshold_kernel_implIaEEvRNS_18TensorIteratorBaseET_S7_EUlaaE_EESt5arrayIPcLm2EEEEviT0_T1_, .Lfunc_end26-_ZN2at6native29vectorized_elementwise_kernelILi4ENS0_13AUnaryFunctorIaaaZNS0_12_GLOBAL__N_121threshold_kernel_implIaEEvRNS_18TensorIteratorBaseET_S7_EUlaaE_EESt5arrayIPcLm2EEEEviT0_T1_
                                        ; -- End function
	.set _ZN2at6native29vectorized_elementwise_kernelILi4ENS0_13AUnaryFunctorIaaaZNS0_12_GLOBAL__N_121threshold_kernel_implIaEEvRNS_18TensorIteratorBaseET_S7_EUlaaE_EESt5arrayIPcLm2EEEEviT0_T1_.num_vgpr, 23
	.set _ZN2at6native29vectorized_elementwise_kernelILi4ENS0_13AUnaryFunctorIaaaZNS0_12_GLOBAL__N_121threshold_kernel_implIaEEvRNS_18TensorIteratorBaseET_S7_EUlaaE_EESt5arrayIPcLm2EEEEviT0_T1_.num_agpr, 0
	.set _ZN2at6native29vectorized_elementwise_kernelILi4ENS0_13AUnaryFunctorIaaaZNS0_12_GLOBAL__N_121threshold_kernel_implIaEEvRNS_18TensorIteratorBaseET_S7_EUlaaE_EESt5arrayIPcLm2EEEEviT0_T1_.numbered_sgpr, 39
	.set _ZN2at6native29vectorized_elementwise_kernelILi4ENS0_13AUnaryFunctorIaaaZNS0_12_GLOBAL__N_121threshold_kernel_implIaEEvRNS_18TensorIteratorBaseET_S7_EUlaaE_EESt5arrayIPcLm2EEEEviT0_T1_.num_named_barrier, 0
	.set _ZN2at6native29vectorized_elementwise_kernelILi4ENS0_13AUnaryFunctorIaaaZNS0_12_GLOBAL__N_121threshold_kernel_implIaEEvRNS_18TensorIteratorBaseET_S7_EUlaaE_EESt5arrayIPcLm2EEEEviT0_T1_.private_seg_size, 0
	.set _ZN2at6native29vectorized_elementwise_kernelILi4ENS0_13AUnaryFunctorIaaaZNS0_12_GLOBAL__N_121threshold_kernel_implIaEEvRNS_18TensorIteratorBaseET_S7_EUlaaE_EESt5arrayIPcLm2EEEEviT0_T1_.uses_vcc, 1
	.set _ZN2at6native29vectorized_elementwise_kernelILi4ENS0_13AUnaryFunctorIaaaZNS0_12_GLOBAL__N_121threshold_kernel_implIaEEvRNS_18TensorIteratorBaseET_S7_EUlaaE_EESt5arrayIPcLm2EEEEviT0_T1_.uses_flat_scratch, 0
	.set _ZN2at6native29vectorized_elementwise_kernelILi4ENS0_13AUnaryFunctorIaaaZNS0_12_GLOBAL__N_121threshold_kernel_implIaEEvRNS_18TensorIteratorBaseET_S7_EUlaaE_EESt5arrayIPcLm2EEEEviT0_T1_.has_dyn_sized_stack, 0
	.set _ZN2at6native29vectorized_elementwise_kernelILi4ENS0_13AUnaryFunctorIaaaZNS0_12_GLOBAL__N_121threshold_kernel_implIaEEvRNS_18TensorIteratorBaseET_S7_EUlaaE_EESt5arrayIPcLm2EEEEviT0_T1_.has_recursion, 0
	.set _ZN2at6native29vectorized_elementwise_kernelILi4ENS0_13AUnaryFunctorIaaaZNS0_12_GLOBAL__N_121threshold_kernel_implIaEEvRNS_18TensorIteratorBaseET_S7_EUlaaE_EESt5arrayIPcLm2EEEEviT0_T1_.has_indirect_call, 0
	.section	.AMDGPU.csdata,"",@progbits
; Kernel info:
; codeLenInByte = 3100
; TotalNumSgprs: 43
; NumVgprs: 23
; ScratchSize: 0
; MemoryBound: 0
; FloatMode: 240
; IeeeMode: 1
; LDSByteSize: 0 bytes/workgroup (compile time only)
; SGPRBlocks: 5
; VGPRBlocks: 5
; NumSGPRsForWavesPerEU: 43
; NumVGPRsForWavesPerEU: 23
; Occupancy: 10
; WaveLimiterHint : 1
; COMPUTE_PGM_RSRC2:SCRATCH_EN: 0
; COMPUTE_PGM_RSRC2:USER_SGPR: 6
; COMPUTE_PGM_RSRC2:TRAP_HANDLER: 0
; COMPUTE_PGM_RSRC2:TGID_X_EN: 1
; COMPUTE_PGM_RSRC2:TGID_Y_EN: 0
; COMPUTE_PGM_RSRC2:TGID_Z_EN: 0
; COMPUTE_PGM_RSRC2:TIDIG_COMP_CNT: 0
	.section	.text._ZN2at6native29vectorized_elementwise_kernelILi2ENS0_13AUnaryFunctorIaaaZNS0_12_GLOBAL__N_121threshold_kernel_implIaEEvRNS_18TensorIteratorBaseET_S7_EUlaaE_EESt5arrayIPcLm2EEEEviT0_T1_,"axG",@progbits,_ZN2at6native29vectorized_elementwise_kernelILi2ENS0_13AUnaryFunctorIaaaZNS0_12_GLOBAL__N_121threshold_kernel_implIaEEvRNS_18TensorIteratorBaseET_S7_EUlaaE_EESt5arrayIPcLm2EEEEviT0_T1_,comdat
	.globl	_ZN2at6native29vectorized_elementwise_kernelILi2ENS0_13AUnaryFunctorIaaaZNS0_12_GLOBAL__N_121threshold_kernel_implIaEEvRNS_18TensorIteratorBaseET_S7_EUlaaE_EESt5arrayIPcLm2EEEEviT0_T1_ ; -- Begin function _ZN2at6native29vectorized_elementwise_kernelILi2ENS0_13AUnaryFunctorIaaaZNS0_12_GLOBAL__N_121threshold_kernel_implIaEEvRNS_18TensorIteratorBaseET_S7_EUlaaE_EESt5arrayIPcLm2EEEEviT0_T1_
	.p2align	8
	.type	_ZN2at6native29vectorized_elementwise_kernelILi2ENS0_13AUnaryFunctorIaaaZNS0_12_GLOBAL__N_121threshold_kernel_implIaEEvRNS_18TensorIteratorBaseET_S7_EUlaaE_EESt5arrayIPcLm2EEEEviT0_T1_,@function
_ZN2at6native29vectorized_elementwise_kernelILi2ENS0_13AUnaryFunctorIaaaZNS0_12_GLOBAL__N_121threshold_kernel_implIaEEvRNS_18TensorIteratorBaseET_S7_EUlaaE_EESt5arrayIPcLm2EEEEviT0_T1_: ; @_ZN2at6native29vectorized_elementwise_kernelILi2ENS0_13AUnaryFunctorIaaaZNS0_12_GLOBAL__N_121threshold_kernel_implIaEEvRNS_18TensorIteratorBaseET_S7_EUlaaE_EESt5arrayIPcLm2EEEEviT0_T1_
; %bb.0:
	v_mov_b32_e32 v1, 0
	global_load_ubyte v2, v1, s[4:5] offset:6
	global_load_ushort v3, v1, s[4:5] offset:4
	s_load_dword s2, s[4:5], 0x0
	s_load_dwordx4 s[8:11], s[4:5], 0x8
	s_lshl_b32 s33, s6, 12
	s_mov_b64 s[0:1], -1
	s_waitcnt lgkmcnt(0)
	s_sub_i32 s38, s2, s33
	s_cmpk_gt_i32 s38, 0xfff
	s_waitcnt vmcnt(1)
	v_lshlrev_b32_e32 v1, 16, v2
	s_waitcnt vmcnt(0)
	v_or_b32_e32 v5, v3, v1
	v_lshrrev_b32_e32 v3, 8, v5
	v_cmp_gt_i32_sdwa vcc, sext(v5), sext(v5) src0_sel:BYTE_2 src1_sel:BYTE_0
	s_cbranch_scc0 .LBB27_2
; %bb.1:
	s_ashr_i32 s2, s33, 31
	s_add_u32 s0, s10, s33
	s_addc_u32 s1, s11, s2
	v_lshlrev_b32_e32 v1, 1, v0
	global_load_ushort v2, v1, s[0:1]
	global_load_ushort v4, v1, s[0:1] offset:512
	global_load_ushort v6, v1, s[0:1] offset:1024
	;; [unrolled: 1-line block ×7, first 2 shown]
	s_add_u32 s0, s8, s33
	s_addc_u32 s1, s9, s2
	s_waitcnt vmcnt(7)
	v_cndmask_b32_e32 v12, v3, v2, vcc
	v_lshrrev_b16_e32 v2, 8, v2
	s_waitcnt vmcnt(6)
	v_cndmask_b32_e32 v13, v3, v4, vcc
	v_lshrrev_b16_e32 v4, 8, v4
	;; [unrolled: 3-line block ×8, first 2 shown]
	v_cndmask_b32_e32 v2, v3, v2, vcc
	v_cndmask_b32_e32 v4, v3, v4, vcc
	;; [unrolled: 1-line block ×8, first 2 shown]
	v_lshlrev_b16_e32 v2, 8, v2
	v_lshlrev_b16_e32 v11, 8, v11
	v_lshlrev_b16_e32 v10, 8, v10
	v_lshlrev_b16_e32 v9, 8, v9
	v_lshlrev_b16_e32 v8, 8, v8
	v_lshlrev_b16_e32 v7, 8, v7
	v_lshlrev_b16_e32 v6, 8, v6
	v_lshlrev_b16_e32 v4, 8, v4
	v_or_b32_sdwa v2, v12, v2 dst_sel:DWORD dst_unused:UNUSED_PAD src0_sel:BYTE_0 src1_sel:DWORD
	v_or_b32_sdwa v11, v19, v11 dst_sel:DWORD dst_unused:UNUSED_PAD src0_sel:BYTE_0 src1_sel:DWORD
	;; [unrolled: 1-line block ×8, first 2 shown]
	global_store_short v1, v2, s[0:1]
	global_store_short v1, v4, s[0:1] offset:512
	global_store_short v1, v6, s[0:1] offset:1024
	global_store_short v1, v7, s[0:1] offset:1536
	global_store_short v1, v8, s[0:1] offset:2048
	global_store_short v1, v9, s[0:1] offset:2560
	global_store_short v1, v10, s[0:1] offset:3072
	global_store_short v1, v11, s[0:1] offset:3584
	s_mov_b64 s[0:1], 0
.LBB27_2:
	s_andn2_b64 vcc, exec, s[0:1]
	s_cbranch_vccnz .LBB27_52
; %bb.3:
	v_cmp_gt_i32_e64 s[0:1], s38, v0
	v_or_b32_e32 v4, 0x100, v0
	v_mov_b32_e32 v22, 0
	v_or_b32_e32 v6, s33, v0
	v_mov_b32_e32 v21, 0
	v_mov_b32_e32 v20, 0
	;; [unrolled: 1-line block ×15, first 2 shown]
	s_and_saveexec_b64 s[2:3], s[0:1]
	s_cbranch_execz .LBB27_35
; %bb.4:
	global_load_ubyte v8, v6, s[10:11]
	v_cmp_gt_u32_e32 vcc, s38, v4
	v_mov_b32_e32 v7, 0
	v_mov_b32_e32 v10, 0
	v_mov_b32_e32 v9, 0
	v_mov_b32_e32 v11, 0
	v_mov_b32_e32 v13, 0
	v_mov_b32_e32 v12, 0
	v_mov_b32_e32 v14, 0
	v_mov_b32_e32 v15, 0
	v_mov_b32_e32 v16, 0
	v_mov_b32_e32 v17, 0
	v_mov_b32_e32 v18, 0
	v_mov_b32_e32 v19, 0
	v_mov_b32_e32 v20, 0
	v_mov_b32_e32 v21, 0
	v_mov_b32_e32 v22, 0
	s_and_saveexec_b64 s[4:5], vcc
	s_cbranch_execz .LBB27_34
; %bb.5:
	v_add_u32_e32 v1, s33, v0
	global_load_ubyte v7, v1, s[10:11] offset:256
	v_or_b32_e32 v2, 0x200, v0
	v_mov_b32_e32 v10, 0
	v_cmp_gt_u32_e32 vcc, s38, v2
	v_mov_b32_e32 v9, 0
	v_mov_b32_e32 v11, 0
	;; [unrolled: 1-line block ×13, first 2 shown]
	s_and_saveexec_b64 s[6:7], vcc
	s_cbranch_execz .LBB27_33
; %bb.6:
	v_mov_b32_e32 v2, s11
	v_add_co_u32_e32 v1, vcc, s10, v1
	v_addc_co_u32_e32 v2, vcc, 0, v2, vcc
	global_load_ubyte v10, v[1:2], off offset:512
	v_or_b32_e32 v9, 0x300, v0
	v_cmp_gt_u32_e32 vcc, s38, v9
	v_mov_b32_e32 v9, 0
	v_mov_b32_e32 v11, 0
	;; [unrolled: 1-line block ×13, first 2 shown]
	s_and_saveexec_b64 s[10:11], vcc
	s_cbranch_execz .LBB27_32
; %bb.7:
	global_load_ubyte v9, v[1:2], off offset:768
	v_or_b32_e32 v11, 0x400, v0
	v_cmp_gt_u32_e32 vcc, s38, v11
	v_mov_b32_e32 v11, 0
	v_mov_b32_e32 v13, 0
	;; [unrolled: 1-line block ×12, first 2 shown]
	s_and_saveexec_b64 s[12:13], vcc
	s_cbranch_execz .LBB27_31
; %bb.8:
	global_load_ubyte v11, v[1:2], off offset:1024
	v_or_b32_e32 v12, 0x500, v0
	v_cmp_gt_u32_e32 vcc, s38, v12
	v_mov_b32_e32 v13, 0
	v_mov_b32_e32 v12, 0
	;; [unrolled: 1-line block ×11, first 2 shown]
	s_and_saveexec_b64 s[14:15], vcc
	s_cbranch_execz .LBB27_30
; %bb.9:
	global_load_ubyte v13, v[1:2], off offset:1280
	v_or_b32_e32 v12, 0x600, v0
	v_cmp_gt_u32_e32 vcc, s38, v12
	v_mov_b32_e32 v12, 0
	v_mov_b32_e32 v14, 0
	;; [unrolled: 1-line block ×10, first 2 shown]
	s_and_saveexec_b64 s[16:17], vcc
	s_cbranch_execz .LBB27_29
; %bb.10:
	global_load_ubyte v12, v[1:2], off offset:1536
	v_or_b32_e32 v14, 0x700, v0
	v_cmp_gt_u32_e32 vcc, s38, v14
	v_mov_b32_e32 v14, 0
	v_mov_b32_e32 v15, 0
	;; [unrolled: 1-line block ×9, first 2 shown]
	s_and_saveexec_b64 s[18:19], vcc
	s_cbranch_execz .LBB27_28
; %bb.11:
	global_load_ubyte v14, v[1:2], off offset:1792
	v_or_b32_e32 v15, 0x800, v0
	v_cmp_gt_u32_e32 vcc, s38, v15
	v_mov_b32_e32 v15, 0
	v_mov_b32_e32 v16, 0
	;; [unrolled: 1-line block ×8, first 2 shown]
	s_and_saveexec_b64 s[20:21], vcc
	s_cbranch_execz .LBB27_27
; %bb.12:
	global_load_ubyte v15, v[1:2], off offset:2048
	v_or_b32_e32 v16, 0x900, v0
	v_cmp_gt_u32_e32 vcc, s38, v16
	v_mov_b32_e32 v16, 0
	v_mov_b32_e32 v17, 0
	;; [unrolled: 1-line block ×7, first 2 shown]
	s_and_saveexec_b64 s[22:23], vcc
	s_cbranch_execz .LBB27_26
; %bb.13:
	global_load_ubyte v16, v[1:2], off offset:2304
	v_or_b32_e32 v17, 0xa00, v0
	v_cmp_gt_u32_e32 vcc, s38, v17
	v_mov_b32_e32 v17, 0
	v_mov_b32_e32 v18, 0
	;; [unrolled: 1-line block ×6, first 2 shown]
	s_and_saveexec_b64 s[24:25], vcc
	s_cbranch_execz .LBB27_25
; %bb.14:
	global_load_ubyte v17, v[1:2], off offset:2560
	v_or_b32_e32 v18, 0xb00, v0
	v_cmp_gt_u32_e32 vcc, s38, v18
	v_mov_b32_e32 v18, 0
	v_mov_b32_e32 v19, 0
	;; [unrolled: 1-line block ×5, first 2 shown]
	s_and_saveexec_b64 s[26:27], vcc
	s_cbranch_execz .LBB27_24
; %bb.15:
	global_load_ubyte v18, v[1:2], off offset:2816
	v_or_b32_e32 v19, 0xc00, v0
	v_cmp_gt_u32_e32 vcc, s38, v19
	v_mov_b32_e32 v19, 0
	v_mov_b32_e32 v20, 0
	;; [unrolled: 1-line block ×4, first 2 shown]
	s_and_saveexec_b64 s[28:29], vcc
	s_cbranch_execz .LBB27_23
; %bb.16:
	global_load_ubyte v19, v[1:2], off offset:3072
	v_or_b32_e32 v20, 0xd00, v0
	v_cmp_gt_u32_e32 vcc, s38, v20
	v_mov_b32_e32 v20, 0
	v_mov_b32_e32 v21, 0
	;; [unrolled: 1-line block ×3, first 2 shown]
	s_and_saveexec_b64 s[30:31], vcc
	s_cbranch_execz .LBB27_22
; %bb.17:
	global_load_ubyte v20, v[1:2], off offset:3328
	v_or_b32_e32 v21, 0xe00, v0
	v_cmp_gt_u32_e32 vcc, s38, v21
	v_mov_b32_e32 v21, 0
	v_mov_b32_e32 v22, 0
	s_and_saveexec_b64 s[34:35], vcc
	s_cbranch_execz .LBB27_21
; %bb.18:
	global_load_ubyte v21, v[1:2], off offset:3584
	v_or_b32_e32 v22, 0xf00, v0
	v_cmp_gt_u32_e32 vcc, s38, v22
	v_mov_b32_e32 v22, 0
	s_and_saveexec_b64 s[36:37], vcc
	s_cbranch_execz .LBB27_20
; %bb.19:
	global_load_ubyte v22, v[1:2], off offset:3840
.LBB27_20:
	s_or_b64 exec, exec, s[36:37]
.LBB27_21:
	s_or_b64 exec, exec, s[34:35]
.LBB27_22:
	s_or_b64 exec, exec, s[30:31]
.LBB27_23:
	s_or_b64 exec, exec, s[28:29]
.LBB27_24:
	s_or_b64 exec, exec, s[26:27]
.LBB27_25:
	s_or_b64 exec, exec, s[24:25]
.LBB27_26:
	s_or_b64 exec, exec, s[22:23]
.LBB27_27:
	s_or_b64 exec, exec, s[20:21]
.LBB27_28:
	s_or_b64 exec, exec, s[18:19]
.LBB27_29:
	s_or_b64 exec, exec, s[16:17]
.LBB27_30:
	s_or_b64 exec, exec, s[14:15]
.LBB27_31:
	s_or_b64 exec, exec, s[12:13]
.LBB27_32:
	s_or_b64 exec, exec, s[10:11]
.LBB27_33:
	s_or_b64 exec, exec, s[6:7]
.LBB27_34:
	s_or_b64 exec, exec, s[4:5]
.LBB27_35:
	s_or_b64 exec, exec, s[2:3]
	v_cmp_gt_i32_sdwa vcc, sext(v5), sext(v5) src0_sel:BYTE_2 src1_sel:BYTE_0
	s_waitcnt vmcnt(0)
	v_cndmask_b32_e32 v1, v3, v8, vcc
	s_mov_b32 s5, 0xffff
	v_and_b32_sdwa v1, s5, v1 dst_sel:DWORD dst_unused:UNUSED_PAD src0_sel:DWORD src1_sel:BYTE_0
	v_cndmask_b32_e32 v2, v3, v7, vcc
	v_cndmask_b32_e64 v1, 0, v1, s[0:1]
	v_lshlrev_b16_e32 v2, 8, v2
	v_or_b32_e32 v2, v1, v2
	v_and_b32_e32 v2, 0xffff, v2
	v_cmp_gt_i32_e64 s[2:3], s38, v4
	v_cndmask_b32_e64 v1, v1, v2, s[2:3]
	v_cndmask_b32_e32 v5, v3, v10, vcc
	s_mov_b32 s6, 0xc0c0304
	v_or_b32_e32 v2, 0x200, v0
	v_perm_b32 v5, v5, v1, s6
	v_lshl_or_b32 v5, v5, 16, v1
	v_cmp_gt_i32_e64 s[2:3], s38, v2
	s_movk_i32 s4, 0xff
	v_cndmask_b32_e64 v1, v1, v5, s[2:3]
	v_cndmask_b32_e32 v7, v3, v9, vcc
	v_and_b32_sdwa v2, v1, s4 dst_sel:DWORD dst_unused:UNUSED_PAD src0_sel:WORD_1 src1_sel:DWORD
	v_lshlrev_b16_e32 v7, 8, v7
	v_or_b32_e32 v5, 0x300, v0
	v_or_b32_sdwa v2, v2, v7 dst_sel:WORD_1 dst_unused:UNUSED_PAD src0_sel:DWORD src1_sel:DWORD
	v_and_or_b32 v2, v1, s5, v2
	v_cmp_gt_i32_e64 s[2:3], s38, v5
	v_cndmask_b32_e64 v7, v1, v2, s[2:3]
	v_cndmask_b32_e32 v1, v3, v11, vcc
	s_mov_b32 s7, 0x3020104
	v_or_b32_e32 v2, 0x400, v0
	v_perm_b32 v1, v1, 0, s7
	v_cmp_gt_i32_e64 s[2:3], s38, v2
	v_cndmask_b32_e32 v2, v3, v13, vcc
	v_cndmask_b32_e64 v1, 0, v1, s[2:3]
	v_lshlrev_b16_e32 v2, 8, v2
	v_or_b32_sdwa v2, v1, v2 dst_sel:DWORD dst_unused:UNUSED_PAD src0_sel:BYTE_0 src1_sel:DWORD
	v_and_b32_e32 v2, 0xffff, v2
	s_mov_b32 s10, 0xffff0000
	v_or_b32_e32 v5, 0x500, v0
	v_and_or_b32 v2, v1, s10, v2
	v_cmp_gt_i32_e64 s[2:3], s38, v5
	v_cndmask_b32_e64 v1, v1, v2, s[2:3]
	v_or_b32_e32 v2, 0x600, v0
	v_cndmask_b32_e32 v5, v3, v12, vcc
	s_mov_b32 s11, 0x7000504
	v_perm_b32 v5, v1, v5, s11
	v_cmp_gt_i32_e64 s[2:3], s38, v2
	v_cndmask_b32_e64 v1, v1, v5, s[2:3]
	v_cndmask_b32_e32 v8, v3, v14, vcc
	v_and_b32_sdwa v2, v1, s4 dst_sel:DWORD dst_unused:UNUSED_PAD src0_sel:WORD_1 src1_sel:DWORD
	v_lshlrev_b16_e32 v8, 8, v8
	v_or_b32_e32 v5, 0x700, v0
	v_or_b32_sdwa v2, v2, v8 dst_sel:WORD_1 dst_unused:UNUSED_PAD src0_sel:DWORD src1_sel:DWORD
	v_and_or_b32 v2, v1, s5, v2
	v_cmp_gt_i32_e64 s[2:3], s38, v5
	v_cndmask_b32_e64 v5, v1, v2, s[2:3]
	v_or_b32_e32 v1, 0x800, v0
	v_cndmask_b32_e32 v2, v3, v15, vcc
	v_and_b32_sdwa v2, s5, v2 dst_sel:DWORD dst_unused:UNUSED_PAD src0_sel:DWORD src1_sel:BYTE_0
	v_cmp_gt_i32_e64 s[2:3], s38, v1
	v_cndmask_b32_e32 v8, v3, v16, vcc
	v_cndmask_b32_e64 v1, 0, v2, s[2:3]
	v_lshlrev_b16_e32 v8, 8, v8
	v_or_b32_e32 v2, 0x900, v0
	v_or_b32_e32 v8, v1, v8
	v_and_b32_e32 v8, 0xffff, v8
	v_cmp_gt_i32_e64 s[2:3], s38, v2
	v_cndmask_b32_e64 v1, v1, v8, s[2:3]
	v_cndmask_b32_e32 v8, v3, v17, vcc
	v_or_b32_e32 v2, 0xa00, v0
	v_perm_b32 v8, v8, v1, s6
	v_lshl_or_b32 v8, v8, 16, v1
	v_cmp_gt_i32_e64 s[2:3], s38, v2
	v_cndmask_b32_e64 v1, v1, v8, s[2:3]
	v_cndmask_b32_e32 v9, v3, v18, vcc
	v_and_b32_sdwa v2, v1, s4 dst_sel:DWORD dst_unused:UNUSED_PAD src0_sel:WORD_1 src1_sel:DWORD
	v_lshlrev_b16_e32 v9, 8, v9
	v_or_b32_e32 v8, 0xb00, v0
	v_or_b32_sdwa v2, v2, v9 dst_sel:WORD_1 dst_unused:UNUSED_PAD src0_sel:DWORD src1_sel:DWORD
	v_and_or_b32 v2, v1, s5, v2
	v_cmp_gt_i32_e64 s[2:3], s38, v8
	v_cndmask_b32_e64 v2, v1, v2, s[2:3]
	v_cndmask_b32_e32 v1, v3, v19, vcc
	v_or_b32_e32 v8, 0xc00, v0
	v_perm_b32 v1, v1, 0, s7
	v_cmp_gt_i32_e64 s[2:3], s38, v8
	v_cndmask_b32_e32 v8, v3, v20, vcc
	v_cndmask_b32_e64 v1, 0, v1, s[2:3]
	v_lshlrev_b16_e32 v8, 8, v8
	v_or_b32_sdwa v8, v1, v8 dst_sel:DWORD dst_unused:UNUSED_PAD src0_sel:BYTE_0 src1_sel:DWORD
	v_and_b32_e32 v8, 0xffff, v8
	v_or_b32_e32 v9, 0xd00, v0
	v_and_or_b32 v8, v1, s10, v8
	v_cmp_gt_i32_e64 s[2:3], s38, v9
	v_cndmask_b32_e64 v1, v1, v8, s[2:3]
	v_or_b32_e32 v8, 0xe00, v0
	v_cndmask_b32_e32 v9, v3, v21, vcc
	v_perm_b32 v9, v1, v9, s11
	v_cmp_gt_i32_e64 s[2:3], s38, v8
	v_cndmask_b32_e64 v1, v1, v9, s[2:3]
	v_and_b32_sdwa v8, v1, s4 dst_sel:DWORD dst_unused:UNUSED_PAD src0_sel:WORD_1 src1_sel:DWORD
	v_cndmask_b32_sdwa v3, v3, v22, vcc dst_sel:BYTE_1 dst_unused:UNUSED_PAD src0_sel:DWORD src1_sel:DWORD
	v_or_b32_e32 v9, 0xf00, v0
	v_or_b32_sdwa v3, v8, v3 dst_sel:WORD_1 dst_unused:UNUSED_PAD src0_sel:DWORD src1_sel:DWORD
	v_and_or_b32 v3, v1, s5, v3
	v_cmp_gt_i32_e32 vcc, s38, v9
	v_cndmask_b32_e32 v1, v1, v3, vcc
	s_and_saveexec_b64 s[2:3], s[0:1]
	s_cbranch_execnz .LBB27_53
; %bb.36:
	s_or_b64 exec, exec, s[2:3]
	v_cmp_gt_i32_e32 vcc, s38, v0
	s_and_saveexec_b64 s[0:1], vcc
	s_cbranch_execnz .LBB27_54
.LBB27_37:
	s_or_b64 exec, exec, s[0:1]
	v_cmp_gt_i32_e32 vcc, s38, v0
	s_and_saveexec_b64 s[0:1], vcc
	s_cbranch_execnz .LBB27_55
.LBB27_38:
	s_or_b64 exec, exec, s[0:1]
	v_cmp_gt_i32_e32 vcc, s38, v0
	s_and_saveexec_b64 s[0:1], vcc
	s_cbranch_execnz .LBB27_56
.LBB27_39:
	s_or_b64 exec, exec, s[0:1]
	v_cmp_gt_i32_e32 vcc, s38, v0
	s_and_saveexec_b64 s[0:1], vcc
	s_cbranch_execnz .LBB27_57
.LBB27_40:
	s_or_b64 exec, exec, s[0:1]
	v_cmp_gt_i32_e32 vcc, s38, v0
	s_and_saveexec_b64 s[0:1], vcc
	s_cbranch_execnz .LBB27_58
.LBB27_41:
	s_or_b64 exec, exec, s[0:1]
	v_cmp_gt_i32_e32 vcc, s38, v0
	s_and_saveexec_b64 s[0:1], vcc
	s_cbranch_execnz .LBB27_59
.LBB27_42:
	s_or_b64 exec, exec, s[0:1]
	v_cmp_gt_i32_e32 vcc, s38, v0
	s_and_saveexec_b64 s[0:1], vcc
	s_cbranch_execnz .LBB27_60
.LBB27_43:
	s_or_b64 exec, exec, s[0:1]
	v_cmp_gt_i32_e32 vcc, s38, v0
	s_and_saveexec_b64 s[0:1], vcc
	s_cbranch_execnz .LBB27_61
.LBB27_44:
	s_or_b64 exec, exec, s[0:1]
	v_cmp_gt_i32_e32 vcc, s38, v0
	s_and_saveexec_b64 s[0:1], vcc
	s_cbranch_execnz .LBB27_62
.LBB27_45:
	s_or_b64 exec, exec, s[0:1]
	v_cmp_gt_i32_e32 vcc, s38, v0
	s_and_saveexec_b64 s[0:1], vcc
	s_cbranch_execnz .LBB27_63
.LBB27_46:
	s_or_b64 exec, exec, s[0:1]
	v_cmp_gt_i32_e32 vcc, s38, v0
	s_and_saveexec_b64 s[0:1], vcc
	s_cbranch_execnz .LBB27_64
.LBB27_47:
	s_or_b64 exec, exec, s[0:1]
	v_cmp_gt_i32_e32 vcc, s38, v0
	s_and_saveexec_b64 s[0:1], vcc
	s_cbranch_execnz .LBB27_65
.LBB27_48:
	s_or_b64 exec, exec, s[0:1]
	v_cmp_gt_i32_e32 vcc, s38, v0
	s_and_saveexec_b64 s[0:1], vcc
	s_cbranch_execnz .LBB27_66
.LBB27_49:
	s_or_b64 exec, exec, s[0:1]
	v_cmp_gt_i32_e32 vcc, s38, v0
	s_and_saveexec_b64 s[0:1], vcc
	s_cbranch_execnz .LBB27_67
.LBB27_50:
	s_or_b64 exec, exec, s[0:1]
	v_cmp_gt_i32_e32 vcc, s38, v0
	s_and_saveexec_b64 s[0:1], vcc
	s_cbranch_execz .LBB27_52
.LBB27_51:
	v_lshrrev_b32_e32 v1, 24, v1
	v_add_u32_e32 v0, s33, v0
	global_store_byte v0, v1, s[8:9]
.LBB27_52:
	s_endpgm
.LBB27_53:
	v_mov_b32_e32 v0, v4
	global_store_byte v6, v7, s[8:9]
	s_or_b64 exec, exec, s[2:3]
	v_cmp_gt_i32_e32 vcc, s38, v0
	s_and_saveexec_b64 s[0:1], vcc
	s_cbranch_execz .LBB27_37
.LBB27_54:
	v_lshrrev_b32_e32 v3, 8, v7
	v_add_u32_e32 v4, s33, v0
	v_add_u32_e32 v0, 0x100, v0
	global_store_byte v4, v3, s[8:9]
	s_or_b64 exec, exec, s[0:1]
	v_cmp_gt_i32_e32 vcc, s38, v0
	s_and_saveexec_b64 s[0:1], vcc
	s_cbranch_execz .LBB27_38
.LBB27_55:
	v_add_u32_e32 v3, s33, v0
	v_add_u32_e32 v0, 0x100, v0
	global_store_byte_d16_hi v3, v7, s[8:9]
	s_or_b64 exec, exec, s[0:1]
	v_cmp_gt_i32_e32 vcc, s38, v0
	s_and_saveexec_b64 s[0:1], vcc
	s_cbranch_execz .LBB27_39
.LBB27_56:
	v_lshrrev_b32_e32 v3, 24, v7
	v_add_u32_e32 v4, s33, v0
	v_add_u32_e32 v0, 0x100, v0
	global_store_byte v4, v3, s[8:9]
	s_or_b64 exec, exec, s[0:1]
	v_cmp_gt_i32_e32 vcc, s38, v0
	s_and_saveexec_b64 s[0:1], vcc
	s_cbranch_execz .LBB27_40
.LBB27_57:
	v_add_u32_e32 v3, s33, v0
	v_add_u32_e32 v0, 0x100, v0
	global_store_byte v3, v5, s[8:9]
	s_or_b64 exec, exec, s[0:1]
	v_cmp_gt_i32_e32 vcc, s38, v0
	s_and_saveexec_b64 s[0:1], vcc
	s_cbranch_execz .LBB27_41
.LBB27_58:
	v_lshrrev_b32_e32 v3, 8, v5
	v_add_u32_e32 v4, s33, v0
	v_add_u32_e32 v0, 0x100, v0
	global_store_byte v4, v3, s[8:9]
	s_or_b64 exec, exec, s[0:1]
	v_cmp_gt_i32_e32 vcc, s38, v0
	s_and_saveexec_b64 s[0:1], vcc
	s_cbranch_execz .LBB27_42
.LBB27_59:
	v_add_u32_e32 v3, s33, v0
	v_add_u32_e32 v0, 0x100, v0
	global_store_byte_d16_hi v3, v5, s[8:9]
	s_or_b64 exec, exec, s[0:1]
	v_cmp_gt_i32_e32 vcc, s38, v0
	s_and_saveexec_b64 s[0:1], vcc
	s_cbranch_execz .LBB27_43
.LBB27_60:
	v_lshrrev_b32_e32 v3, 24, v5
	v_add_u32_e32 v4, s33, v0
	v_add_u32_e32 v0, 0x100, v0
	global_store_byte v4, v3, s[8:9]
	s_or_b64 exec, exec, s[0:1]
	v_cmp_gt_i32_e32 vcc, s38, v0
	s_and_saveexec_b64 s[0:1], vcc
	s_cbranch_execz .LBB27_44
.LBB27_61:
	v_add_u32_e32 v3, s33, v0
	v_add_u32_e32 v0, 0x100, v0
	global_store_byte v3, v2, s[8:9]
	s_or_b64 exec, exec, s[0:1]
	v_cmp_gt_i32_e32 vcc, s38, v0
	s_and_saveexec_b64 s[0:1], vcc
	s_cbranch_execz .LBB27_45
.LBB27_62:
	v_lshrrev_b32_e32 v3, 8, v2
	v_add_u32_e32 v4, s33, v0
	v_add_u32_e32 v0, 0x100, v0
	global_store_byte v4, v3, s[8:9]
	s_or_b64 exec, exec, s[0:1]
	v_cmp_gt_i32_e32 vcc, s38, v0
	s_and_saveexec_b64 s[0:1], vcc
	s_cbranch_execz .LBB27_46
.LBB27_63:
	v_add_u32_e32 v3, s33, v0
	v_add_u32_e32 v0, 0x100, v0
	global_store_byte_d16_hi v3, v2, s[8:9]
	s_or_b64 exec, exec, s[0:1]
	v_cmp_gt_i32_e32 vcc, s38, v0
	s_and_saveexec_b64 s[0:1], vcc
	s_cbranch_execz .LBB27_47
.LBB27_64:
	v_lshrrev_b32_e32 v2, 24, v2
	v_add_u32_e32 v3, s33, v0
	v_add_u32_e32 v0, 0x100, v0
	global_store_byte v3, v2, s[8:9]
	s_or_b64 exec, exec, s[0:1]
	v_cmp_gt_i32_e32 vcc, s38, v0
	s_and_saveexec_b64 s[0:1], vcc
	s_cbranch_execz .LBB27_48
.LBB27_65:
	v_add_u32_e32 v2, s33, v0
	v_add_u32_e32 v0, 0x100, v0
	global_store_byte v2, v1, s[8:9]
	s_or_b64 exec, exec, s[0:1]
	v_cmp_gt_i32_e32 vcc, s38, v0
	s_and_saveexec_b64 s[0:1], vcc
	s_cbranch_execz .LBB27_49
.LBB27_66:
	v_lshrrev_b32_e32 v2, 8, v1
	v_add_u32_e32 v3, s33, v0
	v_add_u32_e32 v0, 0x100, v0
	global_store_byte v3, v2, s[8:9]
	s_or_b64 exec, exec, s[0:1]
	v_cmp_gt_i32_e32 vcc, s38, v0
	s_and_saveexec_b64 s[0:1], vcc
	s_cbranch_execz .LBB27_50
.LBB27_67:
	v_add_u32_e32 v2, s33, v0
	v_add_u32_e32 v0, 0x100, v0
	global_store_byte_d16_hi v2, v1, s[8:9]
	s_or_b64 exec, exec, s[0:1]
	v_cmp_gt_i32_e32 vcc, s38, v0
	s_and_saveexec_b64 s[0:1], vcc
	s_cbranch_execnz .LBB27_51
	s_branch .LBB27_52
	.section	.rodata,"a",@progbits
	.p2align	6, 0x0
	.amdhsa_kernel _ZN2at6native29vectorized_elementwise_kernelILi2ENS0_13AUnaryFunctorIaaaZNS0_12_GLOBAL__N_121threshold_kernel_implIaEEvRNS_18TensorIteratorBaseET_S7_EUlaaE_EESt5arrayIPcLm2EEEEviT0_T1_
		.amdhsa_group_segment_fixed_size 0
		.amdhsa_private_segment_fixed_size 0
		.amdhsa_kernarg_size 24
		.amdhsa_user_sgpr_count 6
		.amdhsa_user_sgpr_private_segment_buffer 1
		.amdhsa_user_sgpr_dispatch_ptr 0
		.amdhsa_user_sgpr_queue_ptr 0
		.amdhsa_user_sgpr_kernarg_segment_ptr 1
		.amdhsa_user_sgpr_dispatch_id 0
		.amdhsa_user_sgpr_flat_scratch_init 0
		.amdhsa_user_sgpr_private_segment_size 0
		.amdhsa_uses_dynamic_stack 0
		.amdhsa_system_sgpr_private_segment_wavefront_offset 0
		.amdhsa_system_sgpr_workgroup_id_x 1
		.amdhsa_system_sgpr_workgroup_id_y 0
		.amdhsa_system_sgpr_workgroup_id_z 0
		.amdhsa_system_sgpr_workgroup_info 0
		.amdhsa_system_vgpr_workitem_id 0
		.amdhsa_next_free_vgpr 23
		.amdhsa_next_free_sgpr 39
		.amdhsa_reserve_vcc 1
		.amdhsa_reserve_flat_scratch 0
		.amdhsa_float_round_mode_32 0
		.amdhsa_float_round_mode_16_64 0
		.amdhsa_float_denorm_mode_32 3
		.amdhsa_float_denorm_mode_16_64 3
		.amdhsa_dx10_clamp 1
		.amdhsa_ieee_mode 1
		.amdhsa_fp16_overflow 0
		.amdhsa_exception_fp_ieee_invalid_op 0
		.amdhsa_exception_fp_denorm_src 0
		.amdhsa_exception_fp_ieee_div_zero 0
		.amdhsa_exception_fp_ieee_overflow 0
		.amdhsa_exception_fp_ieee_underflow 0
		.amdhsa_exception_fp_ieee_inexact 0
		.amdhsa_exception_int_div_zero 0
	.end_amdhsa_kernel
	.section	.text._ZN2at6native29vectorized_elementwise_kernelILi2ENS0_13AUnaryFunctorIaaaZNS0_12_GLOBAL__N_121threshold_kernel_implIaEEvRNS_18TensorIteratorBaseET_S7_EUlaaE_EESt5arrayIPcLm2EEEEviT0_T1_,"axG",@progbits,_ZN2at6native29vectorized_elementwise_kernelILi2ENS0_13AUnaryFunctorIaaaZNS0_12_GLOBAL__N_121threshold_kernel_implIaEEvRNS_18TensorIteratorBaseET_S7_EUlaaE_EESt5arrayIPcLm2EEEEviT0_T1_,comdat
.Lfunc_end27:
	.size	_ZN2at6native29vectorized_elementwise_kernelILi2ENS0_13AUnaryFunctorIaaaZNS0_12_GLOBAL__N_121threshold_kernel_implIaEEvRNS_18TensorIteratorBaseET_S7_EUlaaE_EESt5arrayIPcLm2EEEEviT0_T1_, .Lfunc_end27-_ZN2at6native29vectorized_elementwise_kernelILi2ENS0_13AUnaryFunctorIaaaZNS0_12_GLOBAL__N_121threshold_kernel_implIaEEvRNS_18TensorIteratorBaseET_S7_EUlaaE_EESt5arrayIPcLm2EEEEviT0_T1_
                                        ; -- End function
	.set _ZN2at6native29vectorized_elementwise_kernelILi2ENS0_13AUnaryFunctorIaaaZNS0_12_GLOBAL__N_121threshold_kernel_implIaEEvRNS_18TensorIteratorBaseET_S7_EUlaaE_EESt5arrayIPcLm2EEEEviT0_T1_.num_vgpr, 23
	.set _ZN2at6native29vectorized_elementwise_kernelILi2ENS0_13AUnaryFunctorIaaaZNS0_12_GLOBAL__N_121threshold_kernel_implIaEEvRNS_18TensorIteratorBaseET_S7_EUlaaE_EESt5arrayIPcLm2EEEEviT0_T1_.num_agpr, 0
	.set _ZN2at6native29vectorized_elementwise_kernelILi2ENS0_13AUnaryFunctorIaaaZNS0_12_GLOBAL__N_121threshold_kernel_implIaEEvRNS_18TensorIteratorBaseET_S7_EUlaaE_EESt5arrayIPcLm2EEEEviT0_T1_.numbered_sgpr, 39
	.set _ZN2at6native29vectorized_elementwise_kernelILi2ENS0_13AUnaryFunctorIaaaZNS0_12_GLOBAL__N_121threshold_kernel_implIaEEvRNS_18TensorIteratorBaseET_S7_EUlaaE_EESt5arrayIPcLm2EEEEviT0_T1_.num_named_barrier, 0
	.set _ZN2at6native29vectorized_elementwise_kernelILi2ENS0_13AUnaryFunctorIaaaZNS0_12_GLOBAL__N_121threshold_kernel_implIaEEvRNS_18TensorIteratorBaseET_S7_EUlaaE_EESt5arrayIPcLm2EEEEviT0_T1_.private_seg_size, 0
	.set _ZN2at6native29vectorized_elementwise_kernelILi2ENS0_13AUnaryFunctorIaaaZNS0_12_GLOBAL__N_121threshold_kernel_implIaEEvRNS_18TensorIteratorBaseET_S7_EUlaaE_EESt5arrayIPcLm2EEEEviT0_T1_.uses_vcc, 1
	.set _ZN2at6native29vectorized_elementwise_kernelILi2ENS0_13AUnaryFunctorIaaaZNS0_12_GLOBAL__N_121threshold_kernel_implIaEEvRNS_18TensorIteratorBaseET_S7_EUlaaE_EESt5arrayIPcLm2EEEEviT0_T1_.uses_flat_scratch, 0
	.set _ZN2at6native29vectorized_elementwise_kernelILi2ENS0_13AUnaryFunctorIaaaZNS0_12_GLOBAL__N_121threshold_kernel_implIaEEvRNS_18TensorIteratorBaseET_S7_EUlaaE_EESt5arrayIPcLm2EEEEviT0_T1_.has_dyn_sized_stack, 0
	.set _ZN2at6native29vectorized_elementwise_kernelILi2ENS0_13AUnaryFunctorIaaaZNS0_12_GLOBAL__N_121threshold_kernel_implIaEEvRNS_18TensorIteratorBaseET_S7_EUlaaE_EESt5arrayIPcLm2EEEEviT0_T1_.has_recursion, 0
	.set _ZN2at6native29vectorized_elementwise_kernelILi2ENS0_13AUnaryFunctorIaaaZNS0_12_GLOBAL__N_121threshold_kernel_implIaEEvRNS_18TensorIteratorBaseET_S7_EUlaaE_EESt5arrayIPcLm2EEEEviT0_T1_.has_indirect_call, 0
	.section	.AMDGPU.csdata,"",@progbits
; Kernel info:
; codeLenInByte = 3132
; TotalNumSgprs: 43
; NumVgprs: 23
; ScratchSize: 0
; MemoryBound: 0
; FloatMode: 240
; IeeeMode: 1
; LDSByteSize: 0 bytes/workgroup (compile time only)
; SGPRBlocks: 5
; VGPRBlocks: 5
; NumSGPRsForWavesPerEU: 43
; NumVGPRsForWavesPerEU: 23
; Occupancy: 10
; WaveLimiterHint : 1
; COMPUTE_PGM_RSRC2:SCRATCH_EN: 0
; COMPUTE_PGM_RSRC2:USER_SGPR: 6
; COMPUTE_PGM_RSRC2:TRAP_HANDLER: 0
; COMPUTE_PGM_RSRC2:TGID_X_EN: 1
; COMPUTE_PGM_RSRC2:TGID_Y_EN: 0
; COMPUTE_PGM_RSRC2:TGID_Z_EN: 0
; COMPUTE_PGM_RSRC2:TIDIG_COMP_CNT: 0
	.section	.text._ZN2at6native27unrolled_elementwise_kernelINS0_13AUnaryFunctorIaaaZNS0_12_GLOBAL__N_121threshold_kernel_implIaEEvRNS_18TensorIteratorBaseET_S7_EUlaaE_EESt5arrayIPcLm2EELi4E23TrivialOffsetCalculatorILi1EjESE_NS0_6memory15LoadWithoutCastENSF_16StoreWithoutCastEEEviS7_T0_T2_T3_T4_T5_,"axG",@progbits,_ZN2at6native27unrolled_elementwise_kernelINS0_13AUnaryFunctorIaaaZNS0_12_GLOBAL__N_121threshold_kernel_implIaEEvRNS_18TensorIteratorBaseET_S7_EUlaaE_EESt5arrayIPcLm2EELi4E23TrivialOffsetCalculatorILi1EjESE_NS0_6memory15LoadWithoutCastENSF_16StoreWithoutCastEEEviS7_T0_T2_T3_T4_T5_,comdat
	.globl	_ZN2at6native27unrolled_elementwise_kernelINS0_13AUnaryFunctorIaaaZNS0_12_GLOBAL__N_121threshold_kernel_implIaEEvRNS_18TensorIteratorBaseET_S7_EUlaaE_EESt5arrayIPcLm2EELi4E23TrivialOffsetCalculatorILi1EjESE_NS0_6memory15LoadWithoutCastENSF_16StoreWithoutCastEEEviS7_T0_T2_T3_T4_T5_ ; -- Begin function _ZN2at6native27unrolled_elementwise_kernelINS0_13AUnaryFunctorIaaaZNS0_12_GLOBAL__N_121threshold_kernel_implIaEEvRNS_18TensorIteratorBaseET_S7_EUlaaE_EESt5arrayIPcLm2EELi4E23TrivialOffsetCalculatorILi1EjESE_NS0_6memory15LoadWithoutCastENSF_16StoreWithoutCastEEEviS7_T0_T2_T3_T4_T5_
	.p2align	8
	.type	_ZN2at6native27unrolled_elementwise_kernelINS0_13AUnaryFunctorIaaaZNS0_12_GLOBAL__N_121threshold_kernel_implIaEEvRNS_18TensorIteratorBaseET_S7_EUlaaE_EESt5arrayIPcLm2EELi4E23TrivialOffsetCalculatorILi1EjESE_NS0_6memory15LoadWithoutCastENSF_16StoreWithoutCastEEEviS7_T0_T2_T3_T4_T5_,@function
_ZN2at6native27unrolled_elementwise_kernelINS0_13AUnaryFunctorIaaaZNS0_12_GLOBAL__N_121threshold_kernel_implIaEEvRNS_18TensorIteratorBaseET_S7_EUlaaE_EESt5arrayIPcLm2EELi4E23TrivialOffsetCalculatorILi1EjESE_NS0_6memory15LoadWithoutCastENSF_16StoreWithoutCastEEEviS7_T0_T2_T3_T4_T5_: ; @_ZN2at6native27unrolled_elementwise_kernelINS0_13AUnaryFunctorIaaaZNS0_12_GLOBAL__N_121threshold_kernel_implIaEEvRNS_18TensorIteratorBaseET_S7_EUlaaE_EESt5arrayIPcLm2EELi4E23TrivialOffsetCalculatorILi1EjESE_NS0_6memory15LoadWithoutCastENSF_16StoreWithoutCastEEEviS7_T0_T2_T3_T4_T5_
; %bb.0:
	v_mov_b32_e32 v3, 0
	global_load_ubyte v6, v3, s[4:5] offset:6
	global_load_ushort v7, v3, s[4:5] offset:4
	s_load_dword s0, s[4:5], 0x0
	s_load_dwordx4 s[8:11], s[4:5], 0x8
	s_lshl_b32 s14, s6, 10
	v_mov_b32_e32 v4, 0
	v_mov_b32_e32 v5, 0
	s_waitcnt lgkmcnt(0)
	s_sub_i32 s15, s0, s14
	v_or_b32_e32 v1, 0x100, v0
	v_or_b32_e32 v2, s14, v0
	v_cmp_gt_i32_e64 s[0:1], s15, v0
	s_waitcnt vmcnt(1)
	v_lshlrev_b32_e32 v6, 16, v6
	s_waitcnt vmcnt(0)
	v_or_b32_e32 v6, v7, v6
	v_mov_b32_e32 v7, 0
	s_and_saveexec_b64 s[2:3], s[0:1]
	s_cbranch_execz .LBB28_8
; %bb.1:
	global_load_ubyte v7, v2, s[10:11]
	v_cmp_gt_u32_e32 vcc, s15, v1
	v_mov_b32_e32 v5, 0
	v_mov_b32_e32 v4, 0
	;; [unrolled: 1-line block ×3, first 2 shown]
	s_and_saveexec_b64 s[4:5], vcc
	s_cbranch_execz .LBB28_7
; %bb.2:
	v_add_u32_e32 v3, s14, v1
	global_load_ubyte v5, v3, s[10:11]
	v_or_b32_e32 v8, 0x200, v0
	v_cmp_gt_u32_e32 vcc, s15, v8
	v_mov_b32_e32 v4, 0
	v_mov_b32_e32 v3, 0
	s_and_saveexec_b64 s[6:7], vcc
	s_cbranch_execz .LBB28_6
; %bb.3:
	v_add_u32_e32 v3, s14, v8
	global_load_ubyte v4, v3, s[10:11]
	v_or_b32_e32 v8, 0x300, v0
	v_cmp_gt_u32_e32 vcc, s15, v8
	v_mov_b32_e32 v3, 0
	s_and_saveexec_b64 s[12:13], vcc
	s_cbranch_execz .LBB28_5
; %bb.4:
	v_add_u32_e32 v3, s14, v8
	global_load_ubyte v3, v3, s[10:11]
.LBB28_5:
	s_or_b64 exec, exec, s[12:13]
.LBB28_6:
	s_or_b64 exec, exec, s[6:7]
.LBB28_7:
	s_or_b64 exec, exec, s[4:5]
.LBB28_8:
	s_or_b64 exec, exec, s[2:3]
	v_lshrrev_b32_e32 v8, 8, v6
	v_cmp_gt_i32_sdwa vcc, sext(v6), sext(v6) src0_sel:BYTE_2 src1_sel:BYTE_0
	s_waitcnt vmcnt(0)
	v_cndmask_b32_e32 v6, v8, v7, vcc
	s_mov_b32 s5, 0xffff
	v_and_b32_sdwa v6, s5, v6 dst_sel:DWORD dst_unused:UNUSED_PAD src0_sel:DWORD src1_sel:BYTE_0
	v_cndmask_b32_e32 v5, v8, v5, vcc
	v_cndmask_b32_e64 v6, 0, v6, s[0:1]
	v_lshlrev_b16_e32 v5, 8, v5
	v_or_b32_e32 v5, v6, v5
	v_and_b32_e32 v5, 0xffff, v5
	v_cmp_gt_i32_e64 s[2:3], s15, v1
	v_cndmask_b32_e64 v5, v6, v5, s[2:3]
	v_cndmask_b32_e32 v4, v8, v4, vcc
	s_mov_b32 s2, 0xc0c0304
	v_or_b32_e32 v6, 0x200, v0
	v_perm_b32 v4, v4, v5, s2
	v_lshl_or_b32 v4, v4, 16, v5
	v_cmp_gt_i32_e64 s[2:3], s15, v6
	s_movk_i32 s4, 0xff
	v_cndmask_b32_e64 v4, v5, v4, s[2:3]
	v_and_b32_sdwa v5, v4, s4 dst_sel:DWORD dst_unused:UNUSED_PAD src0_sel:WORD_1 src1_sel:DWORD
	v_cndmask_b32_sdwa v3, v8, v3, vcc dst_sel:BYTE_1 dst_unused:UNUSED_PAD src0_sel:DWORD src1_sel:DWORD
	v_or_b32_e32 v6, 0x300, v0
	v_or_b32_sdwa v3, v5, v3 dst_sel:WORD_1 dst_unused:UNUSED_PAD src0_sel:DWORD src1_sel:DWORD
	v_and_or_b32 v3, v4, s5, v3
	v_cmp_gt_i32_e32 vcc, s15, v6
	v_cndmask_b32_e32 v3, v4, v3, vcc
	s_and_saveexec_b64 s[2:3], s[0:1]
	s_cbranch_execnz .LBB28_13
; %bb.9:
	s_or_b64 exec, exec, s[2:3]
	v_cmp_gt_i32_e32 vcc, s15, v0
	s_and_saveexec_b64 s[0:1], vcc
	s_cbranch_execnz .LBB28_14
.LBB28_10:
	s_or_b64 exec, exec, s[0:1]
	v_cmp_gt_i32_e32 vcc, s15, v0
	s_and_saveexec_b64 s[0:1], vcc
	s_cbranch_execnz .LBB28_15
.LBB28_11:
	s_or_b64 exec, exec, s[0:1]
	v_cmp_gt_i32_e32 vcc, s15, v0
	s_and_saveexec_b64 s[0:1], vcc
	s_cbranch_execnz .LBB28_16
.LBB28_12:
	s_endpgm
.LBB28_13:
	v_mov_b32_e32 v0, v1
	global_store_byte v2, v3, s[8:9]
	s_or_b64 exec, exec, s[2:3]
	v_cmp_gt_i32_e32 vcc, s15, v0
	s_and_saveexec_b64 s[0:1], vcc
	s_cbranch_execz .LBB28_10
.LBB28_14:
	v_add_u32_e32 v1, 0x100, v0
	v_add_u32_e32 v0, s14, v0
	v_lshrrev_b32_e32 v2, 8, v3
	global_store_byte v0, v2, s[8:9]
	v_mov_b32_e32 v0, v1
	s_or_b64 exec, exec, s[0:1]
	v_cmp_gt_i32_e32 vcc, s15, v0
	s_and_saveexec_b64 s[0:1], vcc
	s_cbranch_execz .LBB28_11
.LBB28_15:
	v_add_u32_e32 v1, 0x100, v0
	v_add_u32_e32 v0, s14, v0
	global_store_byte_d16_hi v0, v3, s[8:9]
	v_mov_b32_e32 v0, v1
	s_or_b64 exec, exec, s[0:1]
	v_cmp_gt_i32_e32 vcc, s15, v0
	s_and_saveexec_b64 s[0:1], vcc
	s_cbranch_execz .LBB28_12
.LBB28_16:
	v_add_u32_e32 v0, s14, v0
	v_lshrrev_b32_e32 v1, 24, v3
	global_store_byte v0, v1, s[8:9]
	s_endpgm
	.section	.rodata,"a",@progbits
	.p2align	6, 0x0
	.amdhsa_kernel _ZN2at6native27unrolled_elementwise_kernelINS0_13AUnaryFunctorIaaaZNS0_12_GLOBAL__N_121threshold_kernel_implIaEEvRNS_18TensorIteratorBaseET_S7_EUlaaE_EESt5arrayIPcLm2EELi4E23TrivialOffsetCalculatorILi1EjESE_NS0_6memory15LoadWithoutCastENSF_16StoreWithoutCastEEEviS7_T0_T2_T3_T4_T5_
		.amdhsa_group_segment_fixed_size 0
		.amdhsa_private_segment_fixed_size 0
		.amdhsa_kernarg_size 28
		.amdhsa_user_sgpr_count 6
		.amdhsa_user_sgpr_private_segment_buffer 1
		.amdhsa_user_sgpr_dispatch_ptr 0
		.amdhsa_user_sgpr_queue_ptr 0
		.amdhsa_user_sgpr_kernarg_segment_ptr 1
		.amdhsa_user_sgpr_dispatch_id 0
		.amdhsa_user_sgpr_flat_scratch_init 0
		.amdhsa_user_sgpr_private_segment_size 0
		.amdhsa_uses_dynamic_stack 0
		.amdhsa_system_sgpr_private_segment_wavefront_offset 0
		.amdhsa_system_sgpr_workgroup_id_x 1
		.amdhsa_system_sgpr_workgroup_id_y 0
		.amdhsa_system_sgpr_workgroup_id_z 0
		.amdhsa_system_sgpr_workgroup_info 0
		.amdhsa_system_vgpr_workitem_id 0
		.amdhsa_next_free_vgpr 9
		.amdhsa_next_free_sgpr 16
		.amdhsa_reserve_vcc 1
		.amdhsa_reserve_flat_scratch 0
		.amdhsa_float_round_mode_32 0
		.amdhsa_float_round_mode_16_64 0
		.amdhsa_float_denorm_mode_32 3
		.amdhsa_float_denorm_mode_16_64 3
		.amdhsa_dx10_clamp 1
		.amdhsa_ieee_mode 1
		.amdhsa_fp16_overflow 0
		.amdhsa_exception_fp_ieee_invalid_op 0
		.amdhsa_exception_fp_denorm_src 0
		.amdhsa_exception_fp_ieee_div_zero 0
		.amdhsa_exception_fp_ieee_overflow 0
		.amdhsa_exception_fp_ieee_underflow 0
		.amdhsa_exception_fp_ieee_inexact 0
		.amdhsa_exception_int_div_zero 0
	.end_amdhsa_kernel
	.section	.text._ZN2at6native27unrolled_elementwise_kernelINS0_13AUnaryFunctorIaaaZNS0_12_GLOBAL__N_121threshold_kernel_implIaEEvRNS_18TensorIteratorBaseET_S7_EUlaaE_EESt5arrayIPcLm2EELi4E23TrivialOffsetCalculatorILi1EjESE_NS0_6memory15LoadWithoutCastENSF_16StoreWithoutCastEEEviS7_T0_T2_T3_T4_T5_,"axG",@progbits,_ZN2at6native27unrolled_elementwise_kernelINS0_13AUnaryFunctorIaaaZNS0_12_GLOBAL__N_121threshold_kernel_implIaEEvRNS_18TensorIteratorBaseET_S7_EUlaaE_EESt5arrayIPcLm2EELi4E23TrivialOffsetCalculatorILi1EjESE_NS0_6memory15LoadWithoutCastENSF_16StoreWithoutCastEEEviS7_T0_T2_T3_T4_T5_,comdat
.Lfunc_end28:
	.size	_ZN2at6native27unrolled_elementwise_kernelINS0_13AUnaryFunctorIaaaZNS0_12_GLOBAL__N_121threshold_kernel_implIaEEvRNS_18TensorIteratorBaseET_S7_EUlaaE_EESt5arrayIPcLm2EELi4E23TrivialOffsetCalculatorILi1EjESE_NS0_6memory15LoadWithoutCastENSF_16StoreWithoutCastEEEviS7_T0_T2_T3_T4_T5_, .Lfunc_end28-_ZN2at6native27unrolled_elementwise_kernelINS0_13AUnaryFunctorIaaaZNS0_12_GLOBAL__N_121threshold_kernel_implIaEEvRNS_18TensorIteratorBaseET_S7_EUlaaE_EESt5arrayIPcLm2EELi4E23TrivialOffsetCalculatorILi1EjESE_NS0_6memory15LoadWithoutCastENSF_16StoreWithoutCastEEEviS7_T0_T2_T3_T4_T5_
                                        ; -- End function
	.set _ZN2at6native27unrolled_elementwise_kernelINS0_13AUnaryFunctorIaaaZNS0_12_GLOBAL__N_121threshold_kernel_implIaEEvRNS_18TensorIteratorBaseET_S7_EUlaaE_EESt5arrayIPcLm2EELi4E23TrivialOffsetCalculatorILi1EjESE_NS0_6memory15LoadWithoutCastENSF_16StoreWithoutCastEEEviS7_T0_T2_T3_T4_T5_.num_vgpr, 9
	.set _ZN2at6native27unrolled_elementwise_kernelINS0_13AUnaryFunctorIaaaZNS0_12_GLOBAL__N_121threshold_kernel_implIaEEvRNS_18TensorIteratorBaseET_S7_EUlaaE_EESt5arrayIPcLm2EELi4E23TrivialOffsetCalculatorILi1EjESE_NS0_6memory15LoadWithoutCastENSF_16StoreWithoutCastEEEviS7_T0_T2_T3_T4_T5_.num_agpr, 0
	.set _ZN2at6native27unrolled_elementwise_kernelINS0_13AUnaryFunctorIaaaZNS0_12_GLOBAL__N_121threshold_kernel_implIaEEvRNS_18TensorIteratorBaseET_S7_EUlaaE_EESt5arrayIPcLm2EELi4E23TrivialOffsetCalculatorILi1EjESE_NS0_6memory15LoadWithoutCastENSF_16StoreWithoutCastEEEviS7_T0_T2_T3_T4_T5_.numbered_sgpr, 16
	.set _ZN2at6native27unrolled_elementwise_kernelINS0_13AUnaryFunctorIaaaZNS0_12_GLOBAL__N_121threshold_kernel_implIaEEvRNS_18TensorIteratorBaseET_S7_EUlaaE_EESt5arrayIPcLm2EELi4E23TrivialOffsetCalculatorILi1EjESE_NS0_6memory15LoadWithoutCastENSF_16StoreWithoutCastEEEviS7_T0_T2_T3_T4_T5_.num_named_barrier, 0
	.set _ZN2at6native27unrolled_elementwise_kernelINS0_13AUnaryFunctorIaaaZNS0_12_GLOBAL__N_121threshold_kernel_implIaEEvRNS_18TensorIteratorBaseET_S7_EUlaaE_EESt5arrayIPcLm2EELi4E23TrivialOffsetCalculatorILi1EjESE_NS0_6memory15LoadWithoutCastENSF_16StoreWithoutCastEEEviS7_T0_T2_T3_T4_T5_.private_seg_size, 0
	.set _ZN2at6native27unrolled_elementwise_kernelINS0_13AUnaryFunctorIaaaZNS0_12_GLOBAL__N_121threshold_kernel_implIaEEvRNS_18TensorIteratorBaseET_S7_EUlaaE_EESt5arrayIPcLm2EELi4E23TrivialOffsetCalculatorILi1EjESE_NS0_6memory15LoadWithoutCastENSF_16StoreWithoutCastEEEviS7_T0_T2_T3_T4_T5_.uses_vcc, 1
	.set _ZN2at6native27unrolled_elementwise_kernelINS0_13AUnaryFunctorIaaaZNS0_12_GLOBAL__N_121threshold_kernel_implIaEEvRNS_18TensorIteratorBaseET_S7_EUlaaE_EESt5arrayIPcLm2EELi4E23TrivialOffsetCalculatorILi1EjESE_NS0_6memory15LoadWithoutCastENSF_16StoreWithoutCastEEEviS7_T0_T2_T3_T4_T5_.uses_flat_scratch, 0
	.set _ZN2at6native27unrolled_elementwise_kernelINS0_13AUnaryFunctorIaaaZNS0_12_GLOBAL__N_121threshold_kernel_implIaEEvRNS_18TensorIteratorBaseET_S7_EUlaaE_EESt5arrayIPcLm2EELi4E23TrivialOffsetCalculatorILi1EjESE_NS0_6memory15LoadWithoutCastENSF_16StoreWithoutCastEEEviS7_T0_T2_T3_T4_T5_.has_dyn_sized_stack, 0
	.set _ZN2at6native27unrolled_elementwise_kernelINS0_13AUnaryFunctorIaaaZNS0_12_GLOBAL__N_121threshold_kernel_implIaEEvRNS_18TensorIteratorBaseET_S7_EUlaaE_EESt5arrayIPcLm2EELi4E23TrivialOffsetCalculatorILi1EjESE_NS0_6memory15LoadWithoutCastENSF_16StoreWithoutCastEEEviS7_T0_T2_T3_T4_T5_.has_recursion, 0
	.set _ZN2at6native27unrolled_elementwise_kernelINS0_13AUnaryFunctorIaaaZNS0_12_GLOBAL__N_121threshold_kernel_implIaEEvRNS_18TensorIteratorBaseET_S7_EUlaaE_EESt5arrayIPcLm2EELi4E23TrivialOffsetCalculatorILi1EjESE_NS0_6memory15LoadWithoutCastENSF_16StoreWithoutCastEEEviS7_T0_T2_T3_T4_T5_.has_indirect_call, 0
	.section	.AMDGPU.csdata,"",@progbits
; Kernel info:
; codeLenInByte = 616
; TotalNumSgprs: 20
; NumVgprs: 9
; ScratchSize: 0
; MemoryBound: 0
; FloatMode: 240
; IeeeMode: 1
; LDSByteSize: 0 bytes/workgroup (compile time only)
; SGPRBlocks: 2
; VGPRBlocks: 2
; NumSGPRsForWavesPerEU: 20
; NumVGPRsForWavesPerEU: 9
; Occupancy: 10
; WaveLimiterHint : 0
; COMPUTE_PGM_RSRC2:SCRATCH_EN: 0
; COMPUTE_PGM_RSRC2:USER_SGPR: 6
; COMPUTE_PGM_RSRC2:TRAP_HANDLER: 0
; COMPUTE_PGM_RSRC2:TGID_X_EN: 1
; COMPUTE_PGM_RSRC2:TGID_Y_EN: 0
; COMPUTE_PGM_RSRC2:TGID_Z_EN: 0
; COMPUTE_PGM_RSRC2:TIDIG_COMP_CNT: 0
	.section	.text._ZN2at6native32elementwise_kernel_manual_unrollILi128ELi8EZNS0_22gpu_kernel_impl_nocastINS0_13AUnaryFunctorIaaaZNS0_12_GLOBAL__N_121threshold_kernel_implIaEEvRNS_18TensorIteratorBaseET_S8_EUlaaE_EEEEvS7_RKS8_EUlibE_EEviT1_,"axG",@progbits,_ZN2at6native32elementwise_kernel_manual_unrollILi128ELi8EZNS0_22gpu_kernel_impl_nocastINS0_13AUnaryFunctorIaaaZNS0_12_GLOBAL__N_121threshold_kernel_implIaEEvRNS_18TensorIteratorBaseET_S8_EUlaaE_EEEEvS7_RKS8_EUlibE_EEviT1_,comdat
	.globl	_ZN2at6native32elementwise_kernel_manual_unrollILi128ELi8EZNS0_22gpu_kernel_impl_nocastINS0_13AUnaryFunctorIaaaZNS0_12_GLOBAL__N_121threshold_kernel_implIaEEvRNS_18TensorIteratorBaseET_S8_EUlaaE_EEEEvS7_RKS8_EUlibE_EEviT1_ ; -- Begin function _ZN2at6native32elementwise_kernel_manual_unrollILi128ELi8EZNS0_22gpu_kernel_impl_nocastINS0_13AUnaryFunctorIaaaZNS0_12_GLOBAL__N_121threshold_kernel_implIaEEvRNS_18TensorIteratorBaseET_S8_EUlaaE_EEEEvS7_RKS8_EUlibE_EEviT1_
	.p2align	8
	.type	_ZN2at6native32elementwise_kernel_manual_unrollILi128ELi8EZNS0_22gpu_kernel_impl_nocastINS0_13AUnaryFunctorIaaaZNS0_12_GLOBAL__N_121threshold_kernel_implIaEEvRNS_18TensorIteratorBaseET_S8_EUlaaE_EEEEvS7_RKS8_EUlibE_EEviT1_,@function
_ZN2at6native32elementwise_kernel_manual_unrollILi128ELi8EZNS0_22gpu_kernel_impl_nocastINS0_13AUnaryFunctorIaaaZNS0_12_GLOBAL__N_121threshold_kernel_implIaEEvRNS_18TensorIteratorBaseET_S8_EUlaaE_EEEEvS7_RKS8_EUlibE_EEviT1_: ; @_ZN2at6native32elementwise_kernel_manual_unrollILi128ELi8EZNS0_22gpu_kernel_impl_nocastINS0_13AUnaryFunctorIaaaZNS0_12_GLOBAL__N_121threshold_kernel_implIaEEvRNS_18TensorIteratorBaseET_S8_EUlaaE_EEEEvS7_RKS8_EUlibE_EEviT1_
; %bb.0:
	s_load_dword s58, s[4:5], 0x0
	s_load_dword s33, s[4:5], 0x8
	s_add_u32 s34, s4, 8
	s_addc_u32 s35, s5, 0
	v_lshl_or_b32 v19, s6, 10, v0
	v_or_b32_e32 v25, 0x380, v19
	s_waitcnt lgkmcnt(0)
	s_add_i32 s56, s33, -1
	s_cmp_gt_u32 s56, 1
	v_cmp_le_i32_e32 vcc, s58, v25
	s_cselect_b64 s[2:3], -1, 0
	s_and_saveexec_b64 s[0:1], vcc
	s_xor_b64 s[40:41], exec, s[0:1]
	s_cbranch_execz .LBB29_7
; %bb.1:
	s_load_dwordx4 s[24:27], s[34:35], 0x4
	s_load_dwordx2 s[42:43], s[34:35], 0x14
	s_load_dword s0, s[34:35], 0x158
	s_cmp_lg_u32 s33, 0
	s_cselect_b64 s[48:49], -1, 0
	s_add_u32 s46, s34, 0xc4
	s_addc_u32 s47, s35, 0
	s_min_u32 s59, s56, 15
	s_load_dwordx4 s[28:31], s[34:35], 0xc4
	s_load_dwordx4 s[20:23], s[34:35], 0x148
	s_cmp_gt_u32 s33, 1
	s_cselect_b64 s[44:45], -1, 0
	s_waitcnt lgkmcnt(0)
	s_lshr_b32 s57, s0, 8
	s_sext_i32_i8 s1, s0
	s_bfe_i32 s0, s0, 0x80010
	s_cmp_gt_i32 s0, s1
	s_cselect_b64 s[0:1], -1, 0
	v_cmp_gt_i32_e32 vcc, s58, v19
	s_and_saveexec_b64 s[50:51], vcc
	s_cbranch_execz .LBB29_14
; %bb.2:
	s_andn2_b64 vcc, exec, s[2:3]
	s_cbranch_vccnz .LBB29_21
; %bb.3:
	s_andn2_b64 vcc, exec, s[48:49]
	s_cbranch_vccnz .LBB29_129
; %bb.4:
	s_add_i32 s61, s59, 1
	s_cmp_eq_u32 s56, 2
	s_cbranch_scc1 .LBB29_131
; %bb.5:
	s_and_b32 s60, s61, 28
	v_mov_b32_e32 v2, 0
	s_mov_b32 s62, 0
	s_mov_b64 s[52:53], s[34:35]
	s_mov_b64 s[54:55], s[46:47]
	v_mov_b32_e32 v0, 0
	v_mov_b32_e32 v1, v19
.LBB29_6:                               ; =>This Inner Loop Header: Depth=1
	s_load_dwordx8 s[12:19], s[52:53], 0x4
	s_load_dwordx4 s[36:39], s[52:53], 0x24
	s_load_dwordx8 s[4:11], s[54:55], 0x0
	s_add_u32 s52, s52, 48
	s_addc_u32 s53, s53, 0
	s_waitcnt lgkmcnt(0)
	v_mul_hi_u32 v3, s13, v1
	s_add_i32 s62, s62, 4
	s_add_u32 s54, s54, 32
	s_addc_u32 s55, s55, 0
	v_add_u32_e32 v3, v1, v3
	v_lshrrev_b32_e32 v3, s14, v3
	v_mul_lo_u32 v4, v3, s12
	v_mul_hi_u32 v5, s16, v3
	s_cmp_lg_u32 s60, s62
	v_sub_u32_e32 v1, v1, v4
	v_add_u32_e32 v4, v3, v5
	v_mul_lo_u32 v5, v1, s4
	v_mul_lo_u32 v6, v1, s5
	v_lshrrev_b32_e32 v1, s17, v4
	v_mul_lo_u32 v4, v1, s15
	v_mul_hi_u32 v7, s19, v1
	v_sub_u32_e32 v3, v3, v4
	v_add_u32_e32 v4, v1, v7
	v_lshrrev_b32_e32 v4, s36, v4
	v_mul_hi_u32 v8, s38, v4
	v_mul_lo_u32 v9, v4, s18
	v_mul_lo_u32 v7, v3, s6
	;; [unrolled: 1-line block ×3, first 2 shown]
	v_sub_u32_e32 v9, v1, v9
	v_add_u32_e32 v1, v4, v8
	v_lshrrev_b32_e32 v1, s39, v1
	v_mul_lo_u32 v8, v1, s37
	v_mul_lo_u32 v10, v9, s8
	;; [unrolled: 1-line block ×3, first 2 shown]
	v_add3_u32 v0, v5, v0, v7
	v_sub_u32_e32 v4, v4, v8
	v_mul_lo_u32 v8, v4, s10
	v_mul_lo_u32 v4, v4, s11
	v_add3_u32 v2, v6, v2, v3
	v_add3_u32 v0, v10, v0, v8
	;; [unrolled: 1-line block ×3, first 2 shown]
	s_cbranch_scc1 .LBB29_6
	s_branch .LBB29_132
.LBB29_7:
	s_andn2_saveexec_b64 s[0:1], s[40:41]
	s_cbranch_execz .LBB29_221
.LBB29_8:
	v_cndmask_b32_e64 v0, 0, 1, s[2:3]
	v_cmp_ne_u32_e64 s[0:1], 1, v0
	s_andn2_b64 vcc, exec, s[2:3]
	s_cbranch_vccnz .LBB29_20
; %bb.9:
	s_cmp_lg_u32 s33, 0
	s_mov_b32 s26, 0
	s_cbranch_scc0 .LBB29_23
; %bb.10:
	s_min_u32 s27, s56, 15
	s_add_i32 s27, s27, 1
	s_cmp_eq_u32 s56, 2
	s_cbranch_scc1 .LBB29_24
; %bb.11:
	s_and_b32 s26, s27, 28
	s_add_u32 s2, s34, 0xc4
	s_addc_u32 s3, s35, 0
	v_mov_b32_e32 v2, 0
	s_mov_b32 s28, 0
	s_mov_b64 s[24:25], s[34:35]
	v_mov_b32_e32 v0, 0
	v_mov_b32_e32 v1, v19
.LBB29_12:                              ; =>This Inner Loop Header: Depth=1
	s_load_dwordx8 s[12:19], s[24:25], 0x4
	s_load_dwordx4 s[20:23], s[24:25], 0x24
	s_load_dwordx8 s[4:11], s[2:3], 0x0
	s_add_u32 s24, s24, 48
	s_addc_u32 s25, s25, 0
	s_waitcnt lgkmcnt(0)
	v_mul_hi_u32 v3, s13, v1
	s_add_i32 s28, s28, 4
	s_add_u32 s2, s2, 32
	s_addc_u32 s3, s3, 0
	v_add_u32_e32 v3, v1, v3
	v_lshrrev_b32_e32 v3, s14, v3
	v_mul_lo_u32 v4, v3, s12
	v_mul_hi_u32 v5, s16, v3
	s_cmp_lg_u32 s26, s28
	v_sub_u32_e32 v1, v1, v4
	v_add_u32_e32 v4, v3, v5
	v_mul_lo_u32 v5, v1, s4
	v_mul_lo_u32 v6, v1, s5
	v_lshrrev_b32_e32 v1, s17, v4
	v_mul_lo_u32 v4, v1, s15
	v_mul_hi_u32 v7, s19, v1
	v_sub_u32_e32 v3, v3, v4
	v_add_u32_e32 v4, v1, v7
	v_lshrrev_b32_e32 v4, s20, v4
	v_mul_hi_u32 v8, s22, v4
	v_mul_lo_u32 v9, v4, s18
	v_mul_lo_u32 v7, v3, s6
	;; [unrolled: 1-line block ×3, first 2 shown]
	v_sub_u32_e32 v9, v1, v9
	v_add_u32_e32 v1, v4, v8
	v_lshrrev_b32_e32 v1, s23, v1
	v_mul_lo_u32 v8, v1, s21
	v_mul_lo_u32 v10, v9, s8
	;; [unrolled: 1-line block ×3, first 2 shown]
	v_add3_u32 v0, v5, v0, v7
	v_sub_u32_e32 v4, v4, v8
	v_mul_lo_u32 v8, v4, s10
	v_mul_lo_u32 v4, v4, s11
	v_add3_u32 v2, v6, v2, v3
	v_add3_u32 v0, v10, v0, v8
	;; [unrolled: 1-line block ×3, first 2 shown]
	s_cbranch_scc1 .LBB29_12
; %bb.13:
	s_and_b32 s6, s27, 3
	s_cmp_eq_u32 s6, 0
	s_cbranch_scc0 .LBB29_25
	s_branch .LBB29_27
.LBB29_14:
	s_or_b64 exec, exec, s[50:51]
	v_cmp_gt_i32_e32 vcc, s58, v19
	s_and_saveexec_b64 s[50:51], vcc
	s_cbranch_execz .LBB29_139
.LBB29_15:
	s_andn2_b64 vcc, exec, s[2:3]
	s_cbranch_vccnz .LBB29_22
; %bb.16:
	s_andn2_b64 vcc, exec, s[48:49]
	s_cbranch_vccnz .LBB29_130
; %bb.17:
	s_add_i32 s61, s59, 1
	s_cmp_eq_u32 s56, 2
	s_cbranch_scc1 .LBB29_147
; %bb.18:
	s_and_b32 s60, s61, 28
	v_mov_b32_e32 v2, 0
	s_mov_b32 s62, 0
	s_mov_b64 s[52:53], s[34:35]
	s_mov_b64 s[54:55], s[46:47]
	v_mov_b32_e32 v0, 0
	v_mov_b32_e32 v1, v19
.LBB29_19:                              ; =>This Inner Loop Header: Depth=1
	s_load_dwordx8 s[12:19], s[52:53], 0x4
	s_load_dwordx4 s[36:39], s[52:53], 0x24
	s_load_dwordx8 s[4:11], s[54:55], 0x0
	s_add_u32 s52, s52, 48
	s_addc_u32 s53, s53, 0
	s_waitcnt lgkmcnt(0)
	v_mul_hi_u32 v3, s13, v1
	s_add_i32 s62, s62, 4
	s_add_u32 s54, s54, 32
	s_addc_u32 s55, s55, 0
	v_add_u32_e32 v3, v1, v3
	v_lshrrev_b32_e32 v3, s14, v3
	v_mul_lo_u32 v4, v3, s12
	v_mul_hi_u32 v5, s16, v3
	s_cmp_eq_u32 s60, s62
	v_sub_u32_e32 v1, v1, v4
	v_add_u32_e32 v4, v3, v5
	v_mul_lo_u32 v5, v1, s4
	v_mul_lo_u32 v6, v1, s5
	v_lshrrev_b32_e32 v1, s17, v4
	v_mul_lo_u32 v4, v1, s15
	v_mul_hi_u32 v7, s19, v1
	v_sub_u32_e32 v3, v3, v4
	v_add_u32_e32 v4, v1, v7
	v_lshrrev_b32_e32 v4, s36, v4
	v_mul_hi_u32 v8, s38, v4
	v_mul_lo_u32 v9, v4, s18
	v_mul_lo_u32 v7, v3, s6
	;; [unrolled: 1-line block ×3, first 2 shown]
	v_sub_u32_e32 v9, v1, v9
	v_add_u32_e32 v1, v4, v8
	v_lshrrev_b32_e32 v1, s39, v1
	v_mul_lo_u32 v8, v1, s37
	v_mul_lo_u32 v10, v9, s8
	v_mul_lo_u32 v9, v9, s9
	v_add3_u32 v0, v5, v0, v7
	v_sub_u32_e32 v4, v4, v8
	v_mul_lo_u32 v8, v4, s10
	v_mul_lo_u32 v4, v4, s11
	v_add3_u32 v2, v6, v2, v3
	v_add3_u32 v0, v10, v0, v8
	;; [unrolled: 1-line block ×3, first 2 shown]
	s_cbranch_scc0 .LBB29_19
	s_branch .LBB29_148
.LBB29_20:
                                        ; implicit-def: $vgpr0
                                        ; implicit-def: $vgpr2
	s_branch .LBB29_28
.LBB29_21:
                                        ; implicit-def: $vgpr0
                                        ; implicit-def: $vgpr2
	s_branch .LBB29_136
.LBB29_22:
                                        ; implicit-def: $vgpr0
                                        ; implicit-def: $vgpr2
	s_branch .LBB29_152
.LBB29_23:
	v_mov_b32_e32 v0, 0
	v_mov_b32_e32 v2, 0
	s_branch .LBB29_27
.LBB29_24:
	v_mov_b32_e32 v0, 0
	v_mov_b32_e32 v2, 0
	;; [unrolled: 1-line block ×3, first 2 shown]
	s_and_b32 s6, s27, 3
	s_cmp_eq_u32 s6, 0
	s_cbranch_scc1 .LBB29_27
.LBB29_25:
	s_lshl_b32 s2, s26, 3
	s_add_u32 s2, s34, s2
	s_addc_u32 s3, s35, 0
	s_add_u32 s2, s2, 0xc4
	s_addc_u32 s3, s3, 0
	s_mul_i32 s4, s26, 12
	s_add_u32 s4, s34, s4
	s_addc_u32 s5, s35, 0
.LBB29_26:                              ; =>This Inner Loop Header: Depth=1
	s_load_dwordx2 s[8:9], s[4:5], 0x4
	s_load_dword s7, s[4:5], 0xc
	s_load_dwordx2 s[10:11], s[2:3], 0x0
	s_add_u32 s4, s4, 12
	s_addc_u32 s5, s5, 0
	s_waitcnt lgkmcnt(0)
	v_mul_hi_u32 v4, s9, v1
	s_add_u32 s2, s2, 8
	s_addc_u32 s3, s3, 0
	s_add_i32 s6, s6, -1
	v_add_u32_e32 v4, v1, v4
	v_lshrrev_b32_e32 v4, s7, v4
	v_mul_lo_u32 v5, v4, s8
	s_cmp_lg_u32 s6, 0
	v_sub_u32_e32 v5, v1, v5
	v_mad_u64_u32 v[0:1], s[8:9], v5, s10, v[0:1]
	v_mad_u64_u32 v[2:3], s[8:9], v5, s11, v[2:3]
	v_mov_b32_e32 v1, v4
	s_cbranch_scc1 .LBB29_26
.LBB29_27:
	s_cbranch_execnz .LBB29_30
.LBB29_28:
	s_load_dwordx4 s[4:7], s[34:35], 0x4
	s_load_dwordx2 s[2:3], s[34:35], 0xc4
	s_cmp_lt_u32 s33, 2
	s_waitcnt lgkmcnt(0)
	v_mul_hi_u32 v0, s5, v19
	v_add_u32_e32 v0, v19, v0
	v_lshrrev_b32_e32 v1, s6, v0
	v_mul_lo_u32 v0, v1, s4
	v_sub_u32_e32 v2, v19, v0
	v_mul_lo_u32 v0, v2, s2
	v_mul_lo_u32 v2, v2, s3
	s_cbranch_scc1 .LBB29_30
; %bb.29:
	s_load_dwordx4 s[4:7], s[34:35], 0x10
	s_load_dwordx2 s[2:3], s[34:35], 0xcc
	s_waitcnt lgkmcnt(0)
	v_mul_hi_u32 v3, s5, v1
	v_add_u32_e32 v3, v1, v3
	v_lshrrev_b32_e32 v3, s6, v3
	v_mul_lo_u32 v3, v3, s4
	v_sub_u32_e32 v3, v1, v3
	v_mad_u64_u32 v[0:1], s[4:5], v3, s2, v[0:1]
	v_mad_u64_u32 v[2:3], s[2:3], v3, s3, v[2:3]
.LBB29_30:
	s_and_b64 vcc, exec, s[0:1]
	v_add_u32_e32 v1, 0x80, v19
	s_cbranch_vccnz .LBB29_36
; %bb.31:
	s_cmp_lg_u32 s33, 0
	s_mov_b32 s26, 0
	s_cbranch_scc0 .LBB29_37
; %bb.32:
	s_min_u32 s27, s56, 15
	s_add_i32 s27, s27, 1
	s_cmp_eq_u32 s56, 2
	s_cbranch_scc1 .LBB29_38
; %bb.33:
	s_and_b32 s26, s27, 28
	s_add_u32 s2, s34, 0xc4
	s_addc_u32 s3, s35, 0
	v_mov_b32_e32 v5, 0
	s_mov_b32 s28, 0
	s_mov_b64 s[24:25], s[34:35]
	v_mov_b32_e32 v3, 0
	v_mov_b32_e32 v4, v1
.LBB29_34:                              ; =>This Inner Loop Header: Depth=1
	s_load_dwordx8 s[12:19], s[24:25], 0x4
	s_load_dwordx4 s[20:23], s[24:25], 0x24
	s_load_dwordx8 s[4:11], s[2:3], 0x0
	s_add_u32 s24, s24, 48
	s_addc_u32 s25, s25, 0
	s_waitcnt lgkmcnt(0)
	v_mul_hi_u32 v6, s13, v4
	s_add_i32 s28, s28, 4
	s_add_u32 s2, s2, 32
	s_addc_u32 s3, s3, 0
	v_add_u32_e32 v6, v4, v6
	v_lshrrev_b32_e32 v6, s14, v6
	v_mul_lo_u32 v7, v6, s12
	v_mul_hi_u32 v8, s16, v6
	s_cmp_lg_u32 s26, s28
	v_sub_u32_e32 v4, v4, v7
	v_add_u32_e32 v7, v6, v8
	v_mul_lo_u32 v8, v4, s4
	v_mul_lo_u32 v9, v4, s5
	v_lshrrev_b32_e32 v4, s17, v7
	v_mul_lo_u32 v7, v4, s15
	v_mul_hi_u32 v10, s19, v4
	v_sub_u32_e32 v6, v6, v7
	v_add_u32_e32 v7, v4, v10
	v_lshrrev_b32_e32 v7, s20, v7
	v_mul_hi_u32 v11, s22, v7
	v_mul_lo_u32 v12, v7, s18
	v_mul_lo_u32 v10, v6, s6
	;; [unrolled: 1-line block ×3, first 2 shown]
	v_sub_u32_e32 v12, v4, v12
	v_add_u32_e32 v4, v7, v11
	v_lshrrev_b32_e32 v4, s23, v4
	v_mul_lo_u32 v11, v4, s21
	v_mul_lo_u32 v13, v12, s8
	;; [unrolled: 1-line block ×3, first 2 shown]
	v_add3_u32 v3, v8, v3, v10
	v_sub_u32_e32 v7, v7, v11
	v_mul_lo_u32 v11, v7, s10
	v_mul_lo_u32 v7, v7, s11
	v_add3_u32 v5, v9, v5, v6
	v_add3_u32 v3, v13, v3, v11
	;; [unrolled: 1-line block ×3, first 2 shown]
	s_cbranch_scc1 .LBB29_34
; %bb.35:
	s_and_b32 s6, s27, 3
	s_cmp_eq_u32 s6, 0
	s_cbranch_scc0 .LBB29_39
	s_branch .LBB29_41
.LBB29_36:
                                        ; implicit-def: $vgpr3
                                        ; implicit-def: $vgpr5
	s_branch .LBB29_42
.LBB29_37:
	v_mov_b32_e32 v3, 0
	v_mov_b32_e32 v5, 0
	s_branch .LBB29_41
.LBB29_38:
	v_mov_b32_e32 v3, 0
	v_mov_b32_e32 v5, 0
	;; [unrolled: 1-line block ×3, first 2 shown]
	s_and_b32 s6, s27, 3
	s_cmp_eq_u32 s6, 0
	s_cbranch_scc1 .LBB29_41
.LBB29_39:
	s_lshl_b32 s2, s26, 3
	s_add_u32 s2, s34, s2
	s_addc_u32 s3, s35, 0
	s_add_u32 s2, s2, 0xc4
	s_addc_u32 s3, s3, 0
	s_mul_i32 s4, s26, 12
	s_add_u32 s4, s34, s4
	s_addc_u32 s5, s35, 0
.LBB29_40:                              ; =>This Inner Loop Header: Depth=1
	s_load_dwordx2 s[8:9], s[4:5], 0x4
	s_load_dword s7, s[4:5], 0xc
	s_load_dwordx2 s[10:11], s[2:3], 0x0
	s_add_u32 s4, s4, 12
	s_addc_u32 s5, s5, 0
	s_waitcnt lgkmcnt(0)
	v_mul_hi_u32 v7, s9, v4
	s_add_u32 s2, s2, 8
	s_addc_u32 s3, s3, 0
	s_add_i32 s6, s6, -1
	v_add_u32_e32 v7, v4, v7
	v_lshrrev_b32_e32 v7, s7, v7
	v_mul_lo_u32 v8, v7, s8
	s_cmp_lg_u32 s6, 0
	v_sub_u32_e32 v8, v4, v8
	v_mad_u64_u32 v[3:4], s[8:9], v8, s10, v[3:4]
	v_mad_u64_u32 v[5:6], s[8:9], v8, s11, v[5:6]
	v_mov_b32_e32 v4, v7
	s_cbranch_scc1 .LBB29_40
.LBB29_41:
	s_cbranch_execnz .LBB29_44
.LBB29_42:
	s_load_dwordx4 s[4:7], s[34:35], 0x4
	s_load_dwordx2 s[2:3], s[34:35], 0xc4
	s_cmp_lt_u32 s33, 2
	s_waitcnt lgkmcnt(0)
	v_mul_hi_u32 v3, s5, v1
	v_add_u32_e32 v3, v1, v3
	v_lshrrev_b32_e32 v4, s6, v3
	v_mul_lo_u32 v3, v4, s4
	v_sub_u32_e32 v1, v1, v3
	v_mul_lo_u32 v3, v1, s2
	v_mul_lo_u32 v5, v1, s3
	s_cbranch_scc1 .LBB29_44
; %bb.43:
	s_load_dwordx4 s[4:7], s[34:35], 0x10
	s_load_dwordx2 s[2:3], s[34:35], 0xcc
	s_waitcnt lgkmcnt(0)
	v_mul_hi_u32 v1, s5, v4
	v_add_u32_e32 v1, v4, v1
	v_lshrrev_b32_e32 v1, s6, v1
	v_mul_lo_u32 v1, v1, s4
	v_sub_u32_e32 v1, v4, v1
	v_mad_u64_u32 v[3:4], s[4:5], v1, s2, v[3:4]
	v_mad_u64_u32 v[5:6], s[2:3], v1, s3, v[5:6]
.LBB29_44:
	s_and_b64 vcc, exec, s[0:1]
	v_add_u32_e32 v1, 0x100, v19
	s_cbranch_vccnz .LBB29_50
; %bb.45:
	s_cmp_lg_u32 s33, 0
	s_mov_b32 s26, 0
	s_cbranch_scc0 .LBB29_51
; %bb.46:
	s_min_u32 s27, s56, 15
	s_add_i32 s27, s27, 1
	s_cmp_eq_u32 s56, 2
	s_cbranch_scc1 .LBB29_52
; %bb.47:
	s_and_b32 s26, s27, 28
	s_add_u32 s2, s34, 0xc4
	s_addc_u32 s3, s35, 0
	v_mov_b32_e32 v8, 0
	s_mov_b32 s28, 0
	s_mov_b64 s[24:25], s[34:35]
	v_mov_b32_e32 v6, 0
	v_mov_b32_e32 v4, v1
.LBB29_48:                              ; =>This Inner Loop Header: Depth=1
	s_load_dwordx8 s[12:19], s[24:25], 0x4
	s_load_dwordx4 s[20:23], s[24:25], 0x24
	s_load_dwordx8 s[4:11], s[2:3], 0x0
	s_add_u32 s24, s24, 48
	s_addc_u32 s25, s25, 0
	s_waitcnt lgkmcnt(0)
	v_mul_hi_u32 v7, s13, v4
	s_add_i32 s28, s28, 4
	s_add_u32 s2, s2, 32
	s_addc_u32 s3, s3, 0
	v_add_u32_e32 v7, v4, v7
	v_lshrrev_b32_e32 v7, s14, v7
	v_mul_lo_u32 v9, v7, s12
	v_mul_hi_u32 v10, s16, v7
	s_cmp_lg_u32 s26, s28
	v_sub_u32_e32 v4, v4, v9
	v_add_u32_e32 v9, v7, v10
	v_mul_lo_u32 v10, v4, s4
	v_mul_lo_u32 v11, v4, s5
	v_lshrrev_b32_e32 v4, s17, v9
	v_mul_lo_u32 v9, v4, s15
	v_mul_hi_u32 v12, s19, v4
	v_sub_u32_e32 v7, v7, v9
	v_add_u32_e32 v9, v4, v12
	v_lshrrev_b32_e32 v9, s20, v9
	v_mul_hi_u32 v13, s22, v9
	v_mul_lo_u32 v14, v9, s18
	v_mul_lo_u32 v12, v7, s6
	;; [unrolled: 1-line block ×3, first 2 shown]
	v_sub_u32_e32 v14, v4, v14
	v_add_u32_e32 v4, v9, v13
	v_lshrrev_b32_e32 v4, s23, v4
	v_mul_lo_u32 v13, v4, s21
	v_mul_lo_u32 v15, v14, s8
	;; [unrolled: 1-line block ×3, first 2 shown]
	v_add3_u32 v6, v10, v6, v12
	v_sub_u32_e32 v9, v9, v13
	v_mul_lo_u32 v13, v9, s10
	v_mul_lo_u32 v9, v9, s11
	v_add3_u32 v7, v11, v8, v7
	v_add3_u32 v6, v15, v6, v13
	;; [unrolled: 1-line block ×3, first 2 shown]
	s_cbranch_scc1 .LBB29_48
; %bb.49:
	s_and_b32 s6, s27, 3
	s_cmp_eq_u32 s6, 0
	s_cbranch_scc0 .LBB29_53
	s_branch .LBB29_55
.LBB29_50:
                                        ; implicit-def: $vgpr6
                                        ; implicit-def: $vgpr8
	s_branch .LBB29_56
.LBB29_51:
	v_mov_b32_e32 v6, 0
	v_mov_b32_e32 v8, 0
	s_branch .LBB29_55
.LBB29_52:
	v_mov_b32_e32 v6, 0
	v_mov_b32_e32 v8, 0
	;; [unrolled: 1-line block ×3, first 2 shown]
	s_and_b32 s6, s27, 3
	s_cmp_eq_u32 s6, 0
	s_cbranch_scc1 .LBB29_55
.LBB29_53:
	s_lshl_b32 s2, s26, 3
	s_add_u32 s2, s34, s2
	s_addc_u32 s3, s35, 0
	s_add_u32 s2, s2, 0xc4
	s_addc_u32 s3, s3, 0
	s_mul_i32 s4, s26, 12
	s_add_u32 s4, s34, s4
	s_addc_u32 s5, s35, 0
.LBB29_54:                              ; =>This Inner Loop Header: Depth=1
	s_load_dwordx2 s[8:9], s[4:5], 0x4
	s_load_dword s7, s[4:5], 0xc
	s_load_dwordx2 s[10:11], s[2:3], 0x0
	s_add_u32 s4, s4, 12
	s_addc_u32 s5, s5, 0
	s_waitcnt lgkmcnt(0)
	v_mul_hi_u32 v7, s9, v4
	s_add_u32 s2, s2, 8
	s_addc_u32 s3, s3, 0
	s_add_i32 s6, s6, -1
	v_add_u32_e32 v7, v4, v7
	v_lshrrev_b32_e32 v10, s7, v7
	v_mul_lo_u32 v7, v10, s8
	s_cmp_lg_u32 s6, 0
	v_sub_u32_e32 v4, v4, v7
	v_mad_u64_u32 v[6:7], s[8:9], v4, s10, v[6:7]
	v_mad_u64_u32 v[8:9], s[8:9], v4, s11, v[8:9]
	v_mov_b32_e32 v4, v10
	s_cbranch_scc1 .LBB29_54
.LBB29_55:
	s_cbranch_execnz .LBB29_58
.LBB29_56:
	s_load_dwordx4 s[4:7], s[34:35], 0x4
	s_load_dwordx2 s[2:3], s[34:35], 0xc4
	s_cmp_lt_u32 s33, 2
	s_waitcnt lgkmcnt(0)
	v_mul_hi_u32 v4, s5, v1
	v_add_u32_e32 v4, v1, v4
	v_lshrrev_b32_e32 v4, s6, v4
	v_mul_lo_u32 v6, v4, s4
	v_sub_u32_e32 v1, v1, v6
	v_mul_lo_u32 v6, v1, s2
	v_mul_lo_u32 v8, v1, s3
	s_cbranch_scc1 .LBB29_58
; %bb.57:
	s_load_dwordx4 s[4:7], s[34:35], 0x10
	s_load_dwordx2 s[2:3], s[34:35], 0xcc
	s_waitcnt lgkmcnt(0)
	v_mul_hi_u32 v1, s5, v4
	v_add_u32_e32 v1, v4, v1
	v_lshrrev_b32_e32 v1, s6, v1
	v_mul_lo_u32 v1, v1, s4
	v_sub_u32_e32 v1, v4, v1
	v_mad_u64_u32 v[6:7], s[4:5], v1, s2, v[6:7]
	v_mad_u64_u32 v[8:9], s[2:3], v1, s3, v[8:9]
.LBB29_58:
	s_and_b64 vcc, exec, s[0:1]
	v_add_u32_e32 v1, 0x180, v19
	s_cbranch_vccnz .LBB29_64
; %bb.59:
	s_cmp_lg_u32 s33, 0
	s_mov_b32 s26, 0
	s_cbranch_scc0 .LBB29_65
; %bb.60:
	s_min_u32 s27, s56, 15
	s_add_i32 s27, s27, 1
	s_cmp_eq_u32 s56, 2
	s_cbranch_scc1 .LBB29_66
; %bb.61:
	s_and_b32 s26, s27, 28
	s_add_u32 s2, s34, 0xc4
	s_addc_u32 s3, s35, 0
	v_mov_b32_e32 v11, 0
	s_mov_b32 s28, 0
	s_mov_b64 s[24:25], s[34:35]
	v_mov_b32_e32 v9, 0
	v_mov_b32_e32 v4, v1
.LBB29_62:                              ; =>This Inner Loop Header: Depth=1
	s_load_dwordx8 s[12:19], s[24:25], 0x4
	s_load_dwordx4 s[20:23], s[24:25], 0x24
	s_load_dwordx8 s[4:11], s[2:3], 0x0
	s_add_u32 s24, s24, 48
	s_addc_u32 s25, s25, 0
	s_waitcnt lgkmcnt(0)
	v_mul_hi_u32 v7, s13, v4
	s_add_i32 s28, s28, 4
	s_add_u32 s2, s2, 32
	s_addc_u32 s3, s3, 0
	v_add_u32_e32 v7, v4, v7
	v_lshrrev_b32_e32 v7, s14, v7
	v_mul_lo_u32 v10, v7, s12
	v_mul_hi_u32 v12, s16, v7
	s_cmp_lg_u32 s26, s28
	v_sub_u32_e32 v4, v4, v10
	v_add_u32_e32 v10, v7, v12
	v_mul_lo_u32 v12, v4, s4
	v_mul_lo_u32 v13, v4, s5
	v_lshrrev_b32_e32 v4, s17, v10
	v_mul_lo_u32 v10, v4, s15
	v_mul_hi_u32 v14, s19, v4
	v_sub_u32_e32 v7, v7, v10
	v_add_u32_e32 v10, v4, v14
	v_lshrrev_b32_e32 v10, s20, v10
	v_mul_hi_u32 v15, s22, v10
	v_mul_lo_u32 v16, v10, s18
	v_mul_lo_u32 v14, v7, s6
	;; [unrolled: 1-line block ×3, first 2 shown]
	v_sub_u32_e32 v16, v4, v16
	v_add_u32_e32 v4, v10, v15
	v_lshrrev_b32_e32 v4, s23, v4
	v_mul_lo_u32 v15, v4, s21
	v_mul_lo_u32 v17, v16, s8
	;; [unrolled: 1-line block ×3, first 2 shown]
	v_add3_u32 v9, v12, v9, v14
	v_sub_u32_e32 v10, v10, v15
	v_mul_lo_u32 v15, v10, s10
	v_mul_lo_u32 v10, v10, s11
	v_add3_u32 v7, v13, v11, v7
	v_add3_u32 v9, v17, v9, v15
	;; [unrolled: 1-line block ×3, first 2 shown]
	s_cbranch_scc1 .LBB29_62
; %bb.63:
	s_and_b32 s6, s27, 3
	s_cmp_eq_u32 s6, 0
	s_cbranch_scc0 .LBB29_67
	s_branch .LBB29_69
.LBB29_64:
                                        ; implicit-def: $vgpr9
                                        ; implicit-def: $vgpr11
	s_branch .LBB29_70
.LBB29_65:
	v_mov_b32_e32 v9, 0
	v_mov_b32_e32 v11, 0
	s_branch .LBB29_69
.LBB29_66:
	v_mov_b32_e32 v9, 0
	v_mov_b32_e32 v11, 0
	;; [unrolled: 1-line block ×3, first 2 shown]
	s_and_b32 s6, s27, 3
	s_cmp_eq_u32 s6, 0
	s_cbranch_scc1 .LBB29_69
.LBB29_67:
	s_lshl_b32 s2, s26, 3
	s_add_u32 s2, s34, s2
	s_addc_u32 s3, s35, 0
	s_add_u32 s2, s2, 0xc4
	s_addc_u32 s3, s3, 0
	s_mul_i32 s4, s26, 12
	s_add_u32 s4, s34, s4
	s_addc_u32 s5, s35, 0
.LBB29_68:                              ; =>This Inner Loop Header: Depth=1
	s_load_dwordx2 s[8:9], s[4:5], 0x4
	s_load_dword s7, s[4:5], 0xc
	s_load_dwordx2 s[10:11], s[2:3], 0x0
	s_add_u32 s4, s4, 12
	s_addc_u32 s5, s5, 0
	s_waitcnt lgkmcnt(0)
	v_mul_hi_u32 v7, s9, v4
	s_add_u32 s2, s2, 8
	s_addc_u32 s3, s3, 0
	s_add_i32 s6, s6, -1
	v_add_u32_e32 v7, v4, v7
	v_lshrrev_b32_e32 v7, s7, v7
	v_mul_lo_u32 v10, v7, s8
	s_cmp_lg_u32 s6, 0
	v_sub_u32_e32 v4, v4, v10
	v_mad_u64_u32 v[9:10], s[8:9], v4, s10, v[9:10]
	v_mad_u64_u32 v[11:12], s[8:9], v4, s11, v[11:12]
	v_mov_b32_e32 v4, v7
	s_cbranch_scc1 .LBB29_68
.LBB29_69:
	s_cbranch_execnz .LBB29_72
.LBB29_70:
	s_load_dwordx4 s[4:7], s[34:35], 0x4
	s_load_dwordx2 s[2:3], s[34:35], 0xc4
	s_cmp_lt_u32 s33, 2
	s_waitcnt lgkmcnt(0)
	v_mul_hi_u32 v4, s5, v1
	v_add_u32_e32 v4, v1, v4
	v_lshrrev_b32_e32 v4, s6, v4
	v_mul_lo_u32 v7, v4, s4
	v_sub_u32_e32 v1, v1, v7
	v_mul_lo_u32 v9, v1, s2
	v_mul_lo_u32 v11, v1, s3
	s_cbranch_scc1 .LBB29_72
; %bb.71:
	s_load_dwordx4 s[4:7], s[34:35], 0x10
	s_load_dwordx2 s[2:3], s[34:35], 0xcc
	s_waitcnt lgkmcnt(0)
	v_mul_hi_u32 v1, s5, v4
	v_add_u32_e32 v1, v4, v1
	v_lshrrev_b32_e32 v1, s6, v1
	v_mul_lo_u32 v1, v1, s4
	v_sub_u32_e32 v1, v4, v1
	v_mad_u64_u32 v[9:10], s[4:5], v1, s2, v[9:10]
	v_mad_u64_u32 v[11:12], s[2:3], v1, s3, v[11:12]
.LBB29_72:
	s_and_b64 vcc, exec, s[0:1]
	v_add_u32_e32 v1, 0x200, v19
	s_cbranch_vccnz .LBB29_78
; %bb.73:
	s_cmp_lg_u32 s33, 0
	s_mov_b32 s26, 0
	s_cbranch_scc0 .LBB29_79
; %bb.74:
	s_min_u32 s27, s56, 15
	s_add_i32 s27, s27, 1
	s_cmp_eq_u32 s56, 2
	s_cbranch_scc1 .LBB29_80
; %bb.75:
	s_and_b32 s26, s27, 28
	s_add_u32 s2, s34, 0xc4
	s_addc_u32 s3, s35, 0
	v_mov_b32_e32 v14, 0
	s_mov_b32 s28, 0
	s_mov_b64 s[24:25], s[34:35]
	v_mov_b32_e32 v12, 0
	v_mov_b32_e32 v4, v1
.LBB29_76:                              ; =>This Inner Loop Header: Depth=1
	s_load_dwordx8 s[12:19], s[24:25], 0x4
	s_load_dwordx4 s[20:23], s[24:25], 0x24
	s_load_dwordx8 s[4:11], s[2:3], 0x0
	s_add_u32 s24, s24, 48
	s_addc_u32 s25, s25, 0
	s_waitcnt lgkmcnt(0)
	v_mul_hi_u32 v7, s13, v4
	s_add_i32 s28, s28, 4
	s_add_u32 s2, s2, 32
	s_addc_u32 s3, s3, 0
	v_add_u32_e32 v7, v4, v7
	v_lshrrev_b32_e32 v7, s14, v7
	v_mul_lo_u32 v10, v7, s12
	v_mul_hi_u32 v13, s16, v7
	s_cmp_lg_u32 s26, s28
	v_sub_u32_e32 v4, v4, v10
	v_add_u32_e32 v10, v7, v13
	v_mul_lo_u32 v13, v4, s4
	v_mul_lo_u32 v15, v4, s5
	v_lshrrev_b32_e32 v4, s17, v10
	v_mul_lo_u32 v10, v4, s15
	v_mul_hi_u32 v16, s19, v4
	v_sub_u32_e32 v7, v7, v10
	v_add_u32_e32 v10, v4, v16
	v_lshrrev_b32_e32 v10, s20, v10
	v_mul_hi_u32 v17, s22, v10
	v_mul_lo_u32 v18, v10, s18
	v_mul_lo_u32 v16, v7, s6
	;; [unrolled: 1-line block ×3, first 2 shown]
	v_sub_u32_e32 v18, v4, v18
	v_add_u32_e32 v4, v10, v17
	v_lshrrev_b32_e32 v4, s23, v4
	v_mul_lo_u32 v17, v4, s21
	v_mul_lo_u32 v20, v18, s8
	;; [unrolled: 1-line block ×3, first 2 shown]
	v_add3_u32 v12, v13, v12, v16
	v_sub_u32_e32 v10, v10, v17
	v_mul_lo_u32 v17, v10, s10
	v_mul_lo_u32 v10, v10, s11
	v_add3_u32 v7, v15, v14, v7
	v_add3_u32 v12, v20, v12, v17
	;; [unrolled: 1-line block ×3, first 2 shown]
	s_cbranch_scc1 .LBB29_76
; %bb.77:
	s_and_b32 s6, s27, 3
	s_cmp_eq_u32 s6, 0
	s_cbranch_scc0 .LBB29_81
	s_branch .LBB29_83
.LBB29_78:
                                        ; implicit-def: $vgpr12
                                        ; implicit-def: $vgpr14
	s_branch .LBB29_84
.LBB29_79:
	v_mov_b32_e32 v12, 0
	v_mov_b32_e32 v14, 0
	s_branch .LBB29_83
.LBB29_80:
	v_mov_b32_e32 v12, 0
	v_mov_b32_e32 v14, 0
	;; [unrolled: 1-line block ×3, first 2 shown]
	s_and_b32 s6, s27, 3
	s_cmp_eq_u32 s6, 0
	s_cbranch_scc1 .LBB29_83
.LBB29_81:
	s_lshl_b32 s2, s26, 3
	s_add_u32 s2, s34, s2
	s_addc_u32 s3, s35, 0
	s_add_u32 s2, s2, 0xc4
	s_addc_u32 s3, s3, 0
	s_mul_i32 s4, s26, 12
	s_add_u32 s4, s34, s4
	s_addc_u32 s5, s35, 0
.LBB29_82:                              ; =>This Inner Loop Header: Depth=1
	s_load_dwordx2 s[8:9], s[4:5], 0x4
	s_load_dword s7, s[4:5], 0xc
	s_load_dwordx2 s[10:11], s[2:3], 0x0
	s_add_u32 s4, s4, 12
	s_addc_u32 s5, s5, 0
	s_waitcnt lgkmcnt(0)
	v_mul_hi_u32 v7, s9, v4
	s_add_u32 s2, s2, 8
	s_addc_u32 s3, s3, 0
	s_add_i32 s6, s6, -1
	v_add_u32_e32 v7, v4, v7
	v_lshrrev_b32_e32 v7, s7, v7
	v_mul_lo_u32 v10, v7, s8
	s_cmp_lg_u32 s6, 0
	v_sub_u32_e32 v4, v4, v10
	v_mad_u64_u32 v[12:13], s[8:9], v4, s10, v[12:13]
	v_mad_u64_u32 v[14:15], s[8:9], v4, s11, v[14:15]
	v_mov_b32_e32 v4, v7
	s_cbranch_scc1 .LBB29_82
.LBB29_83:
	s_cbranch_execnz .LBB29_86
.LBB29_84:
	s_load_dwordx4 s[4:7], s[34:35], 0x4
	s_load_dwordx2 s[2:3], s[34:35], 0xc4
	s_cmp_lt_u32 s33, 2
	s_waitcnt lgkmcnt(0)
	v_mul_hi_u32 v4, s5, v1
	v_add_u32_e32 v4, v1, v4
	v_lshrrev_b32_e32 v4, s6, v4
	v_mul_lo_u32 v7, v4, s4
	v_sub_u32_e32 v1, v1, v7
	v_mul_lo_u32 v12, v1, s2
	v_mul_lo_u32 v14, v1, s3
	s_cbranch_scc1 .LBB29_86
; %bb.85:
	s_load_dwordx4 s[4:7], s[34:35], 0x10
	s_load_dwordx2 s[2:3], s[34:35], 0xcc
	s_waitcnt lgkmcnt(0)
	v_mul_hi_u32 v1, s5, v4
	v_add_u32_e32 v1, v4, v1
	v_lshrrev_b32_e32 v1, s6, v1
	v_mul_lo_u32 v1, v1, s4
	v_sub_u32_e32 v1, v4, v1
	v_mad_u64_u32 v[12:13], s[4:5], v1, s2, v[12:13]
	v_mad_u64_u32 v[14:15], s[2:3], v1, s3, v[14:15]
.LBB29_86:
	s_and_b64 vcc, exec, s[0:1]
	v_add_u32_e32 v1, 0x280, v19
	s_cbranch_vccnz .LBB29_92
; %bb.87:
	s_cmp_lg_u32 s33, 0
	s_mov_b32 s26, 0
	s_cbranch_scc0 .LBB29_93
; %bb.88:
	s_min_u32 s27, s56, 15
	s_add_i32 s27, s27, 1
	s_cmp_eq_u32 s56, 2
	s_cbranch_scc1 .LBB29_94
; %bb.89:
	s_and_b32 s26, s27, 28
	s_add_u32 s2, s34, 0xc4
	s_addc_u32 s3, s35, 0
	v_mov_b32_e32 v17, 0
	s_mov_b32 s28, 0
	s_mov_b64 s[24:25], s[34:35]
	v_mov_b32_e32 v15, 0
	v_mov_b32_e32 v4, v1
.LBB29_90:                              ; =>This Inner Loop Header: Depth=1
	s_load_dwordx8 s[12:19], s[24:25], 0x4
	s_load_dwordx4 s[20:23], s[24:25], 0x24
	s_load_dwordx8 s[4:11], s[2:3], 0x0
	s_add_u32 s24, s24, 48
	s_addc_u32 s25, s25, 0
	s_waitcnt lgkmcnt(0)
	v_mul_hi_u32 v7, s13, v4
	s_add_i32 s28, s28, 4
	s_add_u32 s2, s2, 32
	s_addc_u32 s3, s3, 0
	v_add_u32_e32 v7, v4, v7
	v_lshrrev_b32_e32 v7, s14, v7
	v_mul_lo_u32 v10, v7, s12
	v_mul_hi_u32 v13, s16, v7
	s_cmp_lg_u32 s26, s28
	v_sub_u32_e32 v4, v4, v10
	v_add_u32_e32 v10, v7, v13
	v_mul_lo_u32 v13, v4, s4
	v_mul_lo_u32 v16, v4, s5
	v_lshrrev_b32_e32 v4, s17, v10
	v_mul_lo_u32 v10, v4, s15
	v_mul_hi_u32 v18, s19, v4
	v_sub_u32_e32 v7, v7, v10
	v_add_u32_e32 v10, v4, v18
	v_lshrrev_b32_e32 v10, s20, v10
	v_mul_hi_u32 v20, s22, v10
	v_mul_lo_u32 v21, v10, s18
	v_mul_lo_u32 v18, v7, s6
	;; [unrolled: 1-line block ×3, first 2 shown]
	v_sub_u32_e32 v21, v4, v21
	v_add_u32_e32 v4, v10, v20
	v_lshrrev_b32_e32 v4, s23, v4
	v_mul_lo_u32 v20, v4, s21
	v_mul_lo_u32 v22, v21, s8
	;; [unrolled: 1-line block ×3, first 2 shown]
	v_add3_u32 v13, v13, v15, v18
	v_sub_u32_e32 v10, v10, v20
	v_mul_lo_u32 v20, v10, s10
	v_mul_lo_u32 v10, v10, s11
	v_add3_u32 v7, v16, v17, v7
	v_add3_u32 v15, v22, v13, v20
	;; [unrolled: 1-line block ×3, first 2 shown]
	s_cbranch_scc1 .LBB29_90
; %bb.91:
	s_and_b32 s6, s27, 3
	s_cmp_eq_u32 s6, 0
	s_cbranch_scc0 .LBB29_95
	s_branch .LBB29_97
.LBB29_92:
                                        ; implicit-def: $vgpr15
                                        ; implicit-def: $vgpr17
	s_branch .LBB29_98
.LBB29_93:
	v_mov_b32_e32 v15, 0
	v_mov_b32_e32 v17, 0
	s_branch .LBB29_97
.LBB29_94:
	v_mov_b32_e32 v15, 0
	v_mov_b32_e32 v17, 0
	;; [unrolled: 1-line block ×3, first 2 shown]
	s_and_b32 s6, s27, 3
	s_cmp_eq_u32 s6, 0
	s_cbranch_scc1 .LBB29_97
.LBB29_95:
	s_lshl_b32 s2, s26, 3
	s_add_u32 s2, s34, s2
	s_addc_u32 s3, s35, 0
	s_add_u32 s2, s2, 0xc4
	s_addc_u32 s3, s3, 0
	s_mul_i32 s4, s26, 12
	s_add_u32 s4, s34, s4
	s_addc_u32 s5, s35, 0
.LBB29_96:                              ; =>This Inner Loop Header: Depth=1
	s_load_dwordx2 s[8:9], s[4:5], 0x4
	s_load_dword s7, s[4:5], 0xc
	s_load_dwordx2 s[10:11], s[2:3], 0x0
	s_add_u32 s4, s4, 12
	s_addc_u32 s5, s5, 0
	s_waitcnt lgkmcnt(0)
	v_mul_hi_u32 v7, s9, v4
	s_add_u32 s2, s2, 8
	s_addc_u32 s3, s3, 0
	s_add_i32 s6, s6, -1
	v_add_u32_e32 v7, v4, v7
	v_lshrrev_b32_e32 v7, s7, v7
	v_mul_lo_u32 v10, v7, s8
	s_cmp_lg_u32 s6, 0
	v_sub_u32_e32 v4, v4, v10
	v_mad_u64_u32 v[15:16], s[8:9], v4, s10, v[15:16]
	v_mad_u64_u32 v[17:18], s[8:9], v4, s11, v[17:18]
	v_mov_b32_e32 v4, v7
	s_cbranch_scc1 .LBB29_96
.LBB29_97:
	s_cbranch_execnz .LBB29_100
.LBB29_98:
	s_load_dwordx4 s[4:7], s[34:35], 0x4
	s_load_dwordx2 s[2:3], s[34:35], 0xc4
	s_cmp_lt_u32 s33, 2
	s_waitcnt lgkmcnt(0)
	v_mul_hi_u32 v4, s5, v1
	v_add_u32_e32 v4, v1, v4
	v_lshrrev_b32_e32 v4, s6, v4
	v_mul_lo_u32 v7, v4, s4
	v_sub_u32_e32 v1, v1, v7
	v_mul_lo_u32 v15, v1, s2
	v_mul_lo_u32 v17, v1, s3
	s_cbranch_scc1 .LBB29_100
; %bb.99:
	s_load_dwordx4 s[4:7], s[34:35], 0x10
	s_load_dwordx2 s[2:3], s[34:35], 0xcc
	s_waitcnt lgkmcnt(0)
	v_mul_hi_u32 v1, s5, v4
	v_add_u32_e32 v1, v4, v1
	v_lshrrev_b32_e32 v1, s6, v1
	v_mul_lo_u32 v1, v1, s4
	v_sub_u32_e32 v1, v4, v1
	v_mad_u64_u32 v[15:16], s[4:5], v1, s2, v[15:16]
	v_mad_u64_u32 v[17:18], s[2:3], v1, s3, v[17:18]
.LBB29_100:
	s_and_b64 vcc, exec, s[0:1]
	v_add_u32_e32 v1, 0x300, v19
	s_cbranch_vccnz .LBB29_106
; %bb.101:
	s_cmp_lg_u32 s33, 0
	s_mov_b32 s26, 0
	s_cbranch_scc0 .LBB29_107
; %bb.102:
	s_min_u32 s27, s56, 15
	s_add_i32 s27, s27, 1
	s_cmp_eq_u32 s56, 2
	s_cbranch_scc1 .LBB29_108
; %bb.103:
	s_and_b32 s26, s27, 28
	s_add_u32 s2, s34, 0xc4
	s_addc_u32 s3, s35, 0
	v_mov_b32_e32 v20, 0
	s_mov_b32 s28, 0
	s_mov_b64 s[24:25], s[34:35]
	v_mov_b32_e32 v18, 0
	v_mov_b32_e32 v4, v1
.LBB29_104:                             ; =>This Inner Loop Header: Depth=1
	s_load_dwordx8 s[12:19], s[24:25], 0x4
	s_load_dwordx4 s[20:23], s[24:25], 0x24
	s_load_dwordx8 s[4:11], s[2:3], 0x0
	s_add_u32 s24, s24, 48
	s_addc_u32 s25, s25, 0
	s_waitcnt lgkmcnt(0)
	v_mul_hi_u32 v7, s13, v4
	s_add_i32 s28, s28, 4
	s_add_u32 s2, s2, 32
	s_addc_u32 s3, s3, 0
	v_add_u32_e32 v7, v4, v7
	v_lshrrev_b32_e32 v7, s14, v7
	v_mul_lo_u32 v10, v7, s12
	v_mul_hi_u32 v13, s16, v7
	s_cmp_lg_u32 s26, s28
	v_sub_u32_e32 v4, v4, v10
	v_add_u32_e32 v10, v7, v13
	v_mul_lo_u32 v13, v4, s4
	v_mul_lo_u32 v16, v4, s5
	v_lshrrev_b32_e32 v4, s17, v10
	v_mul_lo_u32 v10, v4, s15
	v_mul_hi_u32 v19, s19, v4
	v_sub_u32_e32 v7, v7, v10
	v_add_u32_e32 v10, v4, v19
	v_lshrrev_b32_e32 v10, s20, v10
	v_mul_hi_u32 v21, s22, v10
	v_mul_lo_u32 v22, v10, s18
	v_mul_lo_u32 v19, v7, s6
	;; [unrolled: 1-line block ×3, first 2 shown]
	v_sub_u32_e32 v22, v4, v22
	v_add_u32_e32 v4, v10, v21
	v_lshrrev_b32_e32 v4, s23, v4
	v_mul_lo_u32 v21, v4, s21
	v_mul_lo_u32 v23, v22, s8
	;; [unrolled: 1-line block ×3, first 2 shown]
	v_add3_u32 v13, v13, v18, v19
	v_sub_u32_e32 v10, v10, v21
	v_mul_lo_u32 v21, v10, s10
	v_mul_lo_u32 v10, v10, s11
	v_add3_u32 v7, v16, v20, v7
	v_add3_u32 v18, v23, v13, v21
	;; [unrolled: 1-line block ×3, first 2 shown]
	s_cbranch_scc1 .LBB29_104
; %bb.105:
	s_and_b32 s6, s27, 3
	s_cmp_eq_u32 s6, 0
	s_cbranch_scc0 .LBB29_109
	s_branch .LBB29_111
.LBB29_106:
                                        ; implicit-def: $vgpr18
                                        ; implicit-def: $vgpr20
	s_branch .LBB29_112
.LBB29_107:
	v_mov_b32_e32 v18, 0
	v_mov_b32_e32 v20, 0
	s_branch .LBB29_111
.LBB29_108:
	v_mov_b32_e32 v18, 0
	v_mov_b32_e32 v20, 0
	;; [unrolled: 1-line block ×3, first 2 shown]
	s_and_b32 s6, s27, 3
	s_cmp_eq_u32 s6, 0
	s_cbranch_scc1 .LBB29_111
.LBB29_109:
	s_lshl_b32 s2, s26, 3
	s_add_u32 s2, s34, s2
	s_addc_u32 s3, s35, 0
	s_add_u32 s2, s2, 0xc4
	s_addc_u32 s3, s3, 0
	s_mul_i32 s4, s26, 12
	s_add_u32 s4, s34, s4
	s_addc_u32 s5, s35, 0
.LBB29_110:                             ; =>This Inner Loop Header: Depth=1
	s_load_dwordx2 s[8:9], s[4:5], 0x4
	s_load_dword s7, s[4:5], 0xc
	s_load_dwordx2 s[10:11], s[2:3], 0x0
	s_add_u32 s4, s4, 12
	s_addc_u32 s5, s5, 0
	s_waitcnt lgkmcnt(0)
	v_mul_hi_u32 v7, s9, v4
	s_add_u32 s2, s2, 8
	s_addc_u32 s3, s3, 0
	s_add_i32 s6, s6, -1
	v_add_u32_e32 v7, v4, v7
	v_lshrrev_b32_e32 v7, s7, v7
	v_mul_lo_u32 v10, v7, s8
	s_cmp_lg_u32 s6, 0
	v_sub_u32_e32 v4, v4, v10
	v_mad_u64_u32 v[18:19], s[8:9], v4, s10, v[18:19]
	v_mad_u64_u32 v[20:21], s[8:9], v4, s11, v[20:21]
	v_mov_b32_e32 v4, v7
	s_cbranch_scc1 .LBB29_110
.LBB29_111:
	s_cbranch_execnz .LBB29_114
.LBB29_112:
	s_load_dwordx4 s[4:7], s[34:35], 0x4
	s_load_dwordx2 s[2:3], s[34:35], 0xc4
	s_cmp_lt_u32 s33, 2
	s_waitcnt lgkmcnt(0)
	v_mul_hi_u32 v4, s5, v1
	v_add_u32_e32 v4, v1, v4
	v_lshrrev_b32_e32 v4, s6, v4
	v_mul_lo_u32 v7, v4, s4
	v_sub_u32_e32 v1, v1, v7
	v_mul_lo_u32 v18, v1, s2
	v_mul_lo_u32 v20, v1, s3
	s_cbranch_scc1 .LBB29_114
; %bb.113:
	s_load_dwordx4 s[4:7], s[34:35], 0x10
	s_load_dwordx2 s[2:3], s[34:35], 0xcc
	s_waitcnt lgkmcnt(0)
	v_mul_hi_u32 v1, s5, v4
	v_add_u32_e32 v1, v4, v1
	v_lshrrev_b32_e32 v1, s6, v1
	v_mul_lo_u32 v1, v1, s4
	v_sub_u32_e32 v1, v4, v1
	v_mad_u64_u32 v[18:19], s[4:5], v1, s2, v[18:19]
	v_mad_u64_u32 v[20:21], s[2:3], v1, s3, v[20:21]
.LBB29_114:
	s_and_b64 vcc, exec, s[0:1]
	s_cbranch_vccnz .LBB29_120
; %bb.115:
	s_cmp_lg_u32 s33, 0
	s_mov_b32 s24, 0
	s_cbranch_scc0 .LBB29_121
; %bb.116:
	s_min_u32 s25, s56, 15
	s_add_i32 s25, s25, 1
	s_cmp_eq_u32 s56, 2
	s_cbranch_scc1 .LBB29_122
; %bb.117:
	s_and_b32 s24, s25, 28
	s_add_u32 s20, s34, 0xc4
	s_addc_u32 s21, s35, 0
	v_mov_b32_e32 v23, 0
	s_mov_b32 s26, 0
	s_mov_b64 s[22:23], s[34:35]
	v_mov_b32_e32 v21, 0
	v_mov_b32_e32 v1, v25
.LBB29_118:                             ; =>This Inner Loop Header: Depth=1
	s_load_dwordx8 s[8:15], s[22:23], 0x4
	s_load_dwordx4 s[16:19], s[22:23], 0x24
	s_load_dwordx8 s[0:7], s[20:21], 0x0
	s_add_u32 s22, s22, 48
	s_addc_u32 s23, s23, 0
	s_waitcnt lgkmcnt(0)
	v_mul_hi_u32 v4, s9, v1
	s_add_i32 s26, s26, 4
	s_add_u32 s20, s20, 32
	s_addc_u32 s21, s21, 0
	v_add_u32_e32 v4, v1, v4
	v_lshrrev_b32_e32 v4, s10, v4
	v_mul_lo_u32 v7, v4, s8
	v_mul_hi_u32 v10, s12, v4
	s_cmp_lg_u32 s24, s26
	v_sub_u32_e32 v1, v1, v7
	v_add_u32_e32 v7, v4, v10
	v_mul_lo_u32 v10, v1, s0
	v_mul_lo_u32 v13, v1, s1
	v_lshrrev_b32_e32 v1, s13, v7
	v_mul_lo_u32 v7, v1, s11
	v_mul_hi_u32 v16, s15, v1
	v_sub_u32_e32 v4, v4, v7
	v_add_u32_e32 v7, v1, v16
	v_lshrrev_b32_e32 v7, s16, v7
	v_mul_hi_u32 v19, s18, v7
	v_mul_lo_u32 v22, v7, s14
	v_mul_lo_u32 v16, v4, s2
	;; [unrolled: 1-line block ×3, first 2 shown]
	v_sub_u32_e32 v22, v1, v22
	v_add_u32_e32 v1, v7, v19
	v_lshrrev_b32_e32 v1, s19, v1
	v_mul_lo_u32 v19, v1, s17
	v_mul_lo_u32 v24, v22, s4
	;; [unrolled: 1-line block ×3, first 2 shown]
	v_add3_u32 v10, v10, v21, v16
	v_sub_u32_e32 v7, v7, v19
	v_mul_lo_u32 v19, v7, s6
	v_mul_lo_u32 v7, v7, s7
	v_add3_u32 v4, v13, v23, v4
	v_add3_u32 v21, v24, v10, v19
	v_add3_u32 v23, v22, v4, v7
	s_cbranch_scc1 .LBB29_118
; %bb.119:
	s_and_b32 s4, s25, 3
	s_cmp_eq_u32 s4, 0
	s_cbranch_scc0 .LBB29_123
	s_branch .LBB29_125
.LBB29_120:
                                        ; implicit-def: $vgpr21
                                        ; implicit-def: $vgpr23
	s_branch .LBB29_126
.LBB29_121:
	v_mov_b32_e32 v21, 0
	v_mov_b32_e32 v23, 0
	s_branch .LBB29_125
.LBB29_122:
	v_mov_b32_e32 v21, 0
	v_mov_b32_e32 v23, 0
	;; [unrolled: 1-line block ×3, first 2 shown]
	s_and_b32 s4, s25, 3
	s_cmp_eq_u32 s4, 0
	s_cbranch_scc1 .LBB29_125
.LBB29_123:
	s_lshl_b32 s0, s24, 3
	s_add_u32 s0, s34, s0
	s_addc_u32 s1, s35, 0
	s_add_u32 s0, s0, 0xc4
	s_addc_u32 s1, s1, 0
	s_mul_i32 s2, s24, 12
	s_add_u32 s2, s34, s2
	s_addc_u32 s3, s35, 0
.LBB29_124:                             ; =>This Inner Loop Header: Depth=1
	s_load_dwordx2 s[6:7], s[2:3], 0x4
	s_load_dword s5, s[2:3], 0xc
	s_load_dwordx2 s[8:9], s[0:1], 0x0
	s_add_u32 s2, s2, 12
	s_addc_u32 s3, s3, 0
	s_waitcnt lgkmcnt(0)
	v_mul_hi_u32 v4, s7, v1
	s_add_u32 s0, s0, 8
	s_addc_u32 s1, s1, 0
	s_add_i32 s4, s4, -1
	v_add_u32_e32 v4, v1, v4
	v_lshrrev_b32_e32 v4, s5, v4
	v_mul_lo_u32 v7, v4, s6
	s_cmp_lg_u32 s4, 0
	v_sub_u32_e32 v1, v1, v7
	v_mad_u64_u32 v[21:22], s[6:7], v1, s8, v[21:22]
	v_mad_u64_u32 v[23:24], s[6:7], v1, s9, v[23:24]
	v_mov_b32_e32 v1, v4
	s_cbranch_scc1 .LBB29_124
.LBB29_125:
	s_cbranch_execnz .LBB29_128
.LBB29_126:
	s_load_dwordx4 s[0:3], s[34:35], 0x4
	s_load_dwordx2 s[4:5], s[34:35], 0xc4
	s_cmp_lt_u32 s33, 2
	s_waitcnt lgkmcnt(0)
	v_mul_hi_u32 v1, s1, v25
	v_add_u32_e32 v1, v25, v1
	v_lshrrev_b32_e32 v1, s2, v1
	v_mul_lo_u32 v4, v1, s0
	v_sub_u32_e32 v4, v25, v4
	v_mul_lo_u32 v21, v4, s4
	v_mul_lo_u32 v23, v4, s5
	s_cbranch_scc1 .LBB29_128
; %bb.127:
	s_load_dwordx4 s[0:3], s[34:35], 0x10
	s_load_dwordx2 s[4:5], s[34:35], 0xcc
	s_waitcnt lgkmcnt(0)
	v_mul_hi_u32 v4, s1, v1
	v_add_u32_e32 v4, v1, v4
	v_lshrrev_b32_e32 v4, s2, v4
	v_mul_lo_u32 v4, v4, s0
	v_sub_u32_e32 v1, v1, v4
	v_mad_u64_u32 v[21:22], s[0:1], v1, s4, v[21:22]
	v_mad_u64_u32 v[23:24], s[0:1], v1, s5, v[23:24]
.LBB29_128:
	s_load_dwordx4 s[0:3], s[34:35], 0x148
	s_load_dword s4, s[34:35], 0x158
	s_waitcnt lgkmcnt(0)
	global_load_ubyte v1, v2, s[2:3]
	global_load_ubyte v4, v5, s[2:3]
	;; [unrolled: 1-line block ×8, first 2 shown]
	s_lshr_b32 s2, s4, 8
	s_sext_i32_i8 s3, s4
	s_bfe_i32 s4, s4, 0x80010
	s_cmp_gt_i32 s4, s3
	v_mov_b32_e32 v2, s2
	s_cselect_b64 vcc, -1, 0
	s_waitcnt vmcnt(7)
	v_cndmask_b32_e32 v1, v2, v1, vcc
	s_waitcnt vmcnt(6)
	v_cndmask_b32_e32 v4, v2, v4, vcc
	;; [unrolled: 2-line block ×8, first 2 shown]
	global_store_byte v0, v1, s[0:1]
	global_store_byte v3, v4, s[0:1]
	;; [unrolled: 1-line block ×8, first 2 shown]
	s_endpgm
.LBB29_129:
	v_mov_b32_e32 v0, 0
	v_mov_b32_e32 v2, 0
	s_branch .LBB29_135
.LBB29_130:
	v_mov_b32_e32 v0, 0
	v_mov_b32_e32 v2, 0
	s_branch .LBB29_151
.LBB29_131:
	s_mov_b32 s60, 0
	v_mov_b32_e32 v0, 0
	v_mov_b32_e32 v2, 0
	;; [unrolled: 1-line block ×3, first 2 shown]
.LBB29_132:
	s_and_b32 s8, s61, 3
	s_cmp_eq_u32 s8, 0
	s_cbranch_scc1 .LBB29_135
; %bb.133:
	s_lshl_b32 s4, s60, 3
	s_add_u32 s4, s34, s4
	s_addc_u32 s5, s35, 0
	s_add_u32 s4, s4, 0xc4
	s_addc_u32 s5, s5, 0
	s_mul_i32 s6, s60, 12
	s_add_u32 s6, s34, s6
	s_addc_u32 s7, s35, 0
.LBB29_134:                             ; =>This Inner Loop Header: Depth=1
	s_load_dwordx2 s[10:11], s[6:7], 0x4
	s_load_dword s9, s[6:7], 0xc
	s_load_dwordx2 s[12:13], s[4:5], 0x0
	s_add_u32 s6, s6, 12
	s_addc_u32 s7, s7, 0
	s_waitcnt lgkmcnt(0)
	v_mul_hi_u32 v3, s11, v1
	s_add_u32 s4, s4, 8
	s_addc_u32 s5, s5, 0
	s_add_i32 s8, s8, -1
	v_add_u32_e32 v3, v1, v3
	v_lshrrev_b32_e32 v4, s9, v3
	v_mul_lo_u32 v3, v4, s10
	s_cmp_lg_u32 s8, 0
	v_sub_u32_e32 v3, v1, v3
	v_mad_u64_u32 v[0:1], s[10:11], v3, s12, v[0:1]
	v_mad_u64_u32 v[2:3], s[10:11], v3, s13, v[2:3]
	v_mov_b32_e32 v1, v4
	s_cbranch_scc1 .LBB29_134
.LBB29_135:
	s_cbranch_execnz .LBB29_138
.LBB29_136:
	v_mul_hi_u32 v0, s25, v19
	s_andn2_b64 vcc, exec, s[44:45]
	v_add_u32_e32 v0, v19, v0
	v_lshrrev_b32_e32 v1, s26, v0
	v_mul_lo_u32 v0, v1, s24
	v_sub_u32_e32 v2, v19, v0
	v_mul_lo_u32 v0, v2, s28
	v_mul_lo_u32 v2, v2, s29
	s_cbranch_vccnz .LBB29_138
; %bb.137:
	v_mul_hi_u32 v3, s42, v1
	v_add_u32_e32 v3, v1, v3
	v_lshrrev_b32_e32 v3, s43, v3
	v_mul_lo_u32 v3, v3, s27
	v_sub_u32_e32 v3, v1, v3
	v_mad_u64_u32 v[0:1], s[4:5], v3, s30, v[0:1]
	v_mad_u64_u32 v[2:3], s[4:5], v3, s31, v[2:3]
.LBB29_138:
	global_load_ubyte v1, v2, s[22:23]
	v_mov_b32_e32 v2, s57
	v_add_u32_e32 v19, 0x80, v19
	s_waitcnt vmcnt(0)
	v_cndmask_b32_e64 v1, v2, v1, s[0:1]
	global_store_byte v0, v1, s[20:21]
	s_or_b64 exec, exec, s[50:51]
	v_cmp_gt_i32_e32 vcc, s58, v19
	s_and_saveexec_b64 s[50:51], vcc
	s_cbranch_execnz .LBB29_15
.LBB29_139:
	s_or_b64 exec, exec, s[50:51]
	v_cmp_gt_i32_e32 vcc, s58, v19
	s_and_saveexec_b64 s[50:51], vcc
	s_cbranch_execz .LBB29_155
.LBB29_140:
	s_andn2_b64 vcc, exec, s[2:3]
	s_cbranch_vccnz .LBB29_145
; %bb.141:
	s_andn2_b64 vcc, exec, s[48:49]
	s_cbranch_vccnz .LBB29_146
; %bb.142:
	s_add_i32 s61, s59, 1
	s_cmp_eq_u32 s56, 2
	s_cbranch_scc1 .LBB29_163
; %bb.143:
	s_and_b32 s60, s61, 28
	v_mov_b32_e32 v2, 0
	s_mov_b32 s62, 0
	s_mov_b64 s[52:53], s[34:35]
	s_mov_b64 s[54:55], s[46:47]
	v_mov_b32_e32 v0, 0
	v_mov_b32_e32 v1, v19
.LBB29_144:                             ; =>This Inner Loop Header: Depth=1
	s_load_dwordx8 s[12:19], s[52:53], 0x4
	s_load_dwordx4 s[36:39], s[52:53], 0x24
	s_load_dwordx8 s[4:11], s[54:55], 0x0
	s_add_u32 s52, s52, 48
	s_addc_u32 s53, s53, 0
	s_waitcnt lgkmcnt(0)
	v_mul_hi_u32 v3, s13, v1
	s_add_i32 s62, s62, 4
	s_add_u32 s54, s54, 32
	s_addc_u32 s55, s55, 0
	v_add_u32_e32 v3, v1, v3
	v_lshrrev_b32_e32 v3, s14, v3
	v_mul_lo_u32 v4, v3, s12
	v_mul_hi_u32 v5, s16, v3
	s_cmp_eq_u32 s60, s62
	v_sub_u32_e32 v1, v1, v4
	v_add_u32_e32 v4, v3, v5
	v_mul_lo_u32 v5, v1, s4
	v_mul_lo_u32 v6, v1, s5
	v_lshrrev_b32_e32 v1, s17, v4
	v_mul_lo_u32 v4, v1, s15
	v_mul_hi_u32 v7, s19, v1
	v_sub_u32_e32 v3, v3, v4
	v_add_u32_e32 v4, v1, v7
	v_lshrrev_b32_e32 v4, s36, v4
	v_mul_hi_u32 v8, s38, v4
	v_mul_lo_u32 v9, v4, s18
	v_mul_lo_u32 v7, v3, s6
	;; [unrolled: 1-line block ×3, first 2 shown]
	v_sub_u32_e32 v9, v1, v9
	v_add_u32_e32 v1, v4, v8
	v_lshrrev_b32_e32 v1, s39, v1
	v_mul_lo_u32 v8, v1, s37
	v_mul_lo_u32 v10, v9, s8
	;; [unrolled: 1-line block ×3, first 2 shown]
	v_add3_u32 v0, v5, v0, v7
	v_sub_u32_e32 v4, v4, v8
	v_mul_lo_u32 v8, v4, s10
	v_mul_lo_u32 v4, v4, s11
	v_add3_u32 v2, v6, v2, v3
	v_add3_u32 v0, v10, v0, v8
	;; [unrolled: 1-line block ×3, first 2 shown]
	s_cbranch_scc0 .LBB29_144
	s_branch .LBB29_164
.LBB29_145:
                                        ; implicit-def: $vgpr0
                                        ; implicit-def: $vgpr2
	s_branch .LBB29_168
.LBB29_146:
	v_mov_b32_e32 v0, 0
	v_mov_b32_e32 v2, 0
	s_branch .LBB29_167
.LBB29_147:
	s_mov_b32 s60, 0
	v_mov_b32_e32 v0, 0
	v_mov_b32_e32 v2, 0
	;; [unrolled: 1-line block ×3, first 2 shown]
.LBB29_148:
	s_and_b32 s8, s61, 3
	s_cmp_eq_u32 s8, 0
	s_cbranch_scc1 .LBB29_151
; %bb.149:
	s_lshl_b32 s4, s60, 3
	s_add_u32 s4, s34, s4
	s_addc_u32 s5, s35, 0
	s_add_u32 s4, s4, 0xc4
	s_addc_u32 s5, s5, 0
	s_mul_i32 s6, s60, 12
	s_add_u32 s6, s34, s6
	s_addc_u32 s7, s35, 0
.LBB29_150:                             ; =>This Inner Loop Header: Depth=1
	s_load_dwordx2 s[10:11], s[6:7], 0x4
	s_load_dword s9, s[6:7], 0xc
	s_load_dwordx2 s[12:13], s[4:5], 0x0
	s_add_u32 s6, s6, 12
	s_addc_u32 s7, s7, 0
	s_waitcnt lgkmcnt(0)
	v_mul_hi_u32 v3, s11, v1
	s_add_u32 s4, s4, 8
	s_addc_u32 s5, s5, 0
	s_add_i32 s8, s8, -1
	v_add_u32_e32 v3, v1, v3
	v_lshrrev_b32_e32 v4, s9, v3
	v_mul_lo_u32 v3, v4, s10
	s_cmp_lg_u32 s8, 0
	v_sub_u32_e32 v3, v1, v3
	v_mad_u64_u32 v[0:1], s[10:11], v3, s12, v[0:1]
	v_mad_u64_u32 v[2:3], s[10:11], v3, s13, v[2:3]
	v_mov_b32_e32 v1, v4
	s_cbranch_scc1 .LBB29_150
.LBB29_151:
	s_cbranch_execnz .LBB29_154
.LBB29_152:
	v_mul_hi_u32 v0, s25, v19
	s_andn2_b64 vcc, exec, s[44:45]
	v_add_u32_e32 v0, v19, v0
	v_lshrrev_b32_e32 v1, s26, v0
	v_mul_lo_u32 v0, v1, s24
	v_sub_u32_e32 v2, v19, v0
	v_mul_lo_u32 v0, v2, s28
	v_mul_lo_u32 v2, v2, s29
	s_cbranch_vccnz .LBB29_154
; %bb.153:
	v_mul_hi_u32 v3, s42, v1
	v_add_u32_e32 v3, v1, v3
	v_lshrrev_b32_e32 v3, s43, v3
	v_mul_lo_u32 v3, v3, s27
	v_sub_u32_e32 v3, v1, v3
	v_mad_u64_u32 v[0:1], s[4:5], v3, s30, v[0:1]
	v_mad_u64_u32 v[2:3], s[4:5], v3, s31, v[2:3]
.LBB29_154:
	global_load_ubyte v1, v2, s[22:23]
	v_mov_b32_e32 v2, s57
	v_add_u32_e32 v19, 0x80, v19
	s_waitcnt vmcnt(0)
	v_cndmask_b32_e64 v1, v2, v1, s[0:1]
	global_store_byte v0, v1, s[20:21]
	s_or_b64 exec, exec, s[50:51]
	v_cmp_gt_i32_e32 vcc, s58, v19
	s_and_saveexec_b64 s[50:51], vcc
	s_cbranch_execnz .LBB29_140
.LBB29_155:
	s_or_b64 exec, exec, s[50:51]
	v_cmp_gt_i32_e32 vcc, s58, v19
	s_and_saveexec_b64 s[50:51], vcc
	s_cbranch_execz .LBB29_171
.LBB29_156:
	s_andn2_b64 vcc, exec, s[2:3]
	s_cbranch_vccnz .LBB29_161
; %bb.157:
	s_andn2_b64 vcc, exec, s[48:49]
	s_cbranch_vccnz .LBB29_162
; %bb.158:
	s_add_i32 s61, s59, 1
	s_cmp_eq_u32 s56, 2
	s_cbranch_scc1 .LBB29_179
; %bb.159:
	s_and_b32 s60, s61, 28
	v_mov_b32_e32 v2, 0
	s_mov_b32 s62, 0
	s_mov_b64 s[52:53], s[34:35]
	s_mov_b64 s[54:55], s[46:47]
	v_mov_b32_e32 v0, 0
	v_mov_b32_e32 v1, v19
.LBB29_160:                             ; =>This Inner Loop Header: Depth=1
	s_load_dwordx8 s[12:19], s[52:53], 0x4
	s_load_dwordx4 s[36:39], s[52:53], 0x24
	s_load_dwordx8 s[4:11], s[54:55], 0x0
	s_add_u32 s52, s52, 48
	s_addc_u32 s53, s53, 0
	s_waitcnt lgkmcnt(0)
	v_mul_hi_u32 v3, s13, v1
	s_add_i32 s62, s62, 4
	s_add_u32 s54, s54, 32
	s_addc_u32 s55, s55, 0
	v_add_u32_e32 v3, v1, v3
	v_lshrrev_b32_e32 v3, s14, v3
	v_mul_lo_u32 v4, v3, s12
	v_mul_hi_u32 v5, s16, v3
	s_cmp_eq_u32 s60, s62
	v_sub_u32_e32 v1, v1, v4
	v_add_u32_e32 v4, v3, v5
	v_mul_lo_u32 v5, v1, s4
	v_mul_lo_u32 v6, v1, s5
	v_lshrrev_b32_e32 v1, s17, v4
	v_mul_lo_u32 v4, v1, s15
	v_mul_hi_u32 v7, s19, v1
	v_sub_u32_e32 v3, v3, v4
	v_add_u32_e32 v4, v1, v7
	v_lshrrev_b32_e32 v4, s36, v4
	v_mul_hi_u32 v8, s38, v4
	v_mul_lo_u32 v9, v4, s18
	v_mul_lo_u32 v7, v3, s6
	;; [unrolled: 1-line block ×3, first 2 shown]
	v_sub_u32_e32 v9, v1, v9
	v_add_u32_e32 v1, v4, v8
	v_lshrrev_b32_e32 v1, s39, v1
	v_mul_lo_u32 v8, v1, s37
	v_mul_lo_u32 v10, v9, s8
	v_mul_lo_u32 v9, v9, s9
	v_add3_u32 v0, v5, v0, v7
	v_sub_u32_e32 v4, v4, v8
	v_mul_lo_u32 v8, v4, s10
	v_mul_lo_u32 v4, v4, s11
	v_add3_u32 v2, v6, v2, v3
	v_add3_u32 v0, v10, v0, v8
	;; [unrolled: 1-line block ×3, first 2 shown]
	s_cbranch_scc0 .LBB29_160
	s_branch .LBB29_180
.LBB29_161:
                                        ; implicit-def: $vgpr0
                                        ; implicit-def: $vgpr2
	s_branch .LBB29_184
.LBB29_162:
	v_mov_b32_e32 v0, 0
	v_mov_b32_e32 v2, 0
	s_branch .LBB29_183
.LBB29_163:
	s_mov_b32 s60, 0
	v_mov_b32_e32 v0, 0
	v_mov_b32_e32 v2, 0
	v_mov_b32_e32 v1, v19
.LBB29_164:
	s_and_b32 s8, s61, 3
	s_cmp_eq_u32 s8, 0
	s_cbranch_scc1 .LBB29_167
; %bb.165:
	s_lshl_b32 s4, s60, 3
	s_add_u32 s4, s34, s4
	s_addc_u32 s5, s35, 0
	s_add_u32 s4, s4, 0xc4
	s_addc_u32 s5, s5, 0
	s_mul_i32 s6, s60, 12
	s_add_u32 s6, s34, s6
	s_addc_u32 s7, s35, 0
.LBB29_166:                             ; =>This Inner Loop Header: Depth=1
	s_load_dwordx2 s[10:11], s[6:7], 0x4
	s_load_dword s9, s[6:7], 0xc
	s_load_dwordx2 s[12:13], s[4:5], 0x0
	s_add_u32 s6, s6, 12
	s_addc_u32 s7, s7, 0
	s_waitcnt lgkmcnt(0)
	v_mul_hi_u32 v3, s11, v1
	s_add_u32 s4, s4, 8
	s_addc_u32 s5, s5, 0
	s_add_i32 s8, s8, -1
	v_add_u32_e32 v3, v1, v3
	v_lshrrev_b32_e32 v4, s9, v3
	v_mul_lo_u32 v3, v4, s10
	s_cmp_lg_u32 s8, 0
	v_sub_u32_e32 v3, v1, v3
	v_mad_u64_u32 v[0:1], s[10:11], v3, s12, v[0:1]
	v_mad_u64_u32 v[2:3], s[10:11], v3, s13, v[2:3]
	v_mov_b32_e32 v1, v4
	s_cbranch_scc1 .LBB29_166
.LBB29_167:
	s_cbranch_execnz .LBB29_170
.LBB29_168:
	v_mul_hi_u32 v0, s25, v19
	s_andn2_b64 vcc, exec, s[44:45]
	v_add_u32_e32 v0, v19, v0
	v_lshrrev_b32_e32 v1, s26, v0
	v_mul_lo_u32 v0, v1, s24
	v_sub_u32_e32 v2, v19, v0
	v_mul_lo_u32 v0, v2, s28
	v_mul_lo_u32 v2, v2, s29
	s_cbranch_vccnz .LBB29_170
; %bb.169:
	v_mul_hi_u32 v3, s42, v1
	v_add_u32_e32 v3, v1, v3
	v_lshrrev_b32_e32 v3, s43, v3
	v_mul_lo_u32 v3, v3, s27
	v_sub_u32_e32 v3, v1, v3
	v_mad_u64_u32 v[0:1], s[4:5], v3, s30, v[0:1]
	v_mad_u64_u32 v[2:3], s[4:5], v3, s31, v[2:3]
.LBB29_170:
	global_load_ubyte v1, v2, s[22:23]
	v_mov_b32_e32 v2, s57
	v_add_u32_e32 v19, 0x80, v19
	s_waitcnt vmcnt(0)
	v_cndmask_b32_e64 v1, v2, v1, s[0:1]
	global_store_byte v0, v1, s[20:21]
	s_or_b64 exec, exec, s[50:51]
	v_cmp_gt_i32_e32 vcc, s58, v19
	s_and_saveexec_b64 s[50:51], vcc
	s_cbranch_execnz .LBB29_156
.LBB29_171:
	s_or_b64 exec, exec, s[50:51]
	v_cmp_gt_i32_e32 vcc, s58, v19
	s_and_saveexec_b64 s[50:51], vcc
	s_cbranch_execz .LBB29_187
.LBB29_172:
	s_andn2_b64 vcc, exec, s[2:3]
	s_cbranch_vccnz .LBB29_177
; %bb.173:
	s_andn2_b64 vcc, exec, s[48:49]
	s_cbranch_vccnz .LBB29_178
; %bb.174:
	s_add_i32 s61, s59, 1
	s_cmp_eq_u32 s56, 2
	s_cbranch_scc1 .LBB29_195
; %bb.175:
	s_and_b32 s60, s61, 28
	v_mov_b32_e32 v2, 0
	s_mov_b32 s62, 0
	s_mov_b64 s[52:53], s[34:35]
	s_mov_b64 s[54:55], s[46:47]
	v_mov_b32_e32 v0, 0
	v_mov_b32_e32 v1, v19
.LBB29_176:                             ; =>This Inner Loop Header: Depth=1
	s_load_dwordx8 s[12:19], s[52:53], 0x4
	s_load_dwordx4 s[36:39], s[52:53], 0x24
	s_load_dwordx8 s[4:11], s[54:55], 0x0
	s_add_u32 s52, s52, 48
	s_addc_u32 s53, s53, 0
	s_waitcnt lgkmcnt(0)
	v_mul_hi_u32 v3, s13, v1
	s_add_i32 s62, s62, 4
	s_add_u32 s54, s54, 32
	s_addc_u32 s55, s55, 0
	v_add_u32_e32 v3, v1, v3
	v_lshrrev_b32_e32 v3, s14, v3
	v_mul_lo_u32 v4, v3, s12
	v_mul_hi_u32 v5, s16, v3
	s_cmp_eq_u32 s60, s62
	v_sub_u32_e32 v1, v1, v4
	v_add_u32_e32 v4, v3, v5
	v_mul_lo_u32 v5, v1, s4
	v_mul_lo_u32 v6, v1, s5
	v_lshrrev_b32_e32 v1, s17, v4
	v_mul_lo_u32 v4, v1, s15
	v_mul_hi_u32 v7, s19, v1
	v_sub_u32_e32 v3, v3, v4
	v_add_u32_e32 v4, v1, v7
	v_lshrrev_b32_e32 v4, s36, v4
	v_mul_hi_u32 v8, s38, v4
	v_mul_lo_u32 v9, v4, s18
	v_mul_lo_u32 v7, v3, s6
	;; [unrolled: 1-line block ×3, first 2 shown]
	v_sub_u32_e32 v9, v1, v9
	v_add_u32_e32 v1, v4, v8
	v_lshrrev_b32_e32 v1, s39, v1
	v_mul_lo_u32 v8, v1, s37
	v_mul_lo_u32 v10, v9, s8
	;; [unrolled: 1-line block ×3, first 2 shown]
	v_add3_u32 v0, v5, v0, v7
	v_sub_u32_e32 v4, v4, v8
	v_mul_lo_u32 v8, v4, s10
	v_mul_lo_u32 v4, v4, s11
	v_add3_u32 v2, v6, v2, v3
	v_add3_u32 v0, v10, v0, v8
	;; [unrolled: 1-line block ×3, first 2 shown]
	s_cbranch_scc0 .LBB29_176
	s_branch .LBB29_196
.LBB29_177:
                                        ; implicit-def: $vgpr0
                                        ; implicit-def: $vgpr2
	s_branch .LBB29_200
.LBB29_178:
	v_mov_b32_e32 v0, 0
	v_mov_b32_e32 v2, 0
	s_branch .LBB29_199
.LBB29_179:
	s_mov_b32 s60, 0
	v_mov_b32_e32 v0, 0
	v_mov_b32_e32 v2, 0
	;; [unrolled: 1-line block ×3, first 2 shown]
.LBB29_180:
	s_and_b32 s8, s61, 3
	s_cmp_eq_u32 s8, 0
	s_cbranch_scc1 .LBB29_183
; %bb.181:
	s_lshl_b32 s4, s60, 3
	s_add_u32 s4, s34, s4
	s_addc_u32 s5, s35, 0
	s_add_u32 s4, s4, 0xc4
	s_addc_u32 s5, s5, 0
	s_mul_i32 s6, s60, 12
	s_add_u32 s6, s34, s6
	s_addc_u32 s7, s35, 0
.LBB29_182:                             ; =>This Inner Loop Header: Depth=1
	s_load_dwordx2 s[10:11], s[6:7], 0x4
	s_load_dword s9, s[6:7], 0xc
	s_load_dwordx2 s[12:13], s[4:5], 0x0
	s_add_u32 s6, s6, 12
	s_addc_u32 s7, s7, 0
	s_waitcnt lgkmcnt(0)
	v_mul_hi_u32 v3, s11, v1
	s_add_u32 s4, s4, 8
	s_addc_u32 s5, s5, 0
	s_add_i32 s8, s8, -1
	v_add_u32_e32 v3, v1, v3
	v_lshrrev_b32_e32 v4, s9, v3
	v_mul_lo_u32 v3, v4, s10
	s_cmp_lg_u32 s8, 0
	v_sub_u32_e32 v3, v1, v3
	v_mad_u64_u32 v[0:1], s[10:11], v3, s12, v[0:1]
	v_mad_u64_u32 v[2:3], s[10:11], v3, s13, v[2:3]
	v_mov_b32_e32 v1, v4
	s_cbranch_scc1 .LBB29_182
.LBB29_183:
	s_cbranch_execnz .LBB29_186
.LBB29_184:
	v_mul_hi_u32 v0, s25, v19
	s_andn2_b64 vcc, exec, s[44:45]
	v_add_u32_e32 v0, v19, v0
	v_lshrrev_b32_e32 v1, s26, v0
	v_mul_lo_u32 v0, v1, s24
	v_sub_u32_e32 v2, v19, v0
	v_mul_lo_u32 v0, v2, s28
	v_mul_lo_u32 v2, v2, s29
	s_cbranch_vccnz .LBB29_186
; %bb.185:
	v_mul_hi_u32 v3, s42, v1
	v_add_u32_e32 v3, v1, v3
	v_lshrrev_b32_e32 v3, s43, v3
	v_mul_lo_u32 v3, v3, s27
	v_sub_u32_e32 v3, v1, v3
	v_mad_u64_u32 v[0:1], s[4:5], v3, s30, v[0:1]
	v_mad_u64_u32 v[2:3], s[4:5], v3, s31, v[2:3]
.LBB29_186:
	global_load_ubyte v1, v2, s[22:23]
	v_mov_b32_e32 v2, s57
	v_add_u32_e32 v19, 0x80, v19
	s_waitcnt vmcnt(0)
	v_cndmask_b32_e64 v1, v2, v1, s[0:1]
	global_store_byte v0, v1, s[20:21]
	s_or_b64 exec, exec, s[50:51]
	v_cmp_gt_i32_e32 vcc, s58, v19
	s_and_saveexec_b64 s[50:51], vcc
	s_cbranch_execnz .LBB29_172
.LBB29_187:
	s_or_b64 exec, exec, s[50:51]
	v_cmp_gt_i32_e32 vcc, s58, v19
	s_and_saveexec_b64 s[50:51], vcc
	s_cbranch_execz .LBB29_203
.LBB29_188:
	s_andn2_b64 vcc, exec, s[2:3]
	s_cbranch_vccnz .LBB29_193
; %bb.189:
	s_andn2_b64 vcc, exec, s[48:49]
	s_cbranch_vccnz .LBB29_194
; %bb.190:
	s_add_i32 s61, s59, 1
	s_cmp_eq_u32 s56, 2
	s_cbranch_scc1 .LBB29_211
; %bb.191:
	s_and_b32 s60, s61, 28
	v_mov_b32_e32 v2, 0
	s_mov_b32 s62, 0
	s_mov_b64 s[52:53], s[34:35]
	s_mov_b64 s[54:55], s[46:47]
	v_mov_b32_e32 v0, 0
	v_mov_b32_e32 v1, v19
.LBB29_192:                             ; =>This Inner Loop Header: Depth=1
	s_load_dwordx8 s[12:19], s[52:53], 0x4
	s_load_dwordx4 s[36:39], s[52:53], 0x24
	s_load_dwordx8 s[4:11], s[54:55], 0x0
	s_add_u32 s52, s52, 48
	s_addc_u32 s53, s53, 0
	s_waitcnt lgkmcnt(0)
	v_mul_hi_u32 v3, s13, v1
	s_add_i32 s62, s62, 4
	s_add_u32 s54, s54, 32
	s_addc_u32 s55, s55, 0
	v_add_u32_e32 v3, v1, v3
	v_lshrrev_b32_e32 v3, s14, v3
	v_mul_lo_u32 v4, v3, s12
	v_mul_hi_u32 v5, s16, v3
	s_cmp_eq_u32 s60, s62
	v_sub_u32_e32 v1, v1, v4
	v_add_u32_e32 v4, v3, v5
	v_mul_lo_u32 v5, v1, s4
	v_mul_lo_u32 v6, v1, s5
	v_lshrrev_b32_e32 v1, s17, v4
	v_mul_lo_u32 v4, v1, s15
	v_mul_hi_u32 v7, s19, v1
	v_sub_u32_e32 v3, v3, v4
	v_add_u32_e32 v4, v1, v7
	v_lshrrev_b32_e32 v4, s36, v4
	v_mul_hi_u32 v8, s38, v4
	v_mul_lo_u32 v9, v4, s18
	v_mul_lo_u32 v7, v3, s6
	;; [unrolled: 1-line block ×3, first 2 shown]
	v_sub_u32_e32 v9, v1, v9
	v_add_u32_e32 v1, v4, v8
	v_lshrrev_b32_e32 v1, s39, v1
	v_mul_lo_u32 v8, v1, s37
	v_mul_lo_u32 v10, v9, s8
	;; [unrolled: 1-line block ×3, first 2 shown]
	v_add3_u32 v0, v5, v0, v7
	v_sub_u32_e32 v4, v4, v8
	v_mul_lo_u32 v8, v4, s10
	v_mul_lo_u32 v4, v4, s11
	v_add3_u32 v2, v6, v2, v3
	v_add3_u32 v0, v10, v0, v8
	;; [unrolled: 1-line block ×3, first 2 shown]
	s_cbranch_scc0 .LBB29_192
	s_branch .LBB29_212
.LBB29_193:
                                        ; implicit-def: $vgpr0
                                        ; implicit-def: $vgpr2
	s_branch .LBB29_216
.LBB29_194:
	v_mov_b32_e32 v0, 0
	v_mov_b32_e32 v2, 0
	s_branch .LBB29_215
.LBB29_195:
	s_mov_b32 s60, 0
	v_mov_b32_e32 v0, 0
	v_mov_b32_e32 v2, 0
	;; [unrolled: 1-line block ×3, first 2 shown]
.LBB29_196:
	s_and_b32 s8, s61, 3
	s_cmp_eq_u32 s8, 0
	s_cbranch_scc1 .LBB29_199
; %bb.197:
	s_lshl_b32 s4, s60, 3
	s_add_u32 s4, s34, s4
	s_addc_u32 s5, s35, 0
	s_add_u32 s4, s4, 0xc4
	s_addc_u32 s5, s5, 0
	s_mul_i32 s6, s60, 12
	s_add_u32 s6, s34, s6
	s_addc_u32 s7, s35, 0
.LBB29_198:                             ; =>This Inner Loop Header: Depth=1
	s_load_dwordx2 s[10:11], s[6:7], 0x4
	s_load_dword s9, s[6:7], 0xc
	s_load_dwordx2 s[12:13], s[4:5], 0x0
	s_add_u32 s6, s6, 12
	s_addc_u32 s7, s7, 0
	s_waitcnt lgkmcnt(0)
	v_mul_hi_u32 v3, s11, v1
	s_add_u32 s4, s4, 8
	s_addc_u32 s5, s5, 0
	s_add_i32 s8, s8, -1
	v_add_u32_e32 v3, v1, v3
	v_lshrrev_b32_e32 v4, s9, v3
	v_mul_lo_u32 v3, v4, s10
	s_cmp_lg_u32 s8, 0
	v_sub_u32_e32 v3, v1, v3
	v_mad_u64_u32 v[0:1], s[10:11], v3, s12, v[0:1]
	v_mad_u64_u32 v[2:3], s[10:11], v3, s13, v[2:3]
	v_mov_b32_e32 v1, v4
	s_cbranch_scc1 .LBB29_198
.LBB29_199:
	s_cbranch_execnz .LBB29_202
.LBB29_200:
	v_mul_hi_u32 v0, s25, v19
	s_andn2_b64 vcc, exec, s[44:45]
	v_add_u32_e32 v0, v19, v0
	v_lshrrev_b32_e32 v1, s26, v0
	v_mul_lo_u32 v0, v1, s24
	v_sub_u32_e32 v2, v19, v0
	v_mul_lo_u32 v0, v2, s28
	v_mul_lo_u32 v2, v2, s29
	s_cbranch_vccnz .LBB29_202
; %bb.201:
	v_mul_hi_u32 v3, s42, v1
	v_add_u32_e32 v3, v1, v3
	v_lshrrev_b32_e32 v3, s43, v3
	v_mul_lo_u32 v3, v3, s27
	v_sub_u32_e32 v3, v1, v3
	v_mad_u64_u32 v[0:1], s[4:5], v3, s30, v[0:1]
	v_mad_u64_u32 v[2:3], s[4:5], v3, s31, v[2:3]
.LBB29_202:
	global_load_ubyte v1, v2, s[22:23]
	v_mov_b32_e32 v2, s57
	v_add_u32_e32 v19, 0x80, v19
	s_waitcnt vmcnt(0)
	v_cndmask_b32_e64 v1, v2, v1, s[0:1]
	global_store_byte v0, v1, s[20:21]
	s_or_b64 exec, exec, s[50:51]
	v_cmp_gt_i32_e32 vcc, s58, v19
	s_and_saveexec_b64 s[50:51], vcc
	s_cbranch_execnz .LBB29_188
.LBB29_203:
	s_or_b64 exec, exec, s[50:51]
	v_cmp_gt_i32_e32 vcc, s58, v19
	s_and_saveexec_b64 s[50:51], vcc
	s_cbranch_execz .LBB29_219
.LBB29_204:
	s_andn2_b64 vcc, exec, s[2:3]
	s_cbranch_vccnz .LBB29_209
; %bb.205:
	s_andn2_b64 vcc, exec, s[48:49]
	s_cbranch_vccnz .LBB29_210
; %bb.206:
	s_add_i32 s61, s59, 1
	s_cmp_eq_u32 s56, 2
	s_cbranch_scc1 .LBB29_222
; %bb.207:
	s_and_b32 s60, s61, 28
	v_mov_b32_e32 v2, 0
	s_mov_b32 s62, 0
	s_mov_b64 s[52:53], s[34:35]
	s_mov_b64 s[54:55], s[46:47]
	v_mov_b32_e32 v0, 0
	v_mov_b32_e32 v1, v19
.LBB29_208:                             ; =>This Inner Loop Header: Depth=1
	s_load_dwordx8 s[12:19], s[52:53], 0x4
	s_load_dwordx4 s[36:39], s[52:53], 0x24
	s_load_dwordx8 s[4:11], s[54:55], 0x0
	s_add_u32 s52, s52, 48
	s_addc_u32 s53, s53, 0
	s_waitcnt lgkmcnt(0)
	v_mul_hi_u32 v3, s13, v1
	s_add_i32 s62, s62, 4
	s_add_u32 s54, s54, 32
	s_addc_u32 s55, s55, 0
	v_add_u32_e32 v3, v1, v3
	v_lshrrev_b32_e32 v3, s14, v3
	v_mul_lo_u32 v4, v3, s12
	v_mul_hi_u32 v5, s16, v3
	s_cmp_eq_u32 s60, s62
	v_sub_u32_e32 v1, v1, v4
	v_add_u32_e32 v4, v3, v5
	v_mul_lo_u32 v5, v1, s4
	v_mul_lo_u32 v6, v1, s5
	v_lshrrev_b32_e32 v1, s17, v4
	v_mul_lo_u32 v4, v1, s15
	v_mul_hi_u32 v7, s19, v1
	v_sub_u32_e32 v3, v3, v4
	v_add_u32_e32 v4, v1, v7
	v_lshrrev_b32_e32 v4, s36, v4
	v_mul_hi_u32 v8, s38, v4
	v_mul_lo_u32 v9, v4, s18
	v_mul_lo_u32 v7, v3, s6
	;; [unrolled: 1-line block ×3, first 2 shown]
	v_sub_u32_e32 v9, v1, v9
	v_add_u32_e32 v1, v4, v8
	v_lshrrev_b32_e32 v1, s39, v1
	v_mul_lo_u32 v8, v1, s37
	v_mul_lo_u32 v10, v9, s8
	;; [unrolled: 1-line block ×3, first 2 shown]
	v_add3_u32 v0, v5, v0, v7
	v_sub_u32_e32 v4, v4, v8
	v_mul_lo_u32 v8, v4, s10
	v_mul_lo_u32 v4, v4, s11
	v_add3_u32 v2, v6, v2, v3
	v_add3_u32 v0, v10, v0, v8
	;; [unrolled: 1-line block ×3, first 2 shown]
	s_cbranch_scc0 .LBB29_208
	s_branch .LBB29_223
.LBB29_209:
                                        ; implicit-def: $vgpr0
                                        ; implicit-def: $vgpr2
	s_branch .LBB29_227
.LBB29_210:
	v_mov_b32_e32 v0, 0
	v_mov_b32_e32 v2, 0
	s_branch .LBB29_226
.LBB29_211:
	s_mov_b32 s60, 0
	v_mov_b32_e32 v0, 0
	v_mov_b32_e32 v2, 0
	;; [unrolled: 1-line block ×3, first 2 shown]
.LBB29_212:
	s_and_b32 s8, s61, 3
	s_cmp_eq_u32 s8, 0
	s_cbranch_scc1 .LBB29_215
; %bb.213:
	s_lshl_b32 s4, s60, 3
	s_add_u32 s4, s34, s4
	s_addc_u32 s5, s35, 0
	s_add_u32 s4, s4, 0xc4
	s_addc_u32 s5, s5, 0
	s_mul_i32 s6, s60, 12
	s_add_u32 s6, s34, s6
	s_addc_u32 s7, s35, 0
.LBB29_214:                             ; =>This Inner Loop Header: Depth=1
	s_load_dwordx2 s[10:11], s[6:7], 0x4
	s_load_dword s9, s[6:7], 0xc
	s_load_dwordx2 s[12:13], s[4:5], 0x0
	s_add_u32 s6, s6, 12
	s_addc_u32 s7, s7, 0
	s_waitcnt lgkmcnt(0)
	v_mul_hi_u32 v3, s11, v1
	s_add_u32 s4, s4, 8
	s_addc_u32 s5, s5, 0
	s_add_i32 s8, s8, -1
	v_add_u32_e32 v3, v1, v3
	v_lshrrev_b32_e32 v4, s9, v3
	v_mul_lo_u32 v3, v4, s10
	s_cmp_lg_u32 s8, 0
	v_sub_u32_e32 v3, v1, v3
	v_mad_u64_u32 v[0:1], s[10:11], v3, s12, v[0:1]
	v_mad_u64_u32 v[2:3], s[10:11], v3, s13, v[2:3]
	v_mov_b32_e32 v1, v4
	s_cbranch_scc1 .LBB29_214
.LBB29_215:
	s_cbranch_execnz .LBB29_218
.LBB29_216:
	v_mul_hi_u32 v0, s25, v19
	s_andn2_b64 vcc, exec, s[44:45]
	v_add_u32_e32 v0, v19, v0
	v_lshrrev_b32_e32 v1, s26, v0
	v_mul_lo_u32 v0, v1, s24
	v_sub_u32_e32 v2, v19, v0
	v_mul_lo_u32 v0, v2, s28
	v_mul_lo_u32 v2, v2, s29
	s_cbranch_vccnz .LBB29_218
; %bb.217:
	v_mul_hi_u32 v3, s42, v1
	v_add_u32_e32 v3, v1, v3
	v_lshrrev_b32_e32 v3, s43, v3
	v_mul_lo_u32 v3, v3, s27
	v_sub_u32_e32 v3, v1, v3
	v_mad_u64_u32 v[0:1], s[4:5], v3, s30, v[0:1]
	v_mad_u64_u32 v[2:3], s[4:5], v3, s31, v[2:3]
.LBB29_218:
	global_load_ubyte v1, v2, s[22:23]
	v_mov_b32_e32 v2, s57
	v_add_u32_e32 v19, 0x80, v19
	s_waitcnt vmcnt(0)
	v_cndmask_b32_e64 v1, v2, v1, s[0:1]
	global_store_byte v0, v1, s[20:21]
	s_or_b64 exec, exec, s[50:51]
	v_cmp_gt_i32_e32 vcc, s58, v19
	s_and_saveexec_b64 s[50:51], vcc
	s_cbranch_execnz .LBB29_204
.LBB29_219:
	s_or_b64 exec, exec, s[50:51]
	v_cmp_gt_i32_e32 vcc, s58, v19
	s_and_saveexec_b64 s[50:51], vcc
	s_cbranch_execnz .LBB29_230
.LBB29_220:
	s_or_b64 exec, exec, s[50:51]
                                        ; implicit-def: $vgpr25
                                        ; implicit-def: $vgpr19
	s_andn2_saveexec_b64 s[0:1], s[40:41]
	s_cbranch_execnz .LBB29_8
.LBB29_221:
	s_endpgm
.LBB29_222:
	s_mov_b32 s60, 0
	v_mov_b32_e32 v0, 0
	v_mov_b32_e32 v2, 0
	;; [unrolled: 1-line block ×3, first 2 shown]
.LBB29_223:
	s_and_b32 s8, s61, 3
	s_cmp_eq_u32 s8, 0
	s_cbranch_scc1 .LBB29_226
; %bb.224:
	s_lshl_b32 s4, s60, 3
	s_add_u32 s4, s34, s4
	s_addc_u32 s5, s35, 0
	s_add_u32 s4, s4, 0xc4
	s_addc_u32 s5, s5, 0
	s_mul_i32 s6, s60, 12
	s_add_u32 s6, s34, s6
	s_addc_u32 s7, s35, 0
.LBB29_225:                             ; =>This Inner Loop Header: Depth=1
	s_load_dwordx2 s[10:11], s[6:7], 0x4
	s_load_dword s9, s[6:7], 0xc
	s_load_dwordx2 s[12:13], s[4:5], 0x0
	s_add_u32 s6, s6, 12
	s_addc_u32 s7, s7, 0
	s_waitcnt lgkmcnt(0)
	v_mul_hi_u32 v3, s11, v1
	s_add_u32 s4, s4, 8
	s_addc_u32 s5, s5, 0
	s_add_i32 s8, s8, -1
	v_add_u32_e32 v3, v1, v3
	v_lshrrev_b32_e32 v4, s9, v3
	v_mul_lo_u32 v3, v4, s10
	s_cmp_lg_u32 s8, 0
	v_sub_u32_e32 v3, v1, v3
	v_mad_u64_u32 v[0:1], s[10:11], v3, s12, v[0:1]
	v_mad_u64_u32 v[2:3], s[10:11], v3, s13, v[2:3]
	v_mov_b32_e32 v1, v4
	s_cbranch_scc1 .LBB29_225
.LBB29_226:
	s_cbranch_execnz .LBB29_229
.LBB29_227:
	v_mul_hi_u32 v0, s25, v19
	s_andn2_b64 vcc, exec, s[44:45]
	v_add_u32_e32 v0, v19, v0
	v_lshrrev_b32_e32 v1, s26, v0
	v_mul_lo_u32 v0, v1, s24
	v_sub_u32_e32 v2, v19, v0
	v_mul_lo_u32 v0, v2, s28
	v_mul_lo_u32 v2, v2, s29
	s_cbranch_vccnz .LBB29_229
; %bb.228:
	v_mul_hi_u32 v3, s42, v1
	v_add_u32_e32 v3, v1, v3
	v_lshrrev_b32_e32 v3, s43, v3
	v_mul_lo_u32 v3, v3, s27
	v_sub_u32_e32 v3, v1, v3
	v_mad_u64_u32 v[0:1], s[4:5], v3, s30, v[0:1]
	v_mad_u64_u32 v[2:3], s[4:5], v3, s31, v[2:3]
.LBB29_229:
	global_load_ubyte v1, v2, s[22:23]
	v_mov_b32_e32 v2, s57
	v_add_u32_e32 v19, 0x80, v19
	s_waitcnt vmcnt(0)
	v_cndmask_b32_e64 v1, v2, v1, s[0:1]
	global_store_byte v0, v1, s[20:21]
	s_or_b64 exec, exec, s[50:51]
	v_cmp_gt_i32_e32 vcc, s58, v19
	s_and_saveexec_b64 s[50:51], vcc
	s_cbranch_execz .LBB29_220
.LBB29_230:
	s_andn2_b64 vcc, exec, s[2:3]
	s_cbranch_vccnz .LBB29_235
; %bb.231:
	s_andn2_b64 vcc, exec, s[48:49]
	s_cbranch_vccnz .LBB29_236
; %bb.232:
	s_add_i32 s59, s59, 1
	s_cmp_eq_u32 s56, 2
	s_cbranch_scc1 .LBB29_237
; %bb.233:
	s_and_b32 s52, s59, 28
	v_mov_b32_e32 v2, 0
	s_mov_b32 s53, 0
	s_mov_b64 s[48:49], s[34:35]
	v_mov_b32_e32 v0, 0
	v_mov_b32_e32 v1, v19
.LBB29_234:                             ; =>This Inner Loop Header: Depth=1
	s_load_dwordx8 s[12:19], s[48:49], 0x4
	s_load_dwordx4 s[36:39], s[48:49], 0x24
	s_load_dwordx8 s[4:11], s[46:47], 0x0
	s_add_u32 s48, s48, 48
	s_addc_u32 s49, s49, 0
	s_waitcnt lgkmcnt(0)
	v_mul_hi_u32 v3, s13, v1
	s_add_i32 s53, s53, 4
	s_add_u32 s46, s46, 32
	s_addc_u32 s47, s47, 0
	v_add_u32_e32 v3, v1, v3
	v_lshrrev_b32_e32 v3, s14, v3
	v_mul_lo_u32 v4, v3, s12
	v_mul_hi_u32 v5, s16, v3
	s_cmp_eq_u32 s52, s53
	v_sub_u32_e32 v1, v1, v4
	v_add_u32_e32 v4, v3, v5
	v_mul_lo_u32 v5, v1, s4
	v_mul_lo_u32 v6, v1, s5
	v_lshrrev_b32_e32 v1, s17, v4
	v_mul_lo_u32 v4, v1, s15
	v_mul_hi_u32 v7, s19, v1
	v_sub_u32_e32 v3, v3, v4
	v_add_u32_e32 v4, v1, v7
	v_lshrrev_b32_e32 v4, s36, v4
	v_mul_hi_u32 v8, s38, v4
	v_mul_lo_u32 v9, v4, s18
	v_mul_lo_u32 v7, v3, s6
	;; [unrolled: 1-line block ×3, first 2 shown]
	v_sub_u32_e32 v9, v1, v9
	v_add_u32_e32 v1, v4, v8
	v_lshrrev_b32_e32 v1, s39, v1
	v_mul_lo_u32 v8, v1, s37
	v_mul_lo_u32 v10, v9, s8
	;; [unrolled: 1-line block ×3, first 2 shown]
	v_add3_u32 v0, v5, v0, v7
	v_sub_u32_e32 v4, v4, v8
	v_mul_lo_u32 v8, v4, s10
	v_mul_lo_u32 v4, v4, s11
	v_add3_u32 v2, v6, v2, v3
	v_add3_u32 v0, v10, v0, v8
	;; [unrolled: 1-line block ×3, first 2 shown]
	s_cbranch_scc0 .LBB29_234
	s_branch .LBB29_238
.LBB29_235:
                                        ; implicit-def: $vgpr0
                                        ; implicit-def: $vgpr2
	s_branch .LBB29_242
.LBB29_236:
	v_mov_b32_e32 v0, 0
	v_mov_b32_e32 v2, 0
	s_branch .LBB29_241
.LBB29_237:
	s_mov_b32 s52, 0
	v_mov_b32_e32 v0, 0
	v_mov_b32_e32 v2, 0
	;; [unrolled: 1-line block ×3, first 2 shown]
.LBB29_238:
	s_and_b32 s8, s59, 3
	s_cmp_eq_u32 s8, 0
	s_cbranch_scc1 .LBB29_241
; %bb.239:
	s_lshl_b32 s4, s52, 3
	s_add_u32 s4, s34, s4
	s_addc_u32 s5, s35, 0
	s_add_u32 s4, s4, 0xc4
	s_addc_u32 s5, s5, 0
	s_mul_i32 s6, s52, 12
	s_add_u32 s6, s34, s6
	s_addc_u32 s7, s35, 0
.LBB29_240:                             ; =>This Inner Loop Header: Depth=1
	s_load_dwordx2 s[10:11], s[6:7], 0x4
	s_load_dword s9, s[6:7], 0xc
	s_load_dwordx2 s[12:13], s[4:5], 0x0
	s_add_u32 s6, s6, 12
	s_addc_u32 s7, s7, 0
	s_waitcnt lgkmcnt(0)
	v_mul_hi_u32 v3, s11, v1
	s_add_u32 s4, s4, 8
	s_addc_u32 s5, s5, 0
	s_add_i32 s8, s8, -1
	v_add_u32_e32 v3, v1, v3
	v_lshrrev_b32_e32 v4, s9, v3
	v_mul_lo_u32 v3, v4, s10
	s_cmp_lg_u32 s8, 0
	v_sub_u32_e32 v3, v1, v3
	v_mad_u64_u32 v[0:1], s[10:11], v3, s12, v[0:1]
	v_mad_u64_u32 v[2:3], s[10:11], v3, s13, v[2:3]
	v_mov_b32_e32 v1, v4
	s_cbranch_scc1 .LBB29_240
.LBB29_241:
	s_cbranch_execnz .LBB29_244
.LBB29_242:
	v_mul_hi_u32 v0, s25, v19
	s_andn2_b64 vcc, exec, s[44:45]
	v_add_u32_e32 v0, v19, v0
	v_lshrrev_b32_e32 v1, s26, v0
	v_mul_lo_u32 v0, v1, s24
	v_sub_u32_e32 v2, v19, v0
	v_mul_lo_u32 v0, v2, s28
	v_mul_lo_u32 v2, v2, s29
	s_cbranch_vccnz .LBB29_244
; %bb.243:
	v_mul_hi_u32 v3, s42, v1
	v_add_u32_e32 v3, v1, v3
	v_lshrrev_b32_e32 v3, s43, v3
	v_mul_lo_u32 v3, v3, s27
	v_sub_u32_e32 v3, v1, v3
	v_mad_u64_u32 v[0:1], s[4:5], v3, s30, v[0:1]
	v_mad_u64_u32 v[2:3], s[4:5], v3, s31, v[2:3]
.LBB29_244:
	global_load_ubyte v1, v2, s[22:23]
	v_mov_b32_e32 v2, s57
	s_waitcnt vmcnt(0)
	v_cndmask_b32_e64 v1, v2, v1, s[0:1]
	global_store_byte v0, v1, s[20:21]
	s_or_b64 exec, exec, s[50:51]
                                        ; implicit-def: $vgpr25
                                        ; implicit-def: $vgpr19
	s_andn2_saveexec_b64 s[0:1], s[40:41]
	s_cbranch_execz .LBB29_221
	s_branch .LBB29_8
	.section	.rodata,"a",@progbits
	.p2align	6, 0x0
	.amdhsa_kernel _ZN2at6native32elementwise_kernel_manual_unrollILi128ELi8EZNS0_22gpu_kernel_impl_nocastINS0_13AUnaryFunctorIaaaZNS0_12_GLOBAL__N_121threshold_kernel_implIaEEvRNS_18TensorIteratorBaseET_S8_EUlaaE_EEEEvS7_RKS8_EUlibE_EEviT1_
		.amdhsa_group_segment_fixed_size 0
		.amdhsa_private_segment_fixed_size 0
		.amdhsa_kernarg_size 360
		.amdhsa_user_sgpr_count 6
		.amdhsa_user_sgpr_private_segment_buffer 1
		.amdhsa_user_sgpr_dispatch_ptr 0
		.amdhsa_user_sgpr_queue_ptr 0
		.amdhsa_user_sgpr_kernarg_segment_ptr 1
		.amdhsa_user_sgpr_dispatch_id 0
		.amdhsa_user_sgpr_flat_scratch_init 0
		.amdhsa_user_sgpr_private_segment_size 0
		.amdhsa_uses_dynamic_stack 0
		.amdhsa_system_sgpr_private_segment_wavefront_offset 0
		.amdhsa_system_sgpr_workgroup_id_x 1
		.amdhsa_system_sgpr_workgroup_id_y 0
		.amdhsa_system_sgpr_workgroup_id_z 0
		.amdhsa_system_sgpr_workgroup_info 0
		.amdhsa_system_vgpr_workitem_id 0
		.amdhsa_next_free_vgpr 26
		.amdhsa_next_free_sgpr 63
		.amdhsa_reserve_vcc 1
		.amdhsa_reserve_flat_scratch 0
		.amdhsa_float_round_mode_32 0
		.amdhsa_float_round_mode_16_64 0
		.amdhsa_float_denorm_mode_32 3
		.amdhsa_float_denorm_mode_16_64 3
		.amdhsa_dx10_clamp 1
		.amdhsa_ieee_mode 1
		.amdhsa_fp16_overflow 0
		.amdhsa_exception_fp_ieee_invalid_op 0
		.amdhsa_exception_fp_denorm_src 0
		.amdhsa_exception_fp_ieee_div_zero 0
		.amdhsa_exception_fp_ieee_overflow 0
		.amdhsa_exception_fp_ieee_underflow 0
		.amdhsa_exception_fp_ieee_inexact 0
		.amdhsa_exception_int_div_zero 0
	.end_amdhsa_kernel
	.section	.text._ZN2at6native32elementwise_kernel_manual_unrollILi128ELi8EZNS0_22gpu_kernel_impl_nocastINS0_13AUnaryFunctorIaaaZNS0_12_GLOBAL__N_121threshold_kernel_implIaEEvRNS_18TensorIteratorBaseET_S8_EUlaaE_EEEEvS7_RKS8_EUlibE_EEviT1_,"axG",@progbits,_ZN2at6native32elementwise_kernel_manual_unrollILi128ELi8EZNS0_22gpu_kernel_impl_nocastINS0_13AUnaryFunctorIaaaZNS0_12_GLOBAL__N_121threshold_kernel_implIaEEvRNS_18TensorIteratorBaseET_S8_EUlaaE_EEEEvS7_RKS8_EUlibE_EEviT1_,comdat
.Lfunc_end29:
	.size	_ZN2at6native32elementwise_kernel_manual_unrollILi128ELi8EZNS0_22gpu_kernel_impl_nocastINS0_13AUnaryFunctorIaaaZNS0_12_GLOBAL__N_121threshold_kernel_implIaEEvRNS_18TensorIteratorBaseET_S8_EUlaaE_EEEEvS7_RKS8_EUlibE_EEviT1_, .Lfunc_end29-_ZN2at6native32elementwise_kernel_manual_unrollILi128ELi8EZNS0_22gpu_kernel_impl_nocastINS0_13AUnaryFunctorIaaaZNS0_12_GLOBAL__N_121threshold_kernel_implIaEEvRNS_18TensorIteratorBaseET_S8_EUlaaE_EEEEvS7_RKS8_EUlibE_EEviT1_
                                        ; -- End function
	.set _ZN2at6native32elementwise_kernel_manual_unrollILi128ELi8EZNS0_22gpu_kernel_impl_nocastINS0_13AUnaryFunctorIaaaZNS0_12_GLOBAL__N_121threshold_kernel_implIaEEvRNS_18TensorIteratorBaseET_S8_EUlaaE_EEEEvS7_RKS8_EUlibE_EEviT1_.num_vgpr, 26
	.set _ZN2at6native32elementwise_kernel_manual_unrollILi128ELi8EZNS0_22gpu_kernel_impl_nocastINS0_13AUnaryFunctorIaaaZNS0_12_GLOBAL__N_121threshold_kernel_implIaEEvRNS_18TensorIteratorBaseET_S8_EUlaaE_EEEEvS7_RKS8_EUlibE_EEviT1_.num_agpr, 0
	.set _ZN2at6native32elementwise_kernel_manual_unrollILi128ELi8EZNS0_22gpu_kernel_impl_nocastINS0_13AUnaryFunctorIaaaZNS0_12_GLOBAL__N_121threshold_kernel_implIaEEvRNS_18TensorIteratorBaseET_S8_EUlaaE_EEEEvS7_RKS8_EUlibE_EEviT1_.numbered_sgpr, 63
	.set _ZN2at6native32elementwise_kernel_manual_unrollILi128ELi8EZNS0_22gpu_kernel_impl_nocastINS0_13AUnaryFunctorIaaaZNS0_12_GLOBAL__N_121threshold_kernel_implIaEEvRNS_18TensorIteratorBaseET_S8_EUlaaE_EEEEvS7_RKS8_EUlibE_EEviT1_.num_named_barrier, 0
	.set _ZN2at6native32elementwise_kernel_manual_unrollILi128ELi8EZNS0_22gpu_kernel_impl_nocastINS0_13AUnaryFunctorIaaaZNS0_12_GLOBAL__N_121threshold_kernel_implIaEEvRNS_18TensorIteratorBaseET_S8_EUlaaE_EEEEvS7_RKS8_EUlibE_EEviT1_.private_seg_size, 0
	.set _ZN2at6native32elementwise_kernel_manual_unrollILi128ELi8EZNS0_22gpu_kernel_impl_nocastINS0_13AUnaryFunctorIaaaZNS0_12_GLOBAL__N_121threshold_kernel_implIaEEvRNS_18TensorIteratorBaseET_S8_EUlaaE_EEEEvS7_RKS8_EUlibE_EEviT1_.uses_vcc, 1
	.set _ZN2at6native32elementwise_kernel_manual_unrollILi128ELi8EZNS0_22gpu_kernel_impl_nocastINS0_13AUnaryFunctorIaaaZNS0_12_GLOBAL__N_121threshold_kernel_implIaEEvRNS_18TensorIteratorBaseET_S8_EUlaaE_EEEEvS7_RKS8_EUlibE_EEviT1_.uses_flat_scratch, 0
	.set _ZN2at6native32elementwise_kernel_manual_unrollILi128ELi8EZNS0_22gpu_kernel_impl_nocastINS0_13AUnaryFunctorIaaaZNS0_12_GLOBAL__N_121threshold_kernel_implIaEEvRNS_18TensorIteratorBaseET_S8_EUlaaE_EEEEvS7_RKS8_EUlibE_EEviT1_.has_dyn_sized_stack, 0
	.set _ZN2at6native32elementwise_kernel_manual_unrollILi128ELi8EZNS0_22gpu_kernel_impl_nocastINS0_13AUnaryFunctorIaaaZNS0_12_GLOBAL__N_121threshold_kernel_implIaEEvRNS_18TensorIteratorBaseET_S8_EUlaaE_EEEEvS7_RKS8_EUlibE_EEviT1_.has_recursion, 0
	.set _ZN2at6native32elementwise_kernel_manual_unrollILi128ELi8EZNS0_22gpu_kernel_impl_nocastINS0_13AUnaryFunctorIaaaZNS0_12_GLOBAL__N_121threshold_kernel_implIaEEvRNS_18TensorIteratorBaseET_S8_EUlaaE_EEEEvS7_RKS8_EUlibE_EEviT1_.has_indirect_call, 0
	.section	.AMDGPU.csdata,"",@progbits
; Kernel info:
; codeLenInByte = 11304
; TotalNumSgprs: 67
; NumVgprs: 26
; ScratchSize: 0
; MemoryBound: 0
; FloatMode: 240
; IeeeMode: 1
; LDSByteSize: 0 bytes/workgroup (compile time only)
; SGPRBlocks: 8
; VGPRBlocks: 6
; NumSGPRsForWavesPerEU: 67
; NumVGPRsForWavesPerEU: 26
; Occupancy: 9
; WaveLimiterHint : 1
; COMPUTE_PGM_RSRC2:SCRATCH_EN: 0
; COMPUTE_PGM_RSRC2:USER_SGPR: 6
; COMPUTE_PGM_RSRC2:TRAP_HANDLER: 0
; COMPUTE_PGM_RSRC2:TGID_X_EN: 1
; COMPUTE_PGM_RSRC2:TGID_Y_EN: 0
; COMPUTE_PGM_RSRC2:TGID_Z_EN: 0
; COMPUTE_PGM_RSRC2:TIDIG_COMP_CNT: 0
	.section	.text._ZN2at6native32elementwise_kernel_manual_unrollILi128ELi4EZNS0_15gpu_kernel_implINS0_13AUnaryFunctorIaaaZNS0_12_GLOBAL__N_121threshold_kernel_implIaEEvRNS_18TensorIteratorBaseET_S8_EUlaaE_EEEEvS7_RKS8_EUlibE_EEviT1_,"axG",@progbits,_ZN2at6native32elementwise_kernel_manual_unrollILi128ELi4EZNS0_15gpu_kernel_implINS0_13AUnaryFunctorIaaaZNS0_12_GLOBAL__N_121threshold_kernel_implIaEEvRNS_18TensorIteratorBaseET_S8_EUlaaE_EEEEvS7_RKS8_EUlibE_EEviT1_,comdat
	.globl	_ZN2at6native32elementwise_kernel_manual_unrollILi128ELi4EZNS0_15gpu_kernel_implINS0_13AUnaryFunctorIaaaZNS0_12_GLOBAL__N_121threshold_kernel_implIaEEvRNS_18TensorIteratorBaseET_S8_EUlaaE_EEEEvS7_RKS8_EUlibE_EEviT1_ ; -- Begin function _ZN2at6native32elementwise_kernel_manual_unrollILi128ELi4EZNS0_15gpu_kernel_implINS0_13AUnaryFunctorIaaaZNS0_12_GLOBAL__N_121threshold_kernel_implIaEEvRNS_18TensorIteratorBaseET_S8_EUlaaE_EEEEvS7_RKS8_EUlibE_EEviT1_
	.p2align	8
	.type	_ZN2at6native32elementwise_kernel_manual_unrollILi128ELi4EZNS0_15gpu_kernel_implINS0_13AUnaryFunctorIaaaZNS0_12_GLOBAL__N_121threshold_kernel_implIaEEvRNS_18TensorIteratorBaseET_S8_EUlaaE_EEEEvS7_RKS8_EUlibE_EEviT1_,@function
_ZN2at6native32elementwise_kernel_manual_unrollILi128ELi4EZNS0_15gpu_kernel_implINS0_13AUnaryFunctorIaaaZNS0_12_GLOBAL__N_121threshold_kernel_implIaEEvRNS_18TensorIteratorBaseET_S8_EUlaaE_EEEEvS7_RKS8_EUlibE_EEviT1_: ; @_ZN2at6native32elementwise_kernel_manual_unrollILi128ELi4EZNS0_15gpu_kernel_implINS0_13AUnaryFunctorIaaaZNS0_12_GLOBAL__N_121threshold_kernel_implIaEEvRNS_18TensorIteratorBaseET_S8_EUlaaE_EEEEvS7_RKS8_EUlibE_EEviT1_
; %bb.0:
	s_load_dwordx8 s[8:15], s[4:5], 0x8
	s_load_dword s44, s[4:5], 0x0
	v_lshl_or_b32 v9, s6, 9, v0
	v_or_b32_e32 v0, 0x180, v9
	s_mov_b64 s[6:7], 0
	s_waitcnt lgkmcnt(0)
	s_lshr_b32 s0, s14, 16
	s_bfe_i32 s48, s14, 0x80000
	s_lshr_b32 s33, s14, 8
	s_bfe_i32 s49, s0, 0x80000
	s_lshr_b64 s[4:5], s[14:15], 24
	v_cmp_le_i32_e32 vcc, s44, v0
	s_mov_b64 s[18:19], 0
	s_and_saveexec_b64 s[0:1], vcc
	s_xor_b64 s[16:17], exec, s[0:1]
	s_cbranch_execz .LBB30_1011
; %bb.1:
	s_sext_i32_i16 s0, s48
	s_sext_i32_i16 s1, s49
	s_cmp_gt_i32 s1, s0
	s_cselect_b64 s[0:1], -1, 0
	v_cmp_gt_i32_e32 vcc, s44, v9
	s_mov_b64 s[2:3], -1
	s_mov_b64 s[26:27], 0
	s_mov_b64 s[20:21], 0
	s_and_saveexec_b64 s[22:23], vcc
	s_cbranch_execz .LBB30_248
; %bb.2:
	v_mul_lo_u32 v0, v9, s13
	v_mov_b32_e32 v1, s11
	s_and_b32 s5, s15, 0xff
	s_cmp_lt_i32 s5, 11
	v_ashrrev_i32_e32 v2, 31, v0
	v_add_co_u32_e32 v0, vcc, s10, v0
	v_addc_co_u32_e32 v1, vcc, v1, v2, vcc
	s_cbranch_scc1 .LBB30_9
; %bb.3:
	s_and_b32 s14, 0xffff, s5
	s_cmp_gt_i32 s14, 25
	s_cbranch_scc0 .LBB30_18
; %bb.4:
	s_cmp_gt_i32 s14, 28
	s_cbranch_scc0 .LBB30_22
; %bb.5:
	;; [unrolled: 3-line block ×4, first 2 shown]
	s_cmp_eq_u32 s14, 46
	s_cbranch_scc0 .LBB30_28
; %bb.8:
	global_load_dword v2, v[0:1], off
	s_waitcnt vmcnt(0)
	v_lshlrev_b32_e32 v2, 16, v2
	v_cvt_i32_f32_e32 v2, v2
	s_branch .LBB30_30
.LBB30_9:
                                        ; implicit-def: $vgpr2
	s_mov_b64 s[2:3], 0
	s_cbranch_execnz .LBB30_199
.LBB30_10:
	s_andn2_b64 vcc, exec, s[2:3]
	s_cbranch_vccnz .LBB30_246
.LBB30_11:
	v_mul_lo_u32 v0, v9, s12
	v_mov_b32_e32 v1, s33
	s_waitcnt vmcnt(0)
	v_mov_b32_e32 v3, s9
	v_cndmask_b32_e64 v2, v1, v2, s[0:1]
	v_ashrrev_i32_e32 v1, 31, v0
	s_and_b32 s5, s4, 0xff
	v_add_co_u32_e32 v0, vcc, s8, v0
	s_cmp_lt_i32 s5, 11
	v_addc_co_u32_e32 v1, vcc, v3, v1, vcc
	s_cbranch_scc1 .LBB30_19
; %bb.12:
	s_and_b32 s14, 0xffff, s5
	s_cmp_gt_i32 s14, 25
	s_cbranch_scc0 .LBB30_23
; %bb.13:
	s_cmp_gt_i32 s14, 28
	s_cbranch_scc0 .LBB30_25
; %bb.14:
	;; [unrolled: 3-line block ×4, first 2 shown]
	s_mov_b64 s[24:25], 0
	s_mov_b64 s[2:3], -1
	s_cmp_eq_u32 s14, 46
	s_mov_b64 s[18:19], 0
	s_cbranch_scc0 .LBB30_34
; %bb.17:
	v_bfe_i32 v3, v2, 0, 8
	v_cvt_f32_i32_sdwa v3, sext(v3) dst_sel:DWORD dst_unused:UNUSED_PAD src0_sel:WORD_0
	s_movk_i32 s2, 0x7fff
	s_mov_b64 s[18:19], -1
	v_bfe_u32 v4, v3, 16, 1
	v_add3_u32 v3, v3, v4, s2
	v_lshrrev_b32_e32 v3, 16, v3
	global_store_dword v[0:1], v3, off
	s_mov_b64 s[2:3], 0
	s_branch .LBB30_34
.LBB30_18:
	s_mov_b64 s[2:3], 0
                                        ; implicit-def: $vgpr2
	s_cbranch_execnz .LBB30_166
	s_branch .LBB30_198
.LBB30_19:
	s_mov_b64 s[2:3], 0
	s_mov_b64 s[18:19], 0
	s_cbranch_execnz .LBB30_103
.LBB30_20:
	s_andn2_b64 vcc, exec, s[18:19]
	s_cbranch_vccnz .LBB30_141
.LBB30_21:
	v_add_u32_e32 v9, 0x80, v9
	s_mov_b64 s[24:25], -1
	s_branch .LBB30_247
.LBB30_22:
	s_mov_b64 s[18:19], -1
	s_mov_b64 s[2:3], 0
                                        ; implicit-def: $vgpr2
	s_branch .LBB30_149
.LBB30_23:
	s_mov_b64 s[24:25], -1
	s_mov_b64 s[2:3], 0
	s_mov_b64 s[18:19], 0
	s_branch .LBB30_61
.LBB30_24:
	s_mov_b64 s[18:19], -1
	s_mov_b64 s[2:3], 0
                                        ; implicit-def: $vgpr2
	s_branch .LBB30_144
.LBB30_25:
	s_mov_b64 s[24:25], -1
	s_mov_b64 s[2:3], 0
	s_mov_b64 s[18:19], 0
	s_branch .LBB30_44
.LBB30_26:
	s_mov_b64 s[18:19], -1
	s_branch .LBB30_29
.LBB30_27:
	s_mov_b64 s[24:25], -1
	s_mov_b64 s[2:3], 0
	s_mov_b64 s[18:19], 0
	s_branch .LBB30_40
.LBB30_28:
	s_mov_b64 s[20:21], -1
.LBB30_29:
	s_mov_b64 s[2:3], 0
                                        ; implicit-def: $vgpr2
.LBB30_30:
	s_and_b64 vcc, exec, s[18:19]
	s_cbranch_vccz .LBB30_143
; %bb.31:
	s_cmp_eq_u32 s14, 44
	s_cbranch_scc0 .LBB30_142
; %bb.32:
	global_load_ubyte v2, v[0:1], off
	s_mov_b64 s[2:3], -1
	s_mov_b64 s[20:21], 0
	s_waitcnt vmcnt(0)
	v_lshlrev_b32_e32 v3, 23, v2
	v_cvt_i32_f32_e32 v3, v3
	v_cmp_ne_u32_e32 vcc, 0, v2
	v_cndmask_b32_e32 v2, 0, v3, vcc
	s_branch .LBB30_143
.LBB30_33:
	s_mov_b64 s[24:25], -1
	s_mov_b64 s[2:3], 0
	s_mov_b64 s[18:19], 0
.LBB30_34:
	s_and_b64 vcc, exec, s[24:25]
	s_cbranch_vccz .LBB30_39
; %bb.35:
	s_cmp_eq_u32 s14, 44
	s_mov_b64 s[2:3], -1
	s_cbranch_scc0 .LBB30_39
; %bb.36:
	v_bfe_i32 v3, v2, 0, 8
	v_cvt_f32_i32_sdwa v3, sext(v3) dst_sel:DWORD dst_unused:UNUSED_PAD src0_sel:WORD_0
	s_movk_i32 s2, 0xff
	v_mov_b32_e32 v5, 0xff
	v_bfe_u32 v4, v3, 23, 8
	v_cmp_ne_u32_e32 vcc, s2, v4
	s_and_saveexec_b64 s[18:19], vcc
; %bb.37:
	s_mov_b32 s2, 0x3fffff
	v_lshrrev_b32_e32 v5, 23, v3
	v_and_b32_e32 v6, 0x400000, v3
	v_and_or_b32 v3, v3, s2, v4
	v_cmp_ne_u32_e32 vcc, 0, v6
	v_cmp_ne_u32_e64 s[2:3], 0, v3
	s_and_b64 s[2:3], vcc, s[2:3]
	v_cndmask_b32_e64 v3, 0, 1, s[2:3]
	v_add_u32_e32 v5, v5, v3
; %bb.38:
	s_or_b64 exec, exec, s[18:19]
	s_mov_b64 s[18:19], -1
	s_mov_b64 s[2:3], 0
	global_store_byte v[0:1], v5, off
.LBB30_39:
	s_mov_b64 s[24:25], 0
.LBB30_40:
	s_and_b64 vcc, exec, s[24:25]
	s_cbranch_vccz .LBB30_43
; %bb.41:
	s_cmp_eq_u32 s14, 29
	s_mov_b64 s[2:3], -1
	s_cbranch_scc0 .LBB30_43
; %bb.42:
	v_bfe_i32 v3, v2, 0, 8
	v_ashrrev_i32_e32 v4, 31, v3
	global_store_dwordx2 v[0:1], v[3:4], off
	s_mov_b64 s[18:19], -1
	s_mov_b64 s[2:3], 0
.LBB30_43:
	s_mov_b64 s[24:25], 0
.LBB30_44:
	s_and_b64 vcc, exec, s[24:25]
	s_cbranch_vccz .LBB30_60
; %bb.45:
	s_cmp_lt_i32 s14, 27
	s_mov_b64 s[18:19], -1
	s_cbranch_scc1 .LBB30_51
; %bb.46:
	s_cmp_gt_i32 s14, 27
	s_cbranch_scc0 .LBB30_48
; %bb.47:
	v_bfe_i32 v3, v2, 0, 8
	s_mov_b64 s[18:19], 0
	global_store_dword v[0:1], v3, off
.LBB30_48:
	s_andn2_b64 vcc, exec, s[18:19]
	s_cbranch_vccnz .LBB30_50
; %bb.49:
	v_bfe_i32 v3, v2, 0, 8
	global_store_short v[0:1], v3, off
.LBB30_50:
	s_mov_b64 s[18:19], 0
.LBB30_51:
	s_andn2_b64 vcc, exec, s[18:19]
	s_cbranch_vccnz .LBB30_59
; %bb.52:
	v_bfe_i32 v3, v2, 0, 8
	v_cvt_f32_i32_sdwa v3, sext(v3) dst_sel:DWORD dst_unused:UNUSED_PAD src0_sel:WORD_0
	s_mov_b32 s18, 0x43800000
	v_mov_b32_e32 v5, 0x80
	v_and_b32_e32 v4, 0x7fffffff, v3
	v_cmp_gt_u32_e32 vcc, s18, v4
	s_and_saveexec_b64 s[18:19], vcc
	s_cbranch_execz .LBB30_58
; %bb.53:
	s_mov_b32 s24, 0x3bffffff
	v_cmp_lt_u32_e32 vcc, s24, v4
	s_mov_b64 s[24:25], 0
                                        ; implicit-def: $vgpr4
	s_and_saveexec_b64 s[28:29], vcc
	s_xor_b64 s[28:29], exec, s[28:29]
	s_cbranch_execz .LBB30_275
; %bb.54:
	v_bfe_u32 v4, v3, 20, 1
	s_mov_b32 s30, 0x487ffff
	v_add3_u32 v4, v3, v4, s30
	s_mov_b64 s[24:25], exec
	v_lshrrev_b32_e32 v4, 20, v4
	s_andn2_saveexec_b64 s[28:29], s[28:29]
	s_cbranch_execnz .LBB30_276
.LBB30_55:
	s_or_b64 exec, exec, s[28:29]
	v_mov_b32_e32 v5, 0
	s_and_saveexec_b64 s[28:29], s[24:25]
.LBB30_56:
	v_lshrrev_b32_e32 v3, 24, v3
	s_movk_i32 s24, 0x80
	v_and_or_b32 v5, v3, s24, v4
.LBB30_57:
	s_or_b64 exec, exec, s[28:29]
.LBB30_58:
	s_or_b64 exec, exec, s[18:19]
	global_store_byte v[0:1], v5, off
.LBB30_59:
	s_mov_b64 s[18:19], -1
.LBB30_60:
	s_mov_b64 s[24:25], 0
.LBB30_61:
	s_and_b64 vcc, exec, s[24:25]
	s_cbranch_vccz .LBB30_102
; %bb.62:
	s_cmp_gt_i32 s14, 22
	s_mov_b64 s[24:25], -1
	s_cbranch_scc0 .LBB30_94
; %bb.63:
	s_cmp_lt_i32 s14, 24
	s_mov_b64 s[18:19], -1
	s_cbranch_scc1 .LBB30_83
; %bb.64:
	s_cmp_gt_i32 s14, 24
	s_cbranch_scc0 .LBB30_72
; %bb.65:
	v_bfe_i32 v3, v2, 0, 8
	v_cvt_f32_i32_sdwa v3, sext(v3) dst_sel:DWORD dst_unused:UNUSED_PAD src0_sel:WORD_0
	s_mov_b32 s18, 0x47800000
	v_mov_b32_e32 v5, 0x80
	v_and_b32_e32 v4, 0x7fffffff, v3
	v_cmp_gt_u32_e32 vcc, s18, v4
	s_and_saveexec_b64 s[18:19], vcc
	s_cbranch_execz .LBB30_71
; %bb.66:
	s_mov_b32 s24, 0x37ffffff
	v_cmp_lt_u32_e32 vcc, s24, v4
	s_mov_b64 s[24:25], 0
                                        ; implicit-def: $vgpr4
	s_and_saveexec_b64 s[28:29], vcc
	s_xor_b64 s[28:29], exec, s[28:29]
	s_cbranch_execz .LBB30_279
; %bb.67:
	v_bfe_u32 v4, v3, 21, 1
	s_mov_b32 s30, 0x88fffff
	v_add3_u32 v4, v3, v4, s30
	s_mov_b64 s[24:25], exec
	v_lshrrev_b32_e32 v4, 21, v4
	s_andn2_saveexec_b64 s[28:29], s[28:29]
	s_cbranch_execnz .LBB30_280
.LBB30_68:
	s_or_b64 exec, exec, s[28:29]
	v_mov_b32_e32 v5, 0
	s_and_saveexec_b64 s[28:29], s[24:25]
.LBB30_69:
	v_lshrrev_b32_e32 v3, 24, v3
	s_movk_i32 s24, 0x80
	v_and_or_b32 v5, v3, s24, v4
.LBB30_70:
	s_or_b64 exec, exec, s[28:29]
.LBB30_71:
	s_or_b64 exec, exec, s[18:19]
	s_mov_b64 s[18:19], 0
	global_store_byte v[0:1], v5, off
.LBB30_72:
	s_and_b64 vcc, exec, s[18:19]
	s_cbranch_vccz .LBB30_82
; %bb.73:
	v_bfe_i32 v3, v2, 0, 8
	v_cvt_f32_i32_sdwa v3, sext(v3) dst_sel:DWORD dst_unused:UNUSED_PAD src0_sel:WORD_0
	s_mov_b32 s18, 0x43f00000
                                        ; implicit-def: $vgpr4
	v_and_b32_e32 v5, 0x7fffffff, v3
	v_cmp_gt_u32_e32 vcc, s18, v5
	s_and_saveexec_b64 s[18:19], vcc
	s_xor_b64 s[18:19], exec, s[18:19]
	s_cbranch_execz .LBB30_79
; %bb.74:
	s_mov_b32 s24, 0x3c7fffff
	v_cmp_lt_u32_e32 vcc, s24, v5
                                        ; implicit-def: $vgpr4
	s_and_saveexec_b64 s[24:25], vcc
	s_xor_b64 s[24:25], exec, s[24:25]
; %bb.75:
	v_bfe_u32 v4, v3, 20, 1
	s_mov_b32 s28, 0x407ffff
	v_add3_u32 v4, v3, v4, s28
	v_lshrrev_b32_e32 v5, 20, v4
	v_and_b32_e32 v4, 0xff00000, v4
	s_mov_b32 s28, 0x7f00000
	v_mov_b32_e32 v6, 0x7e
	v_cmp_ne_u32_e32 vcc, s28, v4
	v_cndmask_b32_e32 v4, v6, v5, vcc
; %bb.76:
	s_andn2_saveexec_b64 s[24:25], s[24:25]
; %bb.77:
	s_mov_b32 s28, 0x46800000
	v_add_f32_e64 v4, |v3|, s28
; %bb.78:
	s_or_b64 exec, exec, s[24:25]
                                        ; implicit-def: $vgpr5
.LBB30_79:
	s_andn2_saveexec_b64 s[18:19], s[18:19]
; %bb.80:
	s_mov_b32 s24, 0x7f800000
	v_mov_b32_e32 v4, 0x7e
	v_mov_b32_e32 v6, 0x7f
	v_cmp_lt_u32_e32 vcc, s24, v5
	v_cndmask_b32_e32 v4, v4, v6, vcc
; %bb.81:
	s_or_b64 exec, exec, s[18:19]
	v_lshrrev_b32_e32 v3, 24, v3
	s_movk_i32 s18, 0x80
	v_and_or_b32 v3, v3, s18, v4
	global_store_byte v[0:1], v3, off
.LBB30_82:
	s_mov_b64 s[18:19], 0
.LBB30_83:
	s_andn2_b64 vcc, exec, s[18:19]
	s_cbranch_vccnz .LBB30_93
; %bb.84:
	v_bfe_i32 v3, v2, 0, 8
	v_cvt_f32_i32_sdwa v3, sext(v3) dst_sel:DWORD dst_unused:UNUSED_PAD src0_sel:WORD_0
	s_mov_b32 s18, 0x47800000
                                        ; implicit-def: $vgpr4
	v_and_b32_e32 v5, 0x7fffffff, v3
	v_cmp_gt_u32_e32 vcc, s18, v5
	s_and_saveexec_b64 s[18:19], vcc
	s_xor_b64 s[18:19], exec, s[18:19]
	s_cbranch_execz .LBB30_90
; %bb.85:
	s_mov_b32 s24, 0x387fffff
	v_cmp_lt_u32_e32 vcc, s24, v5
                                        ; implicit-def: $vgpr4
	s_and_saveexec_b64 s[24:25], vcc
	s_xor_b64 s[24:25], exec, s[24:25]
; %bb.86:
	v_bfe_u32 v4, v3, 21, 1
	s_mov_b32 s28, 0x80fffff
	v_add3_u32 v4, v3, v4, s28
	v_lshrrev_b32_e32 v4, 21, v4
; %bb.87:
	s_andn2_saveexec_b64 s[24:25], s[24:25]
; %bb.88:
	s_mov_b32 s28, 0x43000000
	v_add_f32_e64 v4, |v3|, s28
; %bb.89:
	s_or_b64 exec, exec, s[24:25]
                                        ; implicit-def: $vgpr5
.LBB30_90:
	s_andn2_saveexec_b64 s[18:19], s[18:19]
; %bb.91:
	s_mov_b32 s24, 0x7f800000
	v_mov_b32_e32 v4, 0x7c
	v_mov_b32_e32 v6, 0x7f
	v_cmp_lt_u32_e32 vcc, s24, v5
	v_cndmask_b32_e32 v4, v4, v6, vcc
; %bb.92:
	s_or_b64 exec, exec, s[18:19]
	v_lshrrev_b32_e32 v3, 24, v3
	s_movk_i32 s18, 0x80
	v_and_or_b32 v3, v3, s18, v4
	global_store_byte v[0:1], v3, off
.LBB30_93:
	s_mov_b64 s[24:25], 0
	s_mov_b64 s[18:19], -1
.LBB30_94:
	s_andn2_b64 vcc, exec, s[24:25]
	s_cbranch_vccnz .LBB30_102
; %bb.95:
	s_cmp_gt_i32 s14, 14
	s_mov_b64 s[24:25], -1
	s_cbranch_scc0 .LBB30_99
; %bb.96:
	s_cmp_eq_u32 s14, 15
	s_mov_b64 s[2:3], -1
	s_cbranch_scc0 .LBB30_98
; %bb.97:
	v_bfe_i32 v3, v2, 0, 8
	v_cvt_f32_i32_sdwa v3, sext(v3) dst_sel:DWORD dst_unused:UNUSED_PAD src0_sel:WORD_0
	s_movk_i32 s2, 0x7fff
	s_mov_b64 s[18:19], -1
	v_bfe_u32 v4, v3, 16, 1
	v_add3_u32 v3, v3, v4, s2
	global_store_short_d16_hi v[0:1], v3, off
	s_mov_b64 s[2:3], 0
.LBB30_98:
	s_mov_b64 s[24:25], 0
.LBB30_99:
	s_and_b64 vcc, exec, s[24:25]
	s_cbranch_vccz .LBB30_102
; %bb.100:
	s_cmp_eq_u32 s14, 11
	s_mov_b64 s[2:3], -1
	s_cbranch_scc0 .LBB30_102
; %bb.101:
	v_mov_b32_e32 v3, 0
	v_cmp_ne_u16_sdwa s[2:3], v2, v3 src0_sel:BYTE_0 src1_sel:DWORD
	v_cndmask_b32_e64 v3, 0, 1, s[2:3]
	s_mov_b64 s[18:19], -1
	s_mov_b64 s[2:3], 0
	global_store_byte v[0:1], v3, off
.LBB30_102:
	s_branch .LBB30_20
.LBB30_103:
	s_and_b32 s5, 0xffff, s5
	s_cmp_lt_i32 s5, 5
	s_mov_b64 s[18:19], -1
	s_cbranch_scc1 .LBB30_124
; %bb.104:
	s_cmp_lt_i32 s5, 8
	s_cbranch_scc1 .LBB30_114
; %bb.105:
	s_cmp_lt_i32 s5, 9
	s_cbranch_scc1 .LBB30_111
; %bb.106:
	s_cmp_gt_i32 s5, 9
	s_cbranch_scc0 .LBB30_108
; %bb.107:
	v_bfe_i32 v3, v2, 0, 8
	v_bfe_i32 v3, v3, 0, 16
	v_cvt_f64_i32_e32 v[3:4], v3
	v_mov_b32_e32 v5, 0
	v_mov_b32_e32 v6, v5
	s_mov_b64 s[18:19], 0
	global_store_dwordx4 v[0:1], v[3:6], off
.LBB30_108:
	s_andn2_b64 vcc, exec, s[18:19]
	s_cbranch_vccnz .LBB30_110
; %bb.109:
	v_bfe_i32 v3, v2, 0, 8
	v_cvt_f32_i32_sdwa v3, sext(v3) dst_sel:DWORD dst_unused:UNUSED_PAD src0_sel:WORD_0
	v_mov_b32_e32 v4, 0
	global_store_dwordx2 v[0:1], v[3:4], off
.LBB30_110:
	s_mov_b64 s[18:19], 0
.LBB30_111:
	s_andn2_b64 vcc, exec, s[18:19]
	s_cbranch_vccnz .LBB30_113
; %bb.112:
	v_cvt_f16_i16_sdwa v3, sext(v2) dst_sel:DWORD dst_unused:UNUSED_PAD src0_sel:BYTE_0
	global_store_dword v[0:1], v3, off
.LBB30_113:
	s_mov_b64 s[18:19], 0
.LBB30_114:
	s_andn2_b64 vcc, exec, s[18:19]
	s_cbranch_vccnz .LBB30_123
; %bb.115:
	s_cmp_lt_i32 s5, 6
	s_mov_b64 s[18:19], -1
	s_cbranch_scc1 .LBB30_121
; %bb.116:
	s_cmp_gt_i32 s5, 6
	s_cbranch_scc0 .LBB30_118
; %bb.117:
	v_bfe_i32 v3, v2, 0, 8
	v_bfe_i32 v3, v3, 0, 16
	v_cvt_f64_i32_e32 v[3:4], v3
	s_mov_b64 s[18:19], 0
	global_store_dwordx2 v[0:1], v[3:4], off
.LBB30_118:
	s_andn2_b64 vcc, exec, s[18:19]
	s_cbranch_vccnz .LBB30_120
; %bb.119:
	v_bfe_i32 v3, v2, 0, 8
	v_cvt_f32_i32_sdwa v3, sext(v3) dst_sel:DWORD dst_unused:UNUSED_PAD src0_sel:WORD_0
	global_store_dword v[0:1], v3, off
.LBB30_120:
	s_mov_b64 s[18:19], 0
.LBB30_121:
	s_andn2_b64 vcc, exec, s[18:19]
	s_cbranch_vccnz .LBB30_123
; %bb.122:
	v_cvt_f16_i16_sdwa v3, sext(v2) dst_sel:DWORD dst_unused:UNUSED_PAD src0_sel:BYTE_0
	global_store_short v[0:1], v3, off
.LBB30_123:
	s_mov_b64 s[18:19], 0
.LBB30_124:
	s_andn2_b64 vcc, exec, s[18:19]
	s_cbranch_vccnz .LBB30_140
; %bb.125:
	s_cmp_lt_i32 s5, 2
	s_mov_b64 s[18:19], -1
	s_cbranch_scc1 .LBB30_135
; %bb.126:
	s_cmp_lt_i32 s5, 3
	s_cbranch_scc1 .LBB30_132
; %bb.127:
	s_cmp_gt_i32 s5, 3
	s_cbranch_scc0 .LBB30_129
; %bb.128:
	v_bfe_i32 v3, v2, 0, 8
	v_ashrrev_i32_e32 v4, 31, v3
	global_store_dwordx2 v[0:1], v[3:4], off
	s_mov_b64 s[18:19], 0
.LBB30_129:
	s_andn2_b64 vcc, exec, s[18:19]
	s_cbranch_vccnz .LBB30_131
; %bb.130:
	v_bfe_i32 v3, v2, 0, 8
	global_store_dword v[0:1], v3, off
.LBB30_131:
	s_mov_b64 s[18:19], 0
.LBB30_132:
	s_andn2_b64 vcc, exec, s[18:19]
	s_cbranch_vccnz .LBB30_134
; %bb.133:
	v_bfe_i32 v3, v2, 0, 8
	global_store_short v[0:1], v3, off
.LBB30_134:
	s_mov_b64 s[18:19], 0
.LBB30_135:
	s_andn2_b64 vcc, exec, s[18:19]
	s_cbranch_vccnz .LBB30_140
; %bb.136:
	s_cmp_gt_i32 s5, 0
	s_mov_b64 s[18:19], -1
	s_cbranch_scc0 .LBB30_138
; %bb.137:
	global_store_byte v[0:1], v2, off
	s_mov_b64 s[18:19], 0
.LBB30_138:
	s_andn2_b64 vcc, exec, s[18:19]
	s_cbranch_vccnz .LBB30_140
; %bb.139:
	global_store_byte v[0:1], v2, off
.LBB30_140:
	s_branch .LBB30_21
.LBB30_141:
	s_mov_b64 s[24:25], 0
                                        ; implicit-def: $vgpr9
	s_branch .LBB30_247
.LBB30_142:
	s_mov_b64 s[20:21], -1
                                        ; implicit-def: $vgpr2
.LBB30_143:
	s_mov_b64 s[18:19], 0
.LBB30_144:
	s_and_b64 vcc, exec, s[18:19]
	s_cbranch_vccz .LBB30_148
; %bb.145:
	s_cmp_eq_u32 s14, 29
	s_cbranch_scc0 .LBB30_147
; %bb.146:
	global_load_dwordx2 v[2:3], v[0:1], off
	s_mov_b64 s[2:3], -1
	s_mov_b64 s[20:21], 0
	s_branch .LBB30_148
.LBB30_147:
	s_mov_b64 s[20:21], -1
                                        ; implicit-def: $vgpr2
.LBB30_148:
	s_mov_b64 s[18:19], 0
.LBB30_149:
	s_and_b64 vcc, exec, s[18:19]
	s_cbranch_vccz .LBB30_165
; %bb.150:
	s_cmp_lt_i32 s14, 27
	s_cbranch_scc1 .LBB30_153
; %bb.151:
	s_cmp_gt_i32 s14, 27
	s_cbranch_scc0 .LBB30_154
; %bb.152:
	global_load_dword v2, v[0:1], off
	s_mov_b64 s[2:3], 0
	s_branch .LBB30_155
.LBB30_153:
	s_mov_b64 s[2:3], -1
                                        ; implicit-def: $vgpr2
	s_branch .LBB30_158
.LBB30_154:
	s_mov_b64 s[2:3], -1
                                        ; implicit-def: $vgpr2
.LBB30_155:
	s_andn2_b64 vcc, exec, s[2:3]
	s_cbranch_vccnz .LBB30_157
; %bb.156:
	global_load_ushort v2, v[0:1], off
.LBB30_157:
	s_mov_b64 s[2:3], 0
.LBB30_158:
	s_andn2_b64 vcc, exec, s[2:3]
	s_cbranch_vccnz .LBB30_164
; %bb.159:
	global_load_ubyte v3, v[0:1], off
	s_movk_i32 s2, 0x7f
	s_mov_b64 s[18:19], 0
	s_waitcnt vmcnt(0)
	v_cmp_lt_i16_e32 vcc, s2, v3
	s_and_saveexec_b64 s[2:3], vcc
	s_xor_b64 s[2:3], exec, s[2:3]
	s_cbranch_execz .LBB30_175
; %bb.160:
	s_movk_i32 s18, 0x80
	v_cmp_ne_u16_e32 vcc, s18, v3
	s_and_b64 s[18:19], vcc, exec
	s_andn2_saveexec_b64 s[2:3], s[2:3]
	s_cbranch_execnz .LBB30_176
.LBB30_161:
	s_or_b64 exec, exec, s[2:3]
	v_mov_b32_e32 v2, 0
	s_and_saveexec_b64 s[2:3], s[18:19]
	s_cbranch_execz .LBB30_163
.LBB30_162:
	v_lshlrev_b32_e32 v2, 24, v3
	v_and_b32_e32 v3, 0xffff, v3
	v_and_b32_e32 v4, 7, v3
	v_ffbh_u32_e32 v6, v4
	v_min_u32_e32 v6, 32, v6
	v_subrev_u32_e32 v7, 28, v6
	v_bfe_u32 v5, v3, 3, 4
	v_lshlrev_b32_e32 v3, v7, v3
	v_sub_u32_e32 v6, 29, v6
	v_and_b32_e32 v3, 7, v3
	v_cmp_eq_u32_e32 vcc, 0, v5
	v_cndmask_b32_e32 v5, v5, v6, vcc
	v_cndmask_b32_e32 v3, v4, v3, vcc
	v_mov_b32_e32 v4, 0x3b800000
	v_lshlrev_b32_e32 v3, 20, v3
	v_and_b32_e32 v2, 0x80000000, v2
	v_lshl_add_u32 v4, v5, 23, v4
	v_or3_b32 v2, v2, v4, v3
	v_cvt_i32_f32_e32 v2, v2
.LBB30_163:
	s_or_b64 exec, exec, s[2:3]
.LBB30_164:
	s_mov_b64 s[2:3], -1
.LBB30_165:
	s_branch .LBB30_198
.LBB30_166:
	s_cmp_gt_i32 s14, 22
	s_cbranch_scc0 .LBB30_174
; %bb.167:
	s_cmp_lt_i32 s14, 24
	s_cbranch_scc1 .LBB30_177
; %bb.168:
	s_cmp_gt_i32 s14, 24
	s_cbranch_scc0 .LBB30_178
; %bb.169:
	global_load_ubyte v3, v[0:1], off
	s_movk_i32 s2, 0x7f
	s_mov_b64 s[18:19], 0
	s_waitcnt vmcnt(0)
	v_cmp_lt_i16_e32 vcc, s2, v3
	s_and_saveexec_b64 s[2:3], vcc
	s_xor_b64 s[2:3], exec, s[2:3]
	s_cbranch_execz .LBB30_190
; %bb.170:
	s_movk_i32 s18, 0x80
	v_cmp_ne_u16_e32 vcc, s18, v3
	s_and_b64 s[18:19], vcc, exec
	s_andn2_saveexec_b64 s[2:3], s[2:3]
	s_cbranch_execnz .LBB30_191
.LBB30_171:
	s_or_b64 exec, exec, s[2:3]
	v_mov_b32_e32 v2, 0
	s_and_saveexec_b64 s[2:3], s[18:19]
	s_cbranch_execz .LBB30_173
.LBB30_172:
	v_lshlrev_b32_e32 v2, 24, v3
	v_and_b32_e32 v3, 0xffff, v3
	v_and_b32_e32 v4, 3, v3
	v_ffbh_u32_e32 v6, v4
	v_min_u32_e32 v6, 32, v6
	v_subrev_u32_e32 v7, 29, v6
	v_bfe_u32 v5, v3, 2, 5
	v_lshlrev_b32_e32 v3, v7, v3
	v_sub_u32_e32 v6, 30, v6
	v_and_b32_e32 v3, 3, v3
	v_cmp_eq_u32_e32 vcc, 0, v5
	v_cndmask_b32_e32 v5, v5, v6, vcc
	v_cndmask_b32_e32 v3, v4, v3, vcc
	v_mov_b32_e32 v4, 0x37800000
	v_lshlrev_b32_e32 v3, 21, v3
	v_and_b32_e32 v2, 0x80000000, v2
	v_lshl_add_u32 v4, v5, 23, v4
	v_or3_b32 v2, v2, v4, v3
	v_cvt_i32_f32_e32 v2, v2
.LBB30_173:
	s_or_b64 exec, exec, s[2:3]
	s_mov_b64 s[2:3], 0
	s_branch .LBB30_179
.LBB30_174:
	s_mov_b64 s[18:19], -1
                                        ; implicit-def: $vgpr2
	s_branch .LBB30_185
.LBB30_175:
	s_andn2_saveexec_b64 s[2:3], s[2:3]
	s_cbranch_execz .LBB30_161
.LBB30_176:
	v_cmp_ne_u16_e32 vcc, 0, v3
	s_andn2_b64 s[18:19], s[18:19], exec
	s_and_b64 s[24:25], vcc, exec
	s_or_b64 s[18:19], s[18:19], s[24:25]
	s_or_b64 exec, exec, s[2:3]
	v_mov_b32_e32 v2, 0
	s_and_saveexec_b64 s[2:3], s[18:19]
	s_cbranch_execnz .LBB30_162
	s_branch .LBB30_163
.LBB30_177:
	s_mov_b64 s[2:3], -1
                                        ; implicit-def: $vgpr2
	s_branch .LBB30_182
.LBB30_178:
	s_mov_b64 s[2:3], -1
                                        ; implicit-def: $vgpr2
.LBB30_179:
	s_and_b64 vcc, exec, s[2:3]
	s_cbranch_vccz .LBB30_181
; %bb.180:
	global_load_ubyte v2, v[0:1], off
	s_mov_b32 s2, 0x7f800000
	s_waitcnt vmcnt(0)
	v_lshlrev_b32_e32 v2, 24, v2
	v_and_b32_e32 v3, 0x7f000000, v2
	v_ffbh_u32_e32 v4, v3
	v_min_u32_e32 v4, 32, v4
	v_sub_u32_e64 v4, v4, 4 clamp
	v_lshlrev_b32_e32 v6, v4, v3
	v_lshlrev_b32_e32 v4, 23, v4
	v_lshrrev_b32_e32 v6, 4, v6
	v_add_u32_e32 v5, 0x1000000, v3
	v_sub_u32_e32 v4, v6, v4
	v_ashrrev_i32_e32 v5, 8, v5
	v_add_u32_e32 v4, 0x3c000000, v4
	v_and_or_b32 v4, v5, s2, v4
	v_cmp_ne_u32_e32 vcc, 0, v3
	v_cndmask_b32_e32 v3, 0, v4, vcc
	s_brev_b32 s2, 1
	v_and_or_b32 v2, v2, s2, v3
	v_cvt_i32_f32_e32 v2, v2
.LBB30_181:
	s_mov_b64 s[2:3], 0
.LBB30_182:
	s_andn2_b64 vcc, exec, s[2:3]
	s_cbranch_vccnz .LBB30_184
; %bb.183:
	global_load_ubyte v2, v[0:1], off
	s_movk_i32 s2, 0x7f00
	s_brev_b32 s3, 16
	s_waitcnt vmcnt(0)
	v_lshlrev_b16_e32 v3, 8, v2
	v_lshlrev_b32_e32 v2, 25, v2
	v_lshrrev_b32_e32 v4, 4, v2
	v_and_or_b32 v5, v3, s2, 0.5
	v_or_b32_e32 v4, 0x70000000, v4
	v_add_f32_e32 v5, -0.5, v5
	v_mul_f32_e32 v4, 0x7800000, v4
	v_cmp_gt_u32_e32 vcc, s3, v2
	v_bfe_i32 v3, v3, 0, 16
	v_cndmask_b32_e32 v2, v4, v5, vcc
	s_brev_b32 s2, 1
	v_and_or_b32 v2, v3, s2, v2
	v_cvt_i32_f32_e32 v2, v2
.LBB30_184:
	s_mov_b64 s[18:19], 0
	s_mov_b64 s[2:3], -1
.LBB30_185:
	s_andn2_b64 vcc, exec, s[18:19]
	s_cbranch_vccnz .LBB30_198
; %bb.186:
	s_cmp_gt_i32 s14, 14
	s_cbranch_scc0 .LBB30_189
; %bb.187:
	s_cmp_eq_u32 s14, 15
	s_cbranch_scc0 .LBB30_192
; %bb.188:
	global_load_ushort v2, v[0:1], off
	s_mov_b64 s[2:3], -1
	s_mov_b64 s[20:21], 0
	s_waitcnt vmcnt(0)
	v_lshlrev_b32_e32 v2, 16, v2
	v_cvt_i32_f32_e32 v2, v2
	s_branch .LBB30_193
.LBB30_189:
	s_mov_b64 s[18:19], -1
                                        ; implicit-def: $vgpr2
	s_branch .LBB30_194
.LBB30_190:
	s_andn2_saveexec_b64 s[2:3], s[2:3]
	s_cbranch_execz .LBB30_171
.LBB30_191:
	v_cmp_ne_u16_e32 vcc, 0, v3
	s_andn2_b64 s[18:19], s[18:19], exec
	s_and_b64 s[24:25], vcc, exec
	s_or_b64 s[18:19], s[18:19], s[24:25]
	s_or_b64 exec, exec, s[2:3]
	v_mov_b32_e32 v2, 0
	s_and_saveexec_b64 s[2:3], s[18:19]
	s_cbranch_execnz .LBB30_172
	s_branch .LBB30_173
.LBB30_192:
	s_mov_b64 s[20:21], -1
                                        ; implicit-def: $vgpr2
.LBB30_193:
	s_mov_b64 s[18:19], 0
.LBB30_194:
	s_and_b64 vcc, exec, s[18:19]
	s_cbranch_vccz .LBB30_198
; %bb.195:
	s_cmp_eq_u32 s14, 11
	s_cbranch_scc0 .LBB30_197
; %bb.196:
	global_load_ubyte v2, v[0:1], off
	s_mov_b64 s[2:3], -1
	s_mov_b64 s[20:21], 0
	s_waitcnt vmcnt(0)
	v_cmp_ne_u16_e32 vcc, 0, v2
	v_cndmask_b32_e64 v2, 0, 1, vcc
	s_branch .LBB30_198
.LBB30_197:
	s_mov_b64 s[20:21], -1
                                        ; implicit-def: $vgpr2
.LBB30_198:
	s_branch .LBB30_10
.LBB30_199:
	s_and_b32 s5, 0xffff, s5
	s_cmp_lt_i32 s5, 5
	s_cbranch_scc1 .LBB30_204
; %bb.200:
	s_cmp_lt_i32 s5, 8
	s_cbranch_scc1 .LBB30_205
; %bb.201:
	;; [unrolled: 3-line block ×3, first 2 shown]
	s_cmp_gt_i32 s5, 9
	s_cbranch_scc0 .LBB30_207
; %bb.203:
	global_load_dwordx2 v[2:3], v[0:1], off
	s_mov_b64 s[2:3], 0
	s_waitcnt vmcnt(0)
	v_cvt_i32_f64_e32 v2, v[2:3]
	s_branch .LBB30_208
.LBB30_204:
                                        ; implicit-def: $vgpr2
	s_branch .LBB30_226
.LBB30_205:
	s_mov_b64 s[2:3], -1
                                        ; implicit-def: $vgpr2
	s_branch .LBB30_214
.LBB30_206:
	s_mov_b64 s[2:3], -1
                                        ; implicit-def: $vgpr2
	s_branch .LBB30_211
.LBB30_207:
	s_mov_b64 s[2:3], -1
                                        ; implicit-def: $vgpr2
.LBB30_208:
	s_andn2_b64 vcc, exec, s[2:3]
	s_cbranch_vccnz .LBB30_210
; %bb.209:
	global_load_dword v2, v[0:1], off
	s_waitcnt vmcnt(0)
	v_cvt_i32_f32_e32 v2, v2
.LBB30_210:
	s_mov_b64 s[2:3], 0
.LBB30_211:
	s_andn2_b64 vcc, exec, s[2:3]
	s_cbranch_vccnz .LBB30_213
; %bb.212:
	global_load_dword v2, v[0:1], off
	s_waitcnt vmcnt(0)
	v_cvt_i16_f16_e32 v2, v2
.LBB30_213:
	s_mov_b64 s[2:3], 0
.LBB30_214:
	s_andn2_b64 vcc, exec, s[2:3]
	s_cbranch_vccnz .LBB30_225
; %bb.215:
	s_cmp_lt_i32 s5, 6
	s_cbranch_scc1 .LBB30_218
; %bb.216:
	s_cmp_gt_i32 s5, 6
	s_cbranch_scc0 .LBB30_219
; %bb.217:
	global_load_dwordx2 v[2:3], v[0:1], off
	s_mov_b64 s[2:3], 0
	s_waitcnt vmcnt(0)
	v_cvt_i32_f64_e32 v2, v[2:3]
	s_branch .LBB30_220
.LBB30_218:
	s_mov_b64 s[2:3], -1
                                        ; implicit-def: $vgpr2
	s_branch .LBB30_223
.LBB30_219:
	s_mov_b64 s[2:3], -1
                                        ; implicit-def: $vgpr2
.LBB30_220:
	s_andn2_b64 vcc, exec, s[2:3]
	s_cbranch_vccnz .LBB30_222
; %bb.221:
	global_load_dword v2, v[0:1], off
	s_waitcnt vmcnt(0)
	v_cvt_i32_f32_e32 v2, v2
.LBB30_222:
	s_mov_b64 s[2:3], 0
.LBB30_223:
	s_andn2_b64 vcc, exec, s[2:3]
	s_cbranch_vccnz .LBB30_225
; %bb.224:
	global_load_ushort v2, v[0:1], off
	s_waitcnt vmcnt(0)
	v_cvt_i16_f16_e32 v2, v2
.LBB30_225:
	s_cbranch_execnz .LBB30_245
.LBB30_226:
	s_cmp_lt_i32 s5, 2
	s_cbranch_scc1 .LBB30_230
; %bb.227:
	s_cmp_lt_i32 s5, 3
	s_cbranch_scc1 .LBB30_231
; %bb.228:
	s_cmp_gt_i32 s5, 3
	s_cbranch_scc0 .LBB30_232
; %bb.229:
	global_load_dwordx2 v[2:3], v[0:1], off
	s_mov_b64 s[2:3], 0
	s_branch .LBB30_233
.LBB30_230:
	s_mov_b64 s[2:3], -1
                                        ; implicit-def: $vgpr2
	s_branch .LBB30_239
.LBB30_231:
	s_mov_b64 s[2:3], -1
                                        ; implicit-def: $vgpr2
	s_branch .LBB30_236
.LBB30_232:
	s_mov_b64 s[2:3], -1
                                        ; implicit-def: $vgpr2
.LBB30_233:
	s_andn2_b64 vcc, exec, s[2:3]
	s_cbranch_vccnz .LBB30_235
; %bb.234:
	global_load_dword v2, v[0:1], off
.LBB30_235:
	s_mov_b64 s[2:3], 0
.LBB30_236:
	s_andn2_b64 vcc, exec, s[2:3]
	s_cbranch_vccnz .LBB30_238
; %bb.237:
	global_load_ushort v2, v[0:1], off
.LBB30_238:
	s_mov_b64 s[2:3], 0
.LBB30_239:
	s_andn2_b64 vcc, exec, s[2:3]
	s_cbranch_vccnz .LBB30_245
; %bb.240:
	s_cmp_gt_i32 s5, 0
	s_cbranch_scc0 .LBB30_242
; %bb.241:
	global_load_ubyte v2, v[0:1], off
	s_mov_b64 s[2:3], 0
	s_branch .LBB30_243
.LBB30_242:
	s_mov_b64 s[2:3], -1
                                        ; implicit-def: $vgpr2
.LBB30_243:
	s_andn2_b64 vcc, exec, s[2:3]
	s_cbranch_vccnz .LBB30_245
; %bb.244:
	global_load_ubyte v2, v[0:1], off
.LBB30_245:
	s_branch .LBB30_11
.LBB30_246:
	s_mov_b64 s[2:3], 0
                                        ; implicit-def: $vgpr9
	s_mov_b64 s[24:25], 0
.LBB30_247:
	s_and_b64 s[18:19], s[2:3], exec
	s_and_b64 s[20:21], s[20:21], exec
	s_orn2_b64 s[2:3], s[24:25], exec
.LBB30_248:
	s_or_b64 exec, exec, s[22:23]
	s_mov_b64 s[30:31], 0
	s_mov_b64 s[28:29], 0
                                        ; implicit-def: $sgpr5
                                        ; implicit-def: $vgpr0_vgpr1
                                        ; implicit-def: $vgpr2
	s_and_saveexec_b64 s[22:23], s[2:3]
	s_cbranch_execz .LBB30_257
; %bb.249:
	v_cmp_gt_i32_e32 vcc, s44, v9
	s_mov_b64 s[2:3], -1
	s_mov_b64 s[24:25], s[20:21]
	s_mov_b64 s[26:27], s[18:19]
	s_and_saveexec_b64 s[28:29], vcc
	s_cbranch_execz .LBB30_505
; %bb.250:
	v_mul_lo_u32 v0, v9, s13
	v_mov_b32_e32 v1, s11
	s_and_b32 s5, s15, 0xff
	s_cmp_lt_i32 s5, 11
	s_waitcnt vmcnt(0)
	v_ashrrev_i32_e32 v2, 31, v0
	v_add_co_u32_e32 v0, vcc, s10, v0
	v_addc_co_u32_e32 v1, vcc, v1, v2, vcc
	s_cbranch_scc1 .LBB30_260
; %bb.251:
	s_and_b32 s14, 0xffff, s5
	s_cmp_gt_i32 s14, 25
	s_cbranch_scc0 .LBB30_269
; %bb.252:
	s_cmp_gt_i32 s14, 28
	s_cbranch_scc0 .LBB30_271
; %bb.253:
	s_cmp_gt_i32 s14, 43
	s_cbranch_scc0 .LBB30_273
; %bb.254:
	s_cmp_gt_i32 s14, 45
	s_cbranch_scc0 .LBB30_277
; %bb.255:
	s_cmp_eq_u32 s14, 46
	s_mov_b64 s[26:27], 0
	s_cbranch_scc0 .LBB30_281
; %bb.256:
	global_load_dword v2, v[0:1], off
	s_mov_b64 s[24:25], 0
	s_waitcnt vmcnt(0)
	v_lshlrev_b32_e32 v2, 16, v2
	v_cvt_i32_f32_e32 v2, v2
	s_branch .LBB30_282
.LBB30_257:
	s_or_b64 exec, exec, s[22:23]
	s_mov_b64 s[2:3], 0
	s_and_saveexec_b64 s[22:23], s[20:21]
	s_cbranch_execnz .LBB30_843
.LBB30_258:
	s_or_b64 exec, exec, s[22:23]
	s_and_saveexec_b64 s[20:21], s[26:27]
	s_xor_b64 s[20:21], exec, s[20:21]
	s_cbranch_execz .LBB30_844
.LBB30_259:
	global_load_ubyte v2, v[0:1], off
	s_or_b64 s[28:29], s[28:29], exec
	s_waitcnt vmcnt(0)
	v_cmp_ne_u16_e32 vcc, 0, v2
	v_cndmask_b32_e64 v2, 0, 1, vcc
	s_or_b64 exec, exec, s[20:21]
	s_and_saveexec_b64 s[20:21], s[30:31]
	s_cbranch_execz .LBB30_890
	s_branch .LBB30_845
.LBB30_260:
	s_mov_b64 s[2:3], 0
                                        ; implicit-def: $vgpr2
	s_mov_b64 s[24:25], s[20:21]
	s_cbranch_execnz .LBB30_455
.LBB30_261:
	s_andn2_b64 vcc, exec, s[2:3]
	s_cbranch_vccnz .LBB30_503
.LBB30_262:
	v_mul_lo_u32 v0, v9, s12
	v_mov_b32_e32 v1, s33
	s_waitcnt vmcnt(0)
	v_mov_b32_e32 v3, s9
	v_cndmask_b32_e64 v2, v1, v2, s[0:1]
	v_ashrrev_i32_e32 v1, 31, v0
	s_and_b32 s5, s4, 0xff
	v_add_co_u32_e32 v0, vcc, s8, v0
	s_cmp_lt_i32 s5, 11
	v_addc_co_u32_e32 v1, vcc, v3, v1, vcc
	s_cbranch_scc1 .LBB30_270
; %bb.263:
	s_and_b32 s14, 0xffff, s5
	s_cmp_gt_i32 s14, 25
	s_cbranch_scc0 .LBB30_272
; %bb.264:
	s_cmp_gt_i32 s14, 28
	s_cbranch_scc0 .LBB30_274
; %bb.265:
	;; [unrolled: 3-line block ×4, first 2 shown]
	s_mov_b64 s[30:31], 0
	s_mov_b64 s[2:3], -1
	s_cmp_eq_u32 s14, 46
	s_mov_b64 s[26:27], 0
	s_cbranch_scc0 .LBB30_286
; %bb.268:
	v_bfe_i32 v3, v2, 0, 8
	v_cvt_f32_i32_sdwa v3, sext(v3) dst_sel:DWORD dst_unused:UNUSED_PAD src0_sel:WORD_0
	s_movk_i32 s2, 0x7fff
	s_mov_b64 s[26:27], -1
	v_bfe_u32 v4, v3, 16, 1
	v_add3_u32 v3, v3, v4, s2
	v_lshrrev_b32_e32 v3, 16, v3
	global_store_dword v[0:1], v3, off
	s_mov_b64 s[2:3], 0
	s_branch .LBB30_286
.LBB30_269:
	s_mov_b64 s[26:27], -1
	s_mov_b64 s[2:3], 0
	s_mov_b64 s[24:25], s[20:21]
                                        ; implicit-def: $vgpr2
	s_branch .LBB30_421
.LBB30_270:
	s_mov_b64 s[30:31], -1
	s_mov_b64 s[26:27], 0
	s_mov_b64 s[2:3], s[18:19]
	s_branch .LBB30_355
.LBB30_271:
	s_mov_b64 s[26:27], -1
	s_mov_b64 s[2:3], 0
	s_mov_b64 s[24:25], s[20:21]
                                        ; implicit-def: $vgpr2
	s_branch .LBB30_404
.LBB30_272:
	s_mov_b64 s[30:31], -1
	s_mov_b64 s[26:27], 0
	s_mov_b64 s[2:3], s[18:19]
	s_branch .LBB30_313
.LBB30_273:
	s_mov_b64 s[26:27], -1
	s_mov_b64 s[2:3], 0
	s_mov_b64 s[24:25], s[20:21]
                                        ; implicit-def: $vgpr2
	s_branch .LBB30_399
.LBB30_274:
	s_mov_b64 s[30:31], -1
	s_mov_b64 s[26:27], 0
	s_mov_b64 s[2:3], s[18:19]
	s_branch .LBB30_296
.LBB30_275:
	s_andn2_saveexec_b64 s[28:29], s[28:29]
	s_cbranch_execz .LBB30_55
.LBB30_276:
	s_mov_b32 s30, 0x46000000
	v_add_f32_e64 v4, |v3|, s30
	v_and_b32_e32 v4, 0xff, v4
	v_cmp_ne_u32_e32 vcc, 0, v4
	s_andn2_b64 s[24:25], s[24:25], exec
	s_and_b64 s[30:31], vcc, exec
	s_or_b64 s[24:25], s[24:25], s[30:31]
	s_or_b64 exec, exec, s[28:29]
	v_mov_b32_e32 v5, 0
	s_and_saveexec_b64 s[28:29], s[24:25]
	s_cbranch_execnz .LBB30_56
	s_branch .LBB30_57
.LBB30_277:
	s_mov_b64 s[26:27], -1
	s_mov_b64 s[2:3], 0
	s_mov_b64 s[24:25], s[20:21]
                                        ; implicit-def: $vgpr2
	s_branch .LBB30_282
.LBB30_278:
	s_mov_b64 s[30:31], -1
	s_mov_b64 s[26:27], 0
	s_mov_b64 s[2:3], s[18:19]
	s_branch .LBB30_292
.LBB30_279:
	s_andn2_saveexec_b64 s[28:29], s[28:29]
	s_cbranch_execz .LBB30_68
.LBB30_280:
	s_mov_b32 s30, 0x42800000
	v_add_f32_e64 v4, |v3|, s30
	v_and_b32_e32 v4, 0xff, v4
	v_cmp_ne_u32_e32 vcc, 0, v4
	s_andn2_b64 s[24:25], s[24:25], exec
	s_and_b64 s[30:31], vcc, exec
	s_or_b64 s[24:25], s[24:25], s[30:31]
	s_or_b64 exec, exec, s[28:29]
	v_mov_b32_e32 v5, 0
	s_and_saveexec_b64 s[28:29], s[24:25]
	s_cbranch_execnz .LBB30_69
	s_branch .LBB30_70
.LBB30_281:
	s_mov_b64 s[24:25], -1
                                        ; implicit-def: $vgpr2
	s_mov_b64 s[2:3], 0
.LBB30_282:
	s_and_b64 vcc, exec, s[26:27]
	s_cbranch_vccz .LBB30_398
; %bb.283:
	s_cmp_eq_u32 s14, 44
	s_cbranch_scc0 .LBB30_397
; %bb.284:
	global_load_ubyte v2, v[0:1], off
	s_mov_b64 s[2:3], -1
	s_mov_b64 s[24:25], 0
	s_waitcnt vmcnt(0)
	v_lshlrev_b32_e32 v3, 23, v2
	v_cvt_i32_f32_e32 v3, v3
	v_cmp_ne_u32_e32 vcc, 0, v2
	v_cndmask_b32_e32 v2, 0, v3, vcc
	s_branch .LBB30_398
.LBB30_285:
	s_mov_b64 s[30:31], -1
	s_mov_b64 s[26:27], 0
	s_mov_b64 s[2:3], s[18:19]
.LBB30_286:
	s_and_b64 vcc, exec, s[30:31]
	s_cbranch_vccz .LBB30_291
; %bb.287:
	s_cmp_eq_u32 s14, 44
	s_mov_b64 s[2:3], -1
	s_cbranch_scc0 .LBB30_291
; %bb.288:
	v_bfe_i32 v3, v2, 0, 8
	v_cvt_f32_i32_sdwa v3, sext(v3) dst_sel:DWORD dst_unused:UNUSED_PAD src0_sel:WORD_0
	s_movk_i32 s2, 0xff
	v_mov_b32_e32 v5, 0xff
	v_bfe_u32 v4, v3, 23, 8
	v_cmp_ne_u32_e32 vcc, s2, v4
	s_and_saveexec_b64 s[26:27], vcc
; %bb.289:
	s_mov_b32 s2, 0x3fffff
	v_lshrrev_b32_e32 v5, 23, v3
	v_and_b32_e32 v6, 0x400000, v3
	v_and_or_b32 v3, v3, s2, v4
	v_cmp_ne_u32_e32 vcc, 0, v6
	v_cmp_ne_u32_e64 s[2:3], 0, v3
	s_and_b64 s[2:3], vcc, s[2:3]
	v_cndmask_b32_e64 v3, 0, 1, s[2:3]
	v_add_u32_e32 v5, v5, v3
; %bb.290:
	s_or_b64 exec, exec, s[26:27]
	s_mov_b64 s[26:27], -1
	s_mov_b64 s[2:3], 0
	global_store_byte v[0:1], v5, off
.LBB30_291:
	s_mov_b64 s[30:31], 0
.LBB30_292:
	s_and_b64 vcc, exec, s[30:31]
	s_cbranch_vccz .LBB30_295
; %bb.293:
	s_cmp_eq_u32 s14, 29
	s_mov_b64 s[2:3], -1
	s_cbranch_scc0 .LBB30_295
; %bb.294:
	v_bfe_i32 v3, v2, 0, 8
	v_ashrrev_i32_e32 v4, 31, v3
	global_store_dwordx2 v[0:1], v[3:4], off
	s_mov_b64 s[26:27], -1
	s_mov_b64 s[2:3], 0
.LBB30_295:
	s_mov_b64 s[30:31], 0
.LBB30_296:
	s_and_b64 vcc, exec, s[30:31]
	s_cbranch_vccz .LBB30_312
; %bb.297:
	s_cmp_lt_i32 s14, 27
	s_mov_b64 s[26:27], -1
	s_cbranch_scc1 .LBB30_303
; %bb.298:
	s_cmp_gt_i32 s14, 27
	s_cbranch_scc0 .LBB30_300
; %bb.299:
	v_bfe_i32 v3, v2, 0, 8
	s_mov_b64 s[26:27], 0
	global_store_dword v[0:1], v3, off
.LBB30_300:
	s_andn2_b64 vcc, exec, s[26:27]
	s_cbranch_vccnz .LBB30_302
; %bb.301:
	v_bfe_i32 v3, v2, 0, 8
	global_store_short v[0:1], v3, off
.LBB30_302:
	s_mov_b64 s[26:27], 0
.LBB30_303:
	s_andn2_b64 vcc, exec, s[26:27]
	s_cbranch_vccnz .LBB30_311
; %bb.304:
	v_bfe_i32 v3, v2, 0, 8
	v_cvt_f32_i32_sdwa v3, sext(v3) dst_sel:DWORD dst_unused:UNUSED_PAD src0_sel:WORD_0
	s_mov_b32 s26, 0x43800000
	v_mov_b32_e32 v5, 0x80
	v_and_b32_e32 v4, 0x7fffffff, v3
	v_cmp_gt_u32_e32 vcc, s26, v4
	s_and_saveexec_b64 s[26:27], vcc
	s_cbranch_execz .LBB30_310
; %bb.305:
	s_mov_b32 s30, 0x3bffffff
	v_cmp_lt_u32_e32 vcc, s30, v4
	s_mov_b64 s[30:31], 0
                                        ; implicit-def: $vgpr4
	s_and_saveexec_b64 s[34:35], vcc
	s_xor_b64 s[34:35], exec, s[34:35]
	s_cbranch_execz .LBB30_518
; %bb.306:
	v_bfe_u32 v4, v3, 20, 1
	s_mov_b32 s36, 0x487ffff
	v_add3_u32 v4, v3, v4, s36
	s_mov_b64 s[30:31], exec
	v_lshrrev_b32_e32 v4, 20, v4
	s_andn2_saveexec_b64 s[34:35], s[34:35]
	s_cbranch_execnz .LBB30_519
.LBB30_307:
	s_or_b64 exec, exec, s[34:35]
	v_mov_b32_e32 v5, 0
	s_and_saveexec_b64 s[34:35], s[30:31]
.LBB30_308:
	v_lshrrev_b32_e32 v3, 24, v3
	s_movk_i32 s30, 0x80
	v_and_or_b32 v5, v3, s30, v4
.LBB30_309:
	s_or_b64 exec, exec, s[34:35]
.LBB30_310:
	s_or_b64 exec, exec, s[26:27]
	global_store_byte v[0:1], v5, off
.LBB30_311:
	s_mov_b64 s[26:27], -1
.LBB30_312:
	s_mov_b64 s[30:31], 0
.LBB30_313:
	s_and_b64 vcc, exec, s[30:31]
	s_cbranch_vccz .LBB30_354
; %bb.314:
	s_cmp_gt_i32 s14, 22
	s_mov_b64 s[30:31], -1
	s_cbranch_scc0 .LBB30_346
; %bb.315:
	s_cmp_lt_i32 s14, 24
	s_mov_b64 s[26:27], -1
	s_cbranch_scc1 .LBB30_335
; %bb.316:
	s_cmp_gt_i32 s14, 24
	s_cbranch_scc0 .LBB30_324
; %bb.317:
	v_bfe_i32 v3, v2, 0, 8
	v_cvt_f32_i32_sdwa v3, sext(v3) dst_sel:DWORD dst_unused:UNUSED_PAD src0_sel:WORD_0
	s_mov_b32 s26, 0x47800000
	v_mov_b32_e32 v5, 0x80
	v_and_b32_e32 v4, 0x7fffffff, v3
	v_cmp_gt_u32_e32 vcc, s26, v4
	s_and_saveexec_b64 s[26:27], vcc
	s_cbranch_execz .LBB30_323
; %bb.318:
	s_mov_b32 s30, 0x37ffffff
	v_cmp_lt_u32_e32 vcc, s30, v4
	s_mov_b64 s[30:31], 0
                                        ; implicit-def: $vgpr4
	s_and_saveexec_b64 s[34:35], vcc
	s_xor_b64 s[34:35], exec, s[34:35]
	s_cbranch_execz .LBB30_521
; %bb.319:
	v_bfe_u32 v4, v3, 21, 1
	s_mov_b32 s36, 0x88fffff
	v_add3_u32 v4, v3, v4, s36
	s_mov_b64 s[30:31], exec
	v_lshrrev_b32_e32 v4, 21, v4
	s_andn2_saveexec_b64 s[34:35], s[34:35]
	s_cbranch_execnz .LBB30_522
.LBB30_320:
	s_or_b64 exec, exec, s[34:35]
	v_mov_b32_e32 v5, 0
	s_and_saveexec_b64 s[34:35], s[30:31]
.LBB30_321:
	v_lshrrev_b32_e32 v3, 24, v3
	s_movk_i32 s30, 0x80
	v_and_or_b32 v5, v3, s30, v4
.LBB30_322:
	s_or_b64 exec, exec, s[34:35]
.LBB30_323:
	s_or_b64 exec, exec, s[26:27]
	s_mov_b64 s[26:27], 0
	global_store_byte v[0:1], v5, off
.LBB30_324:
	s_and_b64 vcc, exec, s[26:27]
	s_cbranch_vccz .LBB30_334
; %bb.325:
	v_bfe_i32 v3, v2, 0, 8
	v_cvt_f32_i32_sdwa v3, sext(v3) dst_sel:DWORD dst_unused:UNUSED_PAD src0_sel:WORD_0
	s_mov_b32 s26, 0x43f00000
                                        ; implicit-def: $vgpr4
	v_and_b32_e32 v5, 0x7fffffff, v3
	v_cmp_gt_u32_e32 vcc, s26, v5
	s_and_saveexec_b64 s[26:27], vcc
	s_xor_b64 s[26:27], exec, s[26:27]
	s_cbranch_execz .LBB30_331
; %bb.326:
	s_mov_b32 s30, 0x3c7fffff
	v_cmp_lt_u32_e32 vcc, s30, v5
                                        ; implicit-def: $vgpr4
	s_and_saveexec_b64 s[30:31], vcc
	s_xor_b64 s[30:31], exec, s[30:31]
; %bb.327:
	v_bfe_u32 v4, v3, 20, 1
	s_mov_b32 s34, 0x407ffff
	v_add3_u32 v4, v3, v4, s34
	v_lshrrev_b32_e32 v5, 20, v4
	v_and_b32_e32 v4, 0xff00000, v4
	s_mov_b32 s34, 0x7f00000
	v_mov_b32_e32 v6, 0x7e
	v_cmp_ne_u32_e32 vcc, s34, v4
	v_cndmask_b32_e32 v4, v6, v5, vcc
; %bb.328:
	s_andn2_saveexec_b64 s[30:31], s[30:31]
; %bb.329:
	s_mov_b32 s34, 0x46800000
	v_add_f32_e64 v4, |v3|, s34
; %bb.330:
	s_or_b64 exec, exec, s[30:31]
                                        ; implicit-def: $vgpr5
.LBB30_331:
	s_andn2_saveexec_b64 s[26:27], s[26:27]
; %bb.332:
	s_mov_b32 s30, 0x7f800000
	v_mov_b32_e32 v4, 0x7e
	v_mov_b32_e32 v6, 0x7f
	v_cmp_lt_u32_e32 vcc, s30, v5
	v_cndmask_b32_e32 v4, v4, v6, vcc
; %bb.333:
	s_or_b64 exec, exec, s[26:27]
	v_lshrrev_b32_e32 v3, 24, v3
	s_movk_i32 s26, 0x80
	v_and_or_b32 v3, v3, s26, v4
	global_store_byte v[0:1], v3, off
.LBB30_334:
	s_mov_b64 s[26:27], 0
.LBB30_335:
	s_andn2_b64 vcc, exec, s[26:27]
	s_cbranch_vccnz .LBB30_345
; %bb.336:
	v_bfe_i32 v3, v2, 0, 8
	v_cvt_f32_i32_sdwa v3, sext(v3) dst_sel:DWORD dst_unused:UNUSED_PAD src0_sel:WORD_0
	s_mov_b32 s26, 0x47800000
                                        ; implicit-def: $vgpr4
	v_and_b32_e32 v5, 0x7fffffff, v3
	v_cmp_gt_u32_e32 vcc, s26, v5
	s_and_saveexec_b64 s[26:27], vcc
	s_xor_b64 s[26:27], exec, s[26:27]
	s_cbranch_execz .LBB30_342
; %bb.337:
	s_mov_b32 s30, 0x387fffff
	v_cmp_lt_u32_e32 vcc, s30, v5
                                        ; implicit-def: $vgpr4
	s_and_saveexec_b64 s[30:31], vcc
	s_xor_b64 s[30:31], exec, s[30:31]
; %bb.338:
	v_bfe_u32 v4, v3, 21, 1
	s_mov_b32 s34, 0x80fffff
	v_add3_u32 v4, v3, v4, s34
	v_lshrrev_b32_e32 v4, 21, v4
; %bb.339:
	s_andn2_saveexec_b64 s[30:31], s[30:31]
; %bb.340:
	s_mov_b32 s34, 0x43000000
	v_add_f32_e64 v4, |v3|, s34
; %bb.341:
	s_or_b64 exec, exec, s[30:31]
                                        ; implicit-def: $vgpr5
.LBB30_342:
	s_andn2_saveexec_b64 s[26:27], s[26:27]
; %bb.343:
	s_mov_b32 s30, 0x7f800000
	v_mov_b32_e32 v4, 0x7c
	v_mov_b32_e32 v6, 0x7f
	v_cmp_lt_u32_e32 vcc, s30, v5
	v_cndmask_b32_e32 v4, v4, v6, vcc
; %bb.344:
	s_or_b64 exec, exec, s[26:27]
	v_lshrrev_b32_e32 v3, 24, v3
	s_movk_i32 s26, 0x80
	v_and_or_b32 v3, v3, s26, v4
	global_store_byte v[0:1], v3, off
.LBB30_345:
	s_mov_b64 s[30:31], 0
	s_mov_b64 s[26:27], -1
.LBB30_346:
	s_andn2_b64 vcc, exec, s[30:31]
	s_cbranch_vccnz .LBB30_354
; %bb.347:
	s_cmp_gt_i32 s14, 14
	s_mov_b64 s[30:31], -1
	s_cbranch_scc0 .LBB30_351
; %bb.348:
	s_cmp_eq_u32 s14, 15
	s_mov_b64 s[2:3], -1
	s_cbranch_scc0 .LBB30_350
; %bb.349:
	v_bfe_i32 v3, v2, 0, 8
	v_cvt_f32_i32_sdwa v3, sext(v3) dst_sel:DWORD dst_unused:UNUSED_PAD src0_sel:WORD_0
	s_movk_i32 s2, 0x7fff
	s_mov_b64 s[26:27], -1
	v_bfe_u32 v4, v3, 16, 1
	v_add3_u32 v3, v3, v4, s2
	global_store_short_d16_hi v[0:1], v3, off
	s_mov_b64 s[2:3], 0
.LBB30_350:
	s_mov_b64 s[30:31], 0
.LBB30_351:
	s_and_b64 vcc, exec, s[30:31]
	s_cbranch_vccz .LBB30_354
; %bb.352:
	s_cmp_eq_u32 s14, 11
	s_mov_b64 s[2:3], -1
	s_cbranch_scc0 .LBB30_354
; %bb.353:
	v_mov_b32_e32 v3, 0
	v_cmp_ne_u16_sdwa s[2:3], v2, v3 src0_sel:BYTE_0 src1_sel:DWORD
	v_cndmask_b32_e64 v3, 0, 1, s[2:3]
	s_mov_b64 s[26:27], -1
	s_mov_b64 s[2:3], 0
	global_store_byte v[0:1], v3, off
.LBB30_354:
	s_mov_b64 s[30:31], 0
.LBB30_355:
	s_and_b64 vcc, exec, s[30:31]
	s_cbranch_vccz .LBB30_394
; %bb.356:
	s_and_b32 s5, 0xffff, s5
	s_cmp_lt_i32 s5, 5
	s_mov_b64 s[26:27], -1
	s_cbranch_scc1 .LBB30_377
; %bb.357:
	s_cmp_lt_i32 s5, 8
	s_cbranch_scc1 .LBB30_367
; %bb.358:
	s_cmp_lt_i32 s5, 9
	s_cbranch_scc1 .LBB30_364
; %bb.359:
	s_cmp_gt_i32 s5, 9
	s_cbranch_scc0 .LBB30_361
; %bb.360:
	v_bfe_i32 v3, v2, 0, 8
	v_bfe_i32 v3, v3, 0, 16
	v_cvt_f64_i32_e32 v[3:4], v3
	v_mov_b32_e32 v5, 0
	v_mov_b32_e32 v6, v5
	s_mov_b64 s[26:27], 0
	global_store_dwordx4 v[0:1], v[3:6], off
.LBB30_361:
	s_andn2_b64 vcc, exec, s[26:27]
	s_cbranch_vccnz .LBB30_363
; %bb.362:
	v_bfe_i32 v3, v2, 0, 8
	v_cvt_f32_i32_sdwa v3, sext(v3) dst_sel:DWORD dst_unused:UNUSED_PAD src0_sel:WORD_0
	v_mov_b32_e32 v4, 0
	global_store_dwordx2 v[0:1], v[3:4], off
.LBB30_363:
	s_mov_b64 s[26:27], 0
.LBB30_364:
	s_andn2_b64 vcc, exec, s[26:27]
	s_cbranch_vccnz .LBB30_366
; %bb.365:
	v_cvt_f16_i16_sdwa v3, sext(v2) dst_sel:DWORD dst_unused:UNUSED_PAD src0_sel:BYTE_0
	global_store_dword v[0:1], v3, off
.LBB30_366:
	s_mov_b64 s[26:27], 0
.LBB30_367:
	s_andn2_b64 vcc, exec, s[26:27]
	s_cbranch_vccnz .LBB30_376
; %bb.368:
	s_cmp_lt_i32 s5, 6
	s_mov_b64 s[26:27], -1
	s_cbranch_scc1 .LBB30_374
; %bb.369:
	s_cmp_gt_i32 s5, 6
	s_cbranch_scc0 .LBB30_371
; %bb.370:
	v_bfe_i32 v3, v2, 0, 8
	v_bfe_i32 v3, v3, 0, 16
	v_cvt_f64_i32_e32 v[3:4], v3
	s_mov_b64 s[26:27], 0
	global_store_dwordx2 v[0:1], v[3:4], off
.LBB30_371:
	s_andn2_b64 vcc, exec, s[26:27]
	s_cbranch_vccnz .LBB30_373
; %bb.372:
	v_bfe_i32 v3, v2, 0, 8
	v_cvt_f32_i32_sdwa v3, sext(v3) dst_sel:DWORD dst_unused:UNUSED_PAD src0_sel:WORD_0
	global_store_dword v[0:1], v3, off
.LBB30_373:
	s_mov_b64 s[26:27], 0
.LBB30_374:
	s_andn2_b64 vcc, exec, s[26:27]
	s_cbranch_vccnz .LBB30_376
; %bb.375:
	v_cvt_f16_i16_sdwa v3, sext(v2) dst_sel:DWORD dst_unused:UNUSED_PAD src0_sel:BYTE_0
	global_store_short v[0:1], v3, off
.LBB30_376:
	s_mov_b64 s[26:27], 0
.LBB30_377:
	s_andn2_b64 vcc, exec, s[26:27]
	s_cbranch_vccnz .LBB30_393
; %bb.378:
	s_cmp_lt_i32 s5, 2
	s_mov_b64 s[26:27], -1
	s_cbranch_scc1 .LBB30_388
; %bb.379:
	s_cmp_lt_i32 s5, 3
	s_cbranch_scc1 .LBB30_385
; %bb.380:
	s_cmp_gt_i32 s5, 3
	s_cbranch_scc0 .LBB30_382
; %bb.381:
	v_bfe_i32 v3, v2, 0, 8
	v_ashrrev_i32_e32 v4, 31, v3
	s_mov_b64 s[26:27], 0
	global_store_dwordx2 v[0:1], v[3:4], off
.LBB30_382:
	s_andn2_b64 vcc, exec, s[26:27]
	s_cbranch_vccnz .LBB30_384
; %bb.383:
	v_bfe_i32 v3, v2, 0, 8
	global_store_dword v[0:1], v3, off
.LBB30_384:
	s_mov_b64 s[26:27], 0
.LBB30_385:
	s_andn2_b64 vcc, exec, s[26:27]
	s_cbranch_vccnz .LBB30_387
; %bb.386:
	v_bfe_i32 v3, v2, 0, 8
	global_store_short v[0:1], v3, off
.LBB30_387:
	s_mov_b64 s[26:27], 0
.LBB30_388:
	s_andn2_b64 vcc, exec, s[26:27]
	s_cbranch_vccnz .LBB30_393
; %bb.389:
	s_cmp_gt_i32 s5, 0
	s_mov_b64 s[26:27], -1
	s_cbranch_scc0 .LBB30_391
; %bb.390:
	s_mov_b64 s[26:27], 0
	global_store_byte v[0:1], v2, off
.LBB30_391:
	s_andn2_b64 vcc, exec, s[26:27]
	s_cbranch_vccnz .LBB30_393
; %bb.392:
	global_store_byte v[0:1], v2, off
.LBB30_393:
	s_mov_b64 s[26:27], -1
.LBB30_394:
	s_andn2_b64 vcc, exec, s[26:27]
	s_cbranch_vccnz .LBB30_396
; %bb.395:
	v_add_u32_e32 v9, 0x80, v9
	s_mov_b64 s[30:31], -1
	s_branch .LBB30_504
.LBB30_396:
	s_mov_b64 s[30:31], 0
                                        ; implicit-def: $vgpr9
	s_branch .LBB30_504
.LBB30_397:
	s_mov_b64 s[24:25], -1
                                        ; implicit-def: $vgpr2
.LBB30_398:
	s_mov_b64 s[26:27], 0
.LBB30_399:
	s_and_b64 vcc, exec, s[26:27]
	s_cbranch_vccz .LBB30_403
; %bb.400:
	s_cmp_eq_u32 s14, 29
	s_cbranch_scc0 .LBB30_402
; %bb.401:
	global_load_dwordx2 v[2:3], v[0:1], off
	s_mov_b64 s[2:3], -1
	s_mov_b64 s[24:25], 0
	s_branch .LBB30_403
.LBB30_402:
	s_mov_b64 s[24:25], -1
                                        ; implicit-def: $vgpr2
.LBB30_403:
	s_mov_b64 s[26:27], 0
.LBB30_404:
	s_and_b64 vcc, exec, s[26:27]
	s_cbranch_vccz .LBB30_420
; %bb.405:
	s_cmp_lt_i32 s14, 27
	s_cbranch_scc1 .LBB30_408
; %bb.406:
	s_cmp_gt_i32 s14, 27
	s_cbranch_scc0 .LBB30_409
; %bb.407:
	global_load_dword v2, v[0:1], off
	s_mov_b64 s[2:3], 0
	s_branch .LBB30_410
.LBB30_408:
	s_mov_b64 s[2:3], -1
                                        ; implicit-def: $vgpr2
	s_branch .LBB30_413
.LBB30_409:
	s_mov_b64 s[2:3], -1
                                        ; implicit-def: $vgpr2
.LBB30_410:
	s_andn2_b64 vcc, exec, s[2:3]
	s_cbranch_vccnz .LBB30_412
; %bb.411:
	global_load_ushort v2, v[0:1], off
.LBB30_412:
	s_mov_b64 s[2:3], 0
.LBB30_413:
	s_andn2_b64 vcc, exec, s[2:3]
	s_cbranch_vccnz .LBB30_419
; %bb.414:
	global_load_ubyte v3, v[0:1], off
	s_movk_i32 s2, 0x7f
	s_mov_b64 s[26:27], 0
	s_waitcnt vmcnt(0)
	v_cmp_lt_i16_e32 vcc, s2, v3
	s_and_saveexec_b64 s[2:3], vcc
	s_xor_b64 s[2:3], exec, s[2:3]
	s_cbranch_execz .LBB30_431
; %bb.415:
	s_movk_i32 s26, 0x80
	v_cmp_ne_u16_e32 vcc, s26, v3
	s_and_b64 s[26:27], vcc, exec
	s_andn2_saveexec_b64 s[2:3], s[2:3]
	s_cbranch_execnz .LBB30_432
.LBB30_416:
	s_or_b64 exec, exec, s[2:3]
	v_mov_b32_e32 v2, 0
	s_and_saveexec_b64 s[2:3], s[26:27]
	s_cbranch_execz .LBB30_418
.LBB30_417:
	v_lshlrev_b32_e32 v2, 24, v3
	v_and_b32_e32 v3, 0xffff, v3
	v_and_b32_e32 v4, 7, v3
	v_ffbh_u32_e32 v6, v4
	v_min_u32_e32 v6, 32, v6
	v_subrev_u32_e32 v7, 28, v6
	v_bfe_u32 v5, v3, 3, 4
	v_lshlrev_b32_e32 v3, v7, v3
	v_sub_u32_e32 v6, 29, v6
	v_and_b32_e32 v3, 7, v3
	v_cmp_eq_u32_e32 vcc, 0, v5
	v_cndmask_b32_e32 v5, v5, v6, vcc
	v_cndmask_b32_e32 v3, v4, v3, vcc
	v_mov_b32_e32 v4, 0x3b800000
	v_lshlrev_b32_e32 v3, 20, v3
	v_and_b32_e32 v2, 0x80000000, v2
	v_lshl_add_u32 v4, v5, 23, v4
	v_or3_b32 v2, v2, v4, v3
	v_cvt_i32_f32_e32 v2, v2
.LBB30_418:
	s_or_b64 exec, exec, s[2:3]
.LBB30_419:
	s_mov_b64 s[2:3], -1
.LBB30_420:
	s_mov_b64 s[26:27], 0
.LBB30_421:
	s_and_b64 vcc, exec, s[26:27]
	s_cbranch_vccz .LBB30_454
; %bb.422:
	s_cmp_gt_i32 s14, 22
	s_cbranch_scc0 .LBB30_430
; %bb.423:
	s_cmp_lt_i32 s14, 24
	s_cbranch_scc1 .LBB30_433
; %bb.424:
	s_cmp_gt_i32 s14, 24
	s_cbranch_scc0 .LBB30_434
; %bb.425:
	global_load_ubyte v3, v[0:1], off
	s_movk_i32 s2, 0x7f
	s_mov_b64 s[26:27], 0
	s_waitcnt vmcnt(0)
	v_cmp_lt_i16_e32 vcc, s2, v3
	s_and_saveexec_b64 s[2:3], vcc
	s_xor_b64 s[2:3], exec, s[2:3]
	s_cbranch_execz .LBB30_446
; %bb.426:
	s_movk_i32 s26, 0x80
	v_cmp_ne_u16_e32 vcc, s26, v3
	s_and_b64 s[26:27], vcc, exec
	s_andn2_saveexec_b64 s[2:3], s[2:3]
	s_cbranch_execnz .LBB30_447
.LBB30_427:
	s_or_b64 exec, exec, s[2:3]
	v_mov_b32_e32 v2, 0
	s_and_saveexec_b64 s[2:3], s[26:27]
	s_cbranch_execz .LBB30_429
.LBB30_428:
	v_lshlrev_b32_e32 v2, 24, v3
	v_and_b32_e32 v3, 0xffff, v3
	v_and_b32_e32 v4, 3, v3
	v_ffbh_u32_e32 v6, v4
	v_min_u32_e32 v6, 32, v6
	v_subrev_u32_e32 v7, 29, v6
	v_bfe_u32 v5, v3, 2, 5
	v_lshlrev_b32_e32 v3, v7, v3
	v_sub_u32_e32 v6, 30, v6
	v_and_b32_e32 v3, 3, v3
	v_cmp_eq_u32_e32 vcc, 0, v5
	v_cndmask_b32_e32 v5, v5, v6, vcc
	v_cndmask_b32_e32 v3, v4, v3, vcc
	v_mov_b32_e32 v4, 0x37800000
	v_lshlrev_b32_e32 v3, 21, v3
	v_and_b32_e32 v2, 0x80000000, v2
	v_lshl_add_u32 v4, v5, 23, v4
	v_or3_b32 v2, v2, v4, v3
	v_cvt_i32_f32_e32 v2, v2
.LBB30_429:
	s_or_b64 exec, exec, s[2:3]
	s_mov_b64 s[2:3], 0
	s_branch .LBB30_435
.LBB30_430:
	s_mov_b64 s[26:27], -1
                                        ; implicit-def: $vgpr2
	s_branch .LBB30_441
.LBB30_431:
	s_andn2_saveexec_b64 s[2:3], s[2:3]
	s_cbranch_execz .LBB30_416
.LBB30_432:
	v_cmp_ne_u16_e32 vcc, 0, v3
	s_andn2_b64 s[26:27], s[26:27], exec
	s_and_b64 s[30:31], vcc, exec
	s_or_b64 s[26:27], s[26:27], s[30:31]
	s_or_b64 exec, exec, s[2:3]
	v_mov_b32_e32 v2, 0
	s_and_saveexec_b64 s[2:3], s[26:27]
	s_cbranch_execnz .LBB30_417
	s_branch .LBB30_418
.LBB30_433:
	s_mov_b64 s[2:3], -1
                                        ; implicit-def: $vgpr2
	s_branch .LBB30_438
.LBB30_434:
	s_mov_b64 s[2:3], -1
                                        ; implicit-def: $vgpr2
.LBB30_435:
	s_and_b64 vcc, exec, s[2:3]
	s_cbranch_vccz .LBB30_437
; %bb.436:
	global_load_ubyte v2, v[0:1], off
	s_mov_b32 s2, 0x7f800000
	s_waitcnt vmcnt(0)
	v_lshlrev_b32_e32 v2, 24, v2
	v_and_b32_e32 v3, 0x7f000000, v2
	v_ffbh_u32_e32 v4, v3
	v_min_u32_e32 v4, 32, v4
	v_sub_u32_e64 v4, v4, 4 clamp
	v_lshlrev_b32_e32 v6, v4, v3
	v_lshlrev_b32_e32 v4, 23, v4
	v_lshrrev_b32_e32 v6, 4, v6
	v_add_u32_e32 v5, 0x1000000, v3
	v_sub_u32_e32 v4, v6, v4
	v_ashrrev_i32_e32 v5, 8, v5
	v_add_u32_e32 v4, 0x3c000000, v4
	v_and_or_b32 v4, v5, s2, v4
	v_cmp_ne_u32_e32 vcc, 0, v3
	v_cndmask_b32_e32 v3, 0, v4, vcc
	s_brev_b32 s2, 1
	v_and_or_b32 v2, v2, s2, v3
	v_cvt_i32_f32_e32 v2, v2
.LBB30_437:
	s_mov_b64 s[2:3], 0
.LBB30_438:
	s_andn2_b64 vcc, exec, s[2:3]
	s_cbranch_vccnz .LBB30_440
; %bb.439:
	global_load_ubyte v2, v[0:1], off
	s_movk_i32 s2, 0x7f00
	s_brev_b32 s3, 16
	s_waitcnt vmcnt(0)
	v_lshlrev_b16_e32 v3, 8, v2
	v_lshlrev_b32_e32 v2, 25, v2
	v_lshrrev_b32_e32 v4, 4, v2
	v_and_or_b32 v5, v3, s2, 0.5
	v_or_b32_e32 v4, 0x70000000, v4
	v_add_f32_e32 v5, -0.5, v5
	v_mul_f32_e32 v4, 0x7800000, v4
	v_cmp_gt_u32_e32 vcc, s3, v2
	v_bfe_i32 v3, v3, 0, 16
	v_cndmask_b32_e32 v2, v4, v5, vcc
	s_brev_b32 s2, 1
	v_and_or_b32 v2, v3, s2, v2
	v_cvt_i32_f32_e32 v2, v2
.LBB30_440:
	s_mov_b64 s[26:27], 0
	s_mov_b64 s[2:3], -1
.LBB30_441:
	s_andn2_b64 vcc, exec, s[26:27]
	s_cbranch_vccnz .LBB30_454
; %bb.442:
	s_cmp_gt_i32 s14, 14
	s_cbranch_scc0 .LBB30_445
; %bb.443:
	s_cmp_eq_u32 s14, 15
	s_cbranch_scc0 .LBB30_448
; %bb.444:
	global_load_ushort v2, v[0:1], off
	s_mov_b64 s[2:3], -1
	s_mov_b64 s[24:25], 0
	s_waitcnt vmcnt(0)
	v_lshlrev_b32_e32 v2, 16, v2
	v_cvt_i32_f32_e32 v2, v2
	s_branch .LBB30_449
.LBB30_445:
	s_mov_b64 s[26:27], -1
                                        ; implicit-def: $vgpr2
	s_branch .LBB30_450
.LBB30_446:
	s_andn2_saveexec_b64 s[2:3], s[2:3]
	s_cbranch_execz .LBB30_427
.LBB30_447:
	v_cmp_ne_u16_e32 vcc, 0, v3
	s_andn2_b64 s[26:27], s[26:27], exec
	s_and_b64 s[30:31], vcc, exec
	s_or_b64 s[26:27], s[26:27], s[30:31]
	s_or_b64 exec, exec, s[2:3]
	v_mov_b32_e32 v2, 0
	s_and_saveexec_b64 s[2:3], s[26:27]
	s_cbranch_execnz .LBB30_428
	s_branch .LBB30_429
.LBB30_448:
	s_mov_b64 s[24:25], -1
                                        ; implicit-def: $vgpr2
.LBB30_449:
	s_mov_b64 s[26:27], 0
.LBB30_450:
	s_and_b64 vcc, exec, s[26:27]
	s_cbranch_vccz .LBB30_454
; %bb.451:
	s_cmp_eq_u32 s14, 11
	s_cbranch_scc0 .LBB30_453
; %bb.452:
	global_load_ubyte v2, v[0:1], off
	s_mov_b64 s[2:3], -1
	s_mov_b64 s[24:25], 0
	s_waitcnt vmcnt(0)
	v_cmp_ne_u16_e32 vcc, 0, v2
	v_cndmask_b32_e64 v2, 0, 1, vcc
	s_branch .LBB30_454
.LBB30_453:
	s_mov_b64 s[24:25], -1
                                        ; implicit-def: $vgpr2
.LBB30_454:
	s_branch .LBB30_261
.LBB30_455:
	s_and_b32 s5, 0xffff, s5
	s_cmp_lt_i32 s5, 5
	s_cbranch_scc1 .LBB30_460
; %bb.456:
	s_cmp_lt_i32 s5, 8
	s_cbranch_scc1 .LBB30_461
; %bb.457:
	;; [unrolled: 3-line block ×3, first 2 shown]
	s_cmp_gt_i32 s5, 9
	s_cbranch_scc0 .LBB30_463
; %bb.459:
	global_load_dwordx2 v[2:3], v[0:1], off
	s_mov_b64 s[2:3], 0
	s_waitcnt vmcnt(0)
	v_cvt_i32_f64_e32 v2, v[2:3]
	s_branch .LBB30_464
.LBB30_460:
	s_mov_b64 s[2:3], -1
                                        ; implicit-def: $vgpr2
	s_branch .LBB30_482
.LBB30_461:
	s_mov_b64 s[2:3], -1
                                        ; implicit-def: $vgpr2
	s_branch .LBB30_470
.LBB30_462:
	s_mov_b64 s[2:3], -1
                                        ; implicit-def: $vgpr2
	s_branch .LBB30_467
.LBB30_463:
	s_mov_b64 s[2:3], -1
                                        ; implicit-def: $vgpr2
.LBB30_464:
	s_andn2_b64 vcc, exec, s[2:3]
	s_cbranch_vccnz .LBB30_466
; %bb.465:
	global_load_dword v2, v[0:1], off
	s_waitcnt vmcnt(0)
	v_cvt_i32_f32_e32 v2, v2
.LBB30_466:
	s_mov_b64 s[2:3], 0
.LBB30_467:
	s_andn2_b64 vcc, exec, s[2:3]
	s_cbranch_vccnz .LBB30_469
; %bb.468:
	global_load_dword v2, v[0:1], off
	s_waitcnt vmcnt(0)
	v_cvt_i16_f16_e32 v2, v2
.LBB30_469:
	s_mov_b64 s[2:3], 0
.LBB30_470:
	s_andn2_b64 vcc, exec, s[2:3]
	s_cbranch_vccnz .LBB30_481
; %bb.471:
	s_cmp_lt_i32 s5, 6
	s_cbranch_scc1 .LBB30_474
; %bb.472:
	s_cmp_gt_i32 s5, 6
	s_cbranch_scc0 .LBB30_475
; %bb.473:
	global_load_dwordx2 v[2:3], v[0:1], off
	s_mov_b64 s[2:3], 0
	s_waitcnt vmcnt(0)
	v_cvt_i32_f64_e32 v2, v[2:3]
	s_branch .LBB30_476
.LBB30_474:
	s_mov_b64 s[2:3], -1
                                        ; implicit-def: $vgpr2
	s_branch .LBB30_479
.LBB30_475:
	s_mov_b64 s[2:3], -1
                                        ; implicit-def: $vgpr2
.LBB30_476:
	s_andn2_b64 vcc, exec, s[2:3]
	s_cbranch_vccnz .LBB30_478
; %bb.477:
	global_load_dword v2, v[0:1], off
	s_waitcnt vmcnt(0)
	v_cvt_i32_f32_e32 v2, v2
.LBB30_478:
	s_mov_b64 s[2:3], 0
.LBB30_479:
	s_andn2_b64 vcc, exec, s[2:3]
	s_cbranch_vccnz .LBB30_481
; %bb.480:
	global_load_ushort v2, v[0:1], off
	s_waitcnt vmcnt(0)
	v_cvt_i16_f16_e32 v2, v2
.LBB30_481:
	s_mov_b64 s[2:3], 0
.LBB30_482:
	s_andn2_b64 vcc, exec, s[2:3]
	s_cbranch_vccnz .LBB30_502
; %bb.483:
	s_cmp_lt_i32 s5, 2
	s_cbranch_scc1 .LBB30_487
; %bb.484:
	s_cmp_lt_i32 s5, 3
	s_cbranch_scc1 .LBB30_488
; %bb.485:
	s_cmp_gt_i32 s5, 3
	s_cbranch_scc0 .LBB30_489
; %bb.486:
	global_load_dwordx2 v[2:3], v[0:1], off
	s_mov_b64 s[2:3], 0
	s_branch .LBB30_490
.LBB30_487:
	s_mov_b64 s[2:3], -1
                                        ; implicit-def: $vgpr2
	s_branch .LBB30_496
.LBB30_488:
	s_mov_b64 s[2:3], -1
                                        ; implicit-def: $vgpr2
	s_branch .LBB30_493
.LBB30_489:
	s_mov_b64 s[2:3], -1
                                        ; implicit-def: $vgpr2
.LBB30_490:
	s_andn2_b64 vcc, exec, s[2:3]
	s_cbranch_vccnz .LBB30_492
; %bb.491:
	global_load_dword v2, v[0:1], off
.LBB30_492:
	s_mov_b64 s[2:3], 0
.LBB30_493:
	s_andn2_b64 vcc, exec, s[2:3]
	s_cbranch_vccnz .LBB30_495
; %bb.494:
	global_load_ushort v2, v[0:1], off
.LBB30_495:
	s_mov_b64 s[2:3], 0
.LBB30_496:
	s_andn2_b64 vcc, exec, s[2:3]
	s_cbranch_vccnz .LBB30_502
; %bb.497:
	s_cmp_gt_i32 s5, 0
	s_cbranch_scc0 .LBB30_499
; %bb.498:
	global_load_ubyte v2, v[0:1], off
	s_mov_b64 s[2:3], 0
	s_branch .LBB30_500
.LBB30_499:
	s_mov_b64 s[2:3], -1
                                        ; implicit-def: $vgpr2
.LBB30_500:
	s_andn2_b64 vcc, exec, s[2:3]
	s_cbranch_vccnz .LBB30_502
; %bb.501:
	global_load_ubyte v2, v[0:1], off
.LBB30_502:
	s_branch .LBB30_262
.LBB30_503:
	s_mov_b64 s[30:31], 0
                                        ; implicit-def: $vgpr9
	s_mov_b64 s[2:3], s[18:19]
.LBB30_504:
	s_andn2_b64 s[26:27], s[18:19], exec
	s_and_b64 s[2:3], s[2:3], exec
	s_or_b64 s[26:27], s[26:27], s[2:3]
	s_andn2_b64 s[2:3], s[20:21], exec
	s_and_b64 s[24:25], s[24:25], exec
	s_or_b64 s[24:25], s[2:3], s[24:25]
	s_orn2_b64 s[2:3], s[30:31], exec
.LBB30_505:
	s_or_b64 exec, exec, s[28:29]
	s_mov_b64 s[34:35], 0
	s_mov_b64 s[30:31], 0
	;; [unrolled: 1-line block ×3, first 2 shown]
                                        ; implicit-def: $sgpr5
                                        ; implicit-def: $vgpr0_vgpr1
                                        ; implicit-def: $vgpr2
	s_and_saveexec_b64 s[28:29], s[2:3]
	s_cbranch_execz .LBB30_842
; %bb.506:
	v_cmp_gt_i32_e32 vcc, s44, v9
	s_mov_b64 s[40:41], -1
	s_mov_b64 s[2:3], s[24:25]
	s_mov_b64 s[36:37], s[26:27]
	s_and_saveexec_b64 s[30:31], vcc
	s_cbranch_execz .LBB30_760
; %bb.507:
	v_mul_lo_u32 v0, v9, s13
	v_mov_b32_e32 v1, s11
	s_and_b32 s5, s15, 0xff
	s_cmp_lt_i32 s5, 11
	s_waitcnt vmcnt(0)
	v_ashrrev_i32_e32 v2, 31, v0
	v_add_co_u32_e32 v0, vcc, s10, v0
	v_addc_co_u32_e32 v1, vcc, v1, v2, vcc
	s_cbranch_scc1 .LBB30_514
; %bb.508:
	s_and_b32 s14, 0xffff, s5
	s_cmp_gt_i32 s14, 25
	s_cbranch_scc0 .LBB30_515
; %bb.509:
	s_cmp_gt_i32 s14, 28
	s_cbranch_scc0 .LBB30_516
; %bb.510:
	;; [unrolled: 3-line block ×4, first 2 shown]
	s_cmp_eq_u32 s14, 46
	s_mov_b64 s[36:37], 0
	s_cbranch_scc0 .LBB30_523
; %bb.513:
	global_load_dword v2, v[0:1], off
	s_mov_b64 s[2:3], -1
	s_waitcnt vmcnt(0)
	v_lshlrev_b32_e32 v2, 16, v2
	v_cvt_i32_f32_e32 v2, v2
	s_branch .LBB30_524
.LBB30_514:
	s_mov_b64 s[36:37], -1
	s_mov_b64 s[2:3], 0
                                        ; implicit-def: $vgpr2
	s_mov_b64 s[34:35], s[24:25]
	s_branch .LBB30_585
.LBB30_515:
	s_mov_b64 s[36:37], -1
	s_mov_b64 s[2:3], 0
	s_mov_b64 s[34:35], s[24:25]
                                        ; implicit-def: $vgpr2
	s_branch .LBB30_551
.LBB30_516:
	s_mov_b64 s[36:37], -1
	s_mov_b64 s[2:3], 0
	s_mov_b64 s[34:35], s[24:25]
                                        ; implicit-def: $vgpr2
	s_branch .LBB30_534
.LBB30_517:
	s_mov_b64 s[36:37], -1
	s_mov_b64 s[2:3], 0
	s_mov_b64 s[34:35], s[24:25]
                                        ; implicit-def: $vgpr2
	s_branch .LBB30_529
.LBB30_518:
	s_andn2_saveexec_b64 s[34:35], s[34:35]
	s_cbranch_execz .LBB30_307
.LBB30_519:
	s_mov_b32 s36, 0x46000000
	v_add_f32_e64 v4, |v3|, s36
	v_and_b32_e32 v4, 0xff, v4
	v_cmp_ne_u32_e32 vcc, 0, v4
	s_andn2_b64 s[30:31], s[30:31], exec
	s_and_b64 s[36:37], vcc, exec
	s_or_b64 s[30:31], s[30:31], s[36:37]
	s_or_b64 exec, exec, s[34:35]
	v_mov_b32_e32 v5, 0
	s_and_saveexec_b64 s[34:35], s[30:31]
	s_cbranch_execnz .LBB30_308
	s_branch .LBB30_309
.LBB30_520:
	s_mov_b64 s[36:37], -1
	s_mov_b64 s[2:3], 0
	s_mov_b64 s[34:35], s[24:25]
                                        ; implicit-def: $vgpr2
	s_branch .LBB30_524
.LBB30_521:
	s_andn2_saveexec_b64 s[34:35], s[34:35]
	s_cbranch_execz .LBB30_320
.LBB30_522:
	s_mov_b32 s36, 0x42800000
	v_add_f32_e64 v4, |v3|, s36
	v_and_b32_e32 v4, 0xff, v4
	v_cmp_ne_u32_e32 vcc, 0, v4
	s_andn2_b64 s[30:31], s[30:31], exec
	s_and_b64 s[36:37], vcc, exec
	s_or_b64 s[30:31], s[30:31], s[36:37]
	s_or_b64 exec, exec, s[34:35]
	v_mov_b32_e32 v5, 0
	s_and_saveexec_b64 s[34:35], s[30:31]
	s_cbranch_execnz .LBB30_321
	s_branch .LBB30_322
.LBB30_523:
	s_mov_b64 s[34:35], -1
                                        ; implicit-def: $vgpr2
	s_mov_b64 s[2:3], 0
.LBB30_524:
	s_and_b64 vcc, exec, s[36:37]
	s_cbranch_vccz .LBB30_528
; %bb.525:
	s_cmp_eq_u32 s14, 44
	s_cbranch_scc0 .LBB30_527
; %bb.526:
	global_load_ubyte v2, v[0:1], off
	s_mov_b64 s[2:3], -1
	s_mov_b64 s[34:35], 0
	s_waitcnt vmcnt(0)
	v_lshlrev_b32_e32 v3, 23, v2
	v_cvt_i32_f32_e32 v3, v3
	v_cmp_ne_u32_e32 vcc, 0, v2
	v_cndmask_b32_e32 v2, 0, v3, vcc
	s_branch .LBB30_528
.LBB30_527:
	s_mov_b64 s[34:35], -1
                                        ; implicit-def: $vgpr2
.LBB30_528:
	s_mov_b64 s[36:37], 0
.LBB30_529:
	s_and_b64 vcc, exec, s[36:37]
	s_cbranch_vccz .LBB30_533
; %bb.530:
	s_cmp_eq_u32 s14, 29
	s_cbranch_scc0 .LBB30_532
; %bb.531:
	global_load_dwordx2 v[2:3], v[0:1], off
	s_mov_b64 s[2:3], -1
	s_mov_b64 s[34:35], 0
	s_branch .LBB30_533
.LBB30_532:
	s_mov_b64 s[34:35], -1
                                        ; implicit-def: $vgpr2
.LBB30_533:
	s_mov_b64 s[36:37], 0
.LBB30_534:
	s_and_b64 vcc, exec, s[36:37]
	s_cbranch_vccz .LBB30_550
; %bb.535:
	s_cmp_lt_i32 s14, 27
	s_cbranch_scc1 .LBB30_538
; %bb.536:
	s_cmp_gt_i32 s14, 27
	s_cbranch_scc0 .LBB30_539
; %bb.537:
	global_load_dword v2, v[0:1], off
	s_mov_b64 s[2:3], 0
	s_branch .LBB30_540
.LBB30_538:
	s_mov_b64 s[2:3], -1
                                        ; implicit-def: $vgpr2
	s_branch .LBB30_543
.LBB30_539:
	s_mov_b64 s[2:3], -1
                                        ; implicit-def: $vgpr2
.LBB30_540:
	s_andn2_b64 vcc, exec, s[2:3]
	s_cbranch_vccnz .LBB30_542
; %bb.541:
	global_load_ushort v2, v[0:1], off
.LBB30_542:
	s_mov_b64 s[2:3], 0
.LBB30_543:
	s_andn2_b64 vcc, exec, s[2:3]
	s_cbranch_vccnz .LBB30_549
; %bb.544:
	global_load_ubyte v3, v[0:1], off
	s_movk_i32 s2, 0x7f
	s_mov_b64 s[36:37], 0
	s_waitcnt vmcnt(0)
	v_cmp_lt_i16_e32 vcc, s2, v3
	s_and_saveexec_b64 s[2:3], vcc
	s_xor_b64 s[2:3], exec, s[2:3]
	s_cbranch_execz .LBB30_561
; %bb.545:
	s_movk_i32 s36, 0x80
	v_cmp_ne_u16_e32 vcc, s36, v3
	s_and_b64 s[36:37], vcc, exec
	s_andn2_saveexec_b64 s[2:3], s[2:3]
	s_cbranch_execnz .LBB30_562
.LBB30_546:
	s_or_b64 exec, exec, s[2:3]
	v_mov_b32_e32 v2, 0
	s_and_saveexec_b64 s[2:3], s[36:37]
	s_cbranch_execz .LBB30_548
.LBB30_547:
	v_lshlrev_b32_e32 v2, 24, v3
	v_and_b32_e32 v3, 0xffff, v3
	v_and_b32_e32 v4, 7, v3
	v_ffbh_u32_e32 v6, v4
	v_min_u32_e32 v6, 32, v6
	v_subrev_u32_e32 v7, 28, v6
	v_bfe_u32 v5, v3, 3, 4
	v_lshlrev_b32_e32 v3, v7, v3
	v_sub_u32_e32 v6, 29, v6
	v_and_b32_e32 v3, 7, v3
	v_cmp_eq_u32_e32 vcc, 0, v5
	v_cndmask_b32_e32 v5, v5, v6, vcc
	v_cndmask_b32_e32 v3, v4, v3, vcc
	v_mov_b32_e32 v4, 0x3b800000
	v_lshlrev_b32_e32 v3, 20, v3
	v_and_b32_e32 v2, 0x80000000, v2
	v_lshl_add_u32 v4, v5, 23, v4
	v_or3_b32 v2, v2, v4, v3
	v_cvt_i32_f32_e32 v2, v2
.LBB30_548:
	s_or_b64 exec, exec, s[2:3]
.LBB30_549:
	s_mov_b64 s[2:3], -1
.LBB30_550:
	s_mov_b64 s[36:37], 0
.LBB30_551:
	s_and_b64 vcc, exec, s[36:37]
	s_cbranch_vccz .LBB30_584
; %bb.552:
	s_cmp_gt_i32 s14, 22
	s_cbranch_scc0 .LBB30_560
; %bb.553:
	s_cmp_lt_i32 s14, 24
	s_cbranch_scc1 .LBB30_563
; %bb.554:
	s_cmp_gt_i32 s14, 24
	s_cbranch_scc0 .LBB30_564
; %bb.555:
	global_load_ubyte v3, v[0:1], off
	s_movk_i32 s2, 0x7f
	s_mov_b64 s[36:37], 0
	s_waitcnt vmcnt(0)
	v_cmp_lt_i16_e32 vcc, s2, v3
	s_and_saveexec_b64 s[2:3], vcc
	s_xor_b64 s[2:3], exec, s[2:3]
	s_cbranch_execz .LBB30_576
; %bb.556:
	s_movk_i32 s36, 0x80
	v_cmp_ne_u16_e32 vcc, s36, v3
	s_and_b64 s[36:37], vcc, exec
	s_andn2_saveexec_b64 s[2:3], s[2:3]
	s_cbranch_execnz .LBB30_577
.LBB30_557:
	s_or_b64 exec, exec, s[2:3]
	v_mov_b32_e32 v2, 0
	s_and_saveexec_b64 s[2:3], s[36:37]
	s_cbranch_execz .LBB30_559
.LBB30_558:
	v_lshlrev_b32_e32 v2, 24, v3
	v_and_b32_e32 v3, 0xffff, v3
	v_and_b32_e32 v4, 3, v3
	v_ffbh_u32_e32 v6, v4
	v_min_u32_e32 v6, 32, v6
	v_subrev_u32_e32 v7, 29, v6
	v_bfe_u32 v5, v3, 2, 5
	v_lshlrev_b32_e32 v3, v7, v3
	v_sub_u32_e32 v6, 30, v6
	v_and_b32_e32 v3, 3, v3
	v_cmp_eq_u32_e32 vcc, 0, v5
	v_cndmask_b32_e32 v5, v5, v6, vcc
	v_cndmask_b32_e32 v3, v4, v3, vcc
	v_mov_b32_e32 v4, 0x37800000
	v_lshlrev_b32_e32 v3, 21, v3
	v_and_b32_e32 v2, 0x80000000, v2
	v_lshl_add_u32 v4, v5, 23, v4
	v_or3_b32 v2, v2, v4, v3
	v_cvt_i32_f32_e32 v2, v2
.LBB30_559:
	s_or_b64 exec, exec, s[2:3]
	s_mov_b64 s[2:3], 0
	s_branch .LBB30_565
.LBB30_560:
	s_mov_b64 s[36:37], -1
                                        ; implicit-def: $vgpr2
	s_branch .LBB30_571
.LBB30_561:
	s_andn2_saveexec_b64 s[2:3], s[2:3]
	s_cbranch_execz .LBB30_546
.LBB30_562:
	v_cmp_ne_u16_e32 vcc, 0, v3
	s_andn2_b64 s[36:37], s[36:37], exec
	s_and_b64 s[38:39], vcc, exec
	s_or_b64 s[36:37], s[36:37], s[38:39]
	s_or_b64 exec, exec, s[2:3]
	v_mov_b32_e32 v2, 0
	s_and_saveexec_b64 s[2:3], s[36:37]
	s_cbranch_execnz .LBB30_547
	s_branch .LBB30_548
.LBB30_563:
	s_mov_b64 s[2:3], -1
                                        ; implicit-def: $vgpr2
	s_branch .LBB30_568
.LBB30_564:
	s_mov_b64 s[2:3], -1
                                        ; implicit-def: $vgpr2
.LBB30_565:
	s_and_b64 vcc, exec, s[2:3]
	s_cbranch_vccz .LBB30_567
; %bb.566:
	global_load_ubyte v2, v[0:1], off
	s_mov_b32 s2, 0x7f800000
	s_waitcnt vmcnt(0)
	v_lshlrev_b32_e32 v2, 24, v2
	v_and_b32_e32 v3, 0x7f000000, v2
	v_ffbh_u32_e32 v4, v3
	v_min_u32_e32 v4, 32, v4
	v_sub_u32_e64 v4, v4, 4 clamp
	v_lshlrev_b32_e32 v6, v4, v3
	v_lshlrev_b32_e32 v4, 23, v4
	v_lshrrev_b32_e32 v6, 4, v6
	v_add_u32_e32 v5, 0x1000000, v3
	v_sub_u32_e32 v4, v6, v4
	v_ashrrev_i32_e32 v5, 8, v5
	v_add_u32_e32 v4, 0x3c000000, v4
	v_and_or_b32 v4, v5, s2, v4
	v_cmp_ne_u32_e32 vcc, 0, v3
	v_cndmask_b32_e32 v3, 0, v4, vcc
	s_brev_b32 s2, 1
	v_and_or_b32 v2, v2, s2, v3
	v_cvt_i32_f32_e32 v2, v2
.LBB30_567:
	s_mov_b64 s[2:3], 0
.LBB30_568:
	s_andn2_b64 vcc, exec, s[2:3]
	s_cbranch_vccnz .LBB30_570
; %bb.569:
	global_load_ubyte v2, v[0:1], off
	s_movk_i32 s2, 0x7f00
	s_brev_b32 s3, 16
	s_waitcnt vmcnt(0)
	v_lshlrev_b16_e32 v3, 8, v2
	v_lshlrev_b32_e32 v2, 25, v2
	v_lshrrev_b32_e32 v4, 4, v2
	v_and_or_b32 v5, v3, s2, 0.5
	v_or_b32_e32 v4, 0x70000000, v4
	v_add_f32_e32 v5, -0.5, v5
	v_mul_f32_e32 v4, 0x7800000, v4
	v_cmp_gt_u32_e32 vcc, s3, v2
	v_bfe_i32 v3, v3, 0, 16
	v_cndmask_b32_e32 v2, v4, v5, vcc
	s_brev_b32 s2, 1
	v_and_or_b32 v2, v3, s2, v2
	v_cvt_i32_f32_e32 v2, v2
.LBB30_570:
	s_mov_b64 s[36:37], 0
	s_mov_b64 s[2:3], -1
.LBB30_571:
	s_andn2_b64 vcc, exec, s[36:37]
	s_cbranch_vccnz .LBB30_584
; %bb.572:
	s_cmp_gt_i32 s14, 14
	s_cbranch_scc0 .LBB30_575
; %bb.573:
	s_cmp_eq_u32 s14, 15
	s_cbranch_scc0 .LBB30_578
; %bb.574:
	global_load_ushort v2, v[0:1], off
	s_mov_b64 s[2:3], -1
	s_mov_b64 s[34:35], 0
	s_waitcnt vmcnt(0)
	v_lshlrev_b32_e32 v2, 16, v2
	v_cvt_i32_f32_e32 v2, v2
	s_branch .LBB30_579
.LBB30_575:
	s_mov_b64 s[36:37], -1
                                        ; implicit-def: $vgpr2
	s_branch .LBB30_580
.LBB30_576:
	s_andn2_saveexec_b64 s[2:3], s[2:3]
	s_cbranch_execz .LBB30_557
.LBB30_577:
	v_cmp_ne_u16_e32 vcc, 0, v3
	s_andn2_b64 s[36:37], s[36:37], exec
	s_and_b64 s[38:39], vcc, exec
	s_or_b64 s[36:37], s[36:37], s[38:39]
	s_or_b64 exec, exec, s[2:3]
	v_mov_b32_e32 v2, 0
	s_and_saveexec_b64 s[2:3], s[36:37]
	s_cbranch_execnz .LBB30_558
	s_branch .LBB30_559
.LBB30_578:
	s_mov_b64 s[34:35], -1
                                        ; implicit-def: $vgpr2
.LBB30_579:
	s_mov_b64 s[36:37], 0
.LBB30_580:
	s_and_b64 vcc, exec, s[36:37]
	s_cbranch_vccz .LBB30_584
; %bb.581:
	s_cmp_eq_u32 s14, 11
	s_cbranch_scc0 .LBB30_583
; %bb.582:
	global_load_ubyte v2, v[0:1], off
	s_mov_b64 s[2:3], -1
	s_mov_b64 s[34:35], 0
	s_waitcnt vmcnt(0)
	v_cmp_ne_u16_e32 vcc, 0, v2
	v_cndmask_b32_e64 v2, 0, 1, vcc
	s_branch .LBB30_584
.LBB30_583:
	s_mov_b64 s[34:35], -1
                                        ; implicit-def: $vgpr2
.LBB30_584:
	s_mov_b64 s[36:37], 0
.LBB30_585:
	s_and_b64 vcc, exec, s[36:37]
	s_cbranch_vccz .LBB30_634
; %bb.586:
	s_and_b32 s5, 0xffff, s5
	s_cmp_lt_i32 s5, 5
	s_cbranch_scc1 .LBB30_591
; %bb.587:
	s_cmp_lt_i32 s5, 8
	s_cbranch_scc1 .LBB30_592
; %bb.588:
	;; [unrolled: 3-line block ×3, first 2 shown]
	s_cmp_gt_i32 s5, 9
	s_cbranch_scc0 .LBB30_594
; %bb.590:
	global_load_dwordx2 v[2:3], v[0:1], off
	s_mov_b64 s[2:3], 0
	s_waitcnt vmcnt(0)
	v_cvt_i32_f64_e32 v2, v[2:3]
	s_branch .LBB30_595
.LBB30_591:
	s_mov_b64 s[2:3], -1
                                        ; implicit-def: $vgpr2
	s_branch .LBB30_613
.LBB30_592:
	s_mov_b64 s[2:3], -1
                                        ; implicit-def: $vgpr2
	s_branch .LBB30_601
.LBB30_593:
	s_mov_b64 s[2:3], -1
                                        ; implicit-def: $vgpr2
	s_branch .LBB30_598
.LBB30_594:
	s_mov_b64 s[2:3], -1
                                        ; implicit-def: $vgpr2
.LBB30_595:
	s_andn2_b64 vcc, exec, s[2:3]
	s_cbranch_vccnz .LBB30_597
; %bb.596:
	global_load_dword v2, v[0:1], off
	s_waitcnt vmcnt(0)
	v_cvt_i32_f32_e32 v2, v2
.LBB30_597:
	s_mov_b64 s[2:3], 0
.LBB30_598:
	s_andn2_b64 vcc, exec, s[2:3]
	s_cbranch_vccnz .LBB30_600
; %bb.599:
	global_load_dword v2, v[0:1], off
	s_waitcnt vmcnt(0)
	v_cvt_i16_f16_e32 v2, v2
.LBB30_600:
	s_mov_b64 s[2:3], 0
.LBB30_601:
	s_andn2_b64 vcc, exec, s[2:3]
	s_cbranch_vccnz .LBB30_612
; %bb.602:
	s_cmp_lt_i32 s5, 6
	s_cbranch_scc1 .LBB30_605
; %bb.603:
	s_cmp_gt_i32 s5, 6
	s_cbranch_scc0 .LBB30_606
; %bb.604:
	global_load_dwordx2 v[2:3], v[0:1], off
	s_mov_b64 s[2:3], 0
	s_waitcnt vmcnt(0)
	v_cvt_i32_f64_e32 v2, v[2:3]
	s_branch .LBB30_607
.LBB30_605:
	s_mov_b64 s[2:3], -1
                                        ; implicit-def: $vgpr2
	s_branch .LBB30_610
.LBB30_606:
	s_mov_b64 s[2:3], -1
                                        ; implicit-def: $vgpr2
.LBB30_607:
	s_andn2_b64 vcc, exec, s[2:3]
	s_cbranch_vccnz .LBB30_609
; %bb.608:
	global_load_dword v2, v[0:1], off
	s_waitcnt vmcnt(0)
	v_cvt_i32_f32_e32 v2, v2
.LBB30_609:
	s_mov_b64 s[2:3], 0
.LBB30_610:
	s_andn2_b64 vcc, exec, s[2:3]
	s_cbranch_vccnz .LBB30_612
; %bb.611:
	global_load_ushort v2, v[0:1], off
	s_waitcnt vmcnt(0)
	v_cvt_i16_f16_e32 v2, v2
.LBB30_612:
	s_mov_b64 s[2:3], 0
.LBB30_613:
	s_andn2_b64 vcc, exec, s[2:3]
	s_cbranch_vccnz .LBB30_633
; %bb.614:
	s_cmp_lt_i32 s5, 2
	s_cbranch_scc1 .LBB30_618
; %bb.615:
	s_cmp_lt_i32 s5, 3
	s_cbranch_scc1 .LBB30_619
; %bb.616:
	s_cmp_gt_i32 s5, 3
	s_cbranch_scc0 .LBB30_620
; %bb.617:
	global_load_dwordx2 v[2:3], v[0:1], off
	s_mov_b64 s[2:3], 0
	s_branch .LBB30_621
.LBB30_618:
	s_mov_b64 s[2:3], -1
                                        ; implicit-def: $vgpr2
	s_branch .LBB30_627
.LBB30_619:
	s_mov_b64 s[2:3], -1
                                        ; implicit-def: $vgpr2
	s_branch .LBB30_624
.LBB30_620:
	s_mov_b64 s[2:3], -1
                                        ; implicit-def: $vgpr2
.LBB30_621:
	s_andn2_b64 vcc, exec, s[2:3]
	s_cbranch_vccnz .LBB30_623
; %bb.622:
	global_load_dword v2, v[0:1], off
.LBB30_623:
	s_mov_b64 s[2:3], 0
.LBB30_624:
	s_andn2_b64 vcc, exec, s[2:3]
	s_cbranch_vccnz .LBB30_626
; %bb.625:
	global_load_ushort v2, v[0:1], off
.LBB30_626:
	s_mov_b64 s[2:3], 0
.LBB30_627:
	s_andn2_b64 vcc, exec, s[2:3]
	s_cbranch_vccnz .LBB30_633
; %bb.628:
	s_cmp_gt_i32 s5, 0
	s_cbranch_scc0 .LBB30_630
; %bb.629:
	global_load_ubyte v2, v[0:1], off
	s_mov_b64 s[2:3], 0
	s_branch .LBB30_631
.LBB30_630:
	s_mov_b64 s[2:3], -1
                                        ; implicit-def: $vgpr2
.LBB30_631:
	s_andn2_b64 vcc, exec, s[2:3]
	s_cbranch_vccnz .LBB30_633
; %bb.632:
	global_load_ubyte v2, v[0:1], off
.LBB30_633:
	s_mov_b64 s[2:3], -1
.LBB30_634:
	s_andn2_b64 vcc, exec, s[2:3]
	s_cbranch_vccnz .LBB30_642
; %bb.635:
	v_mul_lo_u32 v0, v9, s12
	v_mov_b32_e32 v1, s33
	s_waitcnt vmcnt(0)
	v_mov_b32_e32 v3, s9
	v_cndmask_b32_e64 v2, v1, v2, s[0:1]
	v_ashrrev_i32_e32 v1, 31, v0
	s_and_b32 s5, s4, 0xff
	v_add_co_u32_e32 v0, vcc, s8, v0
	s_cmp_lt_i32 s5, 11
	v_addc_co_u32_e32 v1, vcc, v3, v1, vcc
	s_cbranch_scc1 .LBB30_643
; %bb.636:
	s_and_b32 s14, 0xffff, s5
	s_cmp_gt_i32 s14, 25
	s_cbranch_scc0 .LBB30_644
; %bb.637:
	s_cmp_gt_i32 s14, 28
	s_cbranch_scc0 .LBB30_645
; %bb.638:
	s_cmp_gt_i32 s14, 43
	s_cbranch_scc0 .LBB30_646
; %bb.639:
	s_cmp_gt_i32 s14, 45
	s_cbranch_scc0 .LBB30_647
; %bb.640:
	s_mov_b64 s[38:39], 0
	s_mov_b64 s[2:3], -1
	s_cmp_eq_u32 s14, 46
	s_mov_b64 s[36:37], 0
	s_cbranch_scc0 .LBB30_648
; %bb.641:
	v_bfe_i32 v3, v2, 0, 8
	v_cvt_f32_i32_sdwa v3, sext(v3) dst_sel:DWORD dst_unused:UNUSED_PAD src0_sel:WORD_0
	s_movk_i32 s2, 0x7fff
	s_mov_b64 s[36:37], -1
	v_bfe_u32 v4, v3, 16, 1
	v_add3_u32 v3, v3, v4, s2
	v_lshrrev_b32_e32 v3, 16, v3
	global_store_dword v[0:1], v3, off
	s_mov_b64 s[2:3], 0
	s_branch .LBB30_648
.LBB30_642:
	s_mov_b64 s[38:39], 0
                                        ; implicit-def: $vgpr9
	s_mov_b64 s[2:3], s[26:27]
	s_branch .LBB30_759
.LBB30_643:
	s_mov_b64 s[38:39], -1
	s_mov_b64 s[36:37], 0
	s_mov_b64 s[2:3], s[26:27]
	s_branch .LBB30_717
.LBB30_644:
	s_mov_b64 s[38:39], -1
	s_mov_b64 s[36:37], 0
	s_mov_b64 s[2:3], s[26:27]
	s_branch .LBB30_675
.LBB30_645:
	s_mov_b64 s[38:39], -1
	s_mov_b64 s[36:37], 0
	s_mov_b64 s[2:3], s[26:27]
	s_branch .LBB30_658
.LBB30_646:
	s_mov_b64 s[38:39], -1
	s_mov_b64 s[36:37], 0
	s_mov_b64 s[2:3], s[26:27]
	s_branch .LBB30_654
.LBB30_647:
	s_mov_b64 s[38:39], -1
	s_mov_b64 s[36:37], 0
	s_mov_b64 s[2:3], s[26:27]
.LBB30_648:
	s_and_b64 vcc, exec, s[38:39]
	s_cbranch_vccz .LBB30_653
; %bb.649:
	s_cmp_eq_u32 s14, 44
	s_mov_b64 s[2:3], -1
	s_cbranch_scc0 .LBB30_653
; %bb.650:
	v_bfe_i32 v3, v2, 0, 8
	v_cvt_f32_i32_sdwa v3, sext(v3) dst_sel:DWORD dst_unused:UNUSED_PAD src0_sel:WORD_0
	s_movk_i32 s2, 0xff
	v_mov_b32_e32 v5, 0xff
	v_bfe_u32 v4, v3, 23, 8
	v_cmp_ne_u32_e32 vcc, s2, v4
	s_and_saveexec_b64 s[36:37], vcc
; %bb.651:
	s_mov_b32 s2, 0x3fffff
	v_lshrrev_b32_e32 v5, 23, v3
	v_and_b32_e32 v6, 0x400000, v3
	v_and_or_b32 v3, v3, s2, v4
	v_cmp_ne_u32_e32 vcc, 0, v6
	v_cmp_ne_u32_e64 s[2:3], 0, v3
	s_and_b64 s[2:3], vcc, s[2:3]
	v_cndmask_b32_e64 v3, 0, 1, s[2:3]
	v_add_u32_e32 v5, v5, v3
; %bb.652:
	s_or_b64 exec, exec, s[36:37]
	s_mov_b64 s[36:37], -1
	s_mov_b64 s[2:3], 0
	global_store_byte v[0:1], v5, off
.LBB30_653:
	s_mov_b64 s[38:39], 0
.LBB30_654:
	s_and_b64 vcc, exec, s[38:39]
	s_cbranch_vccz .LBB30_657
; %bb.655:
	s_cmp_eq_u32 s14, 29
	s_mov_b64 s[2:3], -1
	s_cbranch_scc0 .LBB30_657
; %bb.656:
	v_bfe_i32 v3, v2, 0, 8
	v_ashrrev_i32_e32 v4, 31, v3
	global_store_dwordx2 v[0:1], v[3:4], off
	s_mov_b64 s[36:37], -1
	s_mov_b64 s[2:3], 0
.LBB30_657:
	s_mov_b64 s[38:39], 0
.LBB30_658:
	s_and_b64 vcc, exec, s[38:39]
	s_cbranch_vccz .LBB30_674
; %bb.659:
	s_cmp_lt_i32 s14, 27
	s_mov_b64 s[36:37], -1
	s_cbranch_scc1 .LBB30_665
; %bb.660:
	s_cmp_gt_i32 s14, 27
	s_cbranch_scc0 .LBB30_662
; %bb.661:
	v_bfe_i32 v3, v2, 0, 8
	s_mov_b64 s[36:37], 0
	global_store_dword v[0:1], v3, off
.LBB30_662:
	s_andn2_b64 vcc, exec, s[36:37]
	s_cbranch_vccnz .LBB30_664
; %bb.663:
	v_bfe_i32 v3, v2, 0, 8
	global_store_short v[0:1], v3, off
.LBB30_664:
	s_mov_b64 s[36:37], 0
.LBB30_665:
	s_andn2_b64 vcc, exec, s[36:37]
	s_cbranch_vccnz .LBB30_673
; %bb.666:
	v_bfe_i32 v3, v2, 0, 8
	v_cvt_f32_i32_sdwa v3, sext(v3) dst_sel:DWORD dst_unused:UNUSED_PAD src0_sel:WORD_0
	s_mov_b32 s36, 0x43800000
	v_mov_b32_e32 v5, 0x80
	v_and_b32_e32 v4, 0x7fffffff, v3
	v_cmp_gt_u32_e32 vcc, s36, v4
	s_and_saveexec_b64 s[36:37], vcc
	s_cbranch_execz .LBB30_672
; %bb.667:
	s_mov_b32 s38, 0x3bffffff
	v_cmp_lt_u32_e32 vcc, s38, v4
	s_mov_b64 s[38:39], 0
                                        ; implicit-def: $vgpr4
	s_and_saveexec_b64 s[40:41], vcc
	s_xor_b64 s[40:41], exec, s[40:41]
	s_cbranch_execz .LBB30_773
; %bb.668:
	v_bfe_u32 v4, v3, 20, 1
	s_mov_b32 s42, 0x487ffff
	v_add3_u32 v4, v3, v4, s42
	s_mov_b64 s[38:39], exec
	v_lshrrev_b32_e32 v4, 20, v4
	s_andn2_saveexec_b64 s[40:41], s[40:41]
	s_cbranch_execnz .LBB30_774
.LBB30_669:
	s_or_b64 exec, exec, s[40:41]
	v_mov_b32_e32 v5, 0
	s_and_saveexec_b64 s[40:41], s[38:39]
.LBB30_670:
	v_lshrrev_b32_e32 v3, 24, v3
	s_movk_i32 s38, 0x80
	v_and_or_b32 v5, v3, s38, v4
.LBB30_671:
	s_or_b64 exec, exec, s[40:41]
.LBB30_672:
	s_or_b64 exec, exec, s[36:37]
	global_store_byte v[0:1], v5, off
.LBB30_673:
	s_mov_b64 s[36:37], -1
.LBB30_674:
	s_mov_b64 s[38:39], 0
.LBB30_675:
	s_and_b64 vcc, exec, s[38:39]
	s_cbranch_vccz .LBB30_716
; %bb.676:
	s_cmp_gt_i32 s14, 22
	s_mov_b64 s[38:39], -1
	s_cbranch_scc0 .LBB30_708
; %bb.677:
	s_cmp_lt_i32 s14, 24
	s_mov_b64 s[36:37], -1
	s_cbranch_scc1 .LBB30_697
; %bb.678:
	s_cmp_gt_i32 s14, 24
	s_cbranch_scc0 .LBB30_686
; %bb.679:
	v_bfe_i32 v3, v2, 0, 8
	v_cvt_f32_i32_sdwa v3, sext(v3) dst_sel:DWORD dst_unused:UNUSED_PAD src0_sel:WORD_0
	s_mov_b32 s36, 0x47800000
	v_mov_b32_e32 v5, 0x80
	v_and_b32_e32 v4, 0x7fffffff, v3
	v_cmp_gt_u32_e32 vcc, s36, v4
	s_and_saveexec_b64 s[36:37], vcc
	s_cbranch_execz .LBB30_685
; %bb.680:
	s_mov_b32 s38, 0x37ffffff
	v_cmp_lt_u32_e32 vcc, s38, v4
	s_mov_b64 s[38:39], 0
                                        ; implicit-def: $vgpr4
	s_and_saveexec_b64 s[40:41], vcc
	s_xor_b64 s[40:41], exec, s[40:41]
	s_cbranch_execz .LBB30_776
; %bb.681:
	v_bfe_u32 v4, v3, 21, 1
	s_mov_b32 s42, 0x88fffff
	v_add3_u32 v4, v3, v4, s42
	s_mov_b64 s[38:39], exec
	v_lshrrev_b32_e32 v4, 21, v4
	s_andn2_saveexec_b64 s[40:41], s[40:41]
	s_cbranch_execnz .LBB30_777
.LBB30_682:
	s_or_b64 exec, exec, s[40:41]
	v_mov_b32_e32 v5, 0
	s_and_saveexec_b64 s[40:41], s[38:39]
.LBB30_683:
	v_lshrrev_b32_e32 v3, 24, v3
	s_movk_i32 s38, 0x80
	v_and_or_b32 v5, v3, s38, v4
.LBB30_684:
	s_or_b64 exec, exec, s[40:41]
.LBB30_685:
	s_or_b64 exec, exec, s[36:37]
	s_mov_b64 s[36:37], 0
	global_store_byte v[0:1], v5, off
.LBB30_686:
	s_and_b64 vcc, exec, s[36:37]
	s_cbranch_vccz .LBB30_696
; %bb.687:
	v_bfe_i32 v3, v2, 0, 8
	v_cvt_f32_i32_sdwa v3, sext(v3) dst_sel:DWORD dst_unused:UNUSED_PAD src0_sel:WORD_0
	s_mov_b32 s36, 0x43f00000
                                        ; implicit-def: $vgpr4
	v_and_b32_e32 v5, 0x7fffffff, v3
	v_cmp_gt_u32_e32 vcc, s36, v5
	s_and_saveexec_b64 s[36:37], vcc
	s_xor_b64 s[36:37], exec, s[36:37]
	s_cbranch_execz .LBB30_693
; %bb.688:
	s_mov_b32 s38, 0x3c7fffff
	v_cmp_lt_u32_e32 vcc, s38, v5
                                        ; implicit-def: $vgpr4
	s_and_saveexec_b64 s[38:39], vcc
	s_xor_b64 s[38:39], exec, s[38:39]
; %bb.689:
	v_bfe_u32 v4, v3, 20, 1
	s_mov_b32 s40, 0x407ffff
	v_add3_u32 v4, v3, v4, s40
	v_lshrrev_b32_e32 v5, 20, v4
	v_and_b32_e32 v4, 0xff00000, v4
	s_mov_b32 s40, 0x7f00000
	v_mov_b32_e32 v6, 0x7e
	v_cmp_ne_u32_e32 vcc, s40, v4
	v_cndmask_b32_e32 v4, v6, v5, vcc
; %bb.690:
	s_andn2_saveexec_b64 s[38:39], s[38:39]
; %bb.691:
	s_mov_b32 s40, 0x46800000
	v_add_f32_e64 v4, |v3|, s40
; %bb.692:
	s_or_b64 exec, exec, s[38:39]
                                        ; implicit-def: $vgpr5
.LBB30_693:
	s_andn2_saveexec_b64 s[36:37], s[36:37]
; %bb.694:
	s_mov_b32 s38, 0x7f800000
	v_mov_b32_e32 v4, 0x7e
	v_mov_b32_e32 v6, 0x7f
	v_cmp_lt_u32_e32 vcc, s38, v5
	v_cndmask_b32_e32 v4, v4, v6, vcc
; %bb.695:
	s_or_b64 exec, exec, s[36:37]
	v_lshrrev_b32_e32 v3, 24, v3
	s_movk_i32 s36, 0x80
	v_and_or_b32 v3, v3, s36, v4
	global_store_byte v[0:1], v3, off
.LBB30_696:
	s_mov_b64 s[36:37], 0
.LBB30_697:
	s_andn2_b64 vcc, exec, s[36:37]
	s_cbranch_vccnz .LBB30_707
; %bb.698:
	v_bfe_i32 v3, v2, 0, 8
	v_cvt_f32_i32_sdwa v3, sext(v3) dst_sel:DWORD dst_unused:UNUSED_PAD src0_sel:WORD_0
	s_mov_b32 s36, 0x47800000
                                        ; implicit-def: $vgpr4
	v_and_b32_e32 v5, 0x7fffffff, v3
	v_cmp_gt_u32_e32 vcc, s36, v5
	s_and_saveexec_b64 s[36:37], vcc
	s_xor_b64 s[36:37], exec, s[36:37]
	s_cbranch_execz .LBB30_704
; %bb.699:
	s_mov_b32 s38, 0x387fffff
	v_cmp_lt_u32_e32 vcc, s38, v5
                                        ; implicit-def: $vgpr4
	s_and_saveexec_b64 s[38:39], vcc
	s_xor_b64 s[38:39], exec, s[38:39]
; %bb.700:
	v_bfe_u32 v4, v3, 21, 1
	s_mov_b32 s40, 0x80fffff
	v_add3_u32 v4, v3, v4, s40
	v_lshrrev_b32_e32 v4, 21, v4
; %bb.701:
	s_andn2_saveexec_b64 s[38:39], s[38:39]
; %bb.702:
	s_mov_b32 s40, 0x43000000
	v_add_f32_e64 v4, |v3|, s40
; %bb.703:
	s_or_b64 exec, exec, s[38:39]
                                        ; implicit-def: $vgpr5
.LBB30_704:
	s_andn2_saveexec_b64 s[36:37], s[36:37]
; %bb.705:
	s_mov_b32 s38, 0x7f800000
	v_mov_b32_e32 v4, 0x7c
	v_mov_b32_e32 v6, 0x7f
	v_cmp_lt_u32_e32 vcc, s38, v5
	v_cndmask_b32_e32 v4, v4, v6, vcc
; %bb.706:
	s_or_b64 exec, exec, s[36:37]
	v_lshrrev_b32_e32 v3, 24, v3
	s_movk_i32 s36, 0x80
	v_and_or_b32 v3, v3, s36, v4
	global_store_byte v[0:1], v3, off
.LBB30_707:
	s_mov_b64 s[38:39], 0
	s_mov_b64 s[36:37], -1
.LBB30_708:
	s_andn2_b64 vcc, exec, s[38:39]
	s_cbranch_vccnz .LBB30_716
; %bb.709:
	s_cmp_gt_i32 s14, 14
	s_mov_b64 s[38:39], -1
	s_cbranch_scc0 .LBB30_713
; %bb.710:
	s_cmp_eq_u32 s14, 15
	s_mov_b64 s[2:3], -1
	s_cbranch_scc0 .LBB30_712
; %bb.711:
	v_bfe_i32 v3, v2, 0, 8
	v_cvt_f32_i32_sdwa v3, sext(v3) dst_sel:DWORD dst_unused:UNUSED_PAD src0_sel:WORD_0
	s_movk_i32 s2, 0x7fff
	s_mov_b64 s[36:37], -1
	v_bfe_u32 v4, v3, 16, 1
	v_add3_u32 v3, v3, v4, s2
	global_store_short_d16_hi v[0:1], v3, off
	s_mov_b64 s[2:3], 0
.LBB30_712:
	s_mov_b64 s[38:39], 0
.LBB30_713:
	s_and_b64 vcc, exec, s[38:39]
	s_cbranch_vccz .LBB30_716
; %bb.714:
	s_cmp_eq_u32 s14, 11
	s_mov_b64 s[2:3], -1
	s_cbranch_scc0 .LBB30_716
; %bb.715:
	v_mov_b32_e32 v3, 0
	v_cmp_ne_u16_sdwa s[2:3], v2, v3 src0_sel:BYTE_0 src1_sel:DWORD
	v_cndmask_b32_e64 v3, 0, 1, s[2:3]
	s_mov_b64 s[36:37], -1
	s_mov_b64 s[2:3], 0
	global_store_byte v[0:1], v3, off
.LBB30_716:
	s_mov_b64 s[38:39], 0
.LBB30_717:
	s_and_b64 vcc, exec, s[38:39]
	s_cbranch_vccz .LBB30_756
; %bb.718:
	s_and_b32 s5, 0xffff, s5
	s_cmp_lt_i32 s5, 5
	s_mov_b64 s[36:37], -1
	s_cbranch_scc1 .LBB30_739
; %bb.719:
	s_cmp_lt_i32 s5, 8
	s_cbranch_scc1 .LBB30_729
; %bb.720:
	s_cmp_lt_i32 s5, 9
	s_cbranch_scc1 .LBB30_726
; %bb.721:
	s_cmp_gt_i32 s5, 9
	s_cbranch_scc0 .LBB30_723
; %bb.722:
	v_bfe_i32 v3, v2, 0, 8
	v_bfe_i32 v3, v3, 0, 16
	v_cvt_f64_i32_e32 v[3:4], v3
	v_mov_b32_e32 v5, 0
	v_mov_b32_e32 v6, v5
	s_mov_b64 s[36:37], 0
	global_store_dwordx4 v[0:1], v[3:6], off
.LBB30_723:
	s_andn2_b64 vcc, exec, s[36:37]
	s_cbranch_vccnz .LBB30_725
; %bb.724:
	v_bfe_i32 v3, v2, 0, 8
	v_cvt_f32_i32_sdwa v3, sext(v3) dst_sel:DWORD dst_unused:UNUSED_PAD src0_sel:WORD_0
	v_mov_b32_e32 v4, 0
	global_store_dwordx2 v[0:1], v[3:4], off
.LBB30_725:
	s_mov_b64 s[36:37], 0
.LBB30_726:
	s_andn2_b64 vcc, exec, s[36:37]
	s_cbranch_vccnz .LBB30_728
; %bb.727:
	v_cvt_f16_i16_sdwa v3, sext(v2) dst_sel:DWORD dst_unused:UNUSED_PAD src0_sel:BYTE_0
	global_store_dword v[0:1], v3, off
.LBB30_728:
	s_mov_b64 s[36:37], 0
.LBB30_729:
	s_andn2_b64 vcc, exec, s[36:37]
	s_cbranch_vccnz .LBB30_738
; %bb.730:
	s_cmp_lt_i32 s5, 6
	s_mov_b64 s[36:37], -1
	s_cbranch_scc1 .LBB30_736
; %bb.731:
	s_cmp_gt_i32 s5, 6
	s_cbranch_scc0 .LBB30_733
; %bb.732:
	v_bfe_i32 v3, v2, 0, 8
	v_bfe_i32 v3, v3, 0, 16
	v_cvt_f64_i32_e32 v[3:4], v3
	s_mov_b64 s[36:37], 0
	global_store_dwordx2 v[0:1], v[3:4], off
.LBB30_733:
	s_andn2_b64 vcc, exec, s[36:37]
	s_cbranch_vccnz .LBB30_735
; %bb.734:
	v_bfe_i32 v3, v2, 0, 8
	v_cvt_f32_i32_sdwa v3, sext(v3) dst_sel:DWORD dst_unused:UNUSED_PAD src0_sel:WORD_0
	global_store_dword v[0:1], v3, off
.LBB30_735:
	s_mov_b64 s[36:37], 0
.LBB30_736:
	s_andn2_b64 vcc, exec, s[36:37]
	s_cbranch_vccnz .LBB30_738
; %bb.737:
	v_cvt_f16_i16_sdwa v3, sext(v2) dst_sel:DWORD dst_unused:UNUSED_PAD src0_sel:BYTE_0
	global_store_short v[0:1], v3, off
.LBB30_738:
	s_mov_b64 s[36:37], 0
.LBB30_739:
	s_andn2_b64 vcc, exec, s[36:37]
	s_cbranch_vccnz .LBB30_755
; %bb.740:
	s_cmp_lt_i32 s5, 2
	s_mov_b64 s[36:37], -1
	s_cbranch_scc1 .LBB30_750
; %bb.741:
	s_cmp_lt_i32 s5, 3
	s_cbranch_scc1 .LBB30_747
; %bb.742:
	s_cmp_gt_i32 s5, 3
	s_cbranch_scc0 .LBB30_744
; %bb.743:
	v_bfe_i32 v3, v2, 0, 8
	v_ashrrev_i32_e32 v4, 31, v3
	s_mov_b64 s[36:37], 0
	global_store_dwordx2 v[0:1], v[3:4], off
.LBB30_744:
	s_andn2_b64 vcc, exec, s[36:37]
	s_cbranch_vccnz .LBB30_746
; %bb.745:
	v_bfe_i32 v3, v2, 0, 8
	global_store_dword v[0:1], v3, off
.LBB30_746:
	s_mov_b64 s[36:37], 0
.LBB30_747:
	s_andn2_b64 vcc, exec, s[36:37]
	s_cbranch_vccnz .LBB30_749
; %bb.748:
	v_bfe_i32 v3, v2, 0, 8
	global_store_short v[0:1], v3, off
.LBB30_749:
	s_mov_b64 s[36:37], 0
.LBB30_750:
	s_andn2_b64 vcc, exec, s[36:37]
	s_cbranch_vccnz .LBB30_755
; %bb.751:
	s_cmp_gt_i32 s5, 0
	s_mov_b64 s[36:37], -1
	s_cbranch_scc0 .LBB30_753
; %bb.752:
	s_mov_b64 s[36:37], 0
	global_store_byte v[0:1], v2, off
.LBB30_753:
	s_andn2_b64 vcc, exec, s[36:37]
	s_cbranch_vccnz .LBB30_755
; %bb.754:
	global_store_byte v[0:1], v2, off
.LBB30_755:
	s_mov_b64 s[36:37], -1
.LBB30_756:
	s_andn2_b64 vcc, exec, s[36:37]
	s_cbranch_vccnz .LBB30_758
; %bb.757:
	v_add_u32_e32 v9, 0x80, v9
	s_mov_b64 s[38:39], -1
	s_branch .LBB30_759
.LBB30_758:
	s_mov_b64 s[38:39], 0
                                        ; implicit-def: $vgpr9
.LBB30_759:
	s_andn2_b64 s[36:37], s[26:27], exec
	s_and_b64 s[2:3], s[2:3], exec
	s_or_b64 s[36:37], s[36:37], s[2:3]
	s_andn2_b64 s[2:3], s[24:25], exec
	s_and_b64 s[34:35], s[34:35], exec
	s_or_b64 s[2:3], s[2:3], s[34:35]
	s_orn2_b64 s[40:41], s[38:39], exec
.LBB30_760:
	s_or_b64 exec, exec, s[30:31]
	s_mov_b64 s[34:35], 0
	s_mov_b64 s[38:39], 0
	;; [unrolled: 1-line block ×3, first 2 shown]
                                        ; implicit-def: $sgpr5
                                        ; implicit-def: $vgpr0_vgpr1
                                        ; implicit-def: $vgpr2
	s_and_saveexec_b64 s[30:31], s[40:41]
	s_cbranch_execz .LBB30_841
; %bb.761:
	v_cmp_gt_i32_e32 vcc, s44, v9
	s_mov_b64 s[40:41], 0
	s_mov_b64 s[44:45], s[2:3]
	;; [unrolled: 1-line block ×3, first 2 shown]
                                        ; implicit-def: $sgpr5
                                        ; implicit-def: $vgpr0_vgpr1
                                        ; implicit-def: $vgpr2
	s_and_saveexec_b64 s[34:35], vcc
	s_cbranch_execz .LBB30_840
; %bb.762:
	v_mul_lo_u32 v0, v9, s13
	v_mov_b32_e32 v1, s11
	s_and_b32 s5, s15, 0xff
	s_cmp_lt_i32 s5, 11
	s_waitcnt vmcnt(0)
	v_ashrrev_i32_e32 v2, 31, v0
	v_add_co_u32_e32 v0, vcc, s10, v0
	v_addc_co_u32_e32 v1, vcc, v1, v2, vcc
	s_cbranch_scc1 .LBB30_769
; %bb.763:
	s_and_b32 s14, 0xffff, s5
	s_cmp_gt_i32 s14, 25
	s_cbranch_scc0 .LBB30_770
; %bb.764:
	s_cmp_gt_i32 s14, 28
	s_cbranch_scc0 .LBB30_771
; %bb.765:
	;; [unrolled: 3-line block ×4, first 2 shown]
	s_cmp_eq_u32 s14, 46
	s_mov_b64 s[44:45], 0
	s_cbranch_scc0 .LBB30_778
; %bb.768:
	global_load_dword v2, v[0:1], off
	s_mov_b64 s[42:43], -1
	s_waitcnt vmcnt(0)
	v_lshlrev_b32_e32 v2, 16, v2
	v_cvt_i32_f32_e32 v2, v2
	s_branch .LBB30_780
.LBB30_769:
	s_mov_b64 s[44:45], -1
                                        ; implicit-def: $vgpr2
	s_mov_b64 s[38:39], s[2:3]
	s_branch .LBB30_839
.LBB30_770:
	s_mov_b64 s[44:45], -1
	s_mov_b64 s[38:39], s[2:3]
                                        ; implicit-def: $vgpr2
	s_branch .LBB30_807
.LBB30_771:
	s_mov_b64 s[44:45], -1
	s_mov_b64 s[38:39], s[2:3]
                                        ; implicit-def: $vgpr2
	s_branch .LBB30_790
.LBB30_772:
	s_mov_b64 s[44:45], -1
	s_mov_b64 s[38:39], s[2:3]
                                        ; implicit-def: $vgpr2
	s_branch .LBB30_785
.LBB30_773:
	s_andn2_saveexec_b64 s[40:41], s[40:41]
	s_cbranch_execz .LBB30_669
.LBB30_774:
	s_mov_b32 s42, 0x46000000
	v_add_f32_e64 v4, |v3|, s42
	v_and_b32_e32 v4, 0xff, v4
	v_cmp_ne_u32_e32 vcc, 0, v4
	s_andn2_b64 s[38:39], s[38:39], exec
	s_and_b64 s[42:43], vcc, exec
	s_or_b64 s[38:39], s[38:39], s[42:43]
	s_or_b64 exec, exec, s[40:41]
	v_mov_b32_e32 v5, 0
	s_and_saveexec_b64 s[40:41], s[38:39]
	s_cbranch_execnz .LBB30_670
	s_branch .LBB30_671
.LBB30_775:
	s_mov_b64 s[44:45], -1
	s_mov_b64 s[38:39], s[2:3]
	s_branch .LBB30_779
.LBB30_776:
	s_andn2_saveexec_b64 s[40:41], s[40:41]
	s_cbranch_execz .LBB30_682
.LBB30_777:
	s_mov_b32 s42, 0x42800000
	v_add_f32_e64 v4, |v3|, s42
	v_and_b32_e32 v4, 0xff, v4
	v_cmp_ne_u32_e32 vcc, 0, v4
	s_andn2_b64 s[38:39], s[38:39], exec
	s_and_b64 s[42:43], vcc, exec
	s_or_b64 s[38:39], s[38:39], s[42:43]
	s_or_b64 exec, exec, s[40:41]
	v_mov_b32_e32 v5, 0
	s_and_saveexec_b64 s[40:41], s[38:39]
	s_cbranch_execnz .LBB30_683
	s_branch .LBB30_684
.LBB30_778:
	s_mov_b64 s[38:39], -1
.LBB30_779:
                                        ; implicit-def: $vgpr2
.LBB30_780:
	s_and_b64 vcc, exec, s[44:45]
	s_cbranch_vccz .LBB30_784
; %bb.781:
	s_cmp_eq_u32 s14, 44
	s_cbranch_scc0 .LBB30_783
; %bb.782:
	global_load_ubyte v2, v[0:1], off
	s_mov_b64 s[38:39], 0
	s_mov_b64 s[42:43], -1
	s_waitcnt vmcnt(0)
	v_lshlrev_b32_e32 v3, 23, v2
	v_cvt_i32_f32_e32 v3, v3
	v_cmp_ne_u32_e32 vcc, 0, v2
	v_cndmask_b32_e32 v2, 0, v3, vcc
	s_branch .LBB30_784
.LBB30_783:
	s_mov_b64 s[38:39], -1
                                        ; implicit-def: $vgpr2
.LBB30_784:
	s_mov_b64 s[44:45], 0
.LBB30_785:
	s_and_b64 vcc, exec, s[44:45]
	s_cbranch_vccz .LBB30_789
; %bb.786:
	s_cmp_eq_u32 s14, 29
	s_cbranch_scc0 .LBB30_788
; %bb.787:
	global_load_dwordx2 v[2:3], v[0:1], off
	s_mov_b64 s[38:39], 0
	s_mov_b64 s[42:43], -1
	s_branch .LBB30_789
.LBB30_788:
	s_mov_b64 s[38:39], -1
                                        ; implicit-def: $vgpr2
.LBB30_789:
	s_mov_b64 s[44:45], 0
.LBB30_790:
	s_and_b64 vcc, exec, s[44:45]
	s_cbranch_vccz .LBB30_806
; %bb.791:
	s_cmp_lt_i32 s14, 27
	s_cbranch_scc1 .LBB30_794
; %bb.792:
	s_cmp_gt_i32 s14, 27
	s_cbranch_scc0 .LBB30_795
; %bb.793:
	global_load_dword v2, v[0:1], off
	s_mov_b64 s[42:43], 0
	s_branch .LBB30_796
.LBB30_794:
	s_mov_b64 s[42:43], -1
                                        ; implicit-def: $vgpr2
	s_branch .LBB30_799
.LBB30_795:
	s_mov_b64 s[42:43], -1
                                        ; implicit-def: $vgpr2
.LBB30_796:
	s_andn2_b64 vcc, exec, s[42:43]
	s_cbranch_vccnz .LBB30_798
; %bb.797:
	global_load_ushort v2, v[0:1], off
.LBB30_798:
	s_mov_b64 s[42:43], 0
.LBB30_799:
	s_andn2_b64 vcc, exec, s[42:43]
	s_cbranch_vccnz .LBB30_805
; %bb.800:
	global_load_ubyte v3, v[0:1], off
	s_movk_i32 s42, 0x7f
	s_mov_b64 s[44:45], 0
	s_waitcnt vmcnt(0)
	v_cmp_lt_i16_e32 vcc, s42, v3
	s_and_saveexec_b64 s[42:43], vcc
	s_xor_b64 s[42:43], exec, s[42:43]
	s_cbranch_execz .LBB30_817
; %bb.801:
	s_movk_i32 s44, 0x80
	v_cmp_ne_u16_e32 vcc, s44, v3
	s_and_b64 s[44:45], vcc, exec
	s_andn2_saveexec_b64 s[42:43], s[42:43]
	s_cbranch_execnz .LBB30_818
.LBB30_802:
	s_or_b64 exec, exec, s[42:43]
	v_mov_b32_e32 v2, 0
	s_and_saveexec_b64 s[42:43], s[44:45]
	s_cbranch_execz .LBB30_804
.LBB30_803:
	v_lshlrev_b32_e32 v2, 24, v3
	v_and_b32_e32 v3, 0xffff, v3
	v_and_b32_e32 v4, 7, v3
	v_ffbh_u32_e32 v6, v4
	v_min_u32_e32 v6, 32, v6
	v_subrev_u32_e32 v7, 28, v6
	v_bfe_u32 v5, v3, 3, 4
	v_lshlrev_b32_e32 v3, v7, v3
	v_sub_u32_e32 v6, 29, v6
	v_and_b32_e32 v3, 7, v3
	v_cmp_eq_u32_e32 vcc, 0, v5
	v_cndmask_b32_e32 v5, v5, v6, vcc
	v_cndmask_b32_e32 v3, v4, v3, vcc
	v_mov_b32_e32 v4, 0x3b800000
	v_lshlrev_b32_e32 v3, 20, v3
	v_and_b32_e32 v2, 0x80000000, v2
	v_lshl_add_u32 v4, v5, 23, v4
	v_or3_b32 v2, v2, v4, v3
	v_cvt_i32_f32_e32 v2, v2
.LBB30_804:
	s_or_b64 exec, exec, s[42:43]
.LBB30_805:
	s_mov_b64 s[42:43], -1
.LBB30_806:
	s_mov_b64 s[44:45], 0
.LBB30_807:
	s_and_b64 vcc, exec, s[44:45]
	s_cbranch_vccz .LBB30_838
; %bb.808:
	s_cmp_gt_i32 s14, 22
	s_cbranch_scc0 .LBB30_816
; %bb.809:
	s_cmp_lt_i32 s14, 24
	s_cbranch_scc1 .LBB30_819
; %bb.810:
	s_cmp_gt_i32 s14, 24
	s_cbranch_scc0 .LBB30_820
; %bb.811:
	global_load_ubyte v3, v[0:1], off
	s_movk_i32 s40, 0x7f
	s_mov_b64 s[42:43], 0
	s_waitcnt vmcnt(0)
	v_cmp_lt_i16_e32 vcc, s40, v3
	s_and_saveexec_b64 s[40:41], vcc
	s_xor_b64 s[40:41], exec, s[40:41]
	s_cbranch_execz .LBB30_832
; %bb.812:
	s_movk_i32 s42, 0x80
	v_cmp_ne_u16_e32 vcc, s42, v3
	s_and_b64 s[42:43], vcc, exec
	s_andn2_saveexec_b64 s[40:41], s[40:41]
	s_cbranch_execnz .LBB30_833
.LBB30_813:
	s_or_b64 exec, exec, s[40:41]
	v_mov_b32_e32 v2, 0
	s_and_saveexec_b64 s[40:41], s[42:43]
	s_cbranch_execz .LBB30_815
.LBB30_814:
	v_lshlrev_b32_e32 v2, 24, v3
	v_and_b32_e32 v3, 0xffff, v3
	v_and_b32_e32 v4, 3, v3
	v_ffbh_u32_e32 v6, v4
	v_min_u32_e32 v6, 32, v6
	v_subrev_u32_e32 v7, 29, v6
	v_bfe_u32 v5, v3, 2, 5
	v_lshlrev_b32_e32 v3, v7, v3
	v_sub_u32_e32 v6, 30, v6
	v_and_b32_e32 v3, 3, v3
	v_cmp_eq_u32_e32 vcc, 0, v5
	v_cndmask_b32_e32 v5, v5, v6, vcc
	v_cndmask_b32_e32 v3, v4, v3, vcc
	v_mov_b32_e32 v4, 0x37800000
	v_lshlrev_b32_e32 v3, 21, v3
	v_and_b32_e32 v2, 0x80000000, v2
	v_lshl_add_u32 v4, v5, 23, v4
	v_or3_b32 v2, v2, v4, v3
	v_cvt_i32_f32_e32 v2, v2
.LBB30_815:
	s_or_b64 exec, exec, s[40:41]
	s_mov_b64 s[40:41], 0
	s_branch .LBB30_821
.LBB30_816:
	s_mov_b64 s[40:41], -1
                                        ; implicit-def: $vgpr2
	s_branch .LBB30_827
.LBB30_817:
	s_andn2_saveexec_b64 s[42:43], s[42:43]
	s_cbranch_execz .LBB30_802
.LBB30_818:
	v_cmp_ne_u16_e32 vcc, 0, v3
	s_andn2_b64 s[44:45], s[44:45], exec
	s_and_b64 s[46:47], vcc, exec
	s_or_b64 s[44:45], s[44:45], s[46:47]
	s_or_b64 exec, exec, s[42:43]
	v_mov_b32_e32 v2, 0
	s_and_saveexec_b64 s[42:43], s[44:45]
	s_cbranch_execnz .LBB30_803
	s_branch .LBB30_804
.LBB30_819:
	s_mov_b64 s[40:41], -1
                                        ; implicit-def: $vgpr2
	s_branch .LBB30_824
.LBB30_820:
	s_mov_b64 s[40:41], -1
                                        ; implicit-def: $vgpr2
.LBB30_821:
	s_and_b64 vcc, exec, s[40:41]
	s_cbranch_vccz .LBB30_823
; %bb.822:
	global_load_ubyte v2, v[0:1], off
	s_mov_b32 s40, 0x7f800000
	s_waitcnt vmcnt(0)
	v_lshlrev_b32_e32 v2, 24, v2
	v_and_b32_e32 v3, 0x7f000000, v2
	v_ffbh_u32_e32 v4, v3
	v_min_u32_e32 v4, 32, v4
	v_sub_u32_e64 v4, v4, 4 clamp
	v_lshlrev_b32_e32 v6, v4, v3
	v_lshlrev_b32_e32 v4, 23, v4
	v_lshrrev_b32_e32 v6, 4, v6
	v_add_u32_e32 v5, 0x1000000, v3
	v_sub_u32_e32 v4, v6, v4
	v_ashrrev_i32_e32 v5, 8, v5
	v_add_u32_e32 v4, 0x3c000000, v4
	v_and_or_b32 v4, v5, s40, v4
	v_cmp_ne_u32_e32 vcc, 0, v3
	v_cndmask_b32_e32 v3, 0, v4, vcc
	s_brev_b32 s40, 1
	v_and_or_b32 v2, v2, s40, v3
	v_cvt_i32_f32_e32 v2, v2
.LBB30_823:
	s_mov_b64 s[40:41], 0
.LBB30_824:
	s_andn2_b64 vcc, exec, s[40:41]
	s_cbranch_vccnz .LBB30_826
; %bb.825:
	global_load_ubyte v2, v[0:1], off
	s_movk_i32 s40, 0x7f00
	s_brev_b32 s41, 16
	s_waitcnt vmcnt(0)
	v_lshlrev_b16_e32 v3, 8, v2
	v_lshlrev_b32_e32 v2, 25, v2
	v_lshrrev_b32_e32 v4, 4, v2
	v_and_or_b32 v5, v3, s40, 0.5
	v_or_b32_e32 v4, 0x70000000, v4
	v_add_f32_e32 v5, -0.5, v5
	v_mul_f32_e32 v4, 0x7800000, v4
	v_cmp_gt_u32_e32 vcc, s41, v2
	v_bfe_i32 v3, v3, 0, 16
	v_cndmask_b32_e32 v2, v4, v5, vcc
	s_brev_b32 s40, 1
	v_and_or_b32 v2, v3, s40, v2
	v_cvt_i32_f32_e32 v2, v2
.LBB30_826:
	s_mov_b64 s[40:41], 0
	s_mov_b64 s[42:43], -1
.LBB30_827:
	s_andn2_b64 vcc, exec, s[40:41]
	s_mov_b64 s[40:41], 0
	s_cbranch_vccnz .LBB30_838
; %bb.828:
	s_cmp_gt_i32 s14, 14
	s_cbranch_scc0 .LBB30_831
; %bb.829:
	s_cmp_eq_u32 s14, 15
	s_cbranch_scc0 .LBB30_834
; %bb.830:
	global_load_ushort v2, v[0:1], off
	s_mov_b64 s[38:39], 0
	s_mov_b64 s[42:43], -1
	s_waitcnt vmcnt(0)
	v_lshlrev_b32_e32 v2, 16, v2
	v_cvt_i32_f32_e32 v2, v2
	s_branch .LBB30_835
.LBB30_831:
	s_mov_b64 s[44:45], -1
                                        ; implicit-def: $vgpr2
	s_branch .LBB30_836
.LBB30_832:
	s_andn2_saveexec_b64 s[40:41], s[40:41]
	s_cbranch_execz .LBB30_813
.LBB30_833:
	v_cmp_ne_u16_e32 vcc, 0, v3
	s_andn2_b64 s[42:43], s[42:43], exec
	s_and_b64 s[44:45], vcc, exec
	s_or_b64 s[42:43], s[42:43], s[44:45]
	s_or_b64 exec, exec, s[40:41]
	v_mov_b32_e32 v2, 0
	s_and_saveexec_b64 s[40:41], s[42:43]
	s_cbranch_execnz .LBB30_814
	s_branch .LBB30_815
.LBB30_834:
	s_mov_b64 s[38:39], -1
                                        ; implicit-def: $vgpr2
.LBB30_835:
	s_mov_b64 s[44:45], 0
.LBB30_836:
	s_and_b64 vcc, exec, s[44:45]
	s_cbranch_vccz .LBB30_838
; %bb.837:
	s_cmp_lg_u32 s14, 11
	s_cselect_b64 s[44:45], -1, 0
	s_andn2_b64 s[38:39], s[38:39], exec
	s_and_b64 s[44:45], s[44:45], exec
	s_mov_b64 s[40:41], -1
	s_or_b64 s[38:39], s[38:39], s[44:45]
.LBB30_838:
	s_mov_b64 s[44:45], 0
.LBB30_839:
	s_and_b64 s[46:47], s[44:45], exec
	s_andn2_b64 s[44:45], s[2:3], exec
	s_and_b64 s[38:39], s[38:39], exec
	s_and_b64 s[42:43], s[42:43], exec
	;; [unrolled: 1-line block ×3, first 2 shown]
	s_or_b64 s[44:45], s[44:45], s[38:39]
.LBB30_840:
	s_or_b64 exec, exec, s[34:35]
	s_and_b64 s[34:35], s[40:41], exec
	s_andn2_b64 s[2:3], s[2:3], exec
	s_and_b64 s[40:41], s[44:45], exec
	s_and_b64 s[42:43], s[42:43], exec
	;; [unrolled: 1-line block ×3, first 2 shown]
	s_or_b64 s[2:3], s[2:3], s[40:41]
.LBB30_841:
	s_or_b64 exec, exec, s[30:31]
	s_andn2_b64 s[26:27], s[26:27], exec
	s_and_b64 s[30:31], s[36:37], exec
	s_andn2_b64 s[24:25], s[24:25], exec
	s_and_b64 s[2:3], s[2:3], exec
	s_or_b64 s[26:27], s[26:27], s[30:31]
	s_and_b64 s[36:37], s[42:43], exec
	s_and_b64 s[30:31], s[38:39], exec
	;; [unrolled: 1-line block ×3, first 2 shown]
	s_or_b64 s[24:25], s[24:25], s[2:3]
.LBB30_842:
	s_or_b64 exec, exec, s[28:29]
	s_andn2_b64 s[2:3], s[18:19], exec
	s_and_b64 s[18:19], s[26:27], exec
	s_or_b64 s[18:19], s[2:3], s[18:19]
	s_andn2_b64 s[2:3], s[20:21], exec
	s_and_b64 s[20:21], s[24:25], exec
	s_and_b64 s[28:29], s[36:37], exec
	;; [unrolled: 1-line block ×4, first 2 shown]
	s_or_b64 s[20:21], s[2:3], s[20:21]
	s_or_b64 exec, exec, s[22:23]
	s_mov_b64 s[2:3], 0
	s_and_saveexec_b64 s[22:23], s[20:21]
	s_cbranch_execz .LBB30_258
.LBB30_843:
	s_mov_b64 s[2:3], exec
	s_andn2_b64 s[26:27], s[26:27], exec
	s_trap 2
	s_or_b64 exec, exec, s[22:23]
	s_and_saveexec_b64 s[20:21], s[26:27]
	s_xor_b64 s[20:21], exec, s[20:21]
	s_cbranch_execnz .LBB30_259
.LBB30_844:
	s_or_b64 exec, exec, s[20:21]
	s_and_saveexec_b64 s[20:21], s[30:31]
	s_cbranch_execz .LBB30_890
.LBB30_845:
	s_sext_i32_i16 s14, s5
	s_cmp_lt_i32 s14, 5
	s_cbranch_scc1 .LBB30_850
; %bb.846:
	s_cmp_lt_i32 s14, 8
	s_cbranch_scc1 .LBB30_851
; %bb.847:
	;; [unrolled: 3-line block ×3, first 2 shown]
	s_cmp_gt_i32 s14, 9
	s_cbranch_scc0 .LBB30_853
; %bb.849:
	global_load_dwordx2 v[2:3], v[0:1], off
	s_mov_b64 s[22:23], 0
	s_waitcnt vmcnt(0)
	v_cvt_i32_f64_e32 v2, v[2:3]
	s_branch .LBB30_854
.LBB30_850:
                                        ; implicit-def: $vgpr2
	s_branch .LBB30_871
.LBB30_851:
                                        ; implicit-def: $vgpr2
	s_branch .LBB30_860
.LBB30_852:
	s_mov_b64 s[22:23], -1
                                        ; implicit-def: $vgpr2
	s_branch .LBB30_857
.LBB30_853:
	s_mov_b64 s[22:23], -1
                                        ; implicit-def: $vgpr2
.LBB30_854:
	s_andn2_b64 vcc, exec, s[22:23]
	s_cbranch_vccnz .LBB30_856
; %bb.855:
	global_load_dword v2, v[0:1], off
	s_waitcnt vmcnt(0)
	v_cvt_i32_f32_e32 v2, v2
.LBB30_856:
	s_mov_b64 s[22:23], 0
.LBB30_857:
	s_andn2_b64 vcc, exec, s[22:23]
	s_cbranch_vccnz .LBB30_859
; %bb.858:
	global_load_dword v2, v[0:1], off
	s_waitcnt vmcnt(0)
	v_cvt_i16_f16_e32 v2, v2
.LBB30_859:
	s_cbranch_execnz .LBB30_870
.LBB30_860:
	s_sext_i32_i16 s14, s5
	s_cmp_lt_i32 s14, 6
	s_cbranch_scc1 .LBB30_863
; %bb.861:
	s_cmp_gt_i32 s14, 6
	s_cbranch_scc0 .LBB30_864
; %bb.862:
	global_load_dwordx2 v[2:3], v[0:1], off
	s_mov_b64 s[22:23], 0
	s_waitcnt vmcnt(0)
	v_cvt_i32_f64_e32 v2, v[2:3]
	s_branch .LBB30_865
.LBB30_863:
	s_mov_b64 s[22:23], -1
                                        ; implicit-def: $vgpr2
	s_branch .LBB30_868
.LBB30_864:
	s_mov_b64 s[22:23], -1
                                        ; implicit-def: $vgpr2
.LBB30_865:
	s_andn2_b64 vcc, exec, s[22:23]
	s_cbranch_vccnz .LBB30_867
; %bb.866:
	global_load_dword v2, v[0:1], off
	s_waitcnt vmcnt(0)
	v_cvt_i32_f32_e32 v2, v2
.LBB30_867:
	s_mov_b64 s[22:23], 0
.LBB30_868:
	s_andn2_b64 vcc, exec, s[22:23]
	s_cbranch_vccnz .LBB30_870
; %bb.869:
	global_load_ushort v2, v[0:1], off
	s_waitcnt vmcnt(0)
	v_cvt_i16_f16_e32 v2, v2
.LBB30_870:
	s_cbranch_execnz .LBB30_889
.LBB30_871:
	s_sext_i32_i16 s14, s5
	s_cmp_lt_i32 s14, 2
	s_cbranch_scc1 .LBB30_875
; %bb.872:
	s_cmp_lt_i32 s14, 3
	s_cbranch_scc1 .LBB30_876
; %bb.873:
	s_cmp_gt_i32 s14, 3
	s_cbranch_scc0 .LBB30_877
; %bb.874:
	global_load_dwordx2 v[2:3], v[0:1], off
	s_mov_b64 s[22:23], 0
	s_branch .LBB30_878
.LBB30_875:
                                        ; implicit-def: $vgpr2
	s_branch .LBB30_884
.LBB30_876:
	s_mov_b64 s[22:23], -1
                                        ; implicit-def: $vgpr2
	s_branch .LBB30_881
.LBB30_877:
	s_mov_b64 s[22:23], -1
                                        ; implicit-def: $vgpr2
.LBB30_878:
	s_andn2_b64 vcc, exec, s[22:23]
	s_cbranch_vccnz .LBB30_880
; %bb.879:
	global_load_dword v2, v[0:1], off
.LBB30_880:
	s_mov_b64 s[22:23], 0
.LBB30_881:
	s_andn2_b64 vcc, exec, s[22:23]
	s_cbranch_vccnz .LBB30_883
; %bb.882:
	global_load_ushort v2, v[0:1], off
.LBB30_883:
	s_cbranch_execnz .LBB30_889
.LBB30_884:
	s_sext_i32_i16 s5, s5
	s_cmp_gt_i32 s5, 0
	s_cbranch_scc0 .LBB30_886
; %bb.885:
	global_load_ubyte v2, v[0:1], off
	s_mov_b64 s[22:23], 0
	s_branch .LBB30_887
.LBB30_886:
	s_mov_b64 s[22:23], -1
                                        ; implicit-def: $vgpr2
.LBB30_887:
	s_andn2_b64 vcc, exec, s[22:23]
	s_cbranch_vccnz .LBB30_889
; %bb.888:
	global_load_ubyte v2, v[0:1], off
.LBB30_889:
	s_or_b64 s[28:29], s[28:29], exec
.LBB30_890:
	s_or_b64 exec, exec, s[20:21]
	s_mov_b64 s[24:25], 0
	s_mov_b64 s[22:23], 0
                                        ; implicit-def: $sgpr5
                                        ; implicit-def: $vgpr0_vgpr1
                                        ; implicit-def: $vgpr3
	s_and_saveexec_b64 s[20:21], s[28:29]
	s_cbranch_execz .LBB30_898
; %bb.891:
	v_mul_lo_u32 v0, v9, s12
	v_mov_b32_e32 v1, s33
	v_mov_b32_e32 v4, s9
	s_waitcnt vmcnt(0)
	v_cndmask_b32_e64 v3, v1, v2, s[0:1]
	v_ashrrev_i32_e32 v1, 31, v0
	s_and_b32 s5, s4, 0xff
	v_add_co_u32_e32 v0, vcc, s8, v0
	s_cmp_lt_i32 s5, 11
	v_addc_co_u32_e32 v1, vcc, v4, v1, vcc
	s_cbranch_scc1 .LBB30_901
; %bb.892:
	s_and_b32 s14, 0xffff, s5
	s_mov_b64 s[24:25], -1
	s_cmp_gt_i32 s14, 25
	s_mov_b64 s[0:1], s[18:19]
	s_cbranch_scc0 .LBB30_929
; %bb.893:
	s_mov_b64 s[22:23], -1
	s_cmp_gt_i32 s14, 28
	s_mov_b64 s[0:1], s[18:19]
	s_cbranch_scc0 .LBB30_913
; %bb.894:
	s_cmp_gt_i32 s14, 43
	s_mov_b64 s[0:1], s[18:19]
	s_cbranch_scc0 .LBB30_909
; %bb.895:
	;; [unrolled: 4-line block ×3, first 2 shown]
	s_cmp_eq_u32 s14, 46
	s_mov_b64 s[0:1], -1
	s_cbranch_scc0 .LBB30_902
; %bb.897:
	v_bfe_i32 v2, v3, 0, 8
	v_cvt_f32_i32_sdwa v2, sext(v2) dst_sel:DWORD dst_unused:UNUSED_PAD src0_sel:WORD_0
	s_movk_i32 s0, 0x7fff
	s_mov_b64 s[22:23], 0
	v_bfe_u32 v4, v2, 16, 1
	v_add3_u32 v2, v2, v4, s0
	v_lshrrev_b32_e32 v2, 16, v2
	global_store_dword v[0:1], v2, off
	s_mov_b64 s[0:1], 0
	s_branch .LBB30_903
.LBB30_898:
	s_or_b64 exec, exec, s[20:21]
	s_and_saveexec_b64 s[0:1], s[18:19]
	s_cbranch_execnz .LBB30_971
.LBB30_899:
	s_or_b64 exec, exec, s[0:1]
	s_and_saveexec_b64 s[0:1], s[24:25]
	s_xor_b64 s[0:1], exec, s[0:1]
	s_cbranch_execz .LBB30_972
.LBB30_900:
	s_waitcnt vmcnt(0)
	v_mov_b32_e32 v2, 0
	v_cmp_ne_u16_sdwa s[18:19], v3, v2 src0_sel:BYTE_0 src1_sel:DWORD
	v_cndmask_b32_e64 v2, 0, 1, s[18:19]
	global_store_byte v[0:1], v2, off
	s_or_b64 exec, exec, s[0:1]
	s_and_saveexec_b64 s[0:1], s[22:23]
	s_xor_b64 s[0:1], exec, s[0:1]
	s_cbranch_execz .LBB30_1010
	s_branch .LBB30_973
.LBB30_901:
	s_mov_b64 s[22:23], -1
	s_mov_b64 s[0:1], s[18:19]
	s_branch .LBB30_970
.LBB30_902:
	s_mov_b64 s[22:23], 0
.LBB30_903:
	s_and_b64 vcc, exec, s[22:23]
	s_cbranch_vccz .LBB30_908
; %bb.904:
	s_cmp_eq_u32 s14, 44
	s_mov_b64 s[0:1], -1
	s_cbranch_scc0 .LBB30_908
; %bb.905:
	v_bfe_i32 v2, v3, 0, 8
	v_cvt_f32_i32_sdwa v2, sext(v2) dst_sel:DWORD dst_unused:UNUSED_PAD src0_sel:WORD_0
	s_movk_i32 s0, 0xff
	v_mov_b32_e32 v5, 0xff
	v_bfe_u32 v4, v2, 23, 8
	v_cmp_ne_u32_e32 vcc, s0, v4
	s_and_saveexec_b64 s[22:23], vcc
; %bb.906:
	s_mov_b32 s0, 0x3fffff
	v_lshrrev_b32_e32 v5, 23, v2
	v_and_b32_e32 v6, 0x400000, v2
	v_and_or_b32 v2, v2, s0, v4
	v_cmp_ne_u32_e32 vcc, 0, v6
	v_cmp_ne_u32_e64 s[0:1], 0, v2
	s_and_b64 s[0:1], vcc, s[0:1]
	v_cndmask_b32_e64 v2, 0, 1, s[0:1]
	v_add_u32_e32 v5, v5, v2
; %bb.907:
	s_or_b64 exec, exec, s[22:23]
	s_mov_b64 s[0:1], 0
	global_store_byte v[0:1], v5, off
.LBB30_908:
	s_mov_b64 s[22:23], 0
.LBB30_909:
	s_and_b64 vcc, exec, s[22:23]
	s_cbranch_vccz .LBB30_912
; %bb.910:
	s_cmp_eq_u32 s14, 29
	s_mov_b64 s[0:1], -1
	s_cbranch_scc0 .LBB30_912
; %bb.911:
	v_bfe_i32 v4, v3, 0, 8
	v_ashrrev_i32_e32 v5, 31, v4
	global_store_dwordx2 v[0:1], v[4:5], off
	s_mov_b64 s[0:1], 0
.LBB30_912:
	s_mov_b64 s[22:23], 0
.LBB30_913:
	s_and_b64 vcc, exec, s[22:23]
	s_cbranch_vccz .LBB30_928
; %bb.914:
	s_cmp_lt_i32 s14, 27
	s_mov_b64 s[22:23], -1
	s_cbranch_scc1 .LBB30_920
; %bb.915:
	s_cmp_gt_i32 s14, 27
	s_cbranch_scc0 .LBB30_917
; %bb.916:
	v_bfe_i32 v2, v3, 0, 8
	s_mov_b64 s[22:23], 0
	global_store_dword v[0:1], v2, off
.LBB30_917:
	s_andn2_b64 vcc, exec, s[22:23]
	s_cbranch_vccnz .LBB30_919
; %bb.918:
	v_bfe_i32 v2, v3, 0, 8
	global_store_short v[0:1], v2, off
.LBB30_919:
	s_mov_b64 s[22:23], 0
.LBB30_920:
	s_andn2_b64 vcc, exec, s[22:23]
	s_cbranch_vccnz .LBB30_928
; %bb.921:
	v_bfe_i32 v2, v3, 0, 8
	v_cvt_f32_i32_sdwa v2, sext(v2) dst_sel:DWORD dst_unused:UNUSED_PAD src0_sel:WORD_0
	s_mov_b32 s22, 0x43800000
	v_mov_b32_e32 v5, 0x80
	v_and_b32_e32 v4, 0x7fffffff, v2
	v_cmp_gt_u32_e32 vcc, s22, v4
	s_and_saveexec_b64 s[22:23], vcc
	s_cbranch_execz .LBB30_927
; %bb.922:
	s_mov_b32 s24, 0x3bffffff
	v_cmp_lt_u32_e32 vcc, s24, v4
	s_mov_b64 s[24:25], 0
                                        ; implicit-def: $vgpr4
	s_and_saveexec_b64 s[26:27], vcc
	s_xor_b64 s[26:27], exec, s[26:27]
	s_cbranch_execz .LBB30_1025
; %bb.923:
	v_bfe_u32 v4, v2, 20, 1
	s_mov_b32 s28, 0x487ffff
	v_add3_u32 v4, v2, v4, s28
	s_mov_b64 s[24:25], exec
	v_lshrrev_b32_e32 v4, 20, v4
	s_andn2_saveexec_b64 s[26:27], s[26:27]
	s_cbranch_execnz .LBB30_1026
.LBB30_924:
	s_or_b64 exec, exec, s[26:27]
	v_mov_b32_e32 v5, 0
	s_and_saveexec_b64 s[26:27], s[24:25]
.LBB30_925:
	v_lshrrev_b32_e32 v2, 24, v2
	s_movk_i32 s24, 0x80
	v_and_or_b32 v5, v2, s24, v4
.LBB30_926:
	s_or_b64 exec, exec, s[26:27]
.LBB30_927:
	s_or_b64 exec, exec, s[22:23]
	global_store_byte v[0:1], v5, off
.LBB30_928:
	s_mov_b64 s[24:25], 0
.LBB30_929:
	s_mov_b64 s[22:23], 0
	s_and_b64 vcc, exec, s[24:25]
	s_cbranch_vccz .LBB30_969
; %bb.930:
	s_cmp_gt_i32 s14, 22
	s_mov_b64 s[24:25], -1
	s_cbranch_scc0 .LBB30_962
; %bb.931:
	s_cmp_lt_i32 s14, 24
	s_cbranch_scc1 .LBB30_951
; %bb.932:
	s_cmp_gt_i32 s14, 24
	s_cbranch_scc0 .LBB30_940
; %bb.933:
	v_bfe_i32 v2, v3, 0, 8
	v_cvt_f32_i32_sdwa v2, sext(v2) dst_sel:DWORD dst_unused:UNUSED_PAD src0_sel:WORD_0
	s_mov_b32 s24, 0x47800000
	v_mov_b32_e32 v5, 0x80
	v_and_b32_e32 v4, 0x7fffffff, v2
	v_cmp_gt_u32_e32 vcc, s24, v4
	s_and_saveexec_b64 s[24:25], vcc
	s_cbranch_execz .LBB30_939
; %bb.934:
	s_mov_b32 s26, 0x37ffffff
	v_cmp_lt_u32_e32 vcc, s26, v4
	s_mov_b64 s[26:27], 0
                                        ; implicit-def: $vgpr4
	s_and_saveexec_b64 s[28:29], vcc
	s_xor_b64 s[28:29], exec, s[28:29]
	s_cbranch_execz .LBB30_1146
; %bb.935:
	v_bfe_u32 v4, v2, 21, 1
	s_mov_b32 s30, 0x88fffff
	v_add3_u32 v4, v2, v4, s30
	s_mov_b64 s[26:27], exec
	v_lshrrev_b32_e32 v4, 21, v4
	s_andn2_saveexec_b64 s[28:29], s[28:29]
	s_cbranch_execnz .LBB30_1147
.LBB30_936:
	s_or_b64 exec, exec, s[28:29]
	v_mov_b32_e32 v5, 0
	s_and_saveexec_b64 s[28:29], s[26:27]
.LBB30_937:
	v_lshrrev_b32_e32 v2, 24, v2
	s_movk_i32 s26, 0x80
	v_and_or_b32 v5, v2, s26, v4
.LBB30_938:
	s_or_b64 exec, exec, s[28:29]
.LBB30_939:
	s_or_b64 exec, exec, s[24:25]
	s_mov_b64 s[24:25], 0
	global_store_byte v[0:1], v5, off
.LBB30_940:
	s_and_b64 vcc, exec, s[24:25]
	s_cbranch_vccz .LBB30_950
; %bb.941:
	v_bfe_i32 v2, v3, 0, 8
	v_cvt_f32_i32_sdwa v2, sext(v2) dst_sel:DWORD dst_unused:UNUSED_PAD src0_sel:WORD_0
	s_mov_b32 s24, 0x43f00000
                                        ; implicit-def: $vgpr4
	v_and_b32_e32 v5, 0x7fffffff, v2
	v_cmp_gt_u32_e32 vcc, s24, v5
	s_and_saveexec_b64 s[24:25], vcc
	s_xor_b64 s[24:25], exec, s[24:25]
	s_cbranch_execz .LBB30_947
; %bb.942:
	s_mov_b32 s26, 0x3c7fffff
	v_cmp_lt_u32_e32 vcc, s26, v5
                                        ; implicit-def: $vgpr4
	s_and_saveexec_b64 s[26:27], vcc
	s_xor_b64 s[26:27], exec, s[26:27]
; %bb.943:
	v_bfe_u32 v4, v2, 20, 1
	s_mov_b32 s28, 0x407ffff
	v_add3_u32 v4, v2, v4, s28
	v_lshrrev_b32_e32 v5, 20, v4
	v_and_b32_e32 v4, 0xff00000, v4
	s_mov_b32 s28, 0x7f00000
	v_mov_b32_e32 v6, 0x7e
	v_cmp_ne_u32_e32 vcc, s28, v4
	v_cndmask_b32_e32 v4, v6, v5, vcc
; %bb.944:
	s_andn2_saveexec_b64 s[26:27], s[26:27]
; %bb.945:
	s_mov_b32 s28, 0x46800000
	v_add_f32_e64 v4, |v2|, s28
; %bb.946:
	s_or_b64 exec, exec, s[26:27]
                                        ; implicit-def: $vgpr5
.LBB30_947:
	s_andn2_saveexec_b64 s[24:25], s[24:25]
; %bb.948:
	s_mov_b32 s26, 0x7f800000
	v_mov_b32_e32 v4, 0x7e
	v_mov_b32_e32 v6, 0x7f
	v_cmp_lt_u32_e32 vcc, s26, v5
	v_cndmask_b32_e32 v4, v4, v6, vcc
; %bb.949:
	s_or_b64 exec, exec, s[24:25]
	v_lshrrev_b32_e32 v2, 24, v2
	s_movk_i32 s24, 0x80
	v_and_or_b32 v2, v2, s24, v4
	global_store_byte v[0:1], v2, off
.LBB30_950:
	s_mov_b64 s[24:25], 0
.LBB30_951:
	s_andn2_b64 vcc, exec, s[24:25]
	s_cbranch_vccnz .LBB30_961
; %bb.952:
	v_bfe_i32 v2, v3, 0, 8
	v_cvt_f32_i32_sdwa v2, sext(v2) dst_sel:DWORD dst_unused:UNUSED_PAD src0_sel:WORD_0
	s_mov_b32 s24, 0x47800000
                                        ; implicit-def: $vgpr4
	v_and_b32_e32 v5, 0x7fffffff, v2
	v_cmp_gt_u32_e32 vcc, s24, v5
	s_and_saveexec_b64 s[24:25], vcc
	s_xor_b64 s[24:25], exec, s[24:25]
	s_cbranch_execz .LBB30_958
; %bb.953:
	s_mov_b32 s26, 0x387fffff
	v_cmp_lt_u32_e32 vcc, s26, v5
                                        ; implicit-def: $vgpr4
	s_and_saveexec_b64 s[26:27], vcc
	s_xor_b64 s[26:27], exec, s[26:27]
; %bb.954:
	v_bfe_u32 v4, v2, 21, 1
	s_mov_b32 s28, 0x80fffff
	v_add3_u32 v4, v2, v4, s28
	v_lshrrev_b32_e32 v4, 21, v4
; %bb.955:
	s_andn2_saveexec_b64 s[26:27], s[26:27]
; %bb.956:
	s_mov_b32 s28, 0x43000000
	v_add_f32_e64 v4, |v2|, s28
; %bb.957:
	s_or_b64 exec, exec, s[26:27]
                                        ; implicit-def: $vgpr5
.LBB30_958:
	s_andn2_saveexec_b64 s[24:25], s[24:25]
; %bb.959:
	s_mov_b32 s26, 0x7f800000
	v_mov_b32_e32 v4, 0x7c
	v_mov_b32_e32 v6, 0x7f
	v_cmp_lt_u32_e32 vcc, s26, v5
	v_cndmask_b32_e32 v4, v4, v6, vcc
; %bb.960:
	s_or_b64 exec, exec, s[24:25]
	v_lshrrev_b32_e32 v2, 24, v2
	s_movk_i32 s24, 0x80
	v_and_or_b32 v2, v2, s24, v4
	global_store_byte v[0:1], v2, off
.LBB30_961:
	s_mov_b64 s[24:25], 0
.LBB30_962:
	s_andn2_b64 vcc, exec, s[24:25]
	s_mov_b64 s[24:25], 0
	s_cbranch_vccnz .LBB30_970
; %bb.963:
	s_cmp_gt_i32 s14, 14
	s_mov_b64 s[26:27], -1
	s_cbranch_scc0 .LBB30_967
; %bb.964:
	s_cmp_eq_u32 s14, 15
	s_mov_b64 s[0:1], -1
	s_cbranch_scc0 .LBB30_966
; %bb.965:
	v_bfe_i32 v2, v3, 0, 8
	v_cvt_f32_i32_sdwa v2, sext(v2) dst_sel:DWORD dst_unused:UNUSED_PAD src0_sel:WORD_0
	s_movk_i32 s0, 0x7fff
	v_bfe_u32 v4, v2, 16, 1
	v_add3_u32 v2, v2, v4, s0
	global_store_short_d16_hi v[0:1], v2, off
	s_mov_b64 s[0:1], 0
.LBB30_966:
	s_mov_b64 s[26:27], 0
.LBB30_967:
	s_and_b64 vcc, exec, s[26:27]
	s_cbranch_vccz .LBB30_970
; %bb.968:
	s_cmp_lg_u32 s14, 11
	s_cselect_b64 s[26:27], -1, 0
	s_andn2_b64 s[0:1], s[0:1], exec
	s_and_b64 s[26:27], s[26:27], exec
	s_mov_b64 s[24:25], -1
	s_or_b64 s[0:1], s[0:1], s[26:27]
	s_branch .LBB30_970
.LBB30_969:
	s_mov_b64 s[24:25], 0
.LBB30_970:
	s_andn2_b64 s[18:19], s[18:19], exec
	s_and_b64 s[0:1], s[0:1], exec
	s_and_b64 s[22:23], s[22:23], exec
	;; [unrolled: 1-line block ×3, first 2 shown]
	s_or_b64 s[18:19], s[18:19], s[0:1]
	s_or_b64 exec, exec, s[20:21]
	s_and_saveexec_b64 s[0:1], s[18:19]
	s_cbranch_execz .LBB30_899
.LBB30_971:
	s_or_b64 s[2:3], s[2:3], exec
	s_andn2_b64 s[24:25], s[24:25], exec
	s_trap 2
	s_or_b64 exec, exec, s[0:1]
	s_and_saveexec_b64 s[0:1], s[24:25]
	s_xor_b64 s[0:1], exec, s[0:1]
	s_cbranch_execnz .LBB30_900
.LBB30_972:
	s_or_b64 exec, exec, s[0:1]
	s_and_saveexec_b64 s[0:1], s[22:23]
	s_xor_b64 s[0:1], exec, s[0:1]
	s_cbranch_execz .LBB30_1010
.LBB30_973:
	s_sext_i32_i16 s14, s5
	s_cmp_lt_i32 s14, 5
	s_mov_b64 s[18:19], -1
	s_cbranch_scc1 .LBB30_994
; %bb.974:
	s_cmp_lt_i32 s14, 8
	s_cbranch_scc1 .LBB30_984
; %bb.975:
	s_cmp_lt_i32 s14, 9
	s_cbranch_scc1 .LBB30_981
; %bb.976:
	s_cmp_gt_i32 s14, 9
	s_cbranch_scc0 .LBB30_978
; %bb.977:
	s_waitcnt vmcnt(0)
	v_bfe_i32 v2, v3, 0, 8
	v_bfe_i32 v2, v2, 0, 16
	v_cvt_f64_i32_e32 v[4:5], v2
	v_mov_b32_e32 v6, 0
	v_mov_b32_e32 v7, v6
	s_mov_b64 s[18:19], 0
	global_store_dwordx4 v[0:1], v[4:7], off
.LBB30_978:
	s_andn2_b64 vcc, exec, s[18:19]
	s_cbranch_vccnz .LBB30_980
; %bb.979:
	s_waitcnt vmcnt(0)
	v_bfe_i32 v2, v3, 0, 8
	v_cvt_f32_i32_sdwa v4, sext(v2) dst_sel:DWORD dst_unused:UNUSED_PAD src0_sel:WORD_0
	v_mov_b32_e32 v5, 0
	global_store_dwordx2 v[0:1], v[4:5], off
.LBB30_980:
	s_mov_b64 s[18:19], 0
.LBB30_981:
	s_andn2_b64 vcc, exec, s[18:19]
	s_cbranch_vccnz .LBB30_983
; %bb.982:
	s_waitcnt vmcnt(0)
	v_cvt_f16_i16_sdwa v2, sext(v3) dst_sel:DWORD dst_unused:UNUSED_PAD src0_sel:BYTE_0
	global_store_dword v[0:1], v2, off
.LBB30_983:
	s_mov_b64 s[18:19], 0
.LBB30_984:
	s_andn2_b64 vcc, exec, s[18:19]
	s_cbranch_vccnz .LBB30_993
; %bb.985:
	s_sext_i32_i16 s14, s5
	s_cmp_lt_i32 s14, 6
	s_mov_b64 s[18:19], -1
	s_cbranch_scc1 .LBB30_991
; %bb.986:
	s_cmp_gt_i32 s14, 6
	s_cbranch_scc0 .LBB30_988
; %bb.987:
	s_waitcnt vmcnt(0)
	v_bfe_i32 v2, v3, 0, 8
	v_bfe_i32 v2, v2, 0, 16
	v_cvt_f64_i32_e32 v[4:5], v2
	s_mov_b64 s[18:19], 0
	global_store_dwordx2 v[0:1], v[4:5], off
.LBB30_988:
	s_andn2_b64 vcc, exec, s[18:19]
	s_cbranch_vccnz .LBB30_990
; %bb.989:
	s_waitcnt vmcnt(0)
	v_bfe_i32 v2, v3, 0, 8
	v_cvt_f32_i32_sdwa v2, sext(v2) dst_sel:DWORD dst_unused:UNUSED_PAD src0_sel:WORD_0
	global_store_dword v[0:1], v2, off
.LBB30_990:
	s_mov_b64 s[18:19], 0
.LBB30_991:
	s_andn2_b64 vcc, exec, s[18:19]
	s_cbranch_vccnz .LBB30_993
; %bb.992:
	s_waitcnt vmcnt(0)
	v_cvt_f16_i16_sdwa v2, sext(v3) dst_sel:DWORD dst_unused:UNUSED_PAD src0_sel:BYTE_0
	global_store_short v[0:1], v2, off
.LBB30_993:
	s_mov_b64 s[18:19], 0
.LBB30_994:
	s_andn2_b64 vcc, exec, s[18:19]
	s_cbranch_vccnz .LBB30_1010
; %bb.995:
	s_sext_i32_i16 s14, s5
	s_cmp_lt_i32 s14, 2
	s_mov_b64 s[18:19], -1
	s_cbranch_scc1 .LBB30_1005
; %bb.996:
	s_cmp_lt_i32 s14, 3
	s_cbranch_scc1 .LBB30_1002
; %bb.997:
	s_cmp_gt_i32 s14, 3
	s_cbranch_scc0 .LBB30_999
; %bb.998:
	s_waitcnt vmcnt(0)
	v_bfe_i32 v4, v3, 0, 8
	v_ashrrev_i32_e32 v5, 31, v4
	s_mov_b64 s[18:19], 0
	global_store_dwordx2 v[0:1], v[4:5], off
.LBB30_999:
	s_andn2_b64 vcc, exec, s[18:19]
	s_cbranch_vccnz .LBB30_1001
; %bb.1000:
	s_waitcnt vmcnt(0)
	v_bfe_i32 v2, v3, 0, 8
	global_store_dword v[0:1], v2, off
.LBB30_1001:
	s_mov_b64 s[18:19], 0
.LBB30_1002:
	s_andn2_b64 vcc, exec, s[18:19]
	s_cbranch_vccnz .LBB30_1004
; %bb.1003:
	s_waitcnt vmcnt(0)
	v_bfe_i32 v2, v3, 0, 8
	global_store_short v[0:1], v2, off
.LBB30_1004:
	s_mov_b64 s[18:19], 0
.LBB30_1005:
	s_andn2_b64 vcc, exec, s[18:19]
	s_cbranch_vccnz .LBB30_1010
; %bb.1006:
	s_sext_i32_i16 s5, s5
	s_cmp_gt_i32 s5, 0
	s_mov_b64 s[18:19], -1
	s_cbranch_scc0 .LBB30_1008
; %bb.1007:
	s_mov_b64 s[18:19], 0
	s_waitcnt vmcnt(0)
	global_store_byte v[0:1], v3, off
.LBB30_1008:
	s_andn2_b64 vcc, exec, s[18:19]
	s_cbranch_vccnz .LBB30_1010
; %bb.1009:
	s_waitcnt vmcnt(0)
	global_store_byte v[0:1], v3, off
.LBB30_1010:
	s_or_b64 exec, exec, s[0:1]
	s_and_b64 s[18:19], s[2:3], exec
                                        ; implicit-def: $vgpr9
.LBB30_1011:
	s_or_saveexec_b64 s[16:17], s[16:17]
	s_mov_b64 s[0:1], 0
                                        ; implicit-def: $sgpr22
                                        ; implicit-def: $vgpr0_vgpr1
                                        ; implicit-def: $vgpr2
	s_xor_b64 exec, exec, s[16:17]
	s_cbranch_execz .LBB30_1943
; %bb.1012:
	s_waitcnt vmcnt(0)
	v_mul_lo_u32 v2, s13, v9
	v_mov_b32_e32 v1, s11
	s_and_b32 s5, s15, 0xff
	s_cmp_lt_i32 s5, 11
	v_ashrrev_i32_e32 v3, 31, v2
	v_add_co_u32_e32 v0, vcc, s10, v2
	v_addc_co_u32_e32 v1, vcc, v1, v3, vcc
	s_cbranch_scc1 .LBB30_1019
; %bb.1013:
	s_and_b32 s20, 0xffff, s5
	s_cmp_gt_i32 s20, 25
	s_mov_b64 s[2:3], 0
	s_cbranch_scc0 .LBB30_1021
; %bb.1014:
	s_cmp_gt_i32 s20, 28
	s_cbranch_scc0 .LBB30_1022
; %bb.1015:
	s_cmp_gt_i32 s20, 43
	;; [unrolled: 3-line block ×3, first 2 shown]
	s_cbranch_scc0 .LBB30_1024
; %bb.1017:
	s_cmp_eq_u32 s20, 46
	s_mov_b64 s[14:15], 0
	s_cbranch_scc0 .LBB30_1027
; %bb.1018:
	global_load_dword v3, v[0:1], off
	s_mov_b64 s[6:7], -1
	s_waitcnt vmcnt(0)
	v_lshlrev_b32_e32 v3, 16, v3
	v_cvt_i32_f32_e32 v6, v3
	s_branch .LBB30_1029
.LBB30_1019:
                                        ; implicit-def: $vgpr6
	s_mov_b64 s[14:15], s[18:19]
	s_cbranch_execnz .LBB30_1087
.LBB30_1020:
	s_andn2_b64 vcc, exec, s[6:7]
	s_cbranch_vccz .LBB30_1132
	s_branch .LBB30_1941
.LBB30_1021:
                                        ; implicit-def: $vgpr6
	s_cbranch_execnz .LBB30_1054
	s_branch .LBB30_1083
.LBB30_1022:
                                        ; implicit-def: $vgpr6
	s_cbranch_execz .LBB30_1053
	s_branch .LBB30_1038
.LBB30_1023:
                                        ; implicit-def: $vgpr6
	s_cbranch_execnz .LBB30_1034
	s_branch .LBB30_1037
.LBB30_1024:
	s_mov_b64 s[14:15], -1
	s_branch .LBB30_1028
.LBB30_1025:
	s_andn2_saveexec_b64 s[26:27], s[26:27]
	s_cbranch_execz .LBB30_924
.LBB30_1026:
	s_mov_b32 s28, 0x46000000
	v_add_f32_e64 v4, |v2|, s28
	v_and_b32_e32 v4, 0xff, v4
	v_cmp_ne_u32_e32 vcc, 0, v4
	s_andn2_b64 s[24:25], s[24:25], exec
	s_and_b64 s[28:29], vcc, exec
	s_or_b64 s[24:25], s[24:25], s[28:29]
	s_or_b64 exec, exec, s[26:27]
	v_mov_b32_e32 v5, 0
	s_and_saveexec_b64 s[26:27], s[24:25]
	s_cbranch_execnz .LBB30_925
	s_branch .LBB30_926
.LBB30_1027:
	s_mov_b64 s[0:1], -1
.LBB30_1028:
                                        ; implicit-def: $vgpr6
.LBB30_1029:
	s_and_b64 vcc, exec, s[14:15]
	s_cbranch_vccz .LBB30_1032
; %bb.1030:
	s_cmp_eq_u32 s20, 44
	s_cbranch_scc0 .LBB30_1033
; %bb.1031:
	global_load_ubyte v3, v[0:1], off
	s_mov_b64 s[0:1], 0
	s_mov_b64 s[6:7], -1
	s_waitcnt vmcnt(0)
	v_lshlrev_b32_e32 v4, 23, v3
	v_cvt_i32_f32_e32 v4, v4
	v_cmp_ne_u32_e32 vcc, 0, v3
	v_cndmask_b32_e32 v6, 0, v4, vcc
.LBB30_1032:
	s_branch .LBB30_1037
.LBB30_1033:
	s_mov_b64 s[0:1], -1
                                        ; implicit-def: $vgpr6
	s_branch .LBB30_1037
.LBB30_1034:
	s_cmp_eq_u32 s20, 29
	s_cbranch_scc0 .LBB30_1036
; %bb.1035:
	global_load_dwordx2 v[6:7], v[0:1], off
	s_mov_b64 s[0:1], 0
	s_mov_b64 s[6:7], -1
	s_branch .LBB30_1037
.LBB30_1036:
	s_mov_b64 s[0:1], -1
                                        ; implicit-def: $vgpr6
.LBB30_1037:
	s_branch .LBB30_1053
.LBB30_1038:
	s_cmp_lt_i32 s20, 27
	s_cbranch_scc1 .LBB30_1041
; %bb.1039:
	s_cmp_gt_i32 s20, 27
	s_cbranch_scc0 .LBB30_1042
; %bb.1040:
	global_load_dword v6, v[0:1], off
	s_mov_b64 s[6:7], 0
	s_branch .LBB30_1043
.LBB30_1041:
	s_mov_b64 s[6:7], -1
                                        ; implicit-def: $vgpr6
	s_branch .LBB30_1046
.LBB30_1042:
	s_mov_b64 s[6:7], -1
                                        ; implicit-def: $vgpr6
.LBB30_1043:
	s_andn2_b64 vcc, exec, s[6:7]
	s_cbranch_vccnz .LBB30_1045
; %bb.1044:
	global_load_ushort v6, v[0:1], off
.LBB30_1045:
	s_mov_b64 s[6:7], 0
.LBB30_1046:
	s_andn2_b64 vcc, exec, s[6:7]
	s_cbranch_vccnz .LBB30_1052
; %bb.1047:
	global_load_ubyte v3, v[0:1], off
	s_movk_i32 s6, 0x7f
	s_mov_b64 s[14:15], 0
	s_waitcnt vmcnt(0)
	v_cmp_lt_i16_e32 vcc, s6, v3
	s_and_saveexec_b64 s[6:7], vcc
	s_xor_b64 s[6:7], exec, s[6:7]
	s_cbranch_execz .LBB30_1063
; %bb.1048:
	s_movk_i32 s14, 0x80
	v_cmp_ne_u16_e32 vcc, s14, v3
	s_and_b64 s[14:15], vcc, exec
	s_andn2_saveexec_b64 s[6:7], s[6:7]
	s_cbranch_execnz .LBB30_1064
.LBB30_1049:
	s_or_b64 exec, exec, s[6:7]
	v_mov_b32_e32 v6, 0
	s_and_saveexec_b64 s[6:7], s[14:15]
	s_cbranch_execz .LBB30_1051
.LBB30_1050:
	v_lshlrev_b32_e32 v4, 24, v3
	v_and_b32_e32 v3, 0xffff, v3
	v_and_b32_e32 v5, 7, v3
	v_ffbh_u32_e32 v7, v5
	v_min_u32_e32 v7, 32, v7
	v_subrev_u32_e32 v8, 28, v7
	v_bfe_u32 v6, v3, 3, 4
	v_lshlrev_b32_e32 v3, v8, v3
	v_sub_u32_e32 v7, 29, v7
	v_and_b32_e32 v3, 7, v3
	v_cmp_eq_u32_e32 vcc, 0, v6
	v_cndmask_b32_e32 v6, v6, v7, vcc
	v_cndmask_b32_e32 v3, v5, v3, vcc
	v_mov_b32_e32 v5, 0x3b800000
	v_lshlrev_b32_e32 v3, 20, v3
	v_and_b32_e32 v4, 0x80000000, v4
	v_lshl_add_u32 v5, v6, 23, v5
	v_or3_b32 v3, v4, v5, v3
	v_cvt_i32_f32_e32 v6, v3
.LBB30_1051:
	s_or_b64 exec, exec, s[6:7]
.LBB30_1052:
	s_mov_b64 s[6:7], -1
.LBB30_1053:
	s_branch .LBB30_1083
.LBB30_1054:
	s_cmp_gt_i32 s20, 22
	s_cbranch_scc0 .LBB30_1062
; %bb.1055:
	s_cmp_lt_i32 s20, 24
	s_cbranch_scc1 .LBB30_1065
; %bb.1056:
	s_cmp_gt_i32 s20, 24
	s_cbranch_scc0 .LBB30_1066
; %bb.1057:
	global_load_ubyte v3, v[0:1], off
	s_movk_i32 s2, 0x7f
	s_mov_b64 s[6:7], 0
	s_waitcnt vmcnt(0)
	v_cmp_lt_i16_e32 vcc, s2, v3
	s_and_saveexec_b64 s[2:3], vcc
	s_xor_b64 s[2:3], exec, s[2:3]
	s_cbranch_execz .LBB30_1077
; %bb.1058:
	s_movk_i32 s6, 0x80
	v_cmp_ne_u16_e32 vcc, s6, v3
	s_and_b64 s[6:7], vcc, exec
	s_andn2_saveexec_b64 s[2:3], s[2:3]
	s_cbranch_execnz .LBB30_1078
.LBB30_1059:
	s_or_b64 exec, exec, s[2:3]
	v_mov_b32_e32 v6, 0
	s_and_saveexec_b64 s[2:3], s[6:7]
	s_cbranch_execz .LBB30_1061
.LBB30_1060:
	v_lshlrev_b32_e32 v4, 24, v3
	v_and_b32_e32 v3, 0xffff, v3
	v_and_b32_e32 v5, 3, v3
	v_ffbh_u32_e32 v7, v5
	v_min_u32_e32 v7, 32, v7
	v_subrev_u32_e32 v8, 29, v7
	v_bfe_u32 v6, v3, 2, 5
	v_lshlrev_b32_e32 v3, v8, v3
	v_sub_u32_e32 v7, 30, v7
	v_and_b32_e32 v3, 3, v3
	v_cmp_eq_u32_e32 vcc, 0, v6
	v_cndmask_b32_e32 v6, v6, v7, vcc
	v_cndmask_b32_e32 v3, v5, v3, vcc
	v_mov_b32_e32 v5, 0x37800000
	v_lshlrev_b32_e32 v3, 21, v3
	v_and_b32_e32 v4, 0x80000000, v4
	v_lshl_add_u32 v5, v6, 23, v5
	v_or3_b32 v3, v4, v5, v3
	v_cvt_i32_f32_e32 v6, v3
.LBB30_1061:
	s_or_b64 exec, exec, s[2:3]
	s_mov_b64 s[2:3], 0
	s_branch .LBB30_1067
.LBB30_1062:
                                        ; implicit-def: $vgpr6
	s_mov_b64 s[2:3], 0
	s_branch .LBB30_1073
.LBB30_1063:
	s_andn2_saveexec_b64 s[6:7], s[6:7]
	s_cbranch_execz .LBB30_1049
.LBB30_1064:
	v_cmp_ne_u16_e32 vcc, 0, v3
	s_andn2_b64 s[14:15], s[14:15], exec
	s_and_b64 s[22:23], vcc, exec
	s_or_b64 s[14:15], s[14:15], s[22:23]
	s_or_b64 exec, exec, s[6:7]
	v_mov_b32_e32 v6, 0
	s_and_saveexec_b64 s[6:7], s[14:15]
	s_cbranch_execnz .LBB30_1050
	s_branch .LBB30_1051
.LBB30_1065:
	s_mov_b64 s[2:3], -1
                                        ; implicit-def: $vgpr6
	s_branch .LBB30_1070
.LBB30_1066:
	s_mov_b64 s[2:3], -1
                                        ; implicit-def: $vgpr6
.LBB30_1067:
	s_and_b64 vcc, exec, s[2:3]
	s_cbranch_vccz .LBB30_1069
; %bb.1068:
	global_load_ubyte v3, v[0:1], off
	s_mov_b32 s2, 0x7f800000
	s_waitcnt vmcnt(0)
	v_lshlrev_b32_e32 v3, 24, v3
	v_and_b32_e32 v4, 0x7f000000, v3
	v_ffbh_u32_e32 v5, v4
	v_min_u32_e32 v5, 32, v5
	v_sub_u32_e64 v5, v5, 4 clamp
	v_lshlrev_b32_e32 v7, v5, v4
	v_lshlrev_b32_e32 v5, 23, v5
	v_lshrrev_b32_e32 v7, 4, v7
	v_add_u32_e32 v6, 0x1000000, v4
	v_sub_u32_e32 v5, v7, v5
	v_ashrrev_i32_e32 v6, 8, v6
	v_add_u32_e32 v5, 0x3c000000, v5
	v_and_or_b32 v5, v6, s2, v5
	v_cmp_ne_u32_e32 vcc, 0, v4
	v_cndmask_b32_e32 v4, 0, v5, vcc
	s_brev_b32 s2, 1
	v_and_or_b32 v3, v3, s2, v4
	v_cvt_i32_f32_e32 v6, v3
.LBB30_1069:
	s_mov_b64 s[2:3], 0
.LBB30_1070:
	s_andn2_b64 vcc, exec, s[2:3]
	s_cbranch_vccnz .LBB30_1072
; %bb.1071:
	global_load_ubyte v3, v[0:1], off
	s_movk_i32 s2, 0x7f00
	s_brev_b32 s3, 16
	s_waitcnt vmcnt(0)
	v_lshlrev_b16_e32 v4, 8, v3
	v_lshlrev_b32_e32 v3, 25, v3
	v_lshrrev_b32_e32 v5, 4, v3
	v_and_or_b32 v6, v4, s2, 0.5
	v_or_b32_e32 v5, 0x70000000, v5
	v_add_f32_e32 v6, -0.5, v6
	v_mul_f32_e32 v5, 0x7800000, v5
	v_cmp_gt_u32_e32 vcc, s3, v3
	v_bfe_i32 v4, v4, 0, 16
	v_cndmask_b32_e32 v3, v5, v6, vcc
	s_brev_b32 s2, 1
	v_and_or_b32 v3, v4, s2, v3
	v_cvt_i32_f32_e32 v6, v3
.LBB30_1072:
	s_mov_b64 s[6:7], -1
	s_mov_b64 s[2:3], 0
	s_cbranch_execnz .LBB30_1083
.LBB30_1073:
	s_cmp_gt_i32 s20, 14
	s_cbranch_scc0 .LBB30_1076
; %bb.1074:
	s_cmp_eq_u32 s20, 15
	s_cbranch_scc0 .LBB30_1079
; %bb.1075:
	global_load_ushort v3, v[0:1], off
	s_mov_b64 s[0:1], 0
	s_mov_b64 s[6:7], -1
	s_waitcnt vmcnt(0)
	v_lshlrev_b32_e32 v3, 16, v3
	v_cvt_i32_f32_e32 v6, v3
	s_branch .LBB30_1080
.LBB30_1076:
	s_mov_b64 s[14:15], -1
                                        ; implicit-def: $vgpr6
	s_branch .LBB30_1081
.LBB30_1077:
	s_andn2_saveexec_b64 s[2:3], s[2:3]
	s_cbranch_execz .LBB30_1059
.LBB30_1078:
	v_cmp_ne_u16_e32 vcc, 0, v3
	s_andn2_b64 s[6:7], s[6:7], exec
	s_and_b64 s[14:15], vcc, exec
	s_or_b64 s[6:7], s[6:7], s[14:15]
	s_or_b64 exec, exec, s[2:3]
	v_mov_b32_e32 v6, 0
	s_and_saveexec_b64 s[2:3], s[6:7]
	s_cbranch_execnz .LBB30_1060
	s_branch .LBB30_1061
.LBB30_1079:
	s_mov_b64 s[0:1], -1
                                        ; implicit-def: $vgpr6
.LBB30_1080:
	s_mov_b64 s[14:15], 0
.LBB30_1081:
	s_and_b64 vcc, exec, s[14:15]
	s_cbranch_vccz .LBB30_1083
; %bb.1082:
	s_cmp_lg_u32 s20, 11
	s_mov_b64 s[2:3], -1
	s_cselect_b64 s[0:1], -1, 0
.LBB30_1083:
	s_and_b64 vcc, exec, s[0:1]
	s_mov_b64 s[14:15], s[18:19]
	s_cbranch_vccnz .LBB30_1144
; %bb.1084:
	s_andn2_b64 vcc, exec, s[2:3]
	s_cbranch_vccnz .LBB30_1086
.LBB30_1085:
	global_load_ubyte v3, v[0:1], off
	s_mov_b64 s[6:7], -1
	s_waitcnt vmcnt(0)
	v_cmp_ne_u16_e32 vcc, 0, v3
	v_cndmask_b32_e64 v6, 0, 1, vcc
.LBB30_1086:
	s_branch .LBB30_1020
.LBB30_1087:
	s_and_b32 s2, 0xffff, s5
	s_cmp_lt_i32 s2, 5
	s_cbranch_scc1 .LBB30_1092
; %bb.1088:
	s_cmp_lt_i32 s2, 8
	s_cbranch_scc1 .LBB30_1093
; %bb.1089:
	;; [unrolled: 3-line block ×3, first 2 shown]
	s_cmp_gt_i32 s2, 9
	s_cbranch_scc0 .LBB30_1095
; %bb.1091:
	global_load_dwordx2 v[3:4], v[0:1], off
	s_mov_b64 s[0:1], 0
	s_waitcnt vmcnt(0)
	v_cvt_i32_f64_e32 v6, v[3:4]
	s_branch .LBB30_1096
.LBB30_1092:
                                        ; implicit-def: $vgpr6
	s_branch .LBB30_1113
.LBB30_1093:
                                        ; implicit-def: $vgpr6
	s_branch .LBB30_1102
.LBB30_1094:
	s_mov_b64 s[0:1], -1
                                        ; implicit-def: $vgpr6
	s_branch .LBB30_1099
.LBB30_1095:
	s_mov_b64 s[0:1], -1
                                        ; implicit-def: $vgpr6
.LBB30_1096:
	s_andn2_b64 vcc, exec, s[0:1]
	s_cbranch_vccnz .LBB30_1098
; %bb.1097:
	global_load_dword v3, v[0:1], off
	s_waitcnt vmcnt(0)
	v_cvt_i32_f32_e32 v6, v3
.LBB30_1098:
	s_mov_b64 s[0:1], 0
.LBB30_1099:
	s_andn2_b64 vcc, exec, s[0:1]
	s_cbranch_vccnz .LBB30_1101
; %bb.1100:
	global_load_dword v3, v[0:1], off
	s_waitcnt vmcnt(0)
	v_cvt_i16_f16_e32 v6, v3
.LBB30_1101:
	s_cbranch_execnz .LBB30_1112
.LBB30_1102:
	s_cmp_lt_i32 s2, 6
	s_cbranch_scc1 .LBB30_1105
; %bb.1103:
	s_cmp_gt_i32 s2, 6
	s_cbranch_scc0 .LBB30_1106
; %bb.1104:
	global_load_dwordx2 v[3:4], v[0:1], off
	s_mov_b64 s[0:1], 0
	s_waitcnt vmcnt(0)
	v_cvt_i32_f64_e32 v6, v[3:4]
	s_branch .LBB30_1107
.LBB30_1105:
	s_mov_b64 s[0:1], -1
                                        ; implicit-def: $vgpr6
	s_branch .LBB30_1110
.LBB30_1106:
	s_mov_b64 s[0:1], -1
                                        ; implicit-def: $vgpr6
.LBB30_1107:
	s_andn2_b64 vcc, exec, s[0:1]
	s_cbranch_vccnz .LBB30_1109
; %bb.1108:
	global_load_dword v3, v[0:1], off
	s_waitcnt vmcnt(0)
	v_cvt_i32_f32_e32 v6, v3
.LBB30_1109:
	s_mov_b64 s[0:1], 0
.LBB30_1110:
	s_andn2_b64 vcc, exec, s[0:1]
	s_cbranch_vccnz .LBB30_1112
; %bb.1111:
	global_load_ushort v3, v[0:1], off
	s_waitcnt vmcnt(0)
	v_cvt_i16_f16_e32 v6, v3
.LBB30_1112:
	s_cbranch_execnz .LBB30_1131
.LBB30_1113:
	s_cmp_lt_i32 s2, 2
	s_cbranch_scc1 .LBB30_1117
; %bb.1114:
	s_cmp_lt_i32 s2, 3
	s_cbranch_scc1 .LBB30_1118
; %bb.1115:
	s_cmp_gt_i32 s2, 3
	s_cbranch_scc0 .LBB30_1119
; %bb.1116:
	global_load_dwordx2 v[6:7], v[0:1], off
	s_mov_b64 s[0:1], 0
	s_branch .LBB30_1120
.LBB30_1117:
                                        ; implicit-def: $vgpr6
	s_branch .LBB30_1126
.LBB30_1118:
	s_mov_b64 s[0:1], -1
                                        ; implicit-def: $vgpr6
	s_branch .LBB30_1123
.LBB30_1119:
	s_mov_b64 s[0:1], -1
                                        ; implicit-def: $vgpr6
.LBB30_1120:
	s_andn2_b64 vcc, exec, s[0:1]
	s_cbranch_vccnz .LBB30_1122
; %bb.1121:
	global_load_dword v6, v[0:1], off
.LBB30_1122:
	s_mov_b64 s[0:1], 0
.LBB30_1123:
	s_andn2_b64 vcc, exec, s[0:1]
	s_cbranch_vccnz .LBB30_1125
; %bb.1124:
	global_load_ushort v6, v[0:1], off
.LBB30_1125:
	s_cbranch_execnz .LBB30_1131
.LBB30_1126:
	s_cmp_gt_i32 s2, 0
	s_cbranch_scc0 .LBB30_1128
; %bb.1127:
	global_load_ubyte v6, v[0:1], off
	s_mov_b64 s[0:1], 0
	s_branch .LBB30_1129
.LBB30_1128:
	s_mov_b64 s[0:1], -1
                                        ; implicit-def: $vgpr6
.LBB30_1129:
	s_andn2_b64 vcc, exec, s[0:1]
	s_cbranch_vccnz .LBB30_1131
; %bb.1130:
	global_load_ubyte v6, v[0:1], off
.LBB30_1131:
.LBB30_1132:
	s_lshl_b32 s13, s13, 7
	v_add_u32_e32 v2, s13, v2
	v_ashrrev_i32_e32 v1, 31, v2
	v_mov_b32_e32 v3, s11
	v_add_co_u32_e32 v0, vcc, s10, v2
	s_cmp_lt_i32 s5, 11
	v_addc_co_u32_e32 v1, vcc, v3, v1, vcc
	s_cbranch_scc1 .LBB30_1139
; %bb.1133:
	s_and_b32 s22, 0xffff, s5
	s_cmp_gt_i32 s22, 25
	s_mov_b64 s[2:3], 0
	s_cbranch_scc0 .LBB30_1141
; %bb.1134:
	s_cmp_gt_i32 s22, 28
	s_cbranch_scc0 .LBB30_1142
; %bb.1135:
	s_cmp_gt_i32 s22, 43
	;; [unrolled: 3-line block ×3, first 2 shown]
	s_cbranch_scc0 .LBB30_1145
; %bb.1137:
	s_cmp_eq_u32 s22, 46
	s_mov_b64 s[20:21], 0
	s_cbranch_scc0 .LBB30_1148
; %bb.1138:
	global_load_dword v3, v[0:1], off
	s_mov_b64 s[0:1], 0
	s_mov_b64 s[6:7], -1
	s_waitcnt vmcnt(0)
	v_lshlrev_b32_e32 v3, 16, v3
	v_cvt_i32_f32_e32 v4, v3
	s_branch .LBB30_1149
.LBB30_1139:
	s_mov_b64 s[6:7], 0
                                        ; implicit-def: $vgpr4
	s_cbranch_execnz .LBB30_1210
.LBB30_1140:
	s_andn2_b64 vcc, exec, s[6:7]
	s_cbranch_vccnz .LBB30_1941
	s_branch .LBB30_1257
.LBB30_1141:
	s_mov_b64 s[6:7], 0
	s_mov_b64 s[0:1], 0
                                        ; implicit-def: $vgpr4
	s_cbranch_execnz .LBB30_1176
	s_branch .LBB30_1206
.LBB30_1142:
	s_mov_b64 s[20:21], -1
	s_mov_b64 s[6:7], 0
	s_mov_b64 s[0:1], 0
                                        ; implicit-def: $vgpr4
	s_branch .LBB30_1159
.LBB30_1143:
	s_mov_b64 s[20:21], -1
	s_mov_b64 s[6:7], 0
	s_mov_b64 s[0:1], 0
                                        ; implicit-def: $vgpr4
	s_branch .LBB30_1154
.LBB30_1144:
	s_or_b64 s[14:15], s[18:19], exec
	s_trap 2
	s_cbranch_execz .LBB30_1085
	s_branch .LBB30_1086
.LBB30_1145:
	s_mov_b64 s[20:21], -1
	s_mov_b64 s[6:7], 0
	s_mov_b64 s[0:1], 0
                                        ; implicit-def: $vgpr4
	s_branch .LBB30_1149
.LBB30_1146:
	s_andn2_saveexec_b64 s[28:29], s[28:29]
	s_cbranch_execz .LBB30_936
.LBB30_1147:
	s_mov_b32 s30, 0x42800000
	v_add_f32_e64 v4, |v2|, s30
	v_and_b32_e32 v4, 0xff, v4
	v_cmp_ne_u32_e32 vcc, 0, v4
	s_andn2_b64 s[26:27], s[26:27], exec
	s_and_b64 s[30:31], vcc, exec
	s_or_b64 s[26:27], s[26:27], s[30:31]
	s_or_b64 exec, exec, s[28:29]
	v_mov_b32_e32 v5, 0
	s_and_saveexec_b64 s[28:29], s[26:27]
	s_cbranch_execnz .LBB30_937
	s_branch .LBB30_938
.LBB30_1148:
	s_mov_b64 s[0:1], -1
                                        ; implicit-def: $vgpr4
	s_mov_b64 s[6:7], 0
.LBB30_1149:
	s_and_b64 vcc, exec, s[20:21]
	s_cbranch_vccz .LBB30_1153
; %bb.1150:
	s_cmp_eq_u32 s22, 44
	s_cbranch_scc0 .LBB30_1152
; %bb.1151:
	global_load_ubyte v3, v[0:1], off
	s_mov_b64 s[0:1], 0
	s_mov_b64 s[6:7], -1
	s_waitcnt vmcnt(0)
	v_lshlrev_b32_e32 v4, 23, v3
	v_cvt_i32_f32_e32 v4, v4
	v_cmp_ne_u32_e32 vcc, 0, v3
	v_cndmask_b32_e32 v4, 0, v4, vcc
	s_branch .LBB30_1153
.LBB30_1152:
	s_mov_b64 s[0:1], -1
                                        ; implicit-def: $vgpr4
.LBB30_1153:
	s_mov_b64 s[20:21], 0
.LBB30_1154:
	s_and_b64 vcc, exec, s[20:21]
	s_cbranch_vccz .LBB30_1158
; %bb.1155:
	s_cmp_eq_u32 s22, 29
	s_cbranch_scc0 .LBB30_1157
; %bb.1156:
	global_load_dwordx2 v[4:5], v[0:1], off
	s_mov_b64 s[0:1], 0
	s_mov_b64 s[6:7], -1
	s_branch .LBB30_1158
.LBB30_1157:
	s_mov_b64 s[0:1], -1
                                        ; implicit-def: $vgpr4
.LBB30_1158:
	s_mov_b64 s[20:21], 0
.LBB30_1159:
	s_and_b64 vcc, exec, s[20:21]
	s_cbranch_vccz .LBB30_1175
; %bb.1160:
	s_cmp_lt_i32 s22, 27
	s_cbranch_scc1 .LBB30_1163
; %bb.1161:
	s_cmp_gt_i32 s22, 27
	s_cbranch_scc0 .LBB30_1164
; %bb.1162:
	global_load_dword v4, v[0:1], off
	s_mov_b64 s[6:7], 0
	s_branch .LBB30_1165
.LBB30_1163:
	s_mov_b64 s[6:7], -1
                                        ; implicit-def: $vgpr4
	s_branch .LBB30_1168
.LBB30_1164:
	s_mov_b64 s[6:7], -1
                                        ; implicit-def: $vgpr4
.LBB30_1165:
	s_andn2_b64 vcc, exec, s[6:7]
	s_cbranch_vccnz .LBB30_1167
; %bb.1166:
	global_load_ushort v4, v[0:1], off
.LBB30_1167:
	s_mov_b64 s[6:7], 0
.LBB30_1168:
	s_andn2_b64 vcc, exec, s[6:7]
	s_cbranch_vccnz .LBB30_1174
; %bb.1169:
	global_load_ubyte v3, v[0:1], off
	s_movk_i32 s6, 0x7f
	s_mov_b64 s[20:21], 0
	s_waitcnt vmcnt(0)
	v_cmp_lt_i16_e32 vcc, s6, v3
	s_and_saveexec_b64 s[6:7], vcc
	s_xor_b64 s[6:7], exec, s[6:7]
	s_cbranch_execz .LBB30_1185
; %bb.1170:
	s_movk_i32 s20, 0x80
	v_cmp_ne_u16_e32 vcc, s20, v3
	s_and_b64 s[20:21], vcc, exec
	s_andn2_saveexec_b64 s[6:7], s[6:7]
	s_cbranch_execnz .LBB30_1186
.LBB30_1171:
	s_or_b64 exec, exec, s[6:7]
	v_mov_b32_e32 v4, 0
	s_and_saveexec_b64 s[6:7], s[20:21]
	s_cbranch_execz .LBB30_1173
.LBB30_1172:
	v_lshlrev_b32_e32 v4, 24, v3
	v_and_b32_e32 v3, 0xffff, v3
	v_and_b32_e32 v5, 7, v3
	v_ffbh_u32_e32 v8, v5
	v_min_u32_e32 v8, 32, v8
	v_subrev_u32_e32 v10, 28, v8
	v_bfe_u32 v7, v3, 3, 4
	v_lshlrev_b32_e32 v3, v10, v3
	v_sub_u32_e32 v8, 29, v8
	v_and_b32_e32 v3, 7, v3
	v_cmp_eq_u32_e32 vcc, 0, v7
	v_cndmask_b32_e32 v7, v7, v8, vcc
	v_cndmask_b32_e32 v3, v5, v3, vcc
	v_mov_b32_e32 v5, 0x3b800000
	v_lshlrev_b32_e32 v3, 20, v3
	v_and_b32_e32 v4, 0x80000000, v4
	v_lshl_add_u32 v5, v7, 23, v5
	v_or3_b32 v3, v4, v5, v3
	v_cvt_i32_f32_e32 v4, v3
.LBB30_1173:
	s_or_b64 exec, exec, s[6:7]
.LBB30_1174:
	s_mov_b64 s[6:7], -1
.LBB30_1175:
	s_branch .LBB30_1206
.LBB30_1176:
	s_cmp_gt_i32 s22, 22
	s_cbranch_scc0 .LBB30_1184
; %bb.1177:
	s_cmp_lt_i32 s22, 24
	s_cbranch_scc1 .LBB30_1187
; %bb.1178:
	s_cmp_gt_i32 s22, 24
	s_cbranch_scc0 .LBB30_1188
; %bb.1179:
	global_load_ubyte v3, v[0:1], off
	s_movk_i32 s2, 0x7f
	s_mov_b64 s[6:7], 0
	s_waitcnt vmcnt(0)
	v_cmp_lt_i16_e32 vcc, s2, v3
	s_and_saveexec_b64 s[2:3], vcc
	s_xor_b64 s[2:3], exec, s[2:3]
	s_cbranch_execz .LBB30_1200
; %bb.1180:
	s_movk_i32 s6, 0x80
	v_cmp_ne_u16_e32 vcc, s6, v3
	s_and_b64 s[6:7], vcc, exec
	s_andn2_saveexec_b64 s[2:3], s[2:3]
	s_cbranch_execnz .LBB30_1201
.LBB30_1181:
	s_or_b64 exec, exec, s[2:3]
	v_mov_b32_e32 v4, 0
	s_and_saveexec_b64 s[2:3], s[6:7]
	s_cbranch_execz .LBB30_1183
.LBB30_1182:
	v_lshlrev_b32_e32 v4, 24, v3
	v_and_b32_e32 v3, 0xffff, v3
	v_and_b32_e32 v5, 3, v3
	v_ffbh_u32_e32 v8, v5
	v_min_u32_e32 v8, 32, v8
	v_subrev_u32_e32 v10, 29, v8
	v_bfe_u32 v7, v3, 2, 5
	v_lshlrev_b32_e32 v3, v10, v3
	v_sub_u32_e32 v8, 30, v8
	v_and_b32_e32 v3, 3, v3
	v_cmp_eq_u32_e32 vcc, 0, v7
	v_cndmask_b32_e32 v7, v7, v8, vcc
	v_cndmask_b32_e32 v3, v5, v3, vcc
	v_mov_b32_e32 v5, 0x37800000
	v_lshlrev_b32_e32 v3, 21, v3
	v_and_b32_e32 v4, 0x80000000, v4
	v_lshl_add_u32 v5, v7, 23, v5
	v_or3_b32 v3, v4, v5, v3
	v_cvt_i32_f32_e32 v4, v3
.LBB30_1183:
	s_or_b64 exec, exec, s[2:3]
	s_mov_b64 s[2:3], 0
	s_branch .LBB30_1189
.LBB30_1184:
	s_mov_b64 s[2:3], -1
                                        ; implicit-def: $vgpr4
	s_branch .LBB30_1195
.LBB30_1185:
	s_andn2_saveexec_b64 s[6:7], s[6:7]
	s_cbranch_execz .LBB30_1171
.LBB30_1186:
	v_cmp_ne_u16_e32 vcc, 0, v3
	s_andn2_b64 s[20:21], s[20:21], exec
	s_and_b64 s[24:25], vcc, exec
	s_or_b64 s[20:21], s[20:21], s[24:25]
	s_or_b64 exec, exec, s[6:7]
	v_mov_b32_e32 v4, 0
	s_and_saveexec_b64 s[6:7], s[20:21]
	s_cbranch_execnz .LBB30_1172
	s_branch .LBB30_1173
.LBB30_1187:
	s_mov_b64 s[2:3], -1
                                        ; implicit-def: $vgpr4
	s_branch .LBB30_1192
.LBB30_1188:
	s_mov_b64 s[2:3], -1
                                        ; implicit-def: $vgpr4
.LBB30_1189:
	s_and_b64 vcc, exec, s[2:3]
	s_cbranch_vccz .LBB30_1191
; %bb.1190:
	global_load_ubyte v3, v[0:1], off
	s_mov_b32 s2, 0x7f800000
	s_waitcnt vmcnt(0)
	v_lshlrev_b32_e32 v3, 24, v3
	v_and_b32_e32 v4, 0x7f000000, v3
	v_ffbh_u32_e32 v5, v4
	v_min_u32_e32 v5, 32, v5
	v_sub_u32_e64 v5, v5, 4 clamp
	v_lshlrev_b32_e32 v8, v5, v4
	v_lshlrev_b32_e32 v5, 23, v5
	v_lshrrev_b32_e32 v8, 4, v8
	v_add_u32_e32 v7, 0x1000000, v4
	v_sub_u32_e32 v5, v8, v5
	v_ashrrev_i32_e32 v7, 8, v7
	v_add_u32_e32 v5, 0x3c000000, v5
	v_and_or_b32 v5, v7, s2, v5
	v_cmp_ne_u32_e32 vcc, 0, v4
	v_cndmask_b32_e32 v4, 0, v5, vcc
	s_brev_b32 s2, 1
	v_and_or_b32 v3, v3, s2, v4
	v_cvt_i32_f32_e32 v4, v3
.LBB30_1191:
	s_mov_b64 s[2:3], 0
.LBB30_1192:
	s_andn2_b64 vcc, exec, s[2:3]
	s_cbranch_vccnz .LBB30_1194
; %bb.1193:
	global_load_ubyte v3, v[0:1], off
	s_movk_i32 s2, 0x7f00
	s_brev_b32 s3, 16
	s_waitcnt vmcnt(0)
	v_lshlrev_b16_e32 v4, 8, v3
	v_lshlrev_b32_e32 v3, 25, v3
	v_lshrrev_b32_e32 v5, 4, v3
	v_and_or_b32 v7, v4, s2, 0.5
	v_or_b32_e32 v5, 0x70000000, v5
	v_add_f32_e32 v7, -0.5, v7
	v_mul_f32_e32 v5, 0x7800000, v5
	v_cmp_gt_u32_e32 vcc, s3, v3
	v_bfe_i32 v4, v4, 0, 16
	v_cndmask_b32_e32 v3, v5, v7, vcc
	s_brev_b32 s2, 1
	v_and_or_b32 v3, v4, s2, v3
	v_cvt_i32_f32_e32 v4, v3
.LBB30_1194:
	s_mov_b64 s[2:3], 0
	s_mov_b64 s[6:7], -1
.LBB30_1195:
	s_andn2_b64 vcc, exec, s[2:3]
	s_mov_b64 s[2:3], 0
	s_cbranch_vccnz .LBB30_1206
; %bb.1196:
	s_cmp_gt_i32 s22, 14
	s_cbranch_scc0 .LBB30_1199
; %bb.1197:
	s_cmp_eq_u32 s22, 15
	s_cbranch_scc0 .LBB30_1202
; %bb.1198:
	global_load_ushort v3, v[0:1], off
	s_mov_b64 s[0:1], 0
	s_mov_b64 s[6:7], -1
	s_waitcnt vmcnt(0)
	v_lshlrev_b32_e32 v3, 16, v3
	v_cvt_i32_f32_e32 v4, v3
	s_branch .LBB30_1203
.LBB30_1199:
	s_mov_b64 s[20:21], -1
                                        ; implicit-def: $vgpr4
	s_branch .LBB30_1204
.LBB30_1200:
	s_andn2_saveexec_b64 s[2:3], s[2:3]
	s_cbranch_execz .LBB30_1181
.LBB30_1201:
	v_cmp_ne_u16_e32 vcc, 0, v3
	s_andn2_b64 s[6:7], s[6:7], exec
	s_and_b64 s[20:21], vcc, exec
	s_or_b64 s[6:7], s[6:7], s[20:21]
	s_or_b64 exec, exec, s[2:3]
	v_mov_b32_e32 v4, 0
	s_and_saveexec_b64 s[2:3], s[6:7]
	s_cbranch_execnz .LBB30_1182
	s_branch .LBB30_1183
.LBB30_1202:
	s_mov_b64 s[0:1], -1
                                        ; implicit-def: $vgpr4
.LBB30_1203:
	s_mov_b64 s[20:21], 0
.LBB30_1204:
	s_and_b64 vcc, exec, s[20:21]
	s_cbranch_vccz .LBB30_1206
; %bb.1205:
	s_cmp_lg_u32 s22, 11
	s_mov_b64 s[2:3], -1
	s_cselect_b64 s[0:1], -1, 0
.LBB30_1206:
	s_and_b64 vcc, exec, s[0:1]
	s_cbranch_vccnz .LBB30_1269
; %bb.1207:
	s_andn2_b64 vcc, exec, s[2:3]
	s_cbranch_vccnz .LBB30_1209
.LBB30_1208:
	global_load_ubyte v3, v[0:1], off
	s_mov_b64 s[6:7], -1
	s_waitcnt vmcnt(0)
	v_cmp_ne_u16_e32 vcc, 0, v3
	v_cndmask_b32_e64 v4, 0, 1, vcc
.LBB30_1209:
	s_branch .LBB30_1140
.LBB30_1210:
	s_and_b32 s2, 0xffff, s5
	s_cmp_lt_i32 s2, 5
	s_cbranch_scc1 .LBB30_1215
; %bb.1211:
	s_cmp_lt_i32 s2, 8
	s_cbranch_scc1 .LBB30_1216
; %bb.1212:
	;; [unrolled: 3-line block ×3, first 2 shown]
	s_cmp_gt_i32 s2, 9
	s_cbranch_scc0 .LBB30_1218
; %bb.1214:
	global_load_dwordx2 v[3:4], v[0:1], off
	s_mov_b64 s[0:1], 0
	s_waitcnt vmcnt(0)
	v_cvt_i32_f64_e32 v4, v[3:4]
	s_branch .LBB30_1219
.LBB30_1215:
                                        ; implicit-def: $vgpr4
	s_branch .LBB30_1237
.LBB30_1216:
	s_mov_b64 s[0:1], -1
                                        ; implicit-def: $vgpr4
	s_branch .LBB30_1225
.LBB30_1217:
	s_mov_b64 s[0:1], -1
                                        ; implicit-def: $vgpr4
	s_branch .LBB30_1222
.LBB30_1218:
	s_mov_b64 s[0:1], -1
                                        ; implicit-def: $vgpr4
.LBB30_1219:
	s_andn2_b64 vcc, exec, s[0:1]
	s_cbranch_vccnz .LBB30_1221
; %bb.1220:
	global_load_dword v3, v[0:1], off
	s_waitcnt vmcnt(0)
	v_cvt_i32_f32_e32 v4, v3
.LBB30_1221:
	s_mov_b64 s[0:1], 0
.LBB30_1222:
	s_andn2_b64 vcc, exec, s[0:1]
	s_cbranch_vccnz .LBB30_1224
; %bb.1223:
	global_load_dword v3, v[0:1], off
	s_waitcnt vmcnt(0)
	v_cvt_i16_f16_e32 v4, v3
.LBB30_1224:
	s_mov_b64 s[0:1], 0
.LBB30_1225:
	s_andn2_b64 vcc, exec, s[0:1]
	s_cbranch_vccnz .LBB30_1236
; %bb.1226:
	s_cmp_lt_i32 s2, 6
	s_cbranch_scc1 .LBB30_1229
; %bb.1227:
	s_cmp_gt_i32 s2, 6
	s_cbranch_scc0 .LBB30_1230
; %bb.1228:
	global_load_dwordx2 v[3:4], v[0:1], off
	s_mov_b64 s[0:1], 0
	s_waitcnt vmcnt(0)
	v_cvt_i32_f64_e32 v4, v[3:4]
	s_branch .LBB30_1231
.LBB30_1229:
	s_mov_b64 s[0:1], -1
                                        ; implicit-def: $vgpr4
	s_branch .LBB30_1234
.LBB30_1230:
	s_mov_b64 s[0:1], -1
                                        ; implicit-def: $vgpr4
.LBB30_1231:
	s_andn2_b64 vcc, exec, s[0:1]
	s_cbranch_vccnz .LBB30_1233
; %bb.1232:
	global_load_dword v3, v[0:1], off
	s_waitcnt vmcnt(0)
	v_cvt_i32_f32_e32 v4, v3
.LBB30_1233:
	s_mov_b64 s[0:1], 0
.LBB30_1234:
	s_andn2_b64 vcc, exec, s[0:1]
	s_cbranch_vccnz .LBB30_1236
; %bb.1235:
	global_load_ushort v3, v[0:1], off
	s_waitcnt vmcnt(0)
	v_cvt_i16_f16_e32 v4, v3
.LBB30_1236:
	s_cbranch_execnz .LBB30_1256
.LBB30_1237:
	s_cmp_lt_i32 s2, 2
	s_cbranch_scc1 .LBB30_1241
; %bb.1238:
	s_cmp_lt_i32 s2, 3
	s_cbranch_scc1 .LBB30_1242
; %bb.1239:
	s_cmp_gt_i32 s2, 3
	s_cbranch_scc0 .LBB30_1243
; %bb.1240:
	global_load_dwordx2 v[4:5], v[0:1], off
	s_mov_b64 s[0:1], 0
	s_branch .LBB30_1244
.LBB30_1241:
	s_mov_b64 s[0:1], -1
                                        ; implicit-def: $vgpr4
	s_branch .LBB30_1250
.LBB30_1242:
	s_mov_b64 s[0:1], -1
                                        ; implicit-def: $vgpr4
	s_branch .LBB30_1247
.LBB30_1243:
	s_mov_b64 s[0:1], -1
                                        ; implicit-def: $vgpr4
.LBB30_1244:
	s_andn2_b64 vcc, exec, s[0:1]
	s_cbranch_vccnz .LBB30_1246
; %bb.1245:
	global_load_dword v4, v[0:1], off
.LBB30_1246:
	s_mov_b64 s[0:1], 0
.LBB30_1247:
	s_andn2_b64 vcc, exec, s[0:1]
	s_cbranch_vccnz .LBB30_1249
; %bb.1248:
	global_load_ushort v4, v[0:1], off
.LBB30_1249:
	s_mov_b64 s[0:1], 0
.LBB30_1250:
	s_andn2_b64 vcc, exec, s[0:1]
	s_cbranch_vccnz .LBB30_1256
; %bb.1251:
	s_cmp_gt_i32 s2, 0
	s_cbranch_scc0 .LBB30_1253
; %bb.1252:
	global_load_ubyte v4, v[0:1], off
	s_mov_b64 s[0:1], 0
	s_branch .LBB30_1254
.LBB30_1253:
	s_mov_b64 s[0:1], -1
                                        ; implicit-def: $vgpr4
.LBB30_1254:
	s_andn2_b64 vcc, exec, s[0:1]
	s_cbranch_vccnz .LBB30_1256
; %bb.1255:
	global_load_ubyte v4, v[0:1], off
.LBB30_1256:
.LBB30_1257:
	s_waitcnt vmcnt(0)
	v_add_u32_e32 v5, s13, v2
	v_ashrrev_i32_e32 v1, 31, v5
	v_mov_b32_e32 v2, s11
	v_add_co_u32_e32 v0, vcc, s10, v5
	s_cmp_lt_i32 s5, 11
	v_addc_co_u32_e32 v1, vcc, v2, v1, vcc
	s_cbranch_scc1 .LBB30_1264
; %bb.1258:
	s_and_b32 s22, 0xffff, s5
	s_cmp_gt_i32 s22, 25
	s_mov_b64 s[2:3], 0
	s_cbranch_scc0 .LBB30_1266
; %bb.1259:
	s_cmp_gt_i32 s22, 28
	s_cbranch_scc0 .LBB30_1267
; %bb.1260:
	s_cmp_gt_i32 s22, 43
	;; [unrolled: 3-line block ×3, first 2 shown]
	s_cbranch_scc0 .LBB30_1270
; %bb.1262:
	s_cmp_eq_u32 s22, 46
	s_mov_b64 s[20:21], 0
	s_cbranch_scc0 .LBB30_1271
; %bb.1263:
	global_load_dword v2, v[0:1], off
	s_mov_b64 s[0:1], 0
	s_mov_b64 s[6:7], -1
	s_waitcnt vmcnt(0)
	v_lshlrev_b32_e32 v2, 16, v2
	v_cvt_i32_f32_e32 v2, v2
	s_branch .LBB30_1272
.LBB30_1264:
	s_mov_b64 s[6:7], 0
                                        ; implicit-def: $vgpr2
	s_cbranch_execnz .LBB30_1334
.LBB30_1265:
	s_andn2_b64 vcc, exec, s[6:7]
	s_cbranch_vccnz .LBB30_1941
	s_branch .LBB30_1382
.LBB30_1266:
	s_mov_b64 s[20:21], -1
	s_mov_b64 s[6:7], 0
	s_mov_b64 s[0:1], 0
                                        ; implicit-def: $vgpr2
	s_branch .LBB30_1299
.LBB30_1267:
	s_mov_b64 s[20:21], -1
	s_mov_b64 s[6:7], 0
	s_mov_b64 s[0:1], 0
                                        ; implicit-def: $vgpr2
	s_branch .LBB30_1282
.LBB30_1268:
	s_mov_b64 s[20:21], -1
	s_mov_b64 s[6:7], 0
	s_mov_b64 s[0:1], 0
                                        ; implicit-def: $vgpr2
	s_branch .LBB30_1277
.LBB30_1269:
	s_trap 2
	s_or_b64 s[14:15], s[14:15], exec
	s_cbranch_execz .LBB30_1208
	s_branch .LBB30_1209
.LBB30_1270:
	s_mov_b64 s[20:21], -1
	s_mov_b64 s[6:7], 0
	s_mov_b64 s[0:1], 0
                                        ; implicit-def: $vgpr2
	s_branch .LBB30_1272
.LBB30_1271:
	s_mov_b64 s[0:1], -1
                                        ; implicit-def: $vgpr2
	s_mov_b64 s[6:7], 0
.LBB30_1272:
	s_and_b64 vcc, exec, s[20:21]
	s_cbranch_vccz .LBB30_1276
; %bb.1273:
	s_cmp_eq_u32 s22, 44
	s_cbranch_scc0 .LBB30_1275
; %bb.1274:
	global_load_ubyte v2, v[0:1], off
	s_mov_b64 s[0:1], 0
	s_mov_b64 s[6:7], -1
	s_waitcnt vmcnt(0)
	v_lshlrev_b32_e32 v3, 23, v2
	v_cvt_i32_f32_e32 v3, v3
	v_cmp_ne_u32_e32 vcc, 0, v2
	v_cndmask_b32_e32 v2, 0, v3, vcc
	s_branch .LBB30_1276
.LBB30_1275:
	s_mov_b64 s[0:1], -1
                                        ; implicit-def: $vgpr2
.LBB30_1276:
	s_mov_b64 s[20:21], 0
.LBB30_1277:
	s_and_b64 vcc, exec, s[20:21]
	s_cbranch_vccz .LBB30_1281
; %bb.1278:
	s_cmp_eq_u32 s22, 29
	s_cbranch_scc0 .LBB30_1280
; %bb.1279:
	global_load_dwordx2 v[2:3], v[0:1], off
	s_mov_b64 s[0:1], 0
	s_mov_b64 s[6:7], -1
	s_branch .LBB30_1281
.LBB30_1280:
	s_mov_b64 s[0:1], -1
                                        ; implicit-def: $vgpr2
.LBB30_1281:
	s_mov_b64 s[20:21], 0
.LBB30_1282:
	s_and_b64 vcc, exec, s[20:21]
	s_cbranch_vccz .LBB30_1298
; %bb.1283:
	s_cmp_lt_i32 s22, 27
	s_cbranch_scc1 .LBB30_1286
; %bb.1284:
	s_cmp_gt_i32 s22, 27
	s_cbranch_scc0 .LBB30_1287
; %bb.1285:
	global_load_dword v2, v[0:1], off
	s_mov_b64 s[6:7], 0
	s_branch .LBB30_1288
.LBB30_1286:
	s_mov_b64 s[6:7], -1
                                        ; implicit-def: $vgpr2
	s_branch .LBB30_1291
.LBB30_1287:
	s_mov_b64 s[6:7], -1
                                        ; implicit-def: $vgpr2
.LBB30_1288:
	s_andn2_b64 vcc, exec, s[6:7]
	s_cbranch_vccnz .LBB30_1290
; %bb.1289:
	global_load_ushort v2, v[0:1], off
.LBB30_1290:
	s_mov_b64 s[6:7], 0
.LBB30_1291:
	s_andn2_b64 vcc, exec, s[6:7]
	s_cbranch_vccnz .LBB30_1297
; %bb.1292:
	global_load_ubyte v3, v[0:1], off
	s_movk_i32 s6, 0x7f
	s_mov_b64 s[20:21], 0
	s_waitcnt vmcnt(0)
	v_cmp_lt_i16_e32 vcc, s6, v3
	s_and_saveexec_b64 s[6:7], vcc
	s_xor_b64 s[6:7], exec, s[6:7]
	s_cbranch_execz .LBB30_1309
; %bb.1293:
	s_movk_i32 s20, 0x80
	v_cmp_ne_u16_e32 vcc, s20, v3
	s_and_b64 s[20:21], vcc, exec
	s_andn2_saveexec_b64 s[6:7], s[6:7]
	s_cbranch_execnz .LBB30_1310
.LBB30_1294:
	s_or_b64 exec, exec, s[6:7]
	v_mov_b32_e32 v2, 0
	s_and_saveexec_b64 s[6:7], s[20:21]
	s_cbranch_execz .LBB30_1296
.LBB30_1295:
	v_lshlrev_b32_e32 v2, 24, v3
	v_and_b32_e32 v3, 0xffff, v3
	v_and_b32_e32 v7, 7, v3
	v_ffbh_u32_e32 v10, v7
	v_min_u32_e32 v10, 32, v10
	v_subrev_u32_e32 v11, 28, v10
	v_bfe_u32 v8, v3, 3, 4
	v_lshlrev_b32_e32 v3, v11, v3
	v_sub_u32_e32 v10, 29, v10
	v_and_b32_e32 v3, 7, v3
	v_cmp_eq_u32_e32 vcc, 0, v8
	v_cndmask_b32_e32 v8, v8, v10, vcc
	v_cndmask_b32_e32 v3, v7, v3, vcc
	v_mov_b32_e32 v7, 0x3b800000
	v_lshlrev_b32_e32 v3, 20, v3
	v_and_b32_e32 v2, 0x80000000, v2
	v_lshl_add_u32 v7, v8, 23, v7
	v_or3_b32 v2, v2, v7, v3
	v_cvt_i32_f32_e32 v2, v2
.LBB30_1296:
	s_or_b64 exec, exec, s[6:7]
.LBB30_1297:
	s_mov_b64 s[6:7], -1
.LBB30_1298:
	s_mov_b64 s[20:21], 0
.LBB30_1299:
	s_and_b64 vcc, exec, s[20:21]
	s_cbranch_vccz .LBB30_1330
; %bb.1300:
	s_cmp_gt_i32 s22, 22
	s_cbranch_scc0 .LBB30_1308
; %bb.1301:
	s_cmp_lt_i32 s22, 24
	s_cbranch_scc1 .LBB30_1311
; %bb.1302:
	s_cmp_gt_i32 s22, 24
	s_cbranch_scc0 .LBB30_1312
; %bb.1303:
	global_load_ubyte v3, v[0:1], off
	s_movk_i32 s2, 0x7f
	s_mov_b64 s[6:7], 0
	s_waitcnt vmcnt(0)
	v_cmp_lt_i16_e32 vcc, s2, v3
	s_and_saveexec_b64 s[2:3], vcc
	s_xor_b64 s[2:3], exec, s[2:3]
	s_cbranch_execz .LBB30_1324
; %bb.1304:
	s_movk_i32 s6, 0x80
	v_cmp_ne_u16_e32 vcc, s6, v3
	s_and_b64 s[6:7], vcc, exec
	s_andn2_saveexec_b64 s[2:3], s[2:3]
	s_cbranch_execnz .LBB30_1325
.LBB30_1305:
	s_or_b64 exec, exec, s[2:3]
	v_mov_b32_e32 v2, 0
	s_and_saveexec_b64 s[2:3], s[6:7]
	s_cbranch_execz .LBB30_1307
.LBB30_1306:
	v_lshlrev_b32_e32 v2, 24, v3
	v_and_b32_e32 v3, 0xffff, v3
	v_and_b32_e32 v7, 3, v3
	v_ffbh_u32_e32 v10, v7
	v_min_u32_e32 v10, 32, v10
	v_subrev_u32_e32 v11, 29, v10
	v_bfe_u32 v8, v3, 2, 5
	v_lshlrev_b32_e32 v3, v11, v3
	v_sub_u32_e32 v10, 30, v10
	v_and_b32_e32 v3, 3, v3
	v_cmp_eq_u32_e32 vcc, 0, v8
	v_cndmask_b32_e32 v8, v8, v10, vcc
	v_cndmask_b32_e32 v3, v7, v3, vcc
	v_mov_b32_e32 v7, 0x37800000
	v_lshlrev_b32_e32 v3, 21, v3
	v_and_b32_e32 v2, 0x80000000, v2
	v_lshl_add_u32 v7, v8, 23, v7
	v_or3_b32 v2, v2, v7, v3
	v_cvt_i32_f32_e32 v2, v2
.LBB30_1307:
	s_or_b64 exec, exec, s[2:3]
	s_mov_b64 s[2:3], 0
	s_branch .LBB30_1313
.LBB30_1308:
	s_mov_b64 s[2:3], -1
                                        ; implicit-def: $vgpr2
	s_branch .LBB30_1319
.LBB30_1309:
	s_andn2_saveexec_b64 s[6:7], s[6:7]
	s_cbranch_execz .LBB30_1294
.LBB30_1310:
	v_cmp_ne_u16_e32 vcc, 0, v3
	s_andn2_b64 s[20:21], s[20:21], exec
	s_and_b64 s[24:25], vcc, exec
	s_or_b64 s[20:21], s[20:21], s[24:25]
	s_or_b64 exec, exec, s[6:7]
	v_mov_b32_e32 v2, 0
	s_and_saveexec_b64 s[6:7], s[20:21]
	s_cbranch_execnz .LBB30_1295
	s_branch .LBB30_1296
.LBB30_1311:
	s_mov_b64 s[2:3], -1
                                        ; implicit-def: $vgpr2
	s_branch .LBB30_1316
.LBB30_1312:
	s_mov_b64 s[2:3], -1
                                        ; implicit-def: $vgpr2
.LBB30_1313:
	s_and_b64 vcc, exec, s[2:3]
	s_cbranch_vccz .LBB30_1315
; %bb.1314:
	global_load_ubyte v2, v[0:1], off
	s_mov_b32 s2, 0x7f800000
	s_waitcnt vmcnt(0)
	v_lshlrev_b32_e32 v2, 24, v2
	v_and_b32_e32 v3, 0x7f000000, v2
	v_ffbh_u32_e32 v7, v3
	v_min_u32_e32 v7, 32, v7
	v_sub_u32_e64 v7, v7, 4 clamp
	v_lshlrev_b32_e32 v10, v7, v3
	v_lshlrev_b32_e32 v7, 23, v7
	v_lshrrev_b32_e32 v10, 4, v10
	v_add_u32_e32 v8, 0x1000000, v3
	v_sub_u32_e32 v7, v10, v7
	v_ashrrev_i32_e32 v8, 8, v8
	v_add_u32_e32 v7, 0x3c000000, v7
	v_and_or_b32 v7, v8, s2, v7
	v_cmp_ne_u32_e32 vcc, 0, v3
	v_cndmask_b32_e32 v3, 0, v7, vcc
	s_brev_b32 s2, 1
	v_and_or_b32 v2, v2, s2, v3
	v_cvt_i32_f32_e32 v2, v2
.LBB30_1315:
	s_mov_b64 s[2:3], 0
.LBB30_1316:
	s_andn2_b64 vcc, exec, s[2:3]
	s_cbranch_vccnz .LBB30_1318
; %bb.1317:
	global_load_ubyte v2, v[0:1], off
	s_movk_i32 s2, 0x7f00
	s_brev_b32 s3, 16
	s_waitcnt vmcnt(0)
	v_lshlrev_b16_e32 v3, 8, v2
	v_lshlrev_b32_e32 v2, 25, v2
	v_lshrrev_b32_e32 v7, 4, v2
	v_and_or_b32 v8, v3, s2, 0.5
	v_or_b32_e32 v7, 0x70000000, v7
	v_add_f32_e32 v8, -0.5, v8
	v_mul_f32_e32 v7, 0x7800000, v7
	v_cmp_gt_u32_e32 vcc, s3, v2
	v_bfe_i32 v3, v3, 0, 16
	v_cndmask_b32_e32 v2, v7, v8, vcc
	s_brev_b32 s2, 1
	v_and_or_b32 v2, v3, s2, v2
	v_cvt_i32_f32_e32 v2, v2
.LBB30_1318:
	s_mov_b64 s[2:3], 0
	s_mov_b64 s[6:7], -1
.LBB30_1319:
	s_andn2_b64 vcc, exec, s[2:3]
	s_mov_b64 s[2:3], 0
	s_cbranch_vccnz .LBB30_1330
; %bb.1320:
	s_cmp_gt_i32 s22, 14
	s_cbranch_scc0 .LBB30_1323
; %bb.1321:
	s_cmp_eq_u32 s22, 15
	s_cbranch_scc0 .LBB30_1326
; %bb.1322:
	global_load_ushort v2, v[0:1], off
	s_mov_b64 s[0:1], 0
	s_mov_b64 s[6:7], -1
	s_waitcnt vmcnt(0)
	v_lshlrev_b32_e32 v2, 16, v2
	v_cvt_i32_f32_e32 v2, v2
	s_branch .LBB30_1327
.LBB30_1323:
	s_mov_b64 s[20:21], -1
                                        ; implicit-def: $vgpr2
	s_branch .LBB30_1328
.LBB30_1324:
	s_andn2_saveexec_b64 s[2:3], s[2:3]
	s_cbranch_execz .LBB30_1305
.LBB30_1325:
	v_cmp_ne_u16_e32 vcc, 0, v3
	s_andn2_b64 s[6:7], s[6:7], exec
	s_and_b64 s[20:21], vcc, exec
	s_or_b64 s[6:7], s[6:7], s[20:21]
	s_or_b64 exec, exec, s[2:3]
	v_mov_b32_e32 v2, 0
	s_and_saveexec_b64 s[2:3], s[6:7]
	s_cbranch_execnz .LBB30_1306
	s_branch .LBB30_1307
.LBB30_1326:
	s_mov_b64 s[0:1], -1
                                        ; implicit-def: $vgpr2
.LBB30_1327:
	s_mov_b64 s[20:21], 0
.LBB30_1328:
	s_and_b64 vcc, exec, s[20:21]
	s_cbranch_vccz .LBB30_1330
; %bb.1329:
	s_cmp_lg_u32 s22, 11
	s_mov_b64 s[2:3], -1
	s_cselect_b64 s[0:1], -1, 0
.LBB30_1330:
	s_and_b64 vcc, exec, s[0:1]
	s_cbranch_vccnz .LBB30_1393
; %bb.1331:
	s_andn2_b64 vcc, exec, s[2:3]
	s_cbranch_vccnz .LBB30_1333
.LBB30_1332:
	global_load_ubyte v2, v[0:1], off
	s_mov_b64 s[6:7], -1
	s_waitcnt vmcnt(0)
	v_cmp_ne_u16_e32 vcc, 0, v2
	v_cndmask_b32_e64 v2, 0, 1, vcc
.LBB30_1333:
	s_branch .LBB30_1265
.LBB30_1334:
	s_and_b32 s2, 0xffff, s5
	s_cmp_lt_i32 s2, 5
	s_cbranch_scc1 .LBB30_1339
; %bb.1335:
	s_cmp_lt_i32 s2, 8
	s_cbranch_scc1 .LBB30_1340
; %bb.1336:
	s_cmp_lt_i32 s2, 9
	s_cbranch_scc1 .LBB30_1341
; %bb.1337:
	s_cmp_gt_i32 s2, 9
	s_cbranch_scc0 .LBB30_1342
; %bb.1338:
	global_load_dwordx2 v[2:3], v[0:1], off
	s_mov_b64 s[0:1], 0
	s_waitcnt vmcnt(0)
	v_cvt_i32_f64_e32 v2, v[2:3]
	s_branch .LBB30_1343
.LBB30_1339:
	s_mov_b64 s[0:1], -1
                                        ; implicit-def: $vgpr2
	s_branch .LBB30_1361
.LBB30_1340:
	s_mov_b64 s[0:1], -1
                                        ; implicit-def: $vgpr2
	s_branch .LBB30_1349
.LBB30_1341:
	s_mov_b64 s[0:1], -1
                                        ; implicit-def: $vgpr2
	s_branch .LBB30_1346
.LBB30_1342:
	s_mov_b64 s[0:1], -1
                                        ; implicit-def: $vgpr2
.LBB30_1343:
	s_andn2_b64 vcc, exec, s[0:1]
	s_cbranch_vccnz .LBB30_1345
; %bb.1344:
	global_load_dword v2, v[0:1], off
	s_waitcnt vmcnt(0)
	v_cvt_i32_f32_e32 v2, v2
.LBB30_1345:
	s_mov_b64 s[0:1], 0
.LBB30_1346:
	s_andn2_b64 vcc, exec, s[0:1]
	s_cbranch_vccnz .LBB30_1348
; %bb.1347:
	global_load_dword v2, v[0:1], off
	s_waitcnt vmcnt(0)
	v_cvt_i16_f16_e32 v2, v2
.LBB30_1348:
	s_mov_b64 s[0:1], 0
.LBB30_1349:
	s_andn2_b64 vcc, exec, s[0:1]
	s_cbranch_vccnz .LBB30_1360
; %bb.1350:
	s_cmp_lt_i32 s2, 6
	s_cbranch_scc1 .LBB30_1353
; %bb.1351:
	s_cmp_gt_i32 s2, 6
	s_cbranch_scc0 .LBB30_1354
; %bb.1352:
	global_load_dwordx2 v[2:3], v[0:1], off
	s_mov_b64 s[0:1], 0
	s_waitcnt vmcnt(0)
	v_cvt_i32_f64_e32 v2, v[2:3]
	s_branch .LBB30_1355
.LBB30_1353:
	s_mov_b64 s[0:1], -1
                                        ; implicit-def: $vgpr2
	s_branch .LBB30_1358
.LBB30_1354:
	s_mov_b64 s[0:1], -1
                                        ; implicit-def: $vgpr2
.LBB30_1355:
	s_andn2_b64 vcc, exec, s[0:1]
	s_cbranch_vccnz .LBB30_1357
; %bb.1356:
	global_load_dword v2, v[0:1], off
	s_waitcnt vmcnt(0)
	v_cvt_i32_f32_e32 v2, v2
.LBB30_1357:
	s_mov_b64 s[0:1], 0
.LBB30_1358:
	s_andn2_b64 vcc, exec, s[0:1]
	s_cbranch_vccnz .LBB30_1360
; %bb.1359:
	global_load_ushort v2, v[0:1], off
	s_waitcnt vmcnt(0)
	v_cvt_i16_f16_e32 v2, v2
.LBB30_1360:
	s_mov_b64 s[0:1], 0
.LBB30_1361:
	s_andn2_b64 vcc, exec, s[0:1]
	s_cbranch_vccnz .LBB30_1381
; %bb.1362:
	s_cmp_lt_i32 s2, 2
	s_cbranch_scc1 .LBB30_1366
; %bb.1363:
	s_cmp_lt_i32 s2, 3
	s_cbranch_scc1 .LBB30_1367
; %bb.1364:
	s_cmp_gt_i32 s2, 3
	s_cbranch_scc0 .LBB30_1368
; %bb.1365:
	global_load_dwordx2 v[2:3], v[0:1], off
	s_mov_b64 s[0:1], 0
	s_branch .LBB30_1369
.LBB30_1366:
	s_mov_b64 s[0:1], -1
                                        ; implicit-def: $vgpr2
	s_branch .LBB30_1375
.LBB30_1367:
	s_mov_b64 s[0:1], -1
                                        ; implicit-def: $vgpr2
	s_branch .LBB30_1372
.LBB30_1368:
	s_mov_b64 s[0:1], -1
                                        ; implicit-def: $vgpr2
.LBB30_1369:
	s_andn2_b64 vcc, exec, s[0:1]
	s_cbranch_vccnz .LBB30_1371
; %bb.1370:
	global_load_dword v2, v[0:1], off
.LBB30_1371:
	s_mov_b64 s[0:1], 0
.LBB30_1372:
	s_andn2_b64 vcc, exec, s[0:1]
	s_cbranch_vccnz .LBB30_1374
; %bb.1373:
	global_load_ushort v2, v[0:1], off
.LBB30_1374:
	s_mov_b64 s[0:1], 0
.LBB30_1375:
	s_andn2_b64 vcc, exec, s[0:1]
	s_cbranch_vccnz .LBB30_1381
; %bb.1376:
	s_cmp_gt_i32 s2, 0
	s_cbranch_scc0 .LBB30_1378
; %bb.1377:
	global_load_ubyte v2, v[0:1], off
	s_mov_b64 s[0:1], 0
	s_branch .LBB30_1379
.LBB30_1378:
	s_mov_b64 s[0:1], -1
                                        ; implicit-def: $vgpr2
.LBB30_1379:
	s_andn2_b64 vcc, exec, s[0:1]
	s_cbranch_vccnz .LBB30_1381
; %bb.1380:
	global_load_ubyte v2, v[0:1], off
.LBB30_1381:
.LBB30_1382:
	v_add_u32_e32 v0, s13, v5
	v_ashrrev_i32_e32 v1, 31, v0
	s_waitcnt vmcnt(0)
	v_mov_b32_e32 v3, s11
	v_add_co_u32_e32 v7, vcc, s10, v0
	s_cmp_lt_i32 s5, 11
	v_addc_co_u32_e32 v8, vcc, v3, v1, vcc
	s_cbranch_scc1 .LBB30_1389
; %bb.1383:
	s_and_b32 s13, 0xffff, s5
	s_cmp_gt_i32 s13, 25
	s_mov_b64 s[2:3], 0
	s_cbranch_scc0 .LBB30_1390
; %bb.1384:
	s_cmp_gt_i32 s13, 28
	s_cbranch_scc0 .LBB30_1391
; %bb.1385:
	s_cmp_gt_i32 s13, 43
	;; [unrolled: 3-line block ×3, first 2 shown]
	s_cbranch_scc0 .LBB30_1394
; %bb.1387:
	s_cmp_eq_u32 s13, 46
	s_mov_b64 s[10:11], 0
	s_cbranch_scc0 .LBB30_1395
; %bb.1388:
	global_load_dword v0, v[7:8], off
	s_mov_b64 s[0:1], 0
	s_mov_b64 s[6:7], -1
	s_waitcnt vmcnt(0)
	v_lshlrev_b32_e32 v0, 16, v0
	v_cvt_i32_f32_e32 v0, v0
	s_branch .LBB30_1396
.LBB30_1389:
	s_mov_b64 s[0:1], -1
	s_mov_b64 s[6:7], 0
                                        ; implicit-def: $vgpr0
	s_branch .LBB30_1458
.LBB30_1390:
	s_mov_b64 s[10:11], -1
	s_mov_b64 s[6:7], 0
	s_mov_b64 s[0:1], 0
                                        ; implicit-def: $vgpr0
	s_branch .LBB30_1423
.LBB30_1391:
	s_mov_b64 s[10:11], -1
	s_mov_b64 s[6:7], 0
	s_mov_b64 s[0:1], 0
                                        ; implicit-def: $vgpr0
	s_branch .LBB30_1406
.LBB30_1392:
	s_mov_b64 s[10:11], -1
	s_mov_b64 s[6:7], 0
	s_mov_b64 s[0:1], 0
                                        ; implicit-def: $vgpr0
	s_branch .LBB30_1401
.LBB30_1393:
	s_trap 2
	s_or_b64 s[14:15], s[14:15], exec
	s_cbranch_execz .LBB30_1332
	s_branch .LBB30_1333
.LBB30_1394:
	s_mov_b64 s[10:11], -1
	s_mov_b64 s[6:7], 0
	s_mov_b64 s[0:1], 0
                                        ; implicit-def: $vgpr0
	s_branch .LBB30_1396
.LBB30_1395:
	s_mov_b64 s[0:1], -1
                                        ; implicit-def: $vgpr0
	s_mov_b64 s[6:7], 0
.LBB30_1396:
	s_and_b64 vcc, exec, s[10:11]
	s_cbranch_vccz .LBB30_1400
; %bb.1397:
	s_cmp_eq_u32 s13, 44
	s_cbranch_scc0 .LBB30_1399
; %bb.1398:
	global_load_ubyte v0, v[7:8], off
	s_mov_b64 s[0:1], 0
	s_mov_b64 s[6:7], -1
	s_waitcnt vmcnt(0)
	v_lshlrev_b32_e32 v1, 23, v0
	v_cvt_i32_f32_e32 v1, v1
	v_cmp_ne_u32_e32 vcc, 0, v0
	v_cndmask_b32_e32 v0, 0, v1, vcc
	s_branch .LBB30_1400
.LBB30_1399:
	s_mov_b64 s[0:1], -1
                                        ; implicit-def: $vgpr0
.LBB30_1400:
	s_mov_b64 s[10:11], 0
.LBB30_1401:
	s_and_b64 vcc, exec, s[10:11]
	s_cbranch_vccz .LBB30_1405
; %bb.1402:
	s_cmp_eq_u32 s13, 29
	s_cbranch_scc0 .LBB30_1404
; %bb.1403:
	global_load_dwordx2 v[0:1], v[7:8], off
	s_mov_b64 s[0:1], 0
	s_mov_b64 s[6:7], -1
	s_branch .LBB30_1405
.LBB30_1404:
	s_mov_b64 s[0:1], -1
                                        ; implicit-def: $vgpr0
.LBB30_1405:
	s_mov_b64 s[10:11], 0
.LBB30_1406:
	s_and_b64 vcc, exec, s[10:11]
	s_cbranch_vccz .LBB30_1422
; %bb.1407:
	s_cmp_lt_i32 s13, 27
	s_cbranch_scc1 .LBB30_1410
; %bb.1408:
	s_cmp_gt_i32 s13, 27
	s_cbranch_scc0 .LBB30_1411
; %bb.1409:
	global_load_dword v0, v[7:8], off
	s_mov_b64 s[6:7], 0
	s_branch .LBB30_1412
.LBB30_1410:
	s_mov_b64 s[6:7], -1
                                        ; implicit-def: $vgpr0
	s_branch .LBB30_1415
.LBB30_1411:
	s_mov_b64 s[6:7], -1
                                        ; implicit-def: $vgpr0
.LBB30_1412:
	s_andn2_b64 vcc, exec, s[6:7]
	s_cbranch_vccnz .LBB30_1414
; %bb.1413:
	global_load_ushort v0, v[7:8], off
.LBB30_1414:
	s_mov_b64 s[6:7], 0
.LBB30_1415:
	s_andn2_b64 vcc, exec, s[6:7]
	s_cbranch_vccnz .LBB30_1421
; %bb.1416:
	global_load_ubyte v1, v[7:8], off
	s_movk_i32 s6, 0x7f
	s_mov_b64 s[10:11], 0
	s_waitcnt vmcnt(0)
	v_cmp_lt_i16_e32 vcc, s6, v1
	s_and_saveexec_b64 s[6:7], vcc
	s_xor_b64 s[6:7], exec, s[6:7]
	s_cbranch_execz .LBB30_1433
; %bb.1417:
	s_movk_i32 s10, 0x80
	v_cmp_ne_u16_e32 vcc, s10, v1
	s_and_b64 s[10:11], vcc, exec
	s_andn2_saveexec_b64 s[6:7], s[6:7]
	s_cbranch_execnz .LBB30_1434
.LBB30_1418:
	s_or_b64 exec, exec, s[6:7]
	v_mov_b32_e32 v0, 0
	s_and_saveexec_b64 s[6:7], s[10:11]
	s_cbranch_execz .LBB30_1420
.LBB30_1419:
	v_lshlrev_b32_e32 v0, 24, v1
	v_and_b32_e32 v1, 0xffff, v1
	v_and_b32_e32 v3, 7, v1
	v_ffbh_u32_e32 v10, v3
	v_min_u32_e32 v10, 32, v10
	v_subrev_u32_e32 v11, 28, v10
	v_bfe_u32 v5, v1, 3, 4
	v_lshlrev_b32_e32 v1, v11, v1
	v_sub_u32_e32 v10, 29, v10
	v_and_b32_e32 v1, 7, v1
	v_cmp_eq_u32_e32 vcc, 0, v5
	v_cndmask_b32_e32 v5, v5, v10, vcc
	v_cndmask_b32_e32 v1, v3, v1, vcc
	v_mov_b32_e32 v3, 0x3b800000
	v_lshlrev_b32_e32 v1, 20, v1
	v_and_b32_e32 v0, 0x80000000, v0
	v_lshl_add_u32 v3, v5, 23, v3
	v_or3_b32 v0, v0, v3, v1
	v_cvt_i32_f32_e32 v0, v0
.LBB30_1420:
	s_or_b64 exec, exec, s[6:7]
.LBB30_1421:
	s_mov_b64 s[6:7], -1
.LBB30_1422:
	s_mov_b64 s[10:11], 0
.LBB30_1423:
	s_and_b64 vcc, exec, s[10:11]
	s_cbranch_vccz .LBB30_1454
; %bb.1424:
	s_cmp_gt_i32 s13, 22
	s_cbranch_scc0 .LBB30_1432
; %bb.1425:
	s_cmp_lt_i32 s13, 24
	s_cbranch_scc1 .LBB30_1435
; %bb.1426:
	s_cmp_gt_i32 s13, 24
	s_cbranch_scc0 .LBB30_1436
; %bb.1427:
	global_load_ubyte v1, v[7:8], off
	s_movk_i32 s2, 0x7f
	s_mov_b64 s[6:7], 0
	s_waitcnt vmcnt(0)
	v_cmp_lt_i16_e32 vcc, s2, v1
	s_and_saveexec_b64 s[2:3], vcc
	s_xor_b64 s[2:3], exec, s[2:3]
	s_cbranch_execz .LBB30_1448
; %bb.1428:
	s_movk_i32 s6, 0x80
	v_cmp_ne_u16_e32 vcc, s6, v1
	s_and_b64 s[6:7], vcc, exec
	s_andn2_saveexec_b64 s[2:3], s[2:3]
	s_cbranch_execnz .LBB30_1449
.LBB30_1429:
	s_or_b64 exec, exec, s[2:3]
	v_mov_b32_e32 v0, 0
	s_and_saveexec_b64 s[2:3], s[6:7]
	s_cbranch_execz .LBB30_1431
.LBB30_1430:
	v_lshlrev_b32_e32 v0, 24, v1
	v_and_b32_e32 v1, 0xffff, v1
	v_and_b32_e32 v3, 3, v1
	v_ffbh_u32_e32 v10, v3
	v_min_u32_e32 v10, 32, v10
	v_subrev_u32_e32 v11, 29, v10
	v_bfe_u32 v5, v1, 2, 5
	v_lshlrev_b32_e32 v1, v11, v1
	v_sub_u32_e32 v10, 30, v10
	v_and_b32_e32 v1, 3, v1
	v_cmp_eq_u32_e32 vcc, 0, v5
	v_cndmask_b32_e32 v5, v5, v10, vcc
	v_cndmask_b32_e32 v1, v3, v1, vcc
	v_mov_b32_e32 v3, 0x37800000
	v_lshlrev_b32_e32 v1, 21, v1
	v_and_b32_e32 v0, 0x80000000, v0
	v_lshl_add_u32 v3, v5, 23, v3
	v_or3_b32 v0, v0, v3, v1
	v_cvt_i32_f32_e32 v0, v0
.LBB30_1431:
	s_or_b64 exec, exec, s[2:3]
	s_mov_b64 s[2:3], 0
	s_branch .LBB30_1437
.LBB30_1432:
	s_mov_b64 s[2:3], -1
                                        ; implicit-def: $vgpr0
	s_branch .LBB30_1443
.LBB30_1433:
	s_andn2_saveexec_b64 s[6:7], s[6:7]
	s_cbranch_execz .LBB30_1418
.LBB30_1434:
	v_cmp_ne_u16_e32 vcc, 0, v1
	s_andn2_b64 s[10:11], s[10:11], exec
	s_and_b64 s[20:21], vcc, exec
	s_or_b64 s[10:11], s[10:11], s[20:21]
	s_or_b64 exec, exec, s[6:7]
	v_mov_b32_e32 v0, 0
	s_and_saveexec_b64 s[6:7], s[10:11]
	s_cbranch_execnz .LBB30_1419
	s_branch .LBB30_1420
.LBB30_1435:
	s_mov_b64 s[2:3], -1
                                        ; implicit-def: $vgpr0
	s_branch .LBB30_1440
.LBB30_1436:
	s_mov_b64 s[2:3], -1
                                        ; implicit-def: $vgpr0
.LBB30_1437:
	s_and_b64 vcc, exec, s[2:3]
	s_cbranch_vccz .LBB30_1439
; %bb.1438:
	global_load_ubyte v0, v[7:8], off
	s_mov_b32 s2, 0x7f800000
	s_waitcnt vmcnt(0)
	v_lshlrev_b32_e32 v0, 24, v0
	v_and_b32_e32 v1, 0x7f000000, v0
	v_ffbh_u32_e32 v3, v1
	v_min_u32_e32 v3, 32, v3
	v_sub_u32_e64 v3, v3, 4 clamp
	v_lshlrev_b32_e32 v10, v3, v1
	v_lshlrev_b32_e32 v3, 23, v3
	v_lshrrev_b32_e32 v10, 4, v10
	v_add_u32_e32 v5, 0x1000000, v1
	v_sub_u32_e32 v3, v10, v3
	v_ashrrev_i32_e32 v5, 8, v5
	v_add_u32_e32 v3, 0x3c000000, v3
	v_and_or_b32 v3, v5, s2, v3
	v_cmp_ne_u32_e32 vcc, 0, v1
	v_cndmask_b32_e32 v1, 0, v3, vcc
	s_brev_b32 s2, 1
	v_and_or_b32 v0, v0, s2, v1
	v_cvt_i32_f32_e32 v0, v0
.LBB30_1439:
	s_mov_b64 s[2:3], 0
.LBB30_1440:
	s_andn2_b64 vcc, exec, s[2:3]
	s_cbranch_vccnz .LBB30_1442
; %bb.1441:
	global_load_ubyte v0, v[7:8], off
	s_movk_i32 s2, 0x7f00
	s_brev_b32 s3, 16
	s_waitcnt vmcnt(0)
	v_lshlrev_b16_e32 v1, 8, v0
	v_lshlrev_b32_e32 v0, 25, v0
	v_lshrrev_b32_e32 v3, 4, v0
	v_and_or_b32 v5, v1, s2, 0.5
	v_or_b32_e32 v3, 0x70000000, v3
	v_add_f32_e32 v5, -0.5, v5
	v_mul_f32_e32 v3, 0x7800000, v3
	v_cmp_gt_u32_e32 vcc, s3, v0
	v_bfe_i32 v1, v1, 0, 16
	v_cndmask_b32_e32 v0, v3, v5, vcc
	s_brev_b32 s2, 1
	v_and_or_b32 v0, v1, s2, v0
	v_cvt_i32_f32_e32 v0, v0
.LBB30_1442:
	s_mov_b64 s[2:3], 0
	s_mov_b64 s[6:7], -1
.LBB30_1443:
	s_andn2_b64 vcc, exec, s[2:3]
	s_mov_b64 s[2:3], 0
	s_cbranch_vccnz .LBB30_1454
; %bb.1444:
	s_cmp_gt_i32 s13, 14
	s_cbranch_scc0 .LBB30_1447
; %bb.1445:
	s_cmp_eq_u32 s13, 15
	s_cbranch_scc0 .LBB30_1450
; %bb.1446:
	global_load_ushort v0, v[7:8], off
	s_mov_b64 s[0:1], 0
	s_mov_b64 s[6:7], -1
	s_waitcnt vmcnt(0)
	v_lshlrev_b32_e32 v0, 16, v0
	v_cvt_i32_f32_e32 v0, v0
	s_branch .LBB30_1451
.LBB30_1447:
	s_mov_b64 s[10:11], -1
                                        ; implicit-def: $vgpr0
	s_branch .LBB30_1452
.LBB30_1448:
	s_andn2_saveexec_b64 s[2:3], s[2:3]
	s_cbranch_execz .LBB30_1429
.LBB30_1449:
	v_cmp_ne_u16_e32 vcc, 0, v1
	s_andn2_b64 s[6:7], s[6:7], exec
	s_and_b64 s[10:11], vcc, exec
	s_or_b64 s[6:7], s[6:7], s[10:11]
	s_or_b64 exec, exec, s[2:3]
	v_mov_b32_e32 v0, 0
	s_and_saveexec_b64 s[2:3], s[6:7]
	s_cbranch_execnz .LBB30_1430
	s_branch .LBB30_1431
.LBB30_1450:
	s_mov_b64 s[0:1], -1
                                        ; implicit-def: $vgpr0
.LBB30_1451:
	s_mov_b64 s[10:11], 0
.LBB30_1452:
	s_and_b64 vcc, exec, s[10:11]
	s_cbranch_vccz .LBB30_1454
; %bb.1453:
	s_cmp_lg_u32 s13, 11
	s_mov_b64 s[2:3], -1
	s_cselect_b64 s[0:1], -1, 0
.LBB30_1454:
	s_and_b64 vcc, exec, s[0:1]
	s_cbranch_vccnz .LBB30_1987
; %bb.1455:
	s_andn2_b64 vcc, exec, s[2:3]
	s_cbranch_vccnz .LBB30_1457
.LBB30_1456:
	global_load_ubyte v0, v[7:8], off
	s_mov_b64 s[6:7], -1
	s_waitcnt vmcnt(0)
	v_cmp_ne_u16_e32 vcc, 0, v0
	v_cndmask_b32_e64 v0, 0, 1, vcc
.LBB30_1457:
	s_mov_b64 s[0:1], 0
.LBB30_1458:
	s_and_b64 vcc, exec, s[0:1]
	s_cbranch_vccz .LBB30_1507
; %bb.1459:
	s_and_b32 s2, 0xffff, s5
	s_cmp_lt_i32 s2, 5
	s_cbranch_scc1 .LBB30_1464
; %bb.1460:
	s_cmp_lt_i32 s2, 8
	s_cbranch_scc1 .LBB30_1465
; %bb.1461:
	;; [unrolled: 3-line block ×3, first 2 shown]
	s_cmp_gt_i32 s2, 9
	s_cbranch_scc0 .LBB30_1467
; %bb.1463:
	global_load_dwordx2 v[0:1], v[7:8], off
	s_mov_b64 s[0:1], 0
	s_waitcnt vmcnt(0)
	v_cvt_i32_f64_e32 v0, v[0:1]
	s_branch .LBB30_1468
.LBB30_1464:
	s_mov_b64 s[0:1], -1
                                        ; implicit-def: $vgpr0
	s_branch .LBB30_1486
.LBB30_1465:
	s_mov_b64 s[0:1], -1
                                        ; implicit-def: $vgpr0
	s_branch .LBB30_1474
.LBB30_1466:
	s_mov_b64 s[0:1], -1
                                        ; implicit-def: $vgpr0
	s_branch .LBB30_1471
.LBB30_1467:
	s_mov_b64 s[0:1], -1
                                        ; implicit-def: $vgpr0
.LBB30_1468:
	s_andn2_b64 vcc, exec, s[0:1]
	s_cbranch_vccnz .LBB30_1470
; %bb.1469:
	global_load_dword v0, v[7:8], off
	s_waitcnt vmcnt(0)
	v_cvt_i32_f32_e32 v0, v0
.LBB30_1470:
	s_mov_b64 s[0:1], 0
.LBB30_1471:
	s_andn2_b64 vcc, exec, s[0:1]
	s_cbranch_vccnz .LBB30_1473
; %bb.1472:
	global_load_dword v0, v[7:8], off
	s_waitcnt vmcnt(0)
	v_cvt_i16_f16_e32 v0, v0
.LBB30_1473:
	s_mov_b64 s[0:1], 0
.LBB30_1474:
	s_andn2_b64 vcc, exec, s[0:1]
	s_cbranch_vccnz .LBB30_1485
; %bb.1475:
	s_cmp_lt_i32 s2, 6
	s_cbranch_scc1 .LBB30_1478
; %bb.1476:
	s_cmp_gt_i32 s2, 6
	s_cbranch_scc0 .LBB30_1479
; %bb.1477:
	global_load_dwordx2 v[0:1], v[7:8], off
	s_mov_b64 s[0:1], 0
	s_waitcnt vmcnt(0)
	v_cvt_i32_f64_e32 v0, v[0:1]
	s_branch .LBB30_1480
.LBB30_1478:
	s_mov_b64 s[0:1], -1
                                        ; implicit-def: $vgpr0
	s_branch .LBB30_1483
.LBB30_1479:
	s_mov_b64 s[0:1], -1
                                        ; implicit-def: $vgpr0
.LBB30_1480:
	s_andn2_b64 vcc, exec, s[0:1]
	s_cbranch_vccnz .LBB30_1482
; %bb.1481:
	global_load_dword v0, v[7:8], off
	s_waitcnt vmcnt(0)
	v_cvt_i32_f32_e32 v0, v0
.LBB30_1482:
	s_mov_b64 s[0:1], 0
.LBB30_1483:
	s_andn2_b64 vcc, exec, s[0:1]
	s_cbranch_vccnz .LBB30_1485
; %bb.1484:
	global_load_ushort v0, v[7:8], off
	s_waitcnt vmcnt(0)
	v_cvt_i16_f16_e32 v0, v0
.LBB30_1485:
	s_mov_b64 s[0:1], 0
.LBB30_1486:
	s_andn2_b64 vcc, exec, s[0:1]
	s_cbranch_vccnz .LBB30_1506
; %bb.1487:
	s_cmp_lt_i32 s2, 2
	s_cbranch_scc1 .LBB30_1491
; %bb.1488:
	s_cmp_lt_i32 s2, 3
	s_cbranch_scc1 .LBB30_1492
; %bb.1489:
	s_cmp_gt_i32 s2, 3
	s_cbranch_scc0 .LBB30_1493
; %bb.1490:
	global_load_dwordx2 v[0:1], v[7:8], off
	s_mov_b64 s[0:1], 0
	s_branch .LBB30_1494
.LBB30_1491:
	s_mov_b64 s[0:1], -1
                                        ; implicit-def: $vgpr0
	s_branch .LBB30_1500
.LBB30_1492:
	s_mov_b64 s[0:1], -1
                                        ; implicit-def: $vgpr0
	s_branch .LBB30_1497
.LBB30_1493:
	s_mov_b64 s[0:1], -1
                                        ; implicit-def: $vgpr0
.LBB30_1494:
	s_andn2_b64 vcc, exec, s[0:1]
	s_cbranch_vccnz .LBB30_1496
; %bb.1495:
	global_load_dword v0, v[7:8], off
.LBB30_1496:
	s_mov_b64 s[0:1], 0
.LBB30_1497:
	s_andn2_b64 vcc, exec, s[0:1]
	s_cbranch_vccnz .LBB30_1499
; %bb.1498:
	global_load_ushort v0, v[7:8], off
.LBB30_1499:
	s_mov_b64 s[0:1], 0
.LBB30_1500:
	s_andn2_b64 vcc, exec, s[0:1]
	s_cbranch_vccnz .LBB30_1506
; %bb.1501:
	s_cmp_gt_i32 s2, 0
	s_cbranch_scc0 .LBB30_1503
; %bb.1502:
	global_load_ubyte v0, v[7:8], off
	s_mov_b64 s[0:1], 0
	s_branch .LBB30_1504
.LBB30_1503:
	s_mov_b64 s[0:1], -1
                                        ; implicit-def: $vgpr0
.LBB30_1504:
	s_andn2_b64 vcc, exec, s[0:1]
	s_cbranch_vccnz .LBB30_1506
; %bb.1505:
	global_load_ubyte v0, v[7:8], off
.LBB30_1506:
	s_mov_b64 s[6:7], -1
.LBB30_1507:
	s_andn2_b64 vcc, exec, s[6:7]
	s_cbranch_vccnz .LBB30_1941
; %bb.1508:
	s_waitcnt vmcnt(0)
	v_mul_lo_u32 v1, s12, v9
	s_sext_i32_i16 s0, s48
	s_sext_i32_i16 s1, s49
	s_cmp_gt_i32 s1, s0
	v_mov_b32_e32 v3, s33
	s_cselect_b64 s[0:1], -1, 0
	v_cndmask_b32_e64 v3, v3, v6, s[0:1]
	v_ashrrev_i32_e32 v6, 31, v1
	v_mov_b32_e32 v7, s9
	s_and_b32 s22, s4, 0xff
	v_add_co_u32_e32 v5, vcc, s8, v1
	s_cmp_lt_i32 s22, 11
	v_addc_co_u32_e32 v6, vcc, v7, v6, vcc
	s_cbranch_scc1 .LBB30_1586
; %bb.1509:
	s_and_b32 s13, 0xffff, s22
	s_mov_b64 s[10:11], -1
	s_mov_b64 s[4:5], 0
	s_cmp_gt_i32 s13, 25
	s_mov_b64 s[6:7], 0
	s_mov_b64 s[2:3], 0
	s_cbranch_scc0 .LBB30_1542
; %bb.1510:
	s_cmp_gt_i32 s13, 28
	s_cbranch_scc0 .LBB30_1525
; %bb.1511:
	s_cmp_gt_i32 s13, 43
	;; [unrolled: 3-line block ×3, first 2 shown]
	s_cbranch_scc0 .LBB30_1515
; %bb.1513:
	s_mov_b64 s[2:3], -1
	s_mov_b64 s[10:11], 0
	s_cmp_eq_u32 s13, 46
	s_cbranch_scc0 .LBB30_1515
; %bb.1514:
	v_bfe_i32 v7, v3, 0, 8
	v_cvt_f32_i32_sdwa v7, sext(v7) dst_sel:DWORD dst_unused:UNUSED_PAD src0_sel:WORD_0
	s_movk_i32 s6, 0x7fff
	s_mov_b64 s[2:3], 0
	v_bfe_u32 v8, v7, 16, 1
	v_add3_u32 v7, v7, v8, s6
	v_lshrrev_b32_e32 v7, 16, v7
	global_store_dword v[5:6], v7, off
	s_mov_b64 s[6:7], -1
.LBB30_1515:
	s_and_b64 vcc, exec, s[10:11]
	s_cbranch_vccz .LBB30_1520
; %bb.1516:
	s_cmp_eq_u32 s13, 44
	s_mov_b64 s[2:3], -1
	s_cbranch_scc0 .LBB30_1520
; %bb.1517:
	v_bfe_i32 v7, v3, 0, 8
	v_cvt_f32_i32_sdwa v7, sext(v7) dst_sel:DWORD dst_unused:UNUSED_PAD src0_sel:WORD_0
	s_movk_i32 s2, 0xff
	v_mov_b32_e32 v9, 0xff
	v_bfe_u32 v8, v7, 23, 8
	v_cmp_ne_u32_e32 vcc, s2, v8
	s_and_saveexec_b64 s[6:7], vcc
; %bb.1518:
	s_mov_b32 s2, 0x3fffff
	v_lshrrev_b32_e32 v9, 23, v7
	v_and_b32_e32 v10, 0x400000, v7
	v_and_or_b32 v7, v7, s2, v8
	v_cmp_ne_u32_e32 vcc, 0, v10
	v_cmp_ne_u32_e64 s[2:3], 0, v7
	s_and_b64 s[2:3], vcc, s[2:3]
	v_cndmask_b32_e64 v7, 0, 1, s[2:3]
	v_add_u32_e32 v9, v9, v7
; %bb.1519:
	s_or_b64 exec, exec, s[6:7]
	s_mov_b64 s[2:3], 0
	s_mov_b64 s[6:7], -1
	global_store_byte v[5:6], v9, off
.LBB30_1520:
	s_mov_b64 s[10:11], 0
.LBB30_1521:
	s_and_b64 vcc, exec, s[10:11]
	s_cbranch_vccz .LBB30_1524
; %bb.1522:
	s_cmp_eq_u32 s13, 29
	s_mov_b64 s[2:3], -1
	s_cbranch_scc0 .LBB30_1524
; %bb.1523:
	v_bfe_i32 v7, v3, 0, 8
	v_ashrrev_i32_e32 v8, 31, v7
	global_store_dwordx2 v[5:6], v[7:8], off
	s_mov_b64 s[2:3], 0
	s_mov_b64 s[6:7], -1
.LBB30_1524:
	s_mov_b64 s[10:11], 0
.LBB30_1525:
	s_and_b64 vcc, exec, s[10:11]
	s_cbranch_vccz .LBB30_1541
; %bb.1526:
	s_cmp_lt_i32 s13, 27
	s_mov_b64 s[6:7], -1
	s_cbranch_scc1 .LBB30_1532
; %bb.1527:
	s_cmp_gt_i32 s13, 27
	s_cbranch_scc0 .LBB30_1529
; %bb.1528:
	v_bfe_i32 v7, v3, 0, 8
	s_mov_b64 s[6:7], 0
	global_store_dword v[5:6], v7, off
.LBB30_1529:
	s_andn2_b64 vcc, exec, s[6:7]
	s_cbranch_vccnz .LBB30_1531
; %bb.1530:
	v_bfe_i32 v7, v3, 0, 8
	global_store_short v[5:6], v7, off
.LBB30_1531:
	s_mov_b64 s[6:7], 0
.LBB30_1532:
	s_andn2_b64 vcc, exec, s[6:7]
	s_cbranch_vccnz .LBB30_1540
; %bb.1533:
	v_bfe_i32 v7, v3, 0, 8
	v_cvt_f32_i32_sdwa v7, sext(v7) dst_sel:DWORD dst_unused:UNUSED_PAD src0_sel:WORD_0
	s_mov_b32 s6, 0x43800000
	v_mov_b32_e32 v9, 0x80
	v_and_b32_e32 v8, 0x7fffffff, v7
	v_cmp_gt_u32_e32 vcc, s6, v8
	s_and_saveexec_b64 s[6:7], vcc
	s_cbranch_execz .LBB30_1539
; %bb.1534:
	s_mov_b32 s10, 0x3bffffff
	v_cmp_lt_u32_e32 vcc, s10, v8
	s_mov_b64 s[10:11], 0
                                        ; implicit-def: $vgpr8
	s_and_saveexec_b64 s[20:21], vcc
	s_xor_b64 s[20:21], exec, s[20:21]
	s_cbranch_execz .LBB30_1988
; %bb.1535:
	v_bfe_u32 v8, v7, 20, 1
	s_mov_b32 s23, 0x487ffff
	v_add3_u32 v8, v7, v8, s23
	s_mov_b64 s[10:11], exec
	v_lshrrev_b32_e32 v8, 20, v8
	s_andn2_saveexec_b64 s[20:21], s[20:21]
	s_cbranch_execnz .LBB30_1989
.LBB30_1536:
	s_or_b64 exec, exec, s[20:21]
	v_mov_b32_e32 v9, 0
	s_and_saveexec_b64 s[20:21], s[10:11]
.LBB30_1537:
	v_lshrrev_b32_e32 v7, 24, v7
	s_movk_i32 s10, 0x80
	v_and_or_b32 v9, v7, s10, v8
.LBB30_1538:
	s_or_b64 exec, exec, s[20:21]
.LBB30_1539:
	s_or_b64 exec, exec, s[6:7]
	global_store_byte v[5:6], v9, off
.LBB30_1540:
	s_mov_b64 s[6:7], -1
.LBB30_1541:
	s_mov_b64 s[10:11], 0
.LBB30_1542:
	s_and_b64 vcc, exec, s[10:11]
	s_cbranch_vccz .LBB30_1582
; %bb.1543:
	s_cmp_gt_i32 s13, 22
	s_mov_b64 s[4:5], -1
	s_cbranch_scc0 .LBB30_1575
; %bb.1544:
	s_cmp_lt_i32 s13, 24
	s_cbranch_scc1 .LBB30_1564
; %bb.1545:
	s_cmp_gt_i32 s13, 24
	s_cbranch_scc0 .LBB30_1553
; %bb.1546:
	v_bfe_i32 v7, v3, 0, 8
	v_cvt_f32_i32_sdwa v7, sext(v7) dst_sel:DWORD dst_unused:UNUSED_PAD src0_sel:WORD_0
	s_mov_b32 s4, 0x47800000
	v_mov_b32_e32 v9, 0x80
	v_and_b32_e32 v8, 0x7fffffff, v7
	v_cmp_gt_u32_e32 vcc, s4, v8
	s_and_saveexec_b64 s[4:5], vcc
	s_cbranch_execz .LBB30_1552
; %bb.1547:
	s_mov_b32 s6, 0x37ffffff
	v_cmp_lt_u32_e32 vcc, s6, v8
	s_mov_b64 s[6:7], 0
                                        ; implicit-def: $vgpr8
	s_and_saveexec_b64 s[10:11], vcc
	s_xor_b64 s[10:11], exec, s[10:11]
	s_cbranch_execz .LBB30_1991
; %bb.1548:
	v_bfe_u32 v8, v7, 21, 1
	s_mov_b32 s20, 0x88fffff
	v_add3_u32 v8, v7, v8, s20
	s_mov_b64 s[6:7], exec
	v_lshrrev_b32_e32 v8, 21, v8
	s_andn2_saveexec_b64 s[10:11], s[10:11]
	s_cbranch_execnz .LBB30_1992
.LBB30_1549:
	s_or_b64 exec, exec, s[10:11]
	v_mov_b32_e32 v9, 0
	s_and_saveexec_b64 s[10:11], s[6:7]
.LBB30_1550:
	v_lshrrev_b32_e32 v7, 24, v7
	s_movk_i32 s6, 0x80
	v_and_or_b32 v9, v7, s6, v8
.LBB30_1551:
	s_or_b64 exec, exec, s[10:11]
.LBB30_1552:
	s_or_b64 exec, exec, s[4:5]
	s_mov_b64 s[4:5], 0
	global_store_byte v[5:6], v9, off
.LBB30_1553:
	s_and_b64 vcc, exec, s[4:5]
	s_cbranch_vccz .LBB30_1563
; %bb.1554:
	v_bfe_i32 v7, v3, 0, 8
	v_cvt_f32_i32_sdwa v7, sext(v7) dst_sel:DWORD dst_unused:UNUSED_PAD src0_sel:WORD_0
	s_mov_b32 s4, 0x43f00000
                                        ; implicit-def: $vgpr8
	v_and_b32_e32 v9, 0x7fffffff, v7
	v_cmp_gt_u32_e32 vcc, s4, v9
	s_and_saveexec_b64 s[4:5], vcc
	s_xor_b64 s[4:5], exec, s[4:5]
	s_cbranch_execz .LBB30_1560
; %bb.1555:
	s_mov_b32 s6, 0x3c7fffff
	v_cmp_lt_u32_e32 vcc, s6, v9
                                        ; implicit-def: $vgpr8
	s_and_saveexec_b64 s[6:7], vcc
	s_xor_b64 s[6:7], exec, s[6:7]
; %bb.1556:
	v_bfe_u32 v8, v7, 20, 1
	s_mov_b32 s10, 0x407ffff
	v_add3_u32 v8, v7, v8, s10
	v_lshrrev_b32_e32 v9, 20, v8
	v_and_b32_e32 v8, 0xff00000, v8
	s_mov_b32 s10, 0x7f00000
	v_mov_b32_e32 v10, 0x7e
	v_cmp_ne_u32_e32 vcc, s10, v8
	v_cndmask_b32_e32 v8, v10, v9, vcc
; %bb.1557:
	s_andn2_saveexec_b64 s[6:7], s[6:7]
; %bb.1558:
	s_mov_b32 s10, 0x46800000
	v_add_f32_e64 v8, |v7|, s10
; %bb.1559:
	s_or_b64 exec, exec, s[6:7]
                                        ; implicit-def: $vgpr9
.LBB30_1560:
	s_andn2_saveexec_b64 s[4:5], s[4:5]
; %bb.1561:
	s_mov_b32 s6, 0x7f800000
	v_mov_b32_e32 v8, 0x7e
	v_mov_b32_e32 v10, 0x7f
	v_cmp_lt_u32_e32 vcc, s6, v9
	v_cndmask_b32_e32 v8, v8, v10, vcc
; %bb.1562:
	s_or_b64 exec, exec, s[4:5]
	v_lshrrev_b32_e32 v7, 24, v7
	s_movk_i32 s4, 0x80
	v_and_or_b32 v7, v7, s4, v8
	global_store_byte v[5:6], v7, off
.LBB30_1563:
	s_mov_b64 s[4:5], 0
.LBB30_1564:
	s_andn2_b64 vcc, exec, s[4:5]
	s_cbranch_vccnz .LBB30_1574
; %bb.1565:
	v_bfe_i32 v7, v3, 0, 8
	v_cvt_f32_i32_sdwa v7, sext(v7) dst_sel:DWORD dst_unused:UNUSED_PAD src0_sel:WORD_0
	s_mov_b32 s4, 0x47800000
                                        ; implicit-def: $vgpr8
	v_and_b32_e32 v9, 0x7fffffff, v7
	v_cmp_gt_u32_e32 vcc, s4, v9
	s_and_saveexec_b64 s[4:5], vcc
	s_xor_b64 s[4:5], exec, s[4:5]
	s_cbranch_execz .LBB30_1571
; %bb.1566:
	s_mov_b32 s6, 0x387fffff
	v_cmp_lt_u32_e32 vcc, s6, v9
                                        ; implicit-def: $vgpr8
	s_and_saveexec_b64 s[6:7], vcc
	s_xor_b64 s[6:7], exec, s[6:7]
; %bb.1567:
	v_bfe_u32 v8, v7, 21, 1
	s_mov_b32 s10, 0x80fffff
	v_add3_u32 v8, v7, v8, s10
	v_lshrrev_b32_e32 v8, 21, v8
; %bb.1568:
	s_andn2_saveexec_b64 s[6:7], s[6:7]
; %bb.1569:
	s_mov_b32 s10, 0x43000000
	v_add_f32_e64 v8, |v7|, s10
; %bb.1570:
	s_or_b64 exec, exec, s[6:7]
                                        ; implicit-def: $vgpr9
.LBB30_1571:
	s_andn2_saveexec_b64 s[4:5], s[4:5]
; %bb.1572:
	s_mov_b32 s6, 0x7f800000
	v_mov_b32_e32 v8, 0x7c
	v_mov_b32_e32 v10, 0x7f
	v_cmp_lt_u32_e32 vcc, s6, v9
	v_cndmask_b32_e32 v8, v8, v10, vcc
; %bb.1573:
	s_or_b64 exec, exec, s[4:5]
	v_lshrrev_b32_e32 v7, 24, v7
	s_movk_i32 s4, 0x80
	v_and_or_b32 v7, v7, s4, v8
	global_store_byte v[5:6], v7, off
.LBB30_1574:
	s_mov_b64 s[4:5], 0
	s_mov_b64 s[6:7], -1
.LBB30_1575:
	s_andn2_b64 vcc, exec, s[4:5]
	s_mov_b64 s[4:5], 0
	s_cbranch_vccnz .LBB30_1582
; %bb.1576:
	s_cmp_gt_i32 s13, 14
	s_mov_b64 s[10:11], -1
	s_cbranch_scc0 .LBB30_1580
; %bb.1577:
	s_cmp_eq_u32 s13, 15
	s_mov_b64 s[2:3], -1
	s_cbranch_scc0 .LBB30_1579
; %bb.1578:
	v_bfe_i32 v7, v3, 0, 8
	v_cvt_f32_i32_sdwa v7, sext(v7) dst_sel:DWORD dst_unused:UNUSED_PAD src0_sel:WORD_0
	s_movk_i32 s4, 0x7fff
	s_mov_b64 s[2:3], 0
	s_mov_b64 s[6:7], -1
	v_bfe_u32 v8, v7, 16, 1
	v_add3_u32 v7, v7, v8, s4
	global_store_short_d16_hi v[5:6], v7, off
.LBB30_1579:
	s_mov_b64 s[10:11], 0
.LBB30_1580:
	s_mov_b64 s[4:5], 0
	s_and_b64 vcc, exec, s[10:11]
	s_cbranch_vccz .LBB30_1582
; %bb.1581:
	s_cmp_lg_u32 s13, 11
	s_mov_b64 s[4:5], -1
	s_cselect_b64 s[2:3], -1, 0
.LBB30_1582:
	s_and_b64 vcc, exec, s[2:3]
	s_cbranch_vccnz .LBB30_1990
; %bb.1583:
	s_andn2_b64 vcc, exec, s[4:5]
	s_cbranch_vccnz .LBB30_1585
.LBB30_1584:
	v_mov_b32_e32 v7, 0
	v_cmp_ne_u16_sdwa s[2:3], v3, v7 src0_sel:BYTE_0 src1_sel:DWORD
	v_cndmask_b32_e64 v7, 0, 1, s[2:3]
	s_mov_b64 s[6:7], -1
	global_store_byte v[5:6], v7, off
.LBB30_1585:
	s_mov_b64 s[2:3], 0
	s_branch .LBB30_1587
.LBB30_1586:
	s_mov_b64 s[2:3], -1
	s_mov_b64 s[6:7], 0
.LBB30_1587:
	s_and_b64 vcc, exec, s[2:3]
	s_cbranch_vccz .LBB30_1626
; %bb.1588:
	s_and_b32 s4, 0xffff, s22
	s_cmp_lt_i32 s4, 5
	s_mov_b64 s[2:3], -1
	s_cbranch_scc1 .LBB30_1609
; %bb.1589:
	s_cmp_lt_i32 s4, 8
	s_cbranch_scc1 .LBB30_1599
; %bb.1590:
	s_cmp_lt_i32 s4, 9
	s_cbranch_scc1 .LBB30_1596
; %bb.1591:
	s_cmp_gt_i32 s4, 9
	s_cbranch_scc0 .LBB30_1593
; %bb.1592:
	v_bfe_i32 v7, v3, 0, 8
	v_bfe_i32 v7, v7, 0, 16
	v_cvt_f64_i32_e32 v[7:8], v7
	v_mov_b32_e32 v9, 0
	v_mov_b32_e32 v10, v9
	s_mov_b64 s[2:3], 0
	global_store_dwordx4 v[5:6], v[7:10], off
.LBB30_1593:
	s_andn2_b64 vcc, exec, s[2:3]
	s_cbranch_vccnz .LBB30_1595
; %bb.1594:
	v_bfe_i32 v7, v3, 0, 8
	v_cvt_f32_i32_sdwa v7, sext(v7) dst_sel:DWORD dst_unused:UNUSED_PAD src0_sel:WORD_0
	v_mov_b32_e32 v8, 0
	global_store_dwordx2 v[5:6], v[7:8], off
.LBB30_1595:
	s_mov_b64 s[2:3], 0
.LBB30_1596:
	s_andn2_b64 vcc, exec, s[2:3]
	s_cbranch_vccnz .LBB30_1598
; %bb.1597:
	v_cvt_f16_i16_sdwa v7, sext(v3) dst_sel:DWORD dst_unused:UNUSED_PAD src0_sel:BYTE_0
	global_store_dword v[5:6], v7, off
.LBB30_1598:
	s_mov_b64 s[2:3], 0
.LBB30_1599:
	s_andn2_b64 vcc, exec, s[2:3]
	s_cbranch_vccnz .LBB30_1608
; %bb.1600:
	s_cmp_lt_i32 s4, 6
	s_mov_b64 s[2:3], -1
	s_cbranch_scc1 .LBB30_1606
; %bb.1601:
	s_cmp_gt_i32 s4, 6
	s_cbranch_scc0 .LBB30_1603
; %bb.1602:
	v_bfe_i32 v7, v3, 0, 8
	v_bfe_i32 v7, v7, 0, 16
	v_cvt_f64_i32_e32 v[7:8], v7
	s_mov_b64 s[2:3], 0
	global_store_dwordx2 v[5:6], v[7:8], off
.LBB30_1603:
	s_andn2_b64 vcc, exec, s[2:3]
	s_cbranch_vccnz .LBB30_1605
; %bb.1604:
	v_bfe_i32 v7, v3, 0, 8
	v_cvt_f32_i32_sdwa v7, sext(v7) dst_sel:DWORD dst_unused:UNUSED_PAD src0_sel:WORD_0
	global_store_dword v[5:6], v7, off
.LBB30_1605:
	s_mov_b64 s[2:3], 0
.LBB30_1606:
	s_andn2_b64 vcc, exec, s[2:3]
	s_cbranch_vccnz .LBB30_1608
; %bb.1607:
	v_cvt_f16_i16_sdwa v7, sext(v3) dst_sel:DWORD dst_unused:UNUSED_PAD src0_sel:BYTE_0
	global_store_short v[5:6], v7, off
.LBB30_1608:
	s_mov_b64 s[2:3], 0
.LBB30_1609:
	s_andn2_b64 vcc, exec, s[2:3]
	s_cbranch_vccnz .LBB30_1625
; %bb.1610:
	s_cmp_lt_i32 s4, 2
	s_mov_b64 s[2:3], -1
	s_cbranch_scc1 .LBB30_1620
; %bb.1611:
	s_cmp_lt_i32 s4, 3
	s_cbranch_scc1 .LBB30_1617
; %bb.1612:
	s_cmp_gt_i32 s4, 3
	s_cbranch_scc0 .LBB30_1614
; %bb.1613:
	v_bfe_i32 v7, v3, 0, 8
	v_ashrrev_i32_e32 v8, 31, v7
	global_store_dwordx2 v[5:6], v[7:8], off
	s_mov_b64 s[2:3], 0
.LBB30_1614:
	s_andn2_b64 vcc, exec, s[2:3]
	s_cbranch_vccnz .LBB30_1616
; %bb.1615:
	v_bfe_i32 v7, v3, 0, 8
	global_store_dword v[5:6], v7, off
.LBB30_1616:
	s_mov_b64 s[2:3], 0
.LBB30_1617:
	s_andn2_b64 vcc, exec, s[2:3]
	s_cbranch_vccnz .LBB30_1619
; %bb.1618:
	v_bfe_i32 v7, v3, 0, 8
	global_store_short v[5:6], v7, off
.LBB30_1619:
	s_mov_b64 s[2:3], 0
.LBB30_1620:
	s_andn2_b64 vcc, exec, s[2:3]
	s_cbranch_vccnz .LBB30_1625
; %bb.1621:
	s_cmp_gt_i32 s4, 0
	s_mov_b64 s[2:3], -1
	s_cbranch_scc0 .LBB30_1623
; %bb.1622:
	global_store_byte v[5:6], v3, off
	s_mov_b64 s[2:3], 0
.LBB30_1623:
	s_andn2_b64 vcc, exec, s[2:3]
	s_cbranch_vccnz .LBB30_1625
; %bb.1624:
	global_store_byte v[5:6], v3, off
.LBB30_1625:
	s_mov_b64 s[6:7], -1
.LBB30_1626:
	s_andn2_b64 vcc, exec, s[6:7]
	s_cbranch_vccnz .LBB30_1941
; %bb.1627:
	s_lshl_b32 s20, s12, 7
	v_mov_b32_e32 v3, s33
	v_add_u32_e32 v1, s20, v1
	v_cndmask_b32_e64 v5, v3, v4, s[0:1]
	v_ashrrev_i32_e32 v4, 31, v1
	v_mov_b32_e32 v6, s9
	v_add_co_u32_e32 v3, vcc, s8, v1
	s_cmp_lt_i32 s22, 11
	v_addc_co_u32_e32 v4, vcc, v6, v4, vcc
	s_cbranch_scc1 .LBB30_1705
; %bb.1628:
	s_and_b32 s21, 0xffff, s22
	s_mov_b64 s[10:11], -1
	s_mov_b64 s[4:5], 0
	s_cmp_gt_i32 s21, 25
	s_mov_b64 s[6:7], 0
	s_mov_b64 s[2:3], 0
	s_cbranch_scc0 .LBB30_1661
; %bb.1629:
	s_cmp_gt_i32 s21, 28
	s_cbranch_scc0 .LBB30_1644
; %bb.1630:
	s_cmp_gt_i32 s21, 43
	;; [unrolled: 3-line block ×3, first 2 shown]
	s_cbranch_scc0 .LBB30_1634
; %bb.1632:
	s_mov_b64 s[2:3], -1
	s_mov_b64 s[10:11], 0
	s_cmp_eq_u32 s21, 46
	s_cbranch_scc0 .LBB30_1634
; %bb.1633:
	v_bfe_i32 v6, v5, 0, 8
	v_cvt_f32_i32_sdwa v6, sext(v6) dst_sel:DWORD dst_unused:UNUSED_PAD src0_sel:WORD_0
	s_movk_i32 s6, 0x7fff
	s_mov_b64 s[2:3], 0
	v_bfe_u32 v7, v6, 16, 1
	v_add3_u32 v6, v6, v7, s6
	v_lshrrev_b32_e32 v6, 16, v6
	global_store_dword v[3:4], v6, off
	s_mov_b64 s[6:7], -1
.LBB30_1634:
	s_and_b64 vcc, exec, s[10:11]
	s_cbranch_vccz .LBB30_1639
; %bb.1635:
	s_cmp_eq_u32 s21, 44
	s_mov_b64 s[2:3], -1
	s_cbranch_scc0 .LBB30_1639
; %bb.1636:
	v_bfe_i32 v6, v5, 0, 8
	v_cvt_f32_i32_sdwa v6, sext(v6) dst_sel:DWORD dst_unused:UNUSED_PAD src0_sel:WORD_0
	s_movk_i32 s2, 0xff
	v_mov_b32_e32 v8, 0xff
	v_bfe_u32 v7, v6, 23, 8
	v_cmp_ne_u32_e32 vcc, s2, v7
	s_and_saveexec_b64 s[6:7], vcc
; %bb.1637:
	s_mov_b32 s2, 0x3fffff
	v_lshrrev_b32_e32 v8, 23, v6
	v_and_b32_e32 v9, 0x400000, v6
	v_and_or_b32 v6, v6, s2, v7
	v_cmp_ne_u32_e32 vcc, 0, v9
	v_cmp_ne_u32_e64 s[2:3], 0, v6
	s_and_b64 s[2:3], vcc, s[2:3]
	v_cndmask_b32_e64 v6, 0, 1, s[2:3]
	v_add_u32_e32 v8, v8, v6
; %bb.1638:
	s_or_b64 exec, exec, s[6:7]
	s_mov_b64 s[2:3], 0
	s_mov_b64 s[6:7], -1
	global_store_byte v[3:4], v8, off
.LBB30_1639:
	s_mov_b64 s[10:11], 0
.LBB30_1640:
	s_and_b64 vcc, exec, s[10:11]
	s_cbranch_vccz .LBB30_1643
; %bb.1641:
	s_cmp_eq_u32 s21, 29
	s_mov_b64 s[2:3], -1
	s_cbranch_scc0 .LBB30_1643
; %bb.1642:
	v_bfe_i32 v6, v5, 0, 8
	v_ashrrev_i32_e32 v7, 31, v6
	global_store_dwordx2 v[3:4], v[6:7], off
	s_mov_b64 s[2:3], 0
	s_mov_b64 s[6:7], -1
.LBB30_1643:
	s_mov_b64 s[10:11], 0
.LBB30_1644:
	s_and_b64 vcc, exec, s[10:11]
	s_cbranch_vccz .LBB30_1660
; %bb.1645:
	s_cmp_lt_i32 s21, 27
	s_mov_b64 s[6:7], -1
	s_cbranch_scc1 .LBB30_1651
; %bb.1646:
	s_cmp_gt_i32 s21, 27
	s_cbranch_scc0 .LBB30_1648
; %bb.1647:
	v_bfe_i32 v6, v5, 0, 8
	s_mov_b64 s[6:7], 0
	global_store_dword v[3:4], v6, off
.LBB30_1648:
	s_andn2_b64 vcc, exec, s[6:7]
	s_cbranch_vccnz .LBB30_1650
; %bb.1649:
	v_bfe_i32 v6, v5, 0, 8
	global_store_short v[3:4], v6, off
.LBB30_1650:
	s_mov_b64 s[6:7], 0
.LBB30_1651:
	s_andn2_b64 vcc, exec, s[6:7]
	s_cbranch_vccnz .LBB30_1659
; %bb.1652:
	v_bfe_i32 v6, v5, 0, 8
	v_cvt_f32_i32_sdwa v6, sext(v6) dst_sel:DWORD dst_unused:UNUSED_PAD src0_sel:WORD_0
	s_mov_b32 s6, 0x43800000
	v_mov_b32_e32 v8, 0x80
	v_and_b32_e32 v7, 0x7fffffff, v6
	v_cmp_gt_u32_e32 vcc, s6, v7
	s_and_saveexec_b64 s[6:7], vcc
	s_cbranch_execz .LBB30_1658
; %bb.1653:
	s_mov_b32 s10, 0x3bffffff
	v_cmp_lt_u32_e32 vcc, s10, v7
	s_mov_b64 s[10:11], 0
                                        ; implicit-def: $vgpr7
	s_and_saveexec_b64 s[12:13], vcc
	s_xor_b64 s[12:13], exec, s[12:13]
	s_cbranch_execz .LBB30_1993
; %bb.1654:
	v_bfe_u32 v7, v6, 20, 1
	s_mov_b32 s23, 0x487ffff
	v_add3_u32 v7, v6, v7, s23
	s_mov_b64 s[10:11], exec
	v_lshrrev_b32_e32 v7, 20, v7
	s_andn2_saveexec_b64 s[12:13], s[12:13]
	s_cbranch_execnz .LBB30_1994
.LBB30_1655:
	s_or_b64 exec, exec, s[12:13]
	v_mov_b32_e32 v8, 0
	s_and_saveexec_b64 s[12:13], s[10:11]
.LBB30_1656:
	v_lshrrev_b32_e32 v6, 24, v6
	s_movk_i32 s10, 0x80
	v_and_or_b32 v8, v6, s10, v7
.LBB30_1657:
	s_or_b64 exec, exec, s[12:13]
.LBB30_1658:
	s_or_b64 exec, exec, s[6:7]
	global_store_byte v[3:4], v8, off
.LBB30_1659:
	s_mov_b64 s[6:7], -1
.LBB30_1660:
	s_mov_b64 s[10:11], 0
.LBB30_1661:
	s_and_b64 vcc, exec, s[10:11]
	s_cbranch_vccz .LBB30_1701
; %bb.1662:
	s_cmp_gt_i32 s21, 22
	s_mov_b64 s[4:5], -1
	s_cbranch_scc0 .LBB30_1694
; %bb.1663:
	s_cmp_lt_i32 s21, 24
	s_cbranch_scc1 .LBB30_1683
; %bb.1664:
	s_cmp_gt_i32 s21, 24
	s_cbranch_scc0 .LBB30_1672
; %bb.1665:
	v_bfe_i32 v6, v5, 0, 8
	v_cvt_f32_i32_sdwa v6, sext(v6) dst_sel:DWORD dst_unused:UNUSED_PAD src0_sel:WORD_0
	s_mov_b32 s4, 0x47800000
	v_mov_b32_e32 v8, 0x80
	v_and_b32_e32 v7, 0x7fffffff, v6
	v_cmp_gt_u32_e32 vcc, s4, v7
	s_and_saveexec_b64 s[4:5], vcc
	s_cbranch_execz .LBB30_1671
; %bb.1666:
	s_mov_b32 s6, 0x37ffffff
	v_cmp_lt_u32_e32 vcc, s6, v7
	s_mov_b64 s[6:7], 0
                                        ; implicit-def: $vgpr7
	s_and_saveexec_b64 s[10:11], vcc
	s_xor_b64 s[10:11], exec, s[10:11]
	s_cbranch_execz .LBB30_1996
; %bb.1667:
	v_bfe_u32 v7, v6, 21, 1
	s_mov_b32 s12, 0x88fffff
	v_add3_u32 v7, v6, v7, s12
	s_mov_b64 s[6:7], exec
	v_lshrrev_b32_e32 v7, 21, v7
	s_andn2_saveexec_b64 s[10:11], s[10:11]
	s_cbranch_execnz .LBB30_1997
.LBB30_1668:
	s_or_b64 exec, exec, s[10:11]
	v_mov_b32_e32 v8, 0
	s_and_saveexec_b64 s[10:11], s[6:7]
.LBB30_1669:
	v_lshrrev_b32_e32 v6, 24, v6
	s_movk_i32 s6, 0x80
	v_and_or_b32 v8, v6, s6, v7
.LBB30_1670:
	s_or_b64 exec, exec, s[10:11]
.LBB30_1671:
	s_or_b64 exec, exec, s[4:5]
	s_mov_b64 s[4:5], 0
	global_store_byte v[3:4], v8, off
.LBB30_1672:
	s_and_b64 vcc, exec, s[4:5]
	s_cbranch_vccz .LBB30_1682
; %bb.1673:
	v_bfe_i32 v6, v5, 0, 8
	v_cvt_f32_i32_sdwa v6, sext(v6) dst_sel:DWORD dst_unused:UNUSED_PAD src0_sel:WORD_0
	s_mov_b32 s4, 0x43f00000
                                        ; implicit-def: $vgpr7
	v_and_b32_e32 v8, 0x7fffffff, v6
	v_cmp_gt_u32_e32 vcc, s4, v8
	s_and_saveexec_b64 s[4:5], vcc
	s_xor_b64 s[4:5], exec, s[4:5]
	s_cbranch_execz .LBB30_1679
; %bb.1674:
	s_mov_b32 s6, 0x3c7fffff
	v_cmp_lt_u32_e32 vcc, s6, v8
                                        ; implicit-def: $vgpr7
	s_and_saveexec_b64 s[6:7], vcc
	s_xor_b64 s[6:7], exec, s[6:7]
; %bb.1675:
	v_bfe_u32 v7, v6, 20, 1
	s_mov_b32 s10, 0x407ffff
	v_add3_u32 v7, v6, v7, s10
	v_lshrrev_b32_e32 v8, 20, v7
	v_and_b32_e32 v7, 0xff00000, v7
	s_mov_b32 s10, 0x7f00000
	v_mov_b32_e32 v9, 0x7e
	v_cmp_ne_u32_e32 vcc, s10, v7
	v_cndmask_b32_e32 v7, v9, v8, vcc
; %bb.1676:
	s_andn2_saveexec_b64 s[6:7], s[6:7]
; %bb.1677:
	s_mov_b32 s10, 0x46800000
	v_add_f32_e64 v7, |v6|, s10
; %bb.1678:
	s_or_b64 exec, exec, s[6:7]
                                        ; implicit-def: $vgpr8
.LBB30_1679:
	s_andn2_saveexec_b64 s[4:5], s[4:5]
; %bb.1680:
	s_mov_b32 s6, 0x7f800000
	v_mov_b32_e32 v7, 0x7e
	v_mov_b32_e32 v9, 0x7f
	v_cmp_lt_u32_e32 vcc, s6, v8
	v_cndmask_b32_e32 v7, v7, v9, vcc
; %bb.1681:
	s_or_b64 exec, exec, s[4:5]
	v_lshrrev_b32_e32 v6, 24, v6
	s_movk_i32 s4, 0x80
	v_and_or_b32 v6, v6, s4, v7
	global_store_byte v[3:4], v6, off
.LBB30_1682:
	s_mov_b64 s[4:5], 0
.LBB30_1683:
	s_andn2_b64 vcc, exec, s[4:5]
	s_cbranch_vccnz .LBB30_1693
; %bb.1684:
	v_bfe_i32 v6, v5, 0, 8
	v_cvt_f32_i32_sdwa v6, sext(v6) dst_sel:DWORD dst_unused:UNUSED_PAD src0_sel:WORD_0
	s_mov_b32 s4, 0x47800000
                                        ; implicit-def: $vgpr7
	v_and_b32_e32 v8, 0x7fffffff, v6
	v_cmp_gt_u32_e32 vcc, s4, v8
	s_and_saveexec_b64 s[4:5], vcc
	s_xor_b64 s[4:5], exec, s[4:5]
	s_cbranch_execz .LBB30_1690
; %bb.1685:
	s_mov_b32 s6, 0x387fffff
	v_cmp_lt_u32_e32 vcc, s6, v8
                                        ; implicit-def: $vgpr7
	s_and_saveexec_b64 s[6:7], vcc
	s_xor_b64 s[6:7], exec, s[6:7]
; %bb.1686:
	v_bfe_u32 v7, v6, 21, 1
	s_mov_b32 s10, 0x80fffff
	v_add3_u32 v7, v6, v7, s10
	v_lshrrev_b32_e32 v7, 21, v7
; %bb.1687:
	s_andn2_saveexec_b64 s[6:7], s[6:7]
; %bb.1688:
	s_mov_b32 s10, 0x43000000
	v_add_f32_e64 v7, |v6|, s10
; %bb.1689:
	s_or_b64 exec, exec, s[6:7]
                                        ; implicit-def: $vgpr8
.LBB30_1690:
	s_andn2_saveexec_b64 s[4:5], s[4:5]
; %bb.1691:
	s_mov_b32 s6, 0x7f800000
	v_mov_b32_e32 v7, 0x7c
	v_mov_b32_e32 v9, 0x7f
	v_cmp_lt_u32_e32 vcc, s6, v8
	v_cndmask_b32_e32 v7, v7, v9, vcc
; %bb.1692:
	s_or_b64 exec, exec, s[4:5]
	v_lshrrev_b32_e32 v6, 24, v6
	s_movk_i32 s4, 0x80
	v_and_or_b32 v6, v6, s4, v7
	global_store_byte v[3:4], v6, off
.LBB30_1693:
	s_mov_b64 s[4:5], 0
	s_mov_b64 s[6:7], -1
.LBB30_1694:
	s_andn2_b64 vcc, exec, s[4:5]
	s_mov_b64 s[4:5], 0
	s_cbranch_vccnz .LBB30_1701
; %bb.1695:
	s_cmp_gt_i32 s21, 14
	s_mov_b64 s[10:11], -1
	s_cbranch_scc0 .LBB30_1699
; %bb.1696:
	s_cmp_eq_u32 s21, 15
	s_mov_b64 s[2:3], -1
	s_cbranch_scc0 .LBB30_1698
; %bb.1697:
	v_bfe_i32 v6, v5, 0, 8
	v_cvt_f32_i32_sdwa v6, sext(v6) dst_sel:DWORD dst_unused:UNUSED_PAD src0_sel:WORD_0
	s_movk_i32 s4, 0x7fff
	s_mov_b64 s[2:3], 0
	s_mov_b64 s[6:7], -1
	v_bfe_u32 v7, v6, 16, 1
	v_add3_u32 v6, v6, v7, s4
	global_store_short_d16_hi v[3:4], v6, off
.LBB30_1698:
	s_mov_b64 s[10:11], 0
.LBB30_1699:
	s_mov_b64 s[4:5], 0
	s_and_b64 vcc, exec, s[10:11]
	s_cbranch_vccz .LBB30_1701
; %bb.1700:
	s_cmp_lg_u32 s21, 11
	s_mov_b64 s[4:5], -1
	s_cselect_b64 s[2:3], -1, 0
.LBB30_1701:
	s_and_b64 vcc, exec, s[2:3]
	s_cbranch_vccnz .LBB30_1995
; %bb.1702:
	s_andn2_b64 vcc, exec, s[4:5]
	s_cbranch_vccnz .LBB30_1704
.LBB30_1703:
	v_mov_b32_e32 v6, 0
	v_cmp_ne_u16_sdwa s[2:3], v5, v6 src0_sel:BYTE_0 src1_sel:DWORD
	v_cndmask_b32_e64 v6, 0, 1, s[2:3]
	s_mov_b64 s[6:7], -1
	global_store_byte v[3:4], v6, off
.LBB30_1704:
	s_mov_b64 s[2:3], 0
	s_branch .LBB30_1706
.LBB30_1705:
	s_mov_b64 s[2:3], -1
	s_mov_b64 s[6:7], 0
.LBB30_1706:
	s_and_b64 vcc, exec, s[2:3]
	s_cbranch_vccz .LBB30_1745
; %bb.1707:
	s_and_b32 s4, 0xffff, s22
	s_cmp_lt_i32 s4, 5
	s_mov_b64 s[2:3], -1
	s_cbranch_scc1 .LBB30_1728
; %bb.1708:
	s_cmp_lt_i32 s4, 8
	s_cbranch_scc1 .LBB30_1718
; %bb.1709:
	s_cmp_lt_i32 s4, 9
	s_cbranch_scc1 .LBB30_1715
; %bb.1710:
	s_cmp_gt_i32 s4, 9
	s_cbranch_scc0 .LBB30_1712
; %bb.1711:
	v_bfe_i32 v6, v5, 0, 8
	v_bfe_i32 v6, v6, 0, 16
	v_cvt_f64_i32_e32 v[6:7], v6
	v_mov_b32_e32 v8, 0
	v_mov_b32_e32 v9, v8
	s_mov_b64 s[2:3], 0
	global_store_dwordx4 v[3:4], v[6:9], off
.LBB30_1712:
	s_andn2_b64 vcc, exec, s[2:3]
	s_cbranch_vccnz .LBB30_1714
; %bb.1713:
	v_bfe_i32 v6, v5, 0, 8
	v_cvt_f32_i32_sdwa v6, sext(v6) dst_sel:DWORD dst_unused:UNUSED_PAD src0_sel:WORD_0
	v_mov_b32_e32 v7, 0
	global_store_dwordx2 v[3:4], v[6:7], off
.LBB30_1714:
	s_mov_b64 s[2:3], 0
.LBB30_1715:
	s_andn2_b64 vcc, exec, s[2:3]
	s_cbranch_vccnz .LBB30_1717
; %bb.1716:
	v_cvt_f16_i16_sdwa v6, sext(v5) dst_sel:DWORD dst_unused:UNUSED_PAD src0_sel:BYTE_0
	global_store_dword v[3:4], v6, off
.LBB30_1717:
	s_mov_b64 s[2:3], 0
.LBB30_1718:
	s_andn2_b64 vcc, exec, s[2:3]
	s_cbranch_vccnz .LBB30_1727
; %bb.1719:
	s_cmp_lt_i32 s4, 6
	s_mov_b64 s[2:3], -1
	s_cbranch_scc1 .LBB30_1725
; %bb.1720:
	s_cmp_gt_i32 s4, 6
	s_cbranch_scc0 .LBB30_1722
; %bb.1721:
	v_bfe_i32 v6, v5, 0, 8
	v_bfe_i32 v6, v6, 0, 16
	v_cvt_f64_i32_e32 v[6:7], v6
	s_mov_b64 s[2:3], 0
	global_store_dwordx2 v[3:4], v[6:7], off
.LBB30_1722:
	s_andn2_b64 vcc, exec, s[2:3]
	s_cbranch_vccnz .LBB30_1724
; %bb.1723:
	v_bfe_i32 v6, v5, 0, 8
	v_cvt_f32_i32_sdwa v6, sext(v6) dst_sel:DWORD dst_unused:UNUSED_PAD src0_sel:WORD_0
	global_store_dword v[3:4], v6, off
.LBB30_1724:
	s_mov_b64 s[2:3], 0
.LBB30_1725:
	s_andn2_b64 vcc, exec, s[2:3]
	s_cbranch_vccnz .LBB30_1727
; %bb.1726:
	v_cvt_f16_i16_sdwa v6, sext(v5) dst_sel:DWORD dst_unused:UNUSED_PAD src0_sel:BYTE_0
	global_store_short v[3:4], v6, off
.LBB30_1727:
	s_mov_b64 s[2:3], 0
.LBB30_1728:
	s_andn2_b64 vcc, exec, s[2:3]
	s_cbranch_vccnz .LBB30_1744
; %bb.1729:
	s_cmp_lt_i32 s4, 2
	s_mov_b64 s[2:3], -1
	s_cbranch_scc1 .LBB30_1739
; %bb.1730:
	s_cmp_lt_i32 s4, 3
	s_cbranch_scc1 .LBB30_1736
; %bb.1731:
	s_cmp_gt_i32 s4, 3
	s_cbranch_scc0 .LBB30_1733
; %bb.1732:
	v_bfe_i32 v6, v5, 0, 8
	v_ashrrev_i32_e32 v7, 31, v6
	global_store_dwordx2 v[3:4], v[6:7], off
	s_mov_b64 s[2:3], 0
.LBB30_1733:
	s_andn2_b64 vcc, exec, s[2:3]
	s_cbranch_vccnz .LBB30_1735
; %bb.1734:
	v_bfe_i32 v6, v5, 0, 8
	global_store_dword v[3:4], v6, off
.LBB30_1735:
	s_mov_b64 s[2:3], 0
.LBB30_1736:
	s_andn2_b64 vcc, exec, s[2:3]
	s_cbranch_vccnz .LBB30_1738
; %bb.1737:
	v_bfe_i32 v6, v5, 0, 8
	global_store_short v[3:4], v6, off
.LBB30_1738:
	s_mov_b64 s[2:3], 0
.LBB30_1739:
	s_andn2_b64 vcc, exec, s[2:3]
	s_cbranch_vccnz .LBB30_1744
; %bb.1740:
	s_cmp_gt_i32 s4, 0
	s_mov_b64 s[2:3], -1
	s_cbranch_scc0 .LBB30_1742
; %bb.1741:
	global_store_byte v[3:4], v5, off
	s_mov_b64 s[2:3], 0
.LBB30_1742:
	s_andn2_b64 vcc, exec, s[2:3]
	s_cbranch_vccnz .LBB30_1744
; %bb.1743:
	global_store_byte v[3:4], v5, off
.LBB30_1744:
	s_mov_b64 s[6:7], -1
.LBB30_1745:
	s_andn2_b64 vcc, exec, s[6:7]
	s_cbranch_vccnz .LBB30_1941
; %bb.1746:
	v_mov_b32_e32 v3, s33
	v_cndmask_b32_e64 v4, v3, v2, s[0:1]
	v_add_u32_e32 v3, s20, v1
	v_ashrrev_i32_e32 v2, 31, v3
	v_mov_b32_e32 v5, s9
	v_add_co_u32_e32 v1, vcc, s8, v3
	s_cmp_lt_i32 s22, 11
	v_addc_co_u32_e32 v2, vcc, v5, v2, vcc
	s_cbranch_scc1 .LBB30_1824
; %bb.1747:
	s_and_b32 s21, 0xffff, s22
	s_mov_b64 s[10:11], -1
	s_mov_b64 s[4:5], 0
	s_cmp_gt_i32 s21, 25
	s_mov_b64 s[6:7], 0
	s_mov_b64 s[2:3], 0
	s_cbranch_scc0 .LBB30_1780
; %bb.1748:
	s_cmp_gt_i32 s21, 28
	s_cbranch_scc0 .LBB30_1763
; %bb.1749:
	s_cmp_gt_i32 s21, 43
	;; [unrolled: 3-line block ×3, first 2 shown]
	s_cbranch_scc0 .LBB30_1753
; %bb.1751:
	s_mov_b64 s[2:3], -1
	s_mov_b64 s[10:11], 0
	s_cmp_eq_u32 s21, 46
	s_cbranch_scc0 .LBB30_1753
; %bb.1752:
	v_bfe_i32 v5, v4, 0, 8
	v_cvt_f32_i32_sdwa v5, sext(v5) dst_sel:DWORD dst_unused:UNUSED_PAD src0_sel:WORD_0
	s_movk_i32 s6, 0x7fff
	s_mov_b64 s[2:3], 0
	v_bfe_u32 v6, v5, 16, 1
	v_add3_u32 v5, v5, v6, s6
	v_lshrrev_b32_e32 v5, 16, v5
	global_store_dword v[1:2], v5, off
	s_mov_b64 s[6:7], -1
.LBB30_1753:
	s_and_b64 vcc, exec, s[10:11]
	s_cbranch_vccz .LBB30_1758
; %bb.1754:
	s_cmp_eq_u32 s21, 44
	s_mov_b64 s[2:3], -1
	s_cbranch_scc0 .LBB30_1758
; %bb.1755:
	v_bfe_i32 v5, v4, 0, 8
	v_cvt_f32_i32_sdwa v5, sext(v5) dst_sel:DWORD dst_unused:UNUSED_PAD src0_sel:WORD_0
	s_movk_i32 s2, 0xff
	v_mov_b32_e32 v7, 0xff
	v_bfe_u32 v6, v5, 23, 8
	v_cmp_ne_u32_e32 vcc, s2, v6
	s_and_saveexec_b64 s[6:7], vcc
; %bb.1756:
	s_mov_b32 s2, 0x3fffff
	v_lshrrev_b32_e32 v7, 23, v5
	v_and_b32_e32 v8, 0x400000, v5
	v_and_or_b32 v5, v5, s2, v6
	v_cmp_ne_u32_e32 vcc, 0, v8
	v_cmp_ne_u32_e64 s[2:3], 0, v5
	s_and_b64 s[2:3], vcc, s[2:3]
	v_cndmask_b32_e64 v5, 0, 1, s[2:3]
	v_add_u32_e32 v7, v7, v5
; %bb.1757:
	s_or_b64 exec, exec, s[6:7]
	s_mov_b64 s[2:3], 0
	s_mov_b64 s[6:7], -1
	global_store_byte v[1:2], v7, off
.LBB30_1758:
	s_mov_b64 s[10:11], 0
.LBB30_1759:
	s_and_b64 vcc, exec, s[10:11]
	s_cbranch_vccz .LBB30_1762
; %bb.1760:
	s_cmp_eq_u32 s21, 29
	s_mov_b64 s[2:3], -1
	s_cbranch_scc0 .LBB30_1762
; %bb.1761:
	v_bfe_i32 v5, v4, 0, 8
	v_ashrrev_i32_e32 v6, 31, v5
	global_store_dwordx2 v[1:2], v[5:6], off
	s_mov_b64 s[2:3], 0
	s_mov_b64 s[6:7], -1
.LBB30_1762:
	s_mov_b64 s[10:11], 0
.LBB30_1763:
	s_and_b64 vcc, exec, s[10:11]
	s_cbranch_vccz .LBB30_1779
; %bb.1764:
	s_cmp_lt_i32 s21, 27
	s_mov_b64 s[6:7], -1
	s_cbranch_scc1 .LBB30_1770
; %bb.1765:
	s_cmp_gt_i32 s21, 27
	s_cbranch_scc0 .LBB30_1767
; %bb.1766:
	v_bfe_i32 v5, v4, 0, 8
	s_mov_b64 s[6:7], 0
	global_store_dword v[1:2], v5, off
.LBB30_1767:
	s_andn2_b64 vcc, exec, s[6:7]
	s_cbranch_vccnz .LBB30_1769
; %bb.1768:
	v_bfe_i32 v5, v4, 0, 8
	global_store_short v[1:2], v5, off
.LBB30_1769:
	s_mov_b64 s[6:7], 0
.LBB30_1770:
	s_andn2_b64 vcc, exec, s[6:7]
	s_cbranch_vccnz .LBB30_1778
; %bb.1771:
	v_bfe_i32 v5, v4, 0, 8
	v_cvt_f32_i32_sdwa v5, sext(v5) dst_sel:DWORD dst_unused:UNUSED_PAD src0_sel:WORD_0
	s_mov_b32 s6, 0x43800000
	v_mov_b32_e32 v7, 0x80
	v_and_b32_e32 v6, 0x7fffffff, v5
	v_cmp_gt_u32_e32 vcc, s6, v6
	s_and_saveexec_b64 s[6:7], vcc
	s_cbranch_execz .LBB30_1777
; %bb.1772:
	s_mov_b32 s10, 0x3bffffff
	v_cmp_lt_u32_e32 vcc, s10, v6
	s_mov_b64 s[10:11], 0
                                        ; implicit-def: $vgpr6
	s_and_saveexec_b64 s[12:13], vcc
	s_xor_b64 s[12:13], exec, s[12:13]
	s_cbranch_execz .LBB30_1998
; %bb.1773:
	v_bfe_u32 v6, v5, 20, 1
	s_mov_b32 s23, 0x487ffff
	v_add3_u32 v6, v5, v6, s23
	s_mov_b64 s[10:11], exec
	v_lshrrev_b32_e32 v6, 20, v6
	s_andn2_saveexec_b64 s[12:13], s[12:13]
	s_cbranch_execnz .LBB30_1999
.LBB30_1774:
	s_or_b64 exec, exec, s[12:13]
	v_mov_b32_e32 v7, 0
	s_and_saveexec_b64 s[12:13], s[10:11]
.LBB30_1775:
	v_lshrrev_b32_e32 v5, 24, v5
	s_movk_i32 s10, 0x80
	v_and_or_b32 v7, v5, s10, v6
.LBB30_1776:
	s_or_b64 exec, exec, s[12:13]
.LBB30_1777:
	s_or_b64 exec, exec, s[6:7]
	global_store_byte v[1:2], v7, off
.LBB30_1778:
	s_mov_b64 s[6:7], -1
.LBB30_1779:
	s_mov_b64 s[10:11], 0
.LBB30_1780:
	s_and_b64 vcc, exec, s[10:11]
	s_cbranch_vccz .LBB30_1820
; %bb.1781:
	s_cmp_gt_i32 s21, 22
	s_mov_b64 s[4:5], -1
	s_cbranch_scc0 .LBB30_1813
; %bb.1782:
	s_cmp_lt_i32 s21, 24
	s_cbranch_scc1 .LBB30_1802
; %bb.1783:
	s_cmp_gt_i32 s21, 24
	s_cbranch_scc0 .LBB30_1791
; %bb.1784:
	v_bfe_i32 v5, v4, 0, 8
	v_cvt_f32_i32_sdwa v5, sext(v5) dst_sel:DWORD dst_unused:UNUSED_PAD src0_sel:WORD_0
	s_mov_b32 s4, 0x47800000
	v_mov_b32_e32 v7, 0x80
	v_and_b32_e32 v6, 0x7fffffff, v5
	v_cmp_gt_u32_e32 vcc, s4, v6
	s_and_saveexec_b64 s[4:5], vcc
	s_cbranch_execz .LBB30_1790
; %bb.1785:
	s_mov_b32 s6, 0x37ffffff
	v_cmp_lt_u32_e32 vcc, s6, v6
	s_mov_b64 s[6:7], 0
                                        ; implicit-def: $vgpr6
	s_and_saveexec_b64 s[10:11], vcc
	s_xor_b64 s[10:11], exec, s[10:11]
	s_cbranch_execz .LBB30_2001
; %bb.1786:
	v_bfe_u32 v6, v5, 21, 1
	s_mov_b32 s12, 0x88fffff
	v_add3_u32 v6, v5, v6, s12
	s_mov_b64 s[6:7], exec
	v_lshrrev_b32_e32 v6, 21, v6
	s_andn2_saveexec_b64 s[10:11], s[10:11]
	s_cbranch_execnz .LBB30_2002
.LBB30_1787:
	s_or_b64 exec, exec, s[10:11]
	v_mov_b32_e32 v7, 0
	s_and_saveexec_b64 s[10:11], s[6:7]
.LBB30_1788:
	v_lshrrev_b32_e32 v5, 24, v5
	s_movk_i32 s6, 0x80
	v_and_or_b32 v7, v5, s6, v6
.LBB30_1789:
	s_or_b64 exec, exec, s[10:11]
.LBB30_1790:
	s_or_b64 exec, exec, s[4:5]
	s_mov_b64 s[4:5], 0
	global_store_byte v[1:2], v7, off
.LBB30_1791:
	s_and_b64 vcc, exec, s[4:5]
	s_cbranch_vccz .LBB30_1801
; %bb.1792:
	v_bfe_i32 v5, v4, 0, 8
	v_cvt_f32_i32_sdwa v5, sext(v5) dst_sel:DWORD dst_unused:UNUSED_PAD src0_sel:WORD_0
	s_mov_b32 s4, 0x43f00000
                                        ; implicit-def: $vgpr6
	v_and_b32_e32 v7, 0x7fffffff, v5
	v_cmp_gt_u32_e32 vcc, s4, v7
	s_and_saveexec_b64 s[4:5], vcc
	s_xor_b64 s[4:5], exec, s[4:5]
	s_cbranch_execz .LBB30_1798
; %bb.1793:
	s_mov_b32 s6, 0x3c7fffff
	v_cmp_lt_u32_e32 vcc, s6, v7
                                        ; implicit-def: $vgpr6
	s_and_saveexec_b64 s[6:7], vcc
	s_xor_b64 s[6:7], exec, s[6:7]
; %bb.1794:
	v_bfe_u32 v6, v5, 20, 1
	s_mov_b32 s10, 0x407ffff
	v_add3_u32 v6, v5, v6, s10
	v_lshrrev_b32_e32 v7, 20, v6
	v_and_b32_e32 v6, 0xff00000, v6
	s_mov_b32 s10, 0x7f00000
	v_mov_b32_e32 v8, 0x7e
	v_cmp_ne_u32_e32 vcc, s10, v6
	v_cndmask_b32_e32 v6, v8, v7, vcc
; %bb.1795:
	s_andn2_saveexec_b64 s[6:7], s[6:7]
; %bb.1796:
	s_mov_b32 s10, 0x46800000
	v_add_f32_e64 v6, |v5|, s10
; %bb.1797:
	s_or_b64 exec, exec, s[6:7]
                                        ; implicit-def: $vgpr7
.LBB30_1798:
	s_andn2_saveexec_b64 s[4:5], s[4:5]
; %bb.1799:
	s_mov_b32 s6, 0x7f800000
	v_mov_b32_e32 v6, 0x7e
	v_mov_b32_e32 v8, 0x7f
	v_cmp_lt_u32_e32 vcc, s6, v7
	v_cndmask_b32_e32 v6, v6, v8, vcc
; %bb.1800:
	s_or_b64 exec, exec, s[4:5]
	v_lshrrev_b32_e32 v5, 24, v5
	s_movk_i32 s4, 0x80
	v_and_or_b32 v5, v5, s4, v6
	global_store_byte v[1:2], v5, off
.LBB30_1801:
	s_mov_b64 s[4:5], 0
.LBB30_1802:
	s_andn2_b64 vcc, exec, s[4:5]
	s_cbranch_vccnz .LBB30_1812
; %bb.1803:
	v_bfe_i32 v5, v4, 0, 8
	v_cvt_f32_i32_sdwa v5, sext(v5) dst_sel:DWORD dst_unused:UNUSED_PAD src0_sel:WORD_0
	s_mov_b32 s4, 0x47800000
                                        ; implicit-def: $vgpr6
	v_and_b32_e32 v7, 0x7fffffff, v5
	v_cmp_gt_u32_e32 vcc, s4, v7
	s_and_saveexec_b64 s[4:5], vcc
	s_xor_b64 s[4:5], exec, s[4:5]
	s_cbranch_execz .LBB30_1809
; %bb.1804:
	s_mov_b32 s6, 0x387fffff
	v_cmp_lt_u32_e32 vcc, s6, v7
                                        ; implicit-def: $vgpr6
	s_and_saveexec_b64 s[6:7], vcc
	s_xor_b64 s[6:7], exec, s[6:7]
; %bb.1805:
	v_bfe_u32 v6, v5, 21, 1
	s_mov_b32 s10, 0x80fffff
	v_add3_u32 v6, v5, v6, s10
	v_lshrrev_b32_e32 v6, 21, v6
; %bb.1806:
	s_andn2_saveexec_b64 s[6:7], s[6:7]
; %bb.1807:
	s_mov_b32 s10, 0x43000000
	v_add_f32_e64 v6, |v5|, s10
; %bb.1808:
	s_or_b64 exec, exec, s[6:7]
                                        ; implicit-def: $vgpr7
.LBB30_1809:
	s_andn2_saveexec_b64 s[4:5], s[4:5]
; %bb.1810:
	s_mov_b32 s6, 0x7f800000
	v_mov_b32_e32 v6, 0x7c
	v_mov_b32_e32 v8, 0x7f
	v_cmp_lt_u32_e32 vcc, s6, v7
	v_cndmask_b32_e32 v6, v6, v8, vcc
; %bb.1811:
	s_or_b64 exec, exec, s[4:5]
	v_lshrrev_b32_e32 v5, 24, v5
	s_movk_i32 s4, 0x80
	v_and_or_b32 v5, v5, s4, v6
	global_store_byte v[1:2], v5, off
.LBB30_1812:
	s_mov_b64 s[4:5], 0
	s_mov_b64 s[6:7], -1
.LBB30_1813:
	s_andn2_b64 vcc, exec, s[4:5]
	s_mov_b64 s[4:5], 0
	s_cbranch_vccnz .LBB30_1820
; %bb.1814:
	s_cmp_gt_i32 s21, 14
	s_mov_b64 s[10:11], -1
	s_cbranch_scc0 .LBB30_1818
; %bb.1815:
	s_cmp_eq_u32 s21, 15
	s_mov_b64 s[2:3], -1
	s_cbranch_scc0 .LBB30_1817
; %bb.1816:
	v_bfe_i32 v5, v4, 0, 8
	v_cvt_f32_i32_sdwa v5, sext(v5) dst_sel:DWORD dst_unused:UNUSED_PAD src0_sel:WORD_0
	s_movk_i32 s4, 0x7fff
	s_mov_b64 s[2:3], 0
	s_mov_b64 s[6:7], -1
	v_bfe_u32 v6, v5, 16, 1
	v_add3_u32 v5, v5, v6, s4
	global_store_short_d16_hi v[1:2], v5, off
.LBB30_1817:
	s_mov_b64 s[10:11], 0
.LBB30_1818:
	s_mov_b64 s[4:5], 0
	s_and_b64 vcc, exec, s[10:11]
	s_cbranch_vccz .LBB30_1820
; %bb.1819:
	s_cmp_lg_u32 s21, 11
	s_mov_b64 s[4:5], -1
	s_cselect_b64 s[2:3], -1, 0
.LBB30_1820:
	s_and_b64 vcc, exec, s[2:3]
	s_cbranch_vccnz .LBB30_2000
; %bb.1821:
	s_andn2_b64 vcc, exec, s[4:5]
	s_cbranch_vccnz .LBB30_1823
.LBB30_1822:
	v_mov_b32_e32 v5, 0
	v_cmp_ne_u16_sdwa s[2:3], v4, v5 src0_sel:BYTE_0 src1_sel:DWORD
	v_cndmask_b32_e64 v5, 0, 1, s[2:3]
	s_mov_b64 s[6:7], -1
	global_store_byte v[1:2], v5, off
.LBB30_1823:
	s_mov_b64 s[2:3], 0
	s_branch .LBB30_1825
.LBB30_1824:
	s_mov_b64 s[2:3], -1
	s_mov_b64 s[6:7], 0
.LBB30_1825:
	s_and_b64 vcc, exec, s[2:3]
	s_cbranch_vccz .LBB30_1864
; %bb.1826:
	s_and_b32 s4, 0xffff, s22
	s_cmp_lt_i32 s4, 5
	s_mov_b64 s[2:3], -1
	s_cbranch_scc1 .LBB30_1847
; %bb.1827:
	s_cmp_lt_i32 s4, 8
	s_cbranch_scc1 .LBB30_1837
; %bb.1828:
	s_cmp_lt_i32 s4, 9
	s_cbranch_scc1 .LBB30_1834
; %bb.1829:
	s_cmp_gt_i32 s4, 9
	s_cbranch_scc0 .LBB30_1831
; %bb.1830:
	v_bfe_i32 v5, v4, 0, 8
	v_bfe_i32 v5, v5, 0, 16
	v_cvt_f64_i32_e32 v[5:6], v5
	v_mov_b32_e32 v7, 0
	v_mov_b32_e32 v8, v7
	s_mov_b64 s[2:3], 0
	global_store_dwordx4 v[1:2], v[5:8], off
.LBB30_1831:
	s_andn2_b64 vcc, exec, s[2:3]
	s_cbranch_vccnz .LBB30_1833
; %bb.1832:
	v_bfe_i32 v5, v4, 0, 8
	v_cvt_f32_i32_sdwa v5, sext(v5) dst_sel:DWORD dst_unused:UNUSED_PAD src0_sel:WORD_0
	v_mov_b32_e32 v6, 0
	global_store_dwordx2 v[1:2], v[5:6], off
.LBB30_1833:
	s_mov_b64 s[2:3], 0
.LBB30_1834:
	s_andn2_b64 vcc, exec, s[2:3]
	s_cbranch_vccnz .LBB30_1836
; %bb.1835:
	v_cvt_f16_i16_sdwa v5, sext(v4) dst_sel:DWORD dst_unused:UNUSED_PAD src0_sel:BYTE_0
	global_store_dword v[1:2], v5, off
.LBB30_1836:
	s_mov_b64 s[2:3], 0
.LBB30_1837:
	s_andn2_b64 vcc, exec, s[2:3]
	s_cbranch_vccnz .LBB30_1846
; %bb.1838:
	s_cmp_lt_i32 s4, 6
	s_mov_b64 s[2:3], -1
	s_cbranch_scc1 .LBB30_1844
; %bb.1839:
	s_cmp_gt_i32 s4, 6
	s_cbranch_scc0 .LBB30_1841
; %bb.1840:
	v_bfe_i32 v5, v4, 0, 8
	v_bfe_i32 v5, v5, 0, 16
	v_cvt_f64_i32_e32 v[5:6], v5
	s_mov_b64 s[2:3], 0
	global_store_dwordx2 v[1:2], v[5:6], off
.LBB30_1841:
	s_andn2_b64 vcc, exec, s[2:3]
	s_cbranch_vccnz .LBB30_1843
; %bb.1842:
	v_bfe_i32 v5, v4, 0, 8
	v_cvt_f32_i32_sdwa v5, sext(v5) dst_sel:DWORD dst_unused:UNUSED_PAD src0_sel:WORD_0
	global_store_dword v[1:2], v5, off
.LBB30_1843:
	s_mov_b64 s[2:3], 0
.LBB30_1844:
	s_andn2_b64 vcc, exec, s[2:3]
	s_cbranch_vccnz .LBB30_1846
; %bb.1845:
	v_cvt_f16_i16_sdwa v5, sext(v4) dst_sel:DWORD dst_unused:UNUSED_PAD src0_sel:BYTE_0
	global_store_short v[1:2], v5, off
.LBB30_1846:
	s_mov_b64 s[2:3], 0
.LBB30_1847:
	s_andn2_b64 vcc, exec, s[2:3]
	s_cbranch_vccnz .LBB30_1863
; %bb.1848:
	s_cmp_lt_i32 s4, 2
	s_mov_b64 s[2:3], -1
	s_cbranch_scc1 .LBB30_1858
; %bb.1849:
	s_cmp_lt_i32 s4, 3
	s_cbranch_scc1 .LBB30_1855
; %bb.1850:
	s_cmp_gt_i32 s4, 3
	s_cbranch_scc0 .LBB30_1852
; %bb.1851:
	v_bfe_i32 v5, v4, 0, 8
	v_ashrrev_i32_e32 v6, 31, v5
	global_store_dwordx2 v[1:2], v[5:6], off
	s_mov_b64 s[2:3], 0
.LBB30_1852:
	s_andn2_b64 vcc, exec, s[2:3]
	s_cbranch_vccnz .LBB30_1854
; %bb.1853:
	v_bfe_i32 v5, v4, 0, 8
	global_store_dword v[1:2], v5, off
.LBB30_1854:
	s_mov_b64 s[2:3], 0
.LBB30_1855:
	s_andn2_b64 vcc, exec, s[2:3]
	s_cbranch_vccnz .LBB30_1857
; %bb.1856:
	v_bfe_i32 v5, v4, 0, 8
	global_store_short v[1:2], v5, off
.LBB30_1857:
	s_mov_b64 s[2:3], 0
.LBB30_1858:
	s_andn2_b64 vcc, exec, s[2:3]
	s_cbranch_vccnz .LBB30_1863
; %bb.1859:
	s_cmp_gt_i32 s4, 0
	s_mov_b64 s[2:3], -1
	s_cbranch_scc0 .LBB30_1861
; %bb.1860:
	global_store_byte v[1:2], v4, off
	s_mov_b64 s[2:3], 0
.LBB30_1861:
	s_andn2_b64 vcc, exec, s[2:3]
	s_cbranch_vccnz .LBB30_1863
; %bb.1862:
	global_store_byte v[1:2], v4, off
.LBB30_1863:
	s_mov_b64 s[6:7], -1
.LBB30_1864:
	s_andn2_b64 vcc, exec, s[6:7]
	s_cbranch_vccnz .LBB30_1941
; %bb.1865:
	v_mov_b32_e32 v1, s33
	v_cndmask_b32_e64 v2, v1, v0, s[0:1]
	v_add_u32_e32 v0, s20, v3
	v_ashrrev_i32_e32 v1, 31, v0
	v_mov_b32_e32 v3, s9
	v_add_co_u32_e32 v0, vcc, s8, v0
	s_cmp_lt_i32 s22, 11
	v_addc_co_u32_e32 v1, vcc, v3, v1, vcc
	s_cbranch_scc1 .LBB30_1986
; %bb.1866:
	s_and_b32 s10, 0xffff, s22
	s_mov_b64 s[4:5], -1
	s_mov_b64 s[2:3], 0
	s_cmp_gt_i32 s10, 25
	s_mov_b64 s[0:1], 0
	s_cbranch_scc0 .LBB30_1899
; %bb.1867:
	s_cmp_gt_i32 s10, 28
	s_cbranch_scc0 .LBB30_1883
; %bb.1868:
	s_cmp_gt_i32 s10, 43
	;; [unrolled: 3-line block ×3, first 2 shown]
	s_cbranch_scc0 .LBB30_1873
; %bb.1870:
	s_cmp_eq_u32 s10, 46
	s_mov_b64 s[0:1], -1
	s_cbranch_scc0 .LBB30_1872
; %bb.1871:
	v_bfe_i32 v3, v2, 0, 8
	v_cvt_f32_i32_sdwa v3, sext(v3) dst_sel:DWORD dst_unused:UNUSED_PAD src0_sel:WORD_0
	s_movk_i32 s0, 0x7fff
	v_bfe_u32 v4, v3, 16, 1
	v_add3_u32 v3, v3, v4, s0
	v_lshrrev_b32_e32 v3, 16, v3
	global_store_dword v[0:1], v3, off
	s_mov_b64 s[0:1], 0
.LBB30_1872:
	s_mov_b64 s[4:5], 0
.LBB30_1873:
	s_and_b64 vcc, exec, s[4:5]
	s_cbranch_vccz .LBB30_1878
; %bb.1874:
	s_cmp_eq_u32 s10, 44
	s_mov_b64 s[0:1], -1
	s_cbranch_scc0 .LBB30_1878
; %bb.1875:
	v_bfe_i32 v3, v2, 0, 8
	v_cvt_f32_i32_sdwa v3, sext(v3) dst_sel:DWORD dst_unused:UNUSED_PAD src0_sel:WORD_0
	s_movk_i32 s0, 0xff
	v_mov_b32_e32 v5, 0xff
	v_bfe_u32 v4, v3, 23, 8
	v_cmp_ne_u32_e32 vcc, s0, v4
	s_and_saveexec_b64 s[4:5], vcc
; %bb.1876:
	s_mov_b32 s0, 0x3fffff
	v_lshrrev_b32_e32 v5, 23, v3
	v_and_b32_e32 v6, 0x400000, v3
	v_and_or_b32 v3, v3, s0, v4
	v_cmp_ne_u32_e32 vcc, 0, v6
	v_cmp_ne_u32_e64 s[0:1], 0, v3
	s_and_b64 s[0:1], vcc, s[0:1]
	v_cndmask_b32_e64 v3, 0, 1, s[0:1]
	v_add_u32_e32 v5, v5, v3
; %bb.1877:
	s_or_b64 exec, exec, s[4:5]
	s_mov_b64 s[0:1], 0
	global_store_byte v[0:1], v5, off
.LBB30_1878:
	s_mov_b64 s[4:5], 0
.LBB30_1879:
	s_and_b64 vcc, exec, s[4:5]
	s_cbranch_vccz .LBB30_1882
; %bb.1880:
	s_cmp_eq_u32 s10, 29
	s_mov_b64 s[0:1], -1
	s_cbranch_scc0 .LBB30_1882
; %bb.1881:
	v_bfe_i32 v3, v2, 0, 8
	v_ashrrev_i32_e32 v4, 31, v3
	global_store_dwordx2 v[0:1], v[3:4], off
	s_mov_b64 s[0:1], 0
.LBB30_1882:
	s_mov_b64 s[4:5], 0
.LBB30_1883:
	s_and_b64 vcc, exec, s[4:5]
	s_cbranch_vccz .LBB30_1898
; %bb.1884:
	s_cmp_lt_i32 s10, 27
	s_mov_b64 s[4:5], -1
	s_cbranch_scc1 .LBB30_1890
; %bb.1885:
	s_cmp_gt_i32 s10, 27
	s_cbranch_scc0 .LBB30_1887
; %bb.1886:
	v_bfe_i32 v3, v2, 0, 8
	global_store_dword v[0:1], v3, off
	s_mov_b64 s[4:5], 0
.LBB30_1887:
	s_andn2_b64 vcc, exec, s[4:5]
	s_cbranch_vccnz .LBB30_1889
; %bb.1888:
	v_bfe_i32 v3, v2, 0, 8
	global_store_short v[0:1], v3, off
.LBB30_1889:
	s_mov_b64 s[4:5], 0
.LBB30_1890:
	s_andn2_b64 vcc, exec, s[4:5]
	s_cbranch_vccnz .LBB30_1898
; %bb.1891:
	v_bfe_i32 v3, v2, 0, 8
	v_cvt_f32_i32_sdwa v3, sext(v3) dst_sel:DWORD dst_unused:UNUSED_PAD src0_sel:WORD_0
	s_mov_b32 s4, 0x43800000
	v_mov_b32_e32 v5, 0x80
	v_and_b32_e32 v4, 0x7fffffff, v3
	v_cmp_gt_u32_e32 vcc, s4, v4
	s_and_saveexec_b64 s[4:5], vcc
	s_cbranch_execz .LBB30_1897
; %bb.1892:
	s_mov_b32 s6, 0x3bffffff
	v_cmp_lt_u32_e32 vcc, s6, v4
	s_mov_b64 s[6:7], 0
                                        ; implicit-def: $vgpr4
	s_and_saveexec_b64 s[8:9], vcc
	s_xor_b64 s[8:9], exec, s[8:9]
	s_cbranch_execz .LBB30_2003
; %bb.1893:
	v_bfe_u32 v4, v3, 20, 1
	s_mov_b32 s11, 0x487ffff
	v_add3_u32 v4, v3, v4, s11
	s_mov_b64 s[6:7], exec
	v_lshrrev_b32_e32 v4, 20, v4
	s_andn2_saveexec_b64 s[8:9], s[8:9]
	s_cbranch_execnz .LBB30_2004
.LBB30_1894:
	s_or_b64 exec, exec, s[8:9]
	v_mov_b32_e32 v5, 0
	s_and_saveexec_b64 s[8:9], s[6:7]
.LBB30_1895:
	v_lshrrev_b32_e32 v3, 24, v3
	s_movk_i32 s6, 0x80
	v_and_or_b32 v5, v3, s6, v4
.LBB30_1896:
	s_or_b64 exec, exec, s[8:9]
.LBB30_1897:
	s_or_b64 exec, exec, s[4:5]
	global_store_byte v[0:1], v5, off
.LBB30_1898:
	s_mov_b64 s[4:5], 0
.LBB30_1899:
	s_and_b64 vcc, exec, s[4:5]
	s_cbranch_vccz .LBB30_1939
; %bb.1900:
	s_cmp_gt_i32 s10, 22
	s_mov_b64 s[2:3], -1
	s_cbranch_scc0 .LBB30_1932
; %bb.1901:
	s_cmp_lt_i32 s10, 24
	s_cbranch_scc1 .LBB30_1921
; %bb.1902:
	s_cmp_gt_i32 s10, 24
	s_cbranch_scc0 .LBB30_1910
; %bb.1903:
	v_bfe_i32 v3, v2, 0, 8
	v_cvt_f32_i32_sdwa v3, sext(v3) dst_sel:DWORD dst_unused:UNUSED_PAD src0_sel:WORD_0
	s_mov_b32 s2, 0x47800000
	v_mov_b32_e32 v5, 0x80
	v_and_b32_e32 v4, 0x7fffffff, v3
	v_cmp_gt_u32_e32 vcc, s2, v4
	s_and_saveexec_b64 s[2:3], vcc
	s_cbranch_execz .LBB30_1909
; %bb.1904:
	s_mov_b32 s4, 0x37ffffff
	v_cmp_lt_u32_e32 vcc, s4, v4
	s_mov_b64 s[4:5], 0
                                        ; implicit-def: $vgpr4
	s_and_saveexec_b64 s[6:7], vcc
	s_xor_b64 s[6:7], exec, s[6:7]
	s_cbranch_execz .LBB30_2006
; %bb.1905:
	v_bfe_u32 v4, v3, 21, 1
	s_mov_b32 s8, 0x88fffff
	v_add3_u32 v4, v3, v4, s8
	s_mov_b64 s[4:5], exec
	v_lshrrev_b32_e32 v4, 21, v4
	s_andn2_saveexec_b64 s[6:7], s[6:7]
	s_cbranch_execnz .LBB30_2007
.LBB30_1906:
	s_or_b64 exec, exec, s[6:7]
	v_mov_b32_e32 v5, 0
	s_and_saveexec_b64 s[6:7], s[4:5]
.LBB30_1907:
	v_lshrrev_b32_e32 v3, 24, v3
	s_movk_i32 s4, 0x80
	v_and_or_b32 v5, v3, s4, v4
.LBB30_1908:
	s_or_b64 exec, exec, s[6:7]
.LBB30_1909:
	s_or_b64 exec, exec, s[2:3]
	s_mov_b64 s[2:3], 0
	global_store_byte v[0:1], v5, off
.LBB30_1910:
	s_and_b64 vcc, exec, s[2:3]
	s_cbranch_vccz .LBB30_1920
; %bb.1911:
	v_bfe_i32 v3, v2, 0, 8
	v_cvt_f32_i32_sdwa v3, sext(v3) dst_sel:DWORD dst_unused:UNUSED_PAD src0_sel:WORD_0
	s_mov_b32 s2, 0x43f00000
                                        ; implicit-def: $vgpr4
	v_and_b32_e32 v5, 0x7fffffff, v3
	v_cmp_gt_u32_e32 vcc, s2, v5
	s_and_saveexec_b64 s[2:3], vcc
	s_xor_b64 s[2:3], exec, s[2:3]
	s_cbranch_execz .LBB30_1917
; %bb.1912:
	s_mov_b32 s4, 0x3c7fffff
	v_cmp_lt_u32_e32 vcc, s4, v5
                                        ; implicit-def: $vgpr4
	s_and_saveexec_b64 s[4:5], vcc
	s_xor_b64 s[4:5], exec, s[4:5]
; %bb.1913:
	v_bfe_u32 v4, v3, 20, 1
	s_mov_b32 s6, 0x407ffff
	v_add3_u32 v4, v3, v4, s6
	v_lshrrev_b32_e32 v5, 20, v4
	v_and_b32_e32 v4, 0xff00000, v4
	s_mov_b32 s6, 0x7f00000
	v_mov_b32_e32 v6, 0x7e
	v_cmp_ne_u32_e32 vcc, s6, v4
	v_cndmask_b32_e32 v4, v6, v5, vcc
; %bb.1914:
	s_andn2_saveexec_b64 s[4:5], s[4:5]
; %bb.1915:
	s_mov_b32 s6, 0x46800000
	v_add_f32_e64 v4, |v3|, s6
; %bb.1916:
	s_or_b64 exec, exec, s[4:5]
                                        ; implicit-def: $vgpr5
.LBB30_1917:
	s_andn2_saveexec_b64 s[2:3], s[2:3]
; %bb.1918:
	s_mov_b32 s4, 0x7f800000
	v_mov_b32_e32 v4, 0x7e
	v_mov_b32_e32 v6, 0x7f
	v_cmp_lt_u32_e32 vcc, s4, v5
	v_cndmask_b32_e32 v4, v4, v6, vcc
; %bb.1919:
	s_or_b64 exec, exec, s[2:3]
	v_lshrrev_b32_e32 v3, 24, v3
	s_movk_i32 s2, 0x80
	v_and_or_b32 v3, v3, s2, v4
	global_store_byte v[0:1], v3, off
.LBB30_1920:
	s_mov_b64 s[2:3], 0
.LBB30_1921:
	s_andn2_b64 vcc, exec, s[2:3]
	s_cbranch_vccnz .LBB30_1931
; %bb.1922:
	v_bfe_i32 v3, v2, 0, 8
	v_cvt_f32_i32_sdwa v3, sext(v3) dst_sel:DWORD dst_unused:UNUSED_PAD src0_sel:WORD_0
	s_mov_b32 s2, 0x47800000
                                        ; implicit-def: $vgpr4
	v_and_b32_e32 v5, 0x7fffffff, v3
	v_cmp_gt_u32_e32 vcc, s2, v5
	s_and_saveexec_b64 s[2:3], vcc
	s_xor_b64 s[2:3], exec, s[2:3]
	s_cbranch_execz .LBB30_1928
; %bb.1923:
	s_mov_b32 s4, 0x387fffff
	v_cmp_lt_u32_e32 vcc, s4, v5
                                        ; implicit-def: $vgpr4
	s_and_saveexec_b64 s[4:5], vcc
	s_xor_b64 s[4:5], exec, s[4:5]
; %bb.1924:
	v_bfe_u32 v4, v3, 21, 1
	s_mov_b32 s6, 0x80fffff
	v_add3_u32 v4, v3, v4, s6
	v_lshrrev_b32_e32 v4, 21, v4
; %bb.1925:
	s_andn2_saveexec_b64 s[4:5], s[4:5]
; %bb.1926:
	s_mov_b32 s6, 0x43000000
	v_add_f32_e64 v4, |v3|, s6
; %bb.1927:
	s_or_b64 exec, exec, s[4:5]
                                        ; implicit-def: $vgpr5
.LBB30_1928:
	s_andn2_saveexec_b64 s[2:3], s[2:3]
; %bb.1929:
	s_mov_b32 s4, 0x7f800000
	v_mov_b32_e32 v4, 0x7c
	v_mov_b32_e32 v6, 0x7f
	v_cmp_lt_u32_e32 vcc, s4, v5
	v_cndmask_b32_e32 v4, v4, v6, vcc
; %bb.1930:
	s_or_b64 exec, exec, s[2:3]
	v_lshrrev_b32_e32 v3, 24, v3
	s_movk_i32 s2, 0x80
	v_and_or_b32 v3, v3, s2, v4
	global_store_byte v[0:1], v3, off
.LBB30_1931:
	s_mov_b64 s[2:3], 0
.LBB30_1932:
	s_andn2_b64 vcc, exec, s[2:3]
	s_mov_b64 s[2:3], 0
	s_cbranch_vccnz .LBB30_1939
; %bb.1933:
	s_cmp_gt_i32 s10, 14
	s_mov_b64 s[4:5], -1
	s_cbranch_scc0 .LBB30_1937
; %bb.1934:
	s_cmp_eq_u32 s10, 15
	s_mov_b64 s[0:1], -1
	s_cbranch_scc0 .LBB30_1936
; %bb.1935:
	v_bfe_i32 v3, v2, 0, 8
	v_cvt_f32_i32_sdwa v3, sext(v3) dst_sel:DWORD dst_unused:UNUSED_PAD src0_sel:WORD_0
	s_movk_i32 s0, 0x7fff
	v_bfe_u32 v4, v3, 16, 1
	v_add3_u32 v3, v3, v4, s0
	global_store_short_d16_hi v[0:1], v3, off
	s_mov_b64 s[0:1], 0
.LBB30_1936:
	s_mov_b64 s[4:5], 0
.LBB30_1937:
	s_and_b64 vcc, exec, s[4:5]
	s_cbranch_vccz .LBB30_1939
; %bb.1938:
	s_cmp_lg_u32 s10, 11
	s_mov_b64 s[2:3], -1
	s_cselect_b64 s[0:1], -1, 0
.LBB30_1939:
	s_and_b64 vcc, exec, s[0:1]
	s_cbranch_vccnz .LBB30_2005
.LBB30_1940:
	s_mov_b64 s[0:1], 0
	s_branch .LBB30_1942
.LBB30_1941:
	s_mov_b64 s[0:1], 0
	s_mov_b64 s[2:3], 0
                                        ; implicit-def: $sgpr22
                                        ; implicit-def: $vgpr0_vgpr1
                                        ; implicit-def: $vgpr2
.LBB30_1942:
	s_and_b64 s[6:7], s[2:3], exec
	s_andn2_b64 s[2:3], s[18:19], exec
	s_and_b64 s[4:5], s[14:15], exec
	s_and_b64 s[0:1], s[0:1], exec
	s_or_b64 s[18:19], s[2:3], s[4:5]
.LBB30_1943:
	s_or_b64 exec, exec, s[16:17]
	s_and_saveexec_b64 s[2:3], s[18:19]
	s_cbranch_execz .LBB30_1946
; %bb.1944:
	; divergent unreachable
	s_or_b64 exec, exec, s[2:3]
	s_and_saveexec_b64 s[2:3], s[6:7]
	s_xor_b64 s[2:3], exec, s[2:3]
	s_cbranch_execnz .LBB30_1947
.LBB30_1945:
	s_or_b64 exec, exec, s[2:3]
	s_and_saveexec_b64 s[2:3], s[0:1]
	s_cbranch_execnz .LBB30_1948
	s_branch .LBB30_1985
.LBB30_1946:
	s_or_b64 exec, exec, s[2:3]
	s_and_saveexec_b64 s[2:3], s[6:7]
	s_xor_b64 s[2:3], exec, s[2:3]
	s_cbranch_execz .LBB30_1945
.LBB30_1947:
	s_waitcnt vmcnt(0)
	v_mov_b32_e32 v3, 0
	v_cmp_ne_u16_sdwa s[4:5], v2, v3 src0_sel:BYTE_0 src1_sel:DWORD
	v_cndmask_b32_e64 v3, 0, 1, s[4:5]
	global_store_byte v[0:1], v3, off
	s_or_b64 exec, exec, s[2:3]
	s_and_saveexec_b64 s[2:3], s[0:1]
	s_cbranch_execz .LBB30_1985
.LBB30_1948:
	s_sext_i32_i16 s2, s22
	s_cmp_lt_i32 s2, 5
	s_mov_b64 s[0:1], -1
	s_cbranch_scc1 .LBB30_1969
; %bb.1949:
	s_cmp_lt_i32 s2, 8
	s_cbranch_scc1 .LBB30_1959
; %bb.1950:
	s_cmp_lt_i32 s2, 9
	s_cbranch_scc1 .LBB30_1956
; %bb.1951:
	s_cmp_gt_i32 s2, 9
	s_cbranch_scc0 .LBB30_1953
; %bb.1952:
	s_waitcnt vmcnt(0)
	v_bfe_i32 v3, v2, 0, 8
	v_bfe_i32 v3, v3, 0, 16
	v_cvt_f64_i32_e32 v[3:4], v3
	v_mov_b32_e32 v5, 0
	v_mov_b32_e32 v6, v5
	s_mov_b64 s[0:1], 0
	global_store_dwordx4 v[0:1], v[3:6], off
.LBB30_1953:
	s_andn2_b64 vcc, exec, s[0:1]
	s_cbranch_vccnz .LBB30_1955
; %bb.1954:
	s_waitcnt vmcnt(0)
	v_bfe_i32 v3, v2, 0, 8
	v_cvt_f32_i32_sdwa v3, sext(v3) dst_sel:DWORD dst_unused:UNUSED_PAD src0_sel:WORD_0
	v_mov_b32_e32 v4, 0
	global_store_dwordx2 v[0:1], v[3:4], off
.LBB30_1955:
	s_mov_b64 s[0:1], 0
.LBB30_1956:
	s_andn2_b64 vcc, exec, s[0:1]
	s_cbranch_vccnz .LBB30_1958
; %bb.1957:
	s_waitcnt vmcnt(0)
	v_cvt_f16_i16_sdwa v3, sext(v2) dst_sel:DWORD dst_unused:UNUSED_PAD src0_sel:BYTE_0
	global_store_dword v[0:1], v3, off
.LBB30_1958:
	s_mov_b64 s[0:1], 0
.LBB30_1959:
	s_andn2_b64 vcc, exec, s[0:1]
	s_cbranch_vccnz .LBB30_1968
; %bb.1960:
	s_sext_i32_i16 s2, s22
	s_cmp_lt_i32 s2, 6
	s_mov_b64 s[0:1], -1
	s_cbranch_scc1 .LBB30_1966
; %bb.1961:
	s_cmp_gt_i32 s2, 6
	s_cbranch_scc0 .LBB30_1963
; %bb.1962:
	s_waitcnt vmcnt(0)
	v_bfe_i32 v3, v2, 0, 8
	v_bfe_i32 v3, v3, 0, 16
	v_cvt_f64_i32_e32 v[3:4], v3
	s_mov_b64 s[0:1], 0
	global_store_dwordx2 v[0:1], v[3:4], off
.LBB30_1963:
	s_andn2_b64 vcc, exec, s[0:1]
	s_cbranch_vccnz .LBB30_1965
; %bb.1964:
	s_waitcnt vmcnt(0)
	v_bfe_i32 v3, v2, 0, 8
	v_cvt_f32_i32_sdwa v3, sext(v3) dst_sel:DWORD dst_unused:UNUSED_PAD src0_sel:WORD_0
	global_store_dword v[0:1], v3, off
.LBB30_1965:
	s_mov_b64 s[0:1], 0
.LBB30_1966:
	s_andn2_b64 vcc, exec, s[0:1]
	s_cbranch_vccnz .LBB30_1968
; %bb.1967:
	s_waitcnt vmcnt(0)
	v_cvt_f16_i16_sdwa v3, sext(v2) dst_sel:DWORD dst_unused:UNUSED_PAD src0_sel:BYTE_0
	global_store_short v[0:1], v3, off
.LBB30_1968:
	s_mov_b64 s[0:1], 0
.LBB30_1969:
	s_andn2_b64 vcc, exec, s[0:1]
	s_cbranch_vccnz .LBB30_1985
; %bb.1970:
	s_sext_i32_i16 s2, s22
	s_cmp_lt_i32 s2, 2
	s_mov_b64 s[0:1], -1
	s_cbranch_scc1 .LBB30_1980
; %bb.1971:
	s_cmp_lt_i32 s2, 3
	s_cbranch_scc1 .LBB30_1977
; %bb.1972:
	s_cmp_gt_i32 s2, 3
	s_cbranch_scc0 .LBB30_1974
; %bb.1973:
	s_waitcnt vmcnt(0)
	v_bfe_i32 v3, v2, 0, 8
	v_ashrrev_i32_e32 v4, 31, v3
	global_store_dwordx2 v[0:1], v[3:4], off
	s_mov_b64 s[0:1], 0
.LBB30_1974:
	s_andn2_b64 vcc, exec, s[0:1]
	s_cbranch_vccnz .LBB30_1976
; %bb.1975:
	s_waitcnt vmcnt(0)
	v_bfe_i32 v3, v2, 0, 8
	global_store_dword v[0:1], v3, off
.LBB30_1976:
	s_mov_b64 s[0:1], 0
.LBB30_1977:
	s_andn2_b64 vcc, exec, s[0:1]
	s_cbranch_vccnz .LBB30_1979
; %bb.1978:
	s_waitcnt vmcnt(0)
	v_bfe_i32 v3, v2, 0, 8
	global_store_short v[0:1], v3, off
.LBB30_1979:
	s_mov_b64 s[0:1], 0
.LBB30_1980:
	s_andn2_b64 vcc, exec, s[0:1]
	s_cbranch_vccnz .LBB30_1985
; %bb.1981:
	s_sext_i32_i16 s0, s22
	s_cmp_gt_i32 s0, 0
	s_mov_b64 s[0:1], -1
	s_cbranch_scc0 .LBB30_1983
; %bb.1982:
	s_waitcnt vmcnt(0)
	global_store_byte v[0:1], v2, off
	s_mov_b64 s[0:1], 0
.LBB30_1983:
	s_andn2_b64 vcc, exec, s[0:1]
	s_cbranch_vccnz .LBB30_1985
; %bb.1984:
	s_waitcnt vmcnt(0)
	global_store_byte v[0:1], v2, off
	s_endpgm
.LBB30_1985:
	s_endpgm
.LBB30_1986:
	s_mov_b64 s[2:3], 0
	s_mov_b64 s[0:1], -1
	s_branch .LBB30_1942
.LBB30_1987:
	s_trap 2
	s_or_b64 s[14:15], s[14:15], exec
	s_cbranch_execz .LBB30_1456
	s_branch .LBB30_1457
.LBB30_1988:
	s_andn2_saveexec_b64 s[20:21], s[20:21]
	s_cbranch_execz .LBB30_1536
.LBB30_1989:
	s_mov_b32 s23, 0x46000000
	v_add_f32_e64 v8, |v7|, s23
	v_and_b32_e32 v8, 0xff, v8
	v_cmp_ne_u32_e32 vcc, 0, v8
	s_andn2_b64 s[10:11], s[10:11], exec
	s_and_b64 s[24:25], vcc, exec
	s_or_b64 s[10:11], s[10:11], s[24:25]
	s_or_b64 exec, exec, s[20:21]
	v_mov_b32_e32 v9, 0
	s_and_saveexec_b64 s[20:21], s[10:11]
	s_cbranch_execnz .LBB30_1537
	s_branch .LBB30_1538
.LBB30_1990:
	s_trap 2
	s_or_b64 s[14:15], s[14:15], exec
	s_cbranch_execz .LBB30_1584
	s_branch .LBB30_1585
.LBB30_1991:
	s_andn2_saveexec_b64 s[10:11], s[10:11]
	s_cbranch_execz .LBB30_1549
.LBB30_1992:
	s_mov_b32 s20, 0x42800000
	v_add_f32_e64 v8, |v7|, s20
	v_and_b32_e32 v8, 0xff, v8
	v_cmp_ne_u32_e32 vcc, 0, v8
	s_andn2_b64 s[6:7], s[6:7], exec
	s_and_b64 s[20:21], vcc, exec
	s_or_b64 s[6:7], s[6:7], s[20:21]
	s_or_b64 exec, exec, s[10:11]
	v_mov_b32_e32 v9, 0
	s_and_saveexec_b64 s[10:11], s[6:7]
	s_cbranch_execnz .LBB30_1550
	s_branch .LBB30_1551
.LBB30_1993:
	s_andn2_saveexec_b64 s[12:13], s[12:13]
	s_cbranch_execz .LBB30_1655
.LBB30_1994:
	s_mov_b32 s23, 0x46000000
	v_add_f32_e64 v7, |v6|, s23
	v_and_b32_e32 v7, 0xff, v7
	v_cmp_ne_u32_e32 vcc, 0, v7
	s_andn2_b64 s[10:11], s[10:11], exec
	s_and_b64 s[24:25], vcc, exec
	s_or_b64 s[10:11], s[10:11], s[24:25]
	s_or_b64 exec, exec, s[12:13]
	v_mov_b32_e32 v8, 0
	s_and_saveexec_b64 s[12:13], s[10:11]
	s_cbranch_execnz .LBB30_1656
	s_branch .LBB30_1657
.LBB30_1995:
	s_trap 2
	s_or_b64 s[14:15], s[14:15], exec
	s_cbranch_execz .LBB30_1703
	s_branch .LBB30_1704
.LBB30_1996:
	s_andn2_saveexec_b64 s[10:11], s[10:11]
	s_cbranch_execz .LBB30_1668
.LBB30_1997:
	s_mov_b32 s12, 0x42800000
	v_add_f32_e64 v7, |v6|, s12
	v_and_b32_e32 v7, 0xff, v7
	v_cmp_ne_u32_e32 vcc, 0, v7
	s_andn2_b64 s[6:7], s[6:7], exec
	s_and_b64 s[12:13], vcc, exec
	s_or_b64 s[6:7], s[6:7], s[12:13]
	s_or_b64 exec, exec, s[10:11]
	v_mov_b32_e32 v8, 0
	s_and_saveexec_b64 s[10:11], s[6:7]
	s_cbranch_execnz .LBB30_1669
	s_branch .LBB30_1670
.LBB30_1998:
	s_andn2_saveexec_b64 s[12:13], s[12:13]
	s_cbranch_execz .LBB30_1774
.LBB30_1999:
	s_mov_b32 s23, 0x46000000
	v_add_f32_e64 v6, |v5|, s23
	v_and_b32_e32 v6, 0xff, v6
	v_cmp_ne_u32_e32 vcc, 0, v6
	s_andn2_b64 s[10:11], s[10:11], exec
	s_and_b64 s[24:25], vcc, exec
	s_or_b64 s[10:11], s[10:11], s[24:25]
	s_or_b64 exec, exec, s[12:13]
	v_mov_b32_e32 v7, 0
	s_and_saveexec_b64 s[12:13], s[10:11]
	s_cbranch_execnz .LBB30_1775
	s_branch .LBB30_1776
.LBB30_2000:
	s_trap 2
	s_or_b64 s[14:15], s[14:15], exec
	s_cbranch_execz .LBB30_1822
	s_branch .LBB30_1823
.LBB30_2001:
	s_andn2_saveexec_b64 s[10:11], s[10:11]
	s_cbranch_execz .LBB30_1787
.LBB30_2002:
	s_mov_b32 s12, 0x42800000
	v_add_f32_e64 v6, |v5|, s12
	v_and_b32_e32 v6, 0xff, v6
	v_cmp_ne_u32_e32 vcc, 0, v6
	s_andn2_b64 s[6:7], s[6:7], exec
	s_and_b64 s[12:13], vcc, exec
	s_or_b64 s[6:7], s[6:7], s[12:13]
	s_or_b64 exec, exec, s[10:11]
	v_mov_b32_e32 v7, 0
	s_and_saveexec_b64 s[10:11], s[6:7]
	s_cbranch_execnz .LBB30_1788
	s_branch .LBB30_1789
.LBB30_2003:
	s_andn2_saveexec_b64 s[8:9], s[8:9]
	s_cbranch_execz .LBB30_1894
.LBB30_2004:
	s_mov_b32 s11, 0x46000000
	v_add_f32_e64 v4, |v3|, s11
	v_and_b32_e32 v4, 0xff, v4
	v_cmp_ne_u32_e32 vcc, 0, v4
	s_andn2_b64 s[6:7], s[6:7], exec
	s_and_b64 s[12:13], vcc, exec
	s_or_b64 s[6:7], s[6:7], s[12:13]
	s_or_b64 exec, exec, s[8:9]
	v_mov_b32_e32 v5, 0
	s_and_saveexec_b64 s[8:9], s[6:7]
	s_cbranch_execnz .LBB30_1895
	s_branch .LBB30_1896
.LBB30_2005:
	s_mov_b64 s[2:3], 0
	s_or_b64 s[14:15], s[14:15], exec
	s_trap 2
	s_branch .LBB30_1940
.LBB30_2006:
	s_andn2_saveexec_b64 s[6:7], s[6:7]
	s_cbranch_execz .LBB30_1906
.LBB30_2007:
	s_mov_b32 s8, 0x42800000
	v_add_f32_e64 v4, |v3|, s8
	v_and_b32_e32 v4, 0xff, v4
	v_cmp_ne_u32_e32 vcc, 0, v4
	s_andn2_b64 s[4:5], s[4:5], exec
	s_and_b64 s[8:9], vcc, exec
	s_or_b64 s[4:5], s[4:5], s[8:9]
	s_or_b64 exec, exec, s[6:7]
	v_mov_b32_e32 v5, 0
	s_and_saveexec_b64 s[6:7], s[4:5]
	s_cbranch_execnz .LBB30_1907
	s_branch .LBB30_1908
	.section	.rodata,"a",@progbits
	.p2align	6, 0x0
	.amdhsa_kernel _ZN2at6native32elementwise_kernel_manual_unrollILi128ELi4EZNS0_15gpu_kernel_implINS0_13AUnaryFunctorIaaaZNS0_12_GLOBAL__N_121threshold_kernel_implIaEEvRNS_18TensorIteratorBaseET_S8_EUlaaE_EEEEvS7_RKS8_EUlibE_EEviT1_
		.amdhsa_group_segment_fixed_size 0
		.amdhsa_private_segment_fixed_size 0
		.amdhsa_kernarg_size 40
		.amdhsa_user_sgpr_count 6
		.amdhsa_user_sgpr_private_segment_buffer 1
		.amdhsa_user_sgpr_dispatch_ptr 0
		.amdhsa_user_sgpr_queue_ptr 0
		.amdhsa_user_sgpr_kernarg_segment_ptr 1
		.amdhsa_user_sgpr_dispatch_id 0
		.amdhsa_user_sgpr_flat_scratch_init 0
		.amdhsa_user_sgpr_private_segment_size 0
		.amdhsa_uses_dynamic_stack 0
		.amdhsa_system_sgpr_private_segment_wavefront_offset 0
		.amdhsa_system_sgpr_workgroup_id_x 1
		.amdhsa_system_sgpr_workgroup_id_y 0
		.amdhsa_system_sgpr_workgroup_id_z 0
		.amdhsa_system_sgpr_workgroup_info 0
		.amdhsa_system_vgpr_workitem_id 0
		.amdhsa_next_free_vgpr 12
		.amdhsa_next_free_sgpr 50
		.amdhsa_reserve_vcc 1
		.amdhsa_reserve_flat_scratch 0
		.amdhsa_float_round_mode_32 0
		.amdhsa_float_round_mode_16_64 0
		.amdhsa_float_denorm_mode_32 3
		.amdhsa_float_denorm_mode_16_64 3
		.amdhsa_dx10_clamp 1
		.amdhsa_ieee_mode 1
		.amdhsa_fp16_overflow 0
		.amdhsa_exception_fp_ieee_invalid_op 0
		.amdhsa_exception_fp_denorm_src 0
		.amdhsa_exception_fp_ieee_div_zero 0
		.amdhsa_exception_fp_ieee_overflow 0
		.amdhsa_exception_fp_ieee_underflow 0
		.amdhsa_exception_fp_ieee_inexact 0
		.amdhsa_exception_int_div_zero 0
	.end_amdhsa_kernel
	.section	.text._ZN2at6native32elementwise_kernel_manual_unrollILi128ELi4EZNS0_15gpu_kernel_implINS0_13AUnaryFunctorIaaaZNS0_12_GLOBAL__N_121threshold_kernel_implIaEEvRNS_18TensorIteratorBaseET_S8_EUlaaE_EEEEvS7_RKS8_EUlibE_EEviT1_,"axG",@progbits,_ZN2at6native32elementwise_kernel_manual_unrollILi128ELi4EZNS0_15gpu_kernel_implINS0_13AUnaryFunctorIaaaZNS0_12_GLOBAL__N_121threshold_kernel_implIaEEvRNS_18TensorIteratorBaseET_S8_EUlaaE_EEEEvS7_RKS8_EUlibE_EEviT1_,comdat
.Lfunc_end30:
	.size	_ZN2at6native32elementwise_kernel_manual_unrollILi128ELi4EZNS0_15gpu_kernel_implINS0_13AUnaryFunctorIaaaZNS0_12_GLOBAL__N_121threshold_kernel_implIaEEvRNS_18TensorIteratorBaseET_S8_EUlaaE_EEEEvS7_RKS8_EUlibE_EEviT1_, .Lfunc_end30-_ZN2at6native32elementwise_kernel_manual_unrollILi128ELi4EZNS0_15gpu_kernel_implINS0_13AUnaryFunctorIaaaZNS0_12_GLOBAL__N_121threshold_kernel_implIaEEvRNS_18TensorIteratorBaseET_S8_EUlaaE_EEEEvS7_RKS8_EUlibE_EEviT1_
                                        ; -- End function
	.set _ZN2at6native32elementwise_kernel_manual_unrollILi128ELi4EZNS0_15gpu_kernel_implINS0_13AUnaryFunctorIaaaZNS0_12_GLOBAL__N_121threshold_kernel_implIaEEvRNS_18TensorIteratorBaseET_S8_EUlaaE_EEEEvS7_RKS8_EUlibE_EEviT1_.num_vgpr, 12
	.set _ZN2at6native32elementwise_kernel_manual_unrollILi128ELi4EZNS0_15gpu_kernel_implINS0_13AUnaryFunctorIaaaZNS0_12_GLOBAL__N_121threshold_kernel_implIaEEvRNS_18TensorIteratorBaseET_S8_EUlaaE_EEEEvS7_RKS8_EUlibE_EEviT1_.num_agpr, 0
	.set _ZN2at6native32elementwise_kernel_manual_unrollILi128ELi4EZNS0_15gpu_kernel_implINS0_13AUnaryFunctorIaaaZNS0_12_GLOBAL__N_121threshold_kernel_implIaEEvRNS_18TensorIteratorBaseET_S8_EUlaaE_EEEEvS7_RKS8_EUlibE_EEviT1_.numbered_sgpr, 50
	.set _ZN2at6native32elementwise_kernel_manual_unrollILi128ELi4EZNS0_15gpu_kernel_implINS0_13AUnaryFunctorIaaaZNS0_12_GLOBAL__N_121threshold_kernel_implIaEEvRNS_18TensorIteratorBaseET_S8_EUlaaE_EEEEvS7_RKS8_EUlibE_EEviT1_.num_named_barrier, 0
	.set _ZN2at6native32elementwise_kernel_manual_unrollILi128ELi4EZNS0_15gpu_kernel_implINS0_13AUnaryFunctorIaaaZNS0_12_GLOBAL__N_121threshold_kernel_implIaEEvRNS_18TensorIteratorBaseET_S8_EUlaaE_EEEEvS7_RKS8_EUlibE_EEviT1_.private_seg_size, 0
	.set _ZN2at6native32elementwise_kernel_manual_unrollILi128ELi4EZNS0_15gpu_kernel_implINS0_13AUnaryFunctorIaaaZNS0_12_GLOBAL__N_121threshold_kernel_implIaEEvRNS_18TensorIteratorBaseET_S8_EUlaaE_EEEEvS7_RKS8_EUlibE_EEviT1_.uses_vcc, 1
	.set _ZN2at6native32elementwise_kernel_manual_unrollILi128ELi4EZNS0_15gpu_kernel_implINS0_13AUnaryFunctorIaaaZNS0_12_GLOBAL__N_121threshold_kernel_implIaEEvRNS_18TensorIteratorBaseET_S8_EUlaaE_EEEEvS7_RKS8_EUlibE_EEviT1_.uses_flat_scratch, 0
	.set _ZN2at6native32elementwise_kernel_manual_unrollILi128ELi4EZNS0_15gpu_kernel_implINS0_13AUnaryFunctorIaaaZNS0_12_GLOBAL__N_121threshold_kernel_implIaEEvRNS_18TensorIteratorBaseET_S8_EUlaaE_EEEEvS7_RKS8_EUlibE_EEviT1_.has_dyn_sized_stack, 0
	.set _ZN2at6native32elementwise_kernel_manual_unrollILi128ELi4EZNS0_15gpu_kernel_implINS0_13AUnaryFunctorIaaaZNS0_12_GLOBAL__N_121threshold_kernel_implIaEEvRNS_18TensorIteratorBaseET_S8_EUlaaE_EEEEvS7_RKS8_EUlibE_EEviT1_.has_recursion, 0
	.set _ZN2at6native32elementwise_kernel_manual_unrollILi128ELi4EZNS0_15gpu_kernel_implINS0_13AUnaryFunctorIaaaZNS0_12_GLOBAL__N_121threshold_kernel_implIaEEvRNS_18TensorIteratorBaseET_S8_EUlaaE_EEEEvS7_RKS8_EUlibE_EEviT1_.has_indirect_call, 0
	.section	.AMDGPU.csdata,"",@progbits
; Kernel info:
; codeLenInByte = 31012
; TotalNumSgprs: 54
; NumVgprs: 12
; ScratchSize: 0
; MemoryBound: 1
; FloatMode: 240
; IeeeMode: 1
; LDSByteSize: 0 bytes/workgroup (compile time only)
; SGPRBlocks: 6
; VGPRBlocks: 2
; NumSGPRsForWavesPerEU: 54
; NumVGPRsForWavesPerEU: 12
; Occupancy: 10
; WaveLimiterHint : 0
; COMPUTE_PGM_RSRC2:SCRATCH_EN: 0
; COMPUTE_PGM_RSRC2:USER_SGPR: 6
; COMPUTE_PGM_RSRC2:TRAP_HANDLER: 0
; COMPUTE_PGM_RSRC2:TGID_X_EN: 1
; COMPUTE_PGM_RSRC2:TGID_Y_EN: 0
; COMPUTE_PGM_RSRC2:TGID_Z_EN: 0
; COMPUTE_PGM_RSRC2:TIDIG_COMP_CNT: 0
	.section	.text._ZN2at6native32elementwise_kernel_manual_unrollILi128ELi4EZNS0_15gpu_kernel_implINS0_13AUnaryFunctorIaaaZNS0_12_GLOBAL__N_121threshold_kernel_implIaEEvRNS_18TensorIteratorBaseET_S8_EUlaaE_EEEEvS7_RKS8_EUlibE0_EEviT1_,"axG",@progbits,_ZN2at6native32elementwise_kernel_manual_unrollILi128ELi4EZNS0_15gpu_kernel_implINS0_13AUnaryFunctorIaaaZNS0_12_GLOBAL__N_121threshold_kernel_implIaEEvRNS_18TensorIteratorBaseET_S8_EUlaaE_EEEEvS7_RKS8_EUlibE0_EEviT1_,comdat
	.globl	_ZN2at6native32elementwise_kernel_manual_unrollILi128ELi4EZNS0_15gpu_kernel_implINS0_13AUnaryFunctorIaaaZNS0_12_GLOBAL__N_121threshold_kernel_implIaEEvRNS_18TensorIteratorBaseET_S8_EUlaaE_EEEEvS7_RKS8_EUlibE0_EEviT1_ ; -- Begin function _ZN2at6native32elementwise_kernel_manual_unrollILi128ELi4EZNS0_15gpu_kernel_implINS0_13AUnaryFunctorIaaaZNS0_12_GLOBAL__N_121threshold_kernel_implIaEEvRNS_18TensorIteratorBaseET_S8_EUlaaE_EEEEvS7_RKS8_EUlibE0_EEviT1_
	.p2align	8
	.type	_ZN2at6native32elementwise_kernel_manual_unrollILi128ELi4EZNS0_15gpu_kernel_implINS0_13AUnaryFunctorIaaaZNS0_12_GLOBAL__N_121threshold_kernel_implIaEEvRNS_18TensorIteratorBaseET_S8_EUlaaE_EEEEvS7_RKS8_EUlibE0_EEviT1_,@function
_ZN2at6native32elementwise_kernel_manual_unrollILi128ELi4EZNS0_15gpu_kernel_implINS0_13AUnaryFunctorIaaaZNS0_12_GLOBAL__N_121threshold_kernel_implIaEEvRNS_18TensorIteratorBaseET_S8_EUlaaE_EEEEvS7_RKS8_EUlibE0_EEviT1_: ; @_ZN2at6native32elementwise_kernel_manual_unrollILi128ELi4EZNS0_15gpu_kernel_implINS0_13AUnaryFunctorIaaaZNS0_12_GLOBAL__N_121threshold_kernel_implIaEEvRNS_18TensorIteratorBaseET_S8_EUlaaE_EEEEvS7_RKS8_EUlibE0_EEviT1_
; %bb.0:
	s_load_dword s76, s[4:5], 0x0
	s_load_dword s33, s[4:5], 0x8
	s_add_u32 s34, s4, 8
	s_addc_u32 s35, s5, 0
	v_lshl_or_b32 v8, s6, 9, v0
	v_or_b32_e32 v15, 0x180, v8
	s_waitcnt lgkmcnt(0)
	s_add_i32 s78, s33, -1
	s_cmp_gt_u32 s78, 1
	v_cmp_le_i32_e32 vcc, s76, v15
	s_cselect_b64 s[44:45], -1, 0
	s_mov_b64 s[6:7], 0
	s_mov_b64 s[28:29], 0
	s_and_saveexec_b64 s[0:1], vcc
	s_xor_b64 s[46:47], exec, s[0:1]
	s_cbranch_execz .LBB31_1070
; %bb.1:
	s_load_dwordx4 s[28:31], s[34:35], 0x4
	s_load_dwordx2 s[52:53], s[34:35], 0x14
	s_load_dwordx2 s[50:51], s[34:35], 0x158
	s_cmp_lg_u32 s33, 0
	s_cselect_b64 s[58:59], -1, 0
	s_add_u32 s56, s34, 0xc4
	s_addc_u32 s57, s35, 0
	s_min_u32 s80, s78, 15
	s_load_dwordx4 s[36:39], s[34:35], 0xc4
	s_load_dwordx4 s[24:27], s[34:35], 0x148
	s_cmp_gt_u32 s33, 1
	s_cselect_b64 s[54:55], -1, 0
	s_waitcnt lgkmcnt(0)
	s_lshr_b32 s79, s50, 8
	s_lshr_b64 s[48:49], s[50:51], 24
	s_sext_i32_i8 s0, s50
	s_bfe_i32 s1, s50, 0x80010
	s_cmp_gt_i32 s1, s0
	s_cselect_b64 s[0:1], -1, 0
	v_cmp_gt_i32_e32 vcc, s76, v8
	s_mov_b64 s[2:3], -1
	s_mov_b64 s[68:69], 0
	s_mov_b64 s[62:63], 0
	;; [unrolled: 1-line block ×3, first 2 shown]
	s_and_saveexec_b64 s[64:65], vcc
	s_cbranch_execz .LBB31_262
; %bb.2:
	s_andn2_b64 vcc, exec, s[44:45]
	s_cbranch_vccnz .LBB31_7
; %bb.3:
	s_andn2_b64 vcc, exec, s[58:59]
	s_cbranch_vccnz .LBB31_8
; %bb.4:
	s_add_i32 s50, s80, 1
	s_cmp_eq_u32 s78, 2
	s_cbranch_scc1 .LBB31_9
; %bb.5:
	s_and_b32 s49, s50, 28
	v_mov_b32_e32 v2, 0
	s_mov_b32 s62, 0
	s_mov_b64 s[2:3], s[34:35]
	s_mov_b64 s[60:61], s[56:57]
	v_mov_b32_e32 v0, 0
	v_mov_b32_e32 v1, v8
.LBB31_6:                               ; =>This Inner Loop Header: Depth=1
	s_load_dwordx8 s[16:23], s[2:3], 0x4
	s_load_dwordx4 s[40:43], s[2:3], 0x24
	s_load_dwordx8 s[8:15], s[60:61], 0x0
	s_add_u32 s2, s2, 48
	s_addc_u32 s3, s3, 0
	s_waitcnt lgkmcnt(0)
	v_mul_hi_u32 v3, s17, v1
	s_add_i32 s62, s62, 4
	s_add_u32 s60, s60, 32
	s_addc_u32 s61, s61, 0
	v_add_u32_e32 v3, v1, v3
	v_lshrrev_b32_e32 v3, s18, v3
	v_mul_lo_u32 v4, v3, s16
	v_mul_hi_u32 v5, s20, v3
	s_cmp_lg_u32 s49, s62
	v_sub_u32_e32 v1, v1, v4
	v_add_u32_e32 v4, v3, v5
	v_mul_lo_u32 v5, v1, s8
	v_mul_lo_u32 v6, v1, s9
	v_lshrrev_b32_e32 v1, s21, v4
	v_mul_lo_u32 v4, v1, s19
	v_mul_hi_u32 v7, s23, v1
	v_sub_u32_e32 v3, v3, v4
	v_add_u32_e32 v4, v1, v7
	v_lshrrev_b32_e32 v4, s40, v4
	v_mul_hi_u32 v9, s42, v4
	v_mul_lo_u32 v10, v4, s22
	v_mul_lo_u32 v7, v3, s10
	;; [unrolled: 1-line block ×3, first 2 shown]
	v_sub_u32_e32 v10, v1, v10
	v_add_u32_e32 v1, v4, v9
	v_lshrrev_b32_e32 v1, s43, v1
	v_mul_lo_u32 v9, v1, s41
	v_mul_lo_u32 v11, v10, s12
	;; [unrolled: 1-line block ×3, first 2 shown]
	v_add3_u32 v0, v5, v0, v7
	v_sub_u32_e32 v4, v4, v9
	v_mul_lo_u32 v9, v4, s14
	v_mul_lo_u32 v4, v4, s15
	v_add3_u32 v2, v6, v2, v3
	v_add3_u32 v0, v11, v0, v9
	;; [unrolled: 1-line block ×3, first 2 shown]
	s_cbranch_scc1 .LBB31_6
	s_branch .LBB31_10
.LBB31_7:
                                        ; implicit-def: $vgpr0
                                        ; implicit-def: $vgpr2
	s_andn2_b64 vcc, exec, s[2:3]
	s_cbranch_vccz .LBB31_14
	s_branch .LBB31_16
.LBB31_8:
	v_mov_b32_e32 v0, 0
	v_mov_b32_e32 v2, 0
	s_branch .LBB31_13
.LBB31_9:
	s_mov_b32 s49, 0
	v_mov_b32_e32 v0, 0
	v_mov_b32_e32 v2, 0
	v_mov_b32_e32 v1, v8
.LBB31_10:
	s_and_b32 s10, s50, 3
	s_cmp_eq_u32 s10, 0
	s_cbranch_scc1 .LBB31_13
; %bb.11:
	s_lshl_b32 s2, s49, 3
	s_add_u32 s2, s34, s2
	s_addc_u32 s3, s35, 0
	s_add_u32 s2, s2, 0xc4
	s_addc_u32 s3, s3, 0
	s_mul_i32 s8, s49, 12
	s_add_u32 s8, s34, s8
	s_addc_u32 s9, s35, 0
.LBB31_12:                              ; =>This Inner Loop Header: Depth=1
	s_load_dwordx2 s[12:13], s[8:9], 0x4
	s_load_dword s11, s[8:9], 0xc
	s_load_dwordx2 s[14:15], s[2:3], 0x0
	s_add_u32 s8, s8, 12
	s_addc_u32 s9, s9, 0
	s_waitcnt lgkmcnt(0)
	v_mul_hi_u32 v3, s13, v1
	s_add_u32 s2, s2, 8
	s_addc_u32 s3, s3, 0
	s_add_i32 s10, s10, -1
	v_add_u32_e32 v3, v1, v3
	v_lshrrev_b32_e32 v4, s11, v3
	v_mul_lo_u32 v3, v4, s12
	s_cmp_lg_u32 s10, 0
	v_sub_u32_e32 v3, v1, v3
	v_mad_u64_u32 v[0:1], s[12:13], v3, s14, v[0:1]
	v_mad_u64_u32 v[2:3], s[12:13], v3, s15, v[2:3]
	v_mov_b32_e32 v1, v4
	s_cbranch_scc1 .LBB31_12
.LBB31_13:
	s_cbranch_execnz .LBB31_16
.LBB31_14:
	v_mul_hi_u32 v0, s29, v8
	s_andn2_b64 vcc, exec, s[54:55]
	v_add_u32_e32 v0, v8, v0
	v_lshrrev_b32_e32 v1, s30, v0
	v_mul_lo_u32 v0, v1, s28
	v_sub_u32_e32 v2, v8, v0
	v_mul_lo_u32 v0, v2, s36
	v_mul_lo_u32 v2, v2, s37
	s_cbranch_vccnz .LBB31_16
; %bb.15:
	v_mul_hi_u32 v3, s52, v1
	v_add_u32_e32 v3, v1, v3
	v_lshrrev_b32_e32 v3, s53, v3
	v_mul_lo_u32 v3, v3, s31
	v_sub_u32_e32 v3, v1, v3
	v_mad_u64_u32 v[0:1], s[2:3], v3, s38, v[0:1]
	v_mad_u64_u32 v[2:3], s[2:3], v3, s39, v[2:3]
.LBB31_16:
	v_mov_b32_e32 v3, s27
	s_and_b32 s12, s51, 0xff
	v_add_co_u32_e32 v1, vcc, s26, v2
	s_cmp_lt_i32 s12, 11
	v_addc_co_u32_e32 v2, vcc, 0, v3, vcc
	s_cbranch_scc1 .LBB31_23
; %bb.17:
	s_and_b32 s13, 0xffff, s12
	s_cmp_gt_i32 s13, 25
	s_cbranch_scc0 .LBB31_32
; %bb.18:
	s_cmp_gt_i32 s13, 28
	s_cbranch_scc0 .LBB31_35
; %bb.19:
	;; [unrolled: 3-line block ×4, first 2 shown]
	s_cmp_eq_u32 s13, 46
	s_mov_b64 s[10:11], 0
	s_cbranch_scc0 .LBB31_41
; %bb.22:
	global_load_dword v3, v[1:2], off
	s_mov_b64 s[2:3], -1
	s_mov_b64 s[8:9], 0
	s_waitcnt vmcnt(0)
	v_lshlrev_b32_e32 v3, 16, v3
	v_cvt_i32_f32_e32 v3, v3
	s_branch .LBB31_43
.LBB31_23:
	s_mov_b64 s[8:9], 0
                                        ; implicit-def: $vgpr3
	s_mov_b64 s[2:3], 0
	s_cbranch_execnz .LBB31_212
.LBB31_24:
	s_andn2_b64 vcc, exec, s[2:3]
	s_cbranch_vccnz .LBB31_259
.LBB31_25:
	v_mov_b32_e32 v1, s79
	s_waitcnt vmcnt(0)
	v_cndmask_b32_e64 v2, v1, v3, s[0:1]
	v_mov_b32_e32 v1, s25
	s_and_b32 s16, s48, 0xff
	v_add_co_u32_e32 v0, vcc, s24, v0
	s_cmp_lt_i32 s16, 11
	v_addc_co_u32_e32 v1, vcc, 0, v1, vcc
	s_cbranch_scc1 .LBB31_33
; %bb.26:
	s_and_b32 s17, 0xffff, s16
	s_cmp_gt_i32 s17, 25
	s_cbranch_scc0 .LBB31_36
; %bb.27:
	s_cmp_gt_i32 s17, 28
	s_cbranch_scc0 .LBB31_38
; %bb.28:
	;; [unrolled: 3-line block ×4, first 2 shown]
	s_mov_b64 s[12:13], 0
	s_mov_b64 s[2:3], -1
	s_cmp_eq_u32 s17, 46
	s_mov_b64 s[10:11], 0
	s_cbranch_scc0 .LBB31_47
; %bb.31:
	v_bfe_i32 v3, v2, 0, 8
	v_cvt_f32_i32_sdwa v3, sext(v3) dst_sel:DWORD dst_unused:UNUSED_PAD src0_sel:WORD_0
	s_movk_i32 s2, 0x7fff
	s_mov_b64 s[10:11], -1
	v_bfe_u32 v4, v3, 16, 1
	v_add3_u32 v3, v3, v4, s2
	v_lshrrev_b32_e32 v3, 16, v3
	global_store_dword v[0:1], v3, off
	s_mov_b64 s[2:3], 0
	s_branch .LBB31_47
.LBB31_32:
	s_mov_b64 s[8:9], 0
	s_mov_b64 s[2:3], 0
                                        ; implicit-def: $vgpr3
	s_cbranch_execnz .LBB31_179
	s_branch .LBB31_211
.LBB31_33:
	s_mov_b64 s[2:3], 0
	s_mov_b64 s[10:11], 0
	s_cbranch_execnz .LBB31_116
.LBB31_34:
	s_andn2_b64 vcc, exec, s[10:11]
	s_cbranch_vccnz .LBB31_260
	s_branch .LBB31_154
.LBB31_35:
	s_mov_b64 s[10:11], -1
	s_mov_b64 s[8:9], 0
	s_mov_b64 s[2:3], 0
                                        ; implicit-def: $vgpr3
	s_branch .LBB31_162
.LBB31_36:
	s_mov_b64 s[12:13], -1
	s_mov_b64 s[2:3], 0
	s_mov_b64 s[10:11], 0
	s_branch .LBB31_74
.LBB31_37:
	s_mov_b64 s[10:11], -1
	s_mov_b64 s[8:9], 0
	s_mov_b64 s[2:3], 0
                                        ; implicit-def: $vgpr3
	s_branch .LBB31_157
.LBB31_38:
	s_mov_b64 s[12:13], -1
	s_mov_b64 s[2:3], 0
	s_mov_b64 s[10:11], 0
	s_branch .LBB31_57
.LBB31_39:
	s_mov_b64 s[10:11], -1
	s_mov_b64 s[8:9], 0
	s_branch .LBB31_42
.LBB31_40:
	s_mov_b64 s[12:13], -1
	s_mov_b64 s[2:3], 0
	s_mov_b64 s[10:11], 0
	s_branch .LBB31_53
.LBB31_41:
	s_mov_b64 s[8:9], -1
.LBB31_42:
	s_mov_b64 s[2:3], 0
                                        ; implicit-def: $vgpr3
.LBB31_43:
	s_and_b64 vcc, exec, s[10:11]
	s_cbranch_vccz .LBB31_156
; %bb.44:
	s_cmp_eq_u32 s13, 44
	s_cbranch_scc0 .LBB31_155
; %bb.45:
	global_load_ubyte v3, v[1:2], off
	s_mov_b64 s[2:3], -1
	s_mov_b64 s[8:9], 0
	s_waitcnt vmcnt(0)
	v_lshlrev_b32_e32 v4, 23, v3
	v_cvt_i32_f32_e32 v4, v4
	v_cmp_ne_u32_e32 vcc, 0, v3
	v_cndmask_b32_e32 v3, 0, v4, vcc
	s_branch .LBB31_156
.LBB31_46:
	s_mov_b64 s[12:13], -1
	s_mov_b64 s[2:3], 0
	s_mov_b64 s[10:11], 0
.LBB31_47:
	s_and_b64 vcc, exec, s[12:13]
	s_cbranch_vccz .LBB31_52
; %bb.48:
	s_cmp_eq_u32 s17, 44
	s_mov_b64 s[2:3], -1
	s_cbranch_scc0 .LBB31_52
; %bb.49:
	v_bfe_i32 v3, v2, 0, 8
	v_cvt_f32_i32_sdwa v3, sext(v3) dst_sel:DWORD dst_unused:UNUSED_PAD src0_sel:WORD_0
	s_movk_i32 s2, 0xff
	v_mov_b32_e32 v5, 0xff
	v_bfe_u32 v4, v3, 23, 8
	v_cmp_ne_u32_e32 vcc, s2, v4
	s_and_saveexec_b64 s[10:11], vcc
; %bb.50:
	s_mov_b32 s2, 0x3fffff
	v_lshrrev_b32_e32 v5, 23, v3
	v_and_b32_e32 v6, 0x400000, v3
	v_and_or_b32 v3, v3, s2, v4
	v_cmp_ne_u32_e32 vcc, 0, v6
	v_cmp_ne_u32_e64 s[2:3], 0, v3
	s_and_b64 s[2:3], vcc, s[2:3]
	v_cndmask_b32_e64 v3, 0, 1, s[2:3]
	v_add_u32_e32 v5, v5, v3
; %bb.51:
	s_or_b64 exec, exec, s[10:11]
	s_mov_b64 s[10:11], -1
	s_mov_b64 s[2:3], 0
	global_store_byte v[0:1], v5, off
.LBB31_52:
	s_mov_b64 s[12:13], 0
.LBB31_53:
	s_and_b64 vcc, exec, s[12:13]
	s_cbranch_vccz .LBB31_56
; %bb.54:
	s_cmp_eq_u32 s17, 29
	s_mov_b64 s[2:3], -1
	s_cbranch_scc0 .LBB31_56
; %bb.55:
	v_bfe_i32 v3, v2, 0, 8
	v_ashrrev_i32_e32 v4, 31, v3
	global_store_dwordx2 v[0:1], v[3:4], off
	s_mov_b64 s[10:11], -1
	s_mov_b64 s[2:3], 0
.LBB31_56:
	s_mov_b64 s[12:13], 0
.LBB31_57:
	s_and_b64 vcc, exec, s[12:13]
	s_cbranch_vccz .LBB31_73
; %bb.58:
	s_cmp_lt_i32 s17, 27
	s_mov_b64 s[10:11], -1
	s_cbranch_scc1 .LBB31_64
; %bb.59:
	s_cmp_gt_i32 s17, 27
	s_cbranch_scc0 .LBB31_61
; %bb.60:
	v_bfe_i32 v3, v2, 0, 8
	s_mov_b64 s[10:11], 0
	global_store_dword v[0:1], v3, off
.LBB31_61:
	s_andn2_b64 vcc, exec, s[10:11]
	s_cbranch_vccnz .LBB31_63
; %bb.62:
	v_bfe_i32 v3, v2, 0, 8
	global_store_short v[0:1], v3, off
.LBB31_63:
	s_mov_b64 s[10:11], 0
.LBB31_64:
	s_andn2_b64 vcc, exec, s[10:11]
	s_cbranch_vccnz .LBB31_72
; %bb.65:
	v_bfe_i32 v3, v2, 0, 8
	v_cvt_f32_i32_sdwa v3, sext(v3) dst_sel:DWORD dst_unused:UNUSED_PAD src0_sel:WORD_0
	s_mov_b32 s10, 0x43800000
	v_mov_b32_e32 v5, 0x80
	v_and_b32_e32 v4, 0x7fffffff, v3
	v_cmp_gt_u32_e32 vcc, s10, v4
	s_and_saveexec_b64 s[10:11], vcc
	s_cbranch_execz .LBB31_71
; %bb.66:
	s_mov_b32 s12, 0x3bffffff
	v_cmp_lt_u32_e32 vcc, s12, v4
	s_mov_b64 s[12:13], 0
                                        ; implicit-def: $vgpr4
	s_and_saveexec_b64 s[14:15], vcc
	s_xor_b64 s[14:15], exec, s[14:15]
	s_cbranch_execz .LBB31_303
; %bb.67:
	v_bfe_u32 v4, v3, 20, 1
	s_mov_b32 s18, 0x487ffff
	v_add3_u32 v4, v3, v4, s18
	s_mov_b64 s[12:13], exec
	v_lshrrev_b32_e32 v4, 20, v4
	s_andn2_saveexec_b64 s[14:15], s[14:15]
	s_cbranch_execnz .LBB31_304
.LBB31_68:
	s_or_b64 exec, exec, s[14:15]
	v_mov_b32_e32 v5, 0
	s_and_saveexec_b64 s[14:15], s[12:13]
.LBB31_69:
	v_lshrrev_b32_e32 v3, 24, v3
	s_movk_i32 s12, 0x80
	v_and_or_b32 v5, v3, s12, v4
.LBB31_70:
	s_or_b64 exec, exec, s[14:15]
.LBB31_71:
	s_or_b64 exec, exec, s[10:11]
	global_store_byte v[0:1], v5, off
.LBB31_72:
	s_mov_b64 s[10:11], -1
.LBB31_73:
	s_mov_b64 s[12:13], 0
.LBB31_74:
	s_and_b64 vcc, exec, s[12:13]
	s_cbranch_vccz .LBB31_115
; %bb.75:
	s_cmp_gt_i32 s17, 22
	s_mov_b64 s[12:13], -1
	s_cbranch_scc0 .LBB31_107
; %bb.76:
	s_cmp_lt_i32 s17, 24
	s_mov_b64 s[10:11], -1
	s_cbranch_scc1 .LBB31_96
; %bb.77:
	s_cmp_gt_i32 s17, 24
	s_cbranch_scc0 .LBB31_85
; %bb.78:
	v_bfe_i32 v3, v2, 0, 8
	v_cvt_f32_i32_sdwa v3, sext(v3) dst_sel:DWORD dst_unused:UNUSED_PAD src0_sel:WORD_0
	s_mov_b32 s10, 0x47800000
	v_mov_b32_e32 v5, 0x80
	v_and_b32_e32 v4, 0x7fffffff, v3
	v_cmp_gt_u32_e32 vcc, s10, v4
	s_and_saveexec_b64 s[10:11], vcc
	s_cbranch_execz .LBB31_84
; %bb.79:
	s_mov_b32 s12, 0x37ffffff
	v_cmp_lt_u32_e32 vcc, s12, v4
	s_mov_b64 s[12:13], 0
                                        ; implicit-def: $vgpr4
	s_and_saveexec_b64 s[14:15], vcc
	s_xor_b64 s[14:15], exec, s[14:15]
	s_cbranch_execz .LBB31_307
; %bb.80:
	v_bfe_u32 v4, v3, 21, 1
	s_mov_b32 s18, 0x88fffff
	v_add3_u32 v4, v3, v4, s18
	s_mov_b64 s[12:13], exec
	v_lshrrev_b32_e32 v4, 21, v4
	s_andn2_saveexec_b64 s[14:15], s[14:15]
	s_cbranch_execnz .LBB31_308
.LBB31_81:
	s_or_b64 exec, exec, s[14:15]
	v_mov_b32_e32 v5, 0
	s_and_saveexec_b64 s[14:15], s[12:13]
.LBB31_82:
	v_lshrrev_b32_e32 v3, 24, v3
	s_movk_i32 s12, 0x80
	v_and_or_b32 v5, v3, s12, v4
.LBB31_83:
	s_or_b64 exec, exec, s[14:15]
.LBB31_84:
	s_or_b64 exec, exec, s[10:11]
	s_mov_b64 s[10:11], 0
	global_store_byte v[0:1], v5, off
.LBB31_85:
	s_and_b64 vcc, exec, s[10:11]
	s_cbranch_vccz .LBB31_95
; %bb.86:
	v_bfe_i32 v3, v2, 0, 8
	v_cvt_f32_i32_sdwa v3, sext(v3) dst_sel:DWORD dst_unused:UNUSED_PAD src0_sel:WORD_0
	s_mov_b32 s10, 0x43f00000
                                        ; implicit-def: $vgpr4
	v_and_b32_e32 v5, 0x7fffffff, v3
	v_cmp_gt_u32_e32 vcc, s10, v5
	s_and_saveexec_b64 s[10:11], vcc
	s_xor_b64 s[10:11], exec, s[10:11]
	s_cbranch_execz .LBB31_92
; %bb.87:
	s_mov_b32 s12, 0x3c7fffff
	v_cmp_lt_u32_e32 vcc, s12, v5
                                        ; implicit-def: $vgpr4
	s_and_saveexec_b64 s[12:13], vcc
	s_xor_b64 s[12:13], exec, s[12:13]
; %bb.88:
	v_bfe_u32 v4, v3, 20, 1
	s_mov_b32 s14, 0x407ffff
	v_add3_u32 v4, v3, v4, s14
	v_lshrrev_b32_e32 v5, 20, v4
	v_and_b32_e32 v4, 0xff00000, v4
	s_mov_b32 s14, 0x7f00000
	v_mov_b32_e32 v6, 0x7e
	v_cmp_ne_u32_e32 vcc, s14, v4
	v_cndmask_b32_e32 v4, v6, v5, vcc
; %bb.89:
	s_andn2_saveexec_b64 s[12:13], s[12:13]
; %bb.90:
	s_mov_b32 s14, 0x46800000
	v_add_f32_e64 v4, |v3|, s14
; %bb.91:
	s_or_b64 exec, exec, s[12:13]
                                        ; implicit-def: $vgpr5
.LBB31_92:
	s_andn2_saveexec_b64 s[10:11], s[10:11]
; %bb.93:
	s_mov_b32 s12, 0x7f800000
	v_mov_b32_e32 v4, 0x7e
	v_mov_b32_e32 v6, 0x7f
	v_cmp_lt_u32_e32 vcc, s12, v5
	v_cndmask_b32_e32 v4, v4, v6, vcc
; %bb.94:
	s_or_b64 exec, exec, s[10:11]
	v_lshrrev_b32_e32 v3, 24, v3
	s_movk_i32 s10, 0x80
	v_and_or_b32 v3, v3, s10, v4
	global_store_byte v[0:1], v3, off
.LBB31_95:
	s_mov_b64 s[10:11], 0
.LBB31_96:
	s_andn2_b64 vcc, exec, s[10:11]
	s_cbranch_vccnz .LBB31_106
; %bb.97:
	v_bfe_i32 v3, v2, 0, 8
	v_cvt_f32_i32_sdwa v3, sext(v3) dst_sel:DWORD dst_unused:UNUSED_PAD src0_sel:WORD_0
	s_mov_b32 s10, 0x47800000
                                        ; implicit-def: $vgpr4
	v_and_b32_e32 v5, 0x7fffffff, v3
	v_cmp_gt_u32_e32 vcc, s10, v5
	s_and_saveexec_b64 s[10:11], vcc
	s_xor_b64 s[10:11], exec, s[10:11]
	s_cbranch_execz .LBB31_103
; %bb.98:
	s_mov_b32 s12, 0x387fffff
	v_cmp_lt_u32_e32 vcc, s12, v5
                                        ; implicit-def: $vgpr4
	s_and_saveexec_b64 s[12:13], vcc
	s_xor_b64 s[12:13], exec, s[12:13]
; %bb.99:
	v_bfe_u32 v4, v3, 21, 1
	s_mov_b32 s14, 0x80fffff
	v_add3_u32 v4, v3, v4, s14
	v_lshrrev_b32_e32 v4, 21, v4
; %bb.100:
	s_andn2_saveexec_b64 s[12:13], s[12:13]
; %bb.101:
	s_mov_b32 s14, 0x43000000
	v_add_f32_e64 v4, |v3|, s14
; %bb.102:
	s_or_b64 exec, exec, s[12:13]
                                        ; implicit-def: $vgpr5
.LBB31_103:
	s_andn2_saveexec_b64 s[10:11], s[10:11]
; %bb.104:
	s_mov_b32 s12, 0x7f800000
	v_mov_b32_e32 v4, 0x7c
	v_mov_b32_e32 v6, 0x7f
	v_cmp_lt_u32_e32 vcc, s12, v5
	v_cndmask_b32_e32 v4, v4, v6, vcc
; %bb.105:
	s_or_b64 exec, exec, s[10:11]
	v_lshrrev_b32_e32 v3, 24, v3
	s_movk_i32 s10, 0x80
	v_and_or_b32 v3, v3, s10, v4
	global_store_byte v[0:1], v3, off
.LBB31_106:
	s_mov_b64 s[12:13], 0
	s_mov_b64 s[10:11], -1
.LBB31_107:
	s_andn2_b64 vcc, exec, s[12:13]
	s_cbranch_vccnz .LBB31_115
; %bb.108:
	s_cmp_gt_i32 s17, 14
	s_mov_b64 s[12:13], -1
	s_cbranch_scc0 .LBB31_112
; %bb.109:
	s_cmp_eq_u32 s17, 15
	s_mov_b64 s[2:3], -1
	s_cbranch_scc0 .LBB31_111
; %bb.110:
	v_bfe_i32 v3, v2, 0, 8
	v_cvt_f32_i32_sdwa v3, sext(v3) dst_sel:DWORD dst_unused:UNUSED_PAD src0_sel:WORD_0
	s_movk_i32 s2, 0x7fff
	s_mov_b64 s[10:11], -1
	v_bfe_u32 v4, v3, 16, 1
	v_add3_u32 v3, v3, v4, s2
	global_store_short_d16_hi v[0:1], v3, off
	s_mov_b64 s[2:3], 0
.LBB31_111:
	s_mov_b64 s[12:13], 0
.LBB31_112:
	s_and_b64 vcc, exec, s[12:13]
	s_cbranch_vccz .LBB31_115
; %bb.113:
	s_cmp_eq_u32 s17, 11
	s_mov_b64 s[2:3], -1
	s_cbranch_scc0 .LBB31_115
; %bb.114:
	v_mov_b32_e32 v3, 0
	v_cmp_ne_u16_sdwa s[2:3], v2, v3 src0_sel:BYTE_0 src1_sel:DWORD
	v_cndmask_b32_e64 v3, 0, 1, s[2:3]
	s_mov_b64 s[10:11], -1
	s_mov_b64 s[2:3], 0
	global_store_byte v[0:1], v3, off
.LBB31_115:
	s_branch .LBB31_34
.LBB31_116:
	s_and_b32 s12, 0xffff, s16
	s_cmp_lt_i32 s12, 5
	s_mov_b64 s[10:11], -1
	s_cbranch_scc1 .LBB31_137
; %bb.117:
	s_cmp_lt_i32 s12, 8
	s_cbranch_scc1 .LBB31_127
; %bb.118:
	s_cmp_lt_i32 s12, 9
	s_cbranch_scc1 .LBB31_124
; %bb.119:
	s_cmp_gt_i32 s12, 9
	s_cbranch_scc0 .LBB31_121
; %bb.120:
	v_bfe_i32 v3, v2, 0, 8
	v_bfe_i32 v3, v3, 0, 16
	v_cvt_f64_i32_e32 v[3:4], v3
	v_mov_b32_e32 v5, 0
	v_mov_b32_e32 v6, v5
	s_mov_b64 s[10:11], 0
	global_store_dwordx4 v[0:1], v[3:6], off
.LBB31_121:
	s_andn2_b64 vcc, exec, s[10:11]
	s_cbranch_vccnz .LBB31_123
; %bb.122:
	v_bfe_i32 v3, v2, 0, 8
	v_cvt_f32_i32_sdwa v3, sext(v3) dst_sel:DWORD dst_unused:UNUSED_PAD src0_sel:WORD_0
	v_mov_b32_e32 v4, 0
	global_store_dwordx2 v[0:1], v[3:4], off
.LBB31_123:
	s_mov_b64 s[10:11], 0
.LBB31_124:
	s_andn2_b64 vcc, exec, s[10:11]
	s_cbranch_vccnz .LBB31_126
; %bb.125:
	v_cvt_f16_i16_sdwa v3, sext(v2) dst_sel:DWORD dst_unused:UNUSED_PAD src0_sel:BYTE_0
	global_store_dword v[0:1], v3, off
.LBB31_126:
	s_mov_b64 s[10:11], 0
.LBB31_127:
	s_andn2_b64 vcc, exec, s[10:11]
	s_cbranch_vccnz .LBB31_136
; %bb.128:
	s_cmp_lt_i32 s12, 6
	s_mov_b64 s[10:11], -1
	s_cbranch_scc1 .LBB31_134
; %bb.129:
	s_cmp_gt_i32 s12, 6
	s_cbranch_scc0 .LBB31_131
; %bb.130:
	v_bfe_i32 v3, v2, 0, 8
	v_bfe_i32 v3, v3, 0, 16
	v_cvt_f64_i32_e32 v[3:4], v3
	s_mov_b64 s[10:11], 0
	global_store_dwordx2 v[0:1], v[3:4], off
.LBB31_131:
	s_andn2_b64 vcc, exec, s[10:11]
	s_cbranch_vccnz .LBB31_133
; %bb.132:
	v_bfe_i32 v3, v2, 0, 8
	v_cvt_f32_i32_sdwa v3, sext(v3) dst_sel:DWORD dst_unused:UNUSED_PAD src0_sel:WORD_0
	global_store_dword v[0:1], v3, off
.LBB31_133:
	s_mov_b64 s[10:11], 0
.LBB31_134:
	s_andn2_b64 vcc, exec, s[10:11]
	s_cbranch_vccnz .LBB31_136
; %bb.135:
	v_cvt_f16_i16_sdwa v3, sext(v2) dst_sel:DWORD dst_unused:UNUSED_PAD src0_sel:BYTE_0
	global_store_short v[0:1], v3, off
.LBB31_136:
	s_mov_b64 s[10:11], 0
.LBB31_137:
	s_andn2_b64 vcc, exec, s[10:11]
	s_cbranch_vccnz .LBB31_153
; %bb.138:
	s_cmp_lt_i32 s12, 2
	s_mov_b64 s[10:11], -1
	s_cbranch_scc1 .LBB31_148
; %bb.139:
	s_cmp_lt_i32 s12, 3
	s_cbranch_scc1 .LBB31_145
; %bb.140:
	s_cmp_gt_i32 s12, 3
	s_cbranch_scc0 .LBB31_142
; %bb.141:
	v_bfe_i32 v3, v2, 0, 8
	v_ashrrev_i32_e32 v4, 31, v3
	global_store_dwordx2 v[0:1], v[3:4], off
	s_mov_b64 s[10:11], 0
.LBB31_142:
	s_andn2_b64 vcc, exec, s[10:11]
	s_cbranch_vccnz .LBB31_144
; %bb.143:
	v_bfe_i32 v3, v2, 0, 8
	global_store_dword v[0:1], v3, off
.LBB31_144:
	s_mov_b64 s[10:11], 0
.LBB31_145:
	s_andn2_b64 vcc, exec, s[10:11]
	s_cbranch_vccnz .LBB31_147
; %bb.146:
	v_bfe_i32 v3, v2, 0, 8
	global_store_short v[0:1], v3, off
.LBB31_147:
	s_mov_b64 s[10:11], 0
.LBB31_148:
	s_andn2_b64 vcc, exec, s[10:11]
	s_cbranch_vccnz .LBB31_153
; %bb.149:
	s_cmp_gt_i32 s12, 0
	s_mov_b64 s[10:11], -1
	s_cbranch_scc0 .LBB31_151
; %bb.150:
	global_store_byte v[0:1], v2, off
	s_mov_b64 s[10:11], 0
.LBB31_151:
	s_andn2_b64 vcc, exec, s[10:11]
	s_cbranch_vccnz .LBB31_153
; %bb.152:
	global_store_byte v[0:1], v2, off
.LBB31_153:
.LBB31_154:
	v_add_u32_e32 v8, 0x80, v8
	s_mov_b64 s[10:11], -1
	s_branch .LBB31_261
.LBB31_155:
	s_mov_b64 s[8:9], -1
                                        ; implicit-def: $vgpr3
.LBB31_156:
	s_mov_b64 s[10:11], 0
.LBB31_157:
	s_and_b64 vcc, exec, s[10:11]
	s_cbranch_vccz .LBB31_161
; %bb.158:
	s_cmp_eq_u32 s13, 29
	s_cbranch_scc0 .LBB31_160
; %bb.159:
	global_load_dwordx2 v[3:4], v[1:2], off
	s_mov_b64 s[2:3], -1
	s_mov_b64 s[8:9], 0
	s_branch .LBB31_161
.LBB31_160:
	s_mov_b64 s[8:9], -1
                                        ; implicit-def: $vgpr3
.LBB31_161:
	s_mov_b64 s[10:11], 0
.LBB31_162:
	s_and_b64 vcc, exec, s[10:11]
	s_cbranch_vccz .LBB31_178
; %bb.163:
	s_cmp_lt_i32 s13, 27
	s_cbranch_scc1 .LBB31_166
; %bb.164:
	s_cmp_gt_i32 s13, 27
	s_cbranch_scc0 .LBB31_167
; %bb.165:
	global_load_dword v3, v[1:2], off
	s_mov_b64 s[2:3], 0
	s_branch .LBB31_168
.LBB31_166:
	s_mov_b64 s[2:3], -1
                                        ; implicit-def: $vgpr3
	s_branch .LBB31_171
.LBB31_167:
	s_mov_b64 s[2:3], -1
                                        ; implicit-def: $vgpr3
.LBB31_168:
	s_andn2_b64 vcc, exec, s[2:3]
	s_cbranch_vccnz .LBB31_170
; %bb.169:
	global_load_ushort v3, v[1:2], off
.LBB31_170:
	s_mov_b64 s[2:3], 0
.LBB31_171:
	s_andn2_b64 vcc, exec, s[2:3]
	s_cbranch_vccnz .LBB31_177
; %bb.172:
	global_load_ubyte v4, v[1:2], off
	s_movk_i32 s2, 0x7f
	s_mov_b64 s[10:11], 0
	s_waitcnt vmcnt(0)
	v_cmp_lt_i16_e32 vcc, s2, v4
	s_and_saveexec_b64 s[2:3], vcc
	s_xor_b64 s[2:3], exec, s[2:3]
	s_cbranch_execz .LBB31_188
; %bb.173:
	s_movk_i32 s10, 0x80
	v_cmp_ne_u16_e32 vcc, s10, v4
	s_and_b64 s[10:11], vcc, exec
	s_andn2_saveexec_b64 s[2:3], s[2:3]
	s_cbranch_execnz .LBB31_189
.LBB31_174:
	s_or_b64 exec, exec, s[2:3]
	v_mov_b32_e32 v3, 0
	s_and_saveexec_b64 s[2:3], s[10:11]
	s_cbranch_execz .LBB31_176
.LBB31_175:
	v_lshlrev_b32_e32 v3, 24, v4
	v_and_b32_e32 v4, 0xffff, v4
	v_and_b32_e32 v5, 7, v4
	v_ffbh_u32_e32 v7, v5
	v_min_u32_e32 v7, 32, v7
	v_subrev_u32_e32 v9, 28, v7
	v_bfe_u32 v6, v4, 3, 4
	v_lshlrev_b32_e32 v4, v9, v4
	v_sub_u32_e32 v7, 29, v7
	v_and_b32_e32 v4, 7, v4
	v_cmp_eq_u32_e32 vcc, 0, v6
	v_cndmask_b32_e32 v6, v6, v7, vcc
	v_cndmask_b32_e32 v4, v5, v4, vcc
	v_mov_b32_e32 v5, 0x3b800000
	v_lshlrev_b32_e32 v4, 20, v4
	v_and_b32_e32 v3, 0x80000000, v3
	v_lshl_add_u32 v5, v6, 23, v5
	v_or3_b32 v3, v3, v5, v4
	v_cvt_i32_f32_e32 v3, v3
.LBB31_176:
	s_or_b64 exec, exec, s[2:3]
.LBB31_177:
	s_mov_b64 s[2:3], -1
.LBB31_178:
	s_branch .LBB31_211
.LBB31_179:
	s_cmp_gt_i32 s13, 22
	s_cbranch_scc0 .LBB31_187
; %bb.180:
	s_cmp_lt_i32 s13, 24
	s_cbranch_scc1 .LBB31_190
; %bb.181:
	s_cmp_gt_i32 s13, 24
	s_cbranch_scc0 .LBB31_191
; %bb.182:
	global_load_ubyte v4, v[1:2], off
	s_movk_i32 s2, 0x7f
	s_mov_b64 s[10:11], 0
	s_waitcnt vmcnt(0)
	v_cmp_lt_i16_e32 vcc, s2, v4
	s_and_saveexec_b64 s[2:3], vcc
	s_xor_b64 s[2:3], exec, s[2:3]
	s_cbranch_execz .LBB31_203
; %bb.183:
	s_movk_i32 s10, 0x80
	v_cmp_ne_u16_e32 vcc, s10, v4
	s_and_b64 s[10:11], vcc, exec
	s_andn2_saveexec_b64 s[2:3], s[2:3]
	s_cbranch_execnz .LBB31_204
.LBB31_184:
	s_or_b64 exec, exec, s[2:3]
	v_mov_b32_e32 v3, 0
	s_and_saveexec_b64 s[2:3], s[10:11]
	s_cbranch_execz .LBB31_186
.LBB31_185:
	v_lshlrev_b32_e32 v3, 24, v4
	v_and_b32_e32 v4, 0xffff, v4
	v_and_b32_e32 v5, 3, v4
	v_ffbh_u32_e32 v7, v5
	v_min_u32_e32 v7, 32, v7
	v_subrev_u32_e32 v9, 29, v7
	v_bfe_u32 v6, v4, 2, 5
	v_lshlrev_b32_e32 v4, v9, v4
	v_sub_u32_e32 v7, 30, v7
	v_and_b32_e32 v4, 3, v4
	v_cmp_eq_u32_e32 vcc, 0, v6
	v_cndmask_b32_e32 v6, v6, v7, vcc
	v_cndmask_b32_e32 v4, v5, v4, vcc
	v_mov_b32_e32 v5, 0x37800000
	v_lshlrev_b32_e32 v4, 21, v4
	v_and_b32_e32 v3, 0x80000000, v3
	v_lshl_add_u32 v5, v6, 23, v5
	v_or3_b32 v3, v3, v5, v4
	v_cvt_i32_f32_e32 v3, v3
.LBB31_186:
	s_or_b64 exec, exec, s[2:3]
	s_mov_b64 s[2:3], 0
	s_branch .LBB31_192
.LBB31_187:
	s_mov_b64 s[10:11], -1
                                        ; implicit-def: $vgpr3
	s_branch .LBB31_198
.LBB31_188:
	s_andn2_saveexec_b64 s[2:3], s[2:3]
	s_cbranch_execz .LBB31_174
.LBB31_189:
	v_cmp_ne_u16_e32 vcc, 0, v4
	s_andn2_b64 s[10:11], s[10:11], exec
	s_and_b64 s[14:15], vcc, exec
	s_or_b64 s[10:11], s[10:11], s[14:15]
	s_or_b64 exec, exec, s[2:3]
	v_mov_b32_e32 v3, 0
	s_and_saveexec_b64 s[2:3], s[10:11]
	s_cbranch_execnz .LBB31_175
	s_branch .LBB31_176
.LBB31_190:
	s_mov_b64 s[2:3], -1
                                        ; implicit-def: $vgpr3
	s_branch .LBB31_195
.LBB31_191:
	s_mov_b64 s[2:3], -1
                                        ; implicit-def: $vgpr3
.LBB31_192:
	s_and_b64 vcc, exec, s[2:3]
	s_cbranch_vccz .LBB31_194
; %bb.193:
	global_load_ubyte v3, v[1:2], off
	s_mov_b32 s2, 0x7f800000
	s_waitcnt vmcnt(0)
	v_lshlrev_b32_e32 v3, 24, v3
	v_and_b32_e32 v4, 0x7f000000, v3
	v_ffbh_u32_e32 v5, v4
	v_min_u32_e32 v5, 32, v5
	v_sub_u32_e64 v5, v5, 4 clamp
	v_lshlrev_b32_e32 v7, v5, v4
	v_lshlrev_b32_e32 v5, 23, v5
	v_lshrrev_b32_e32 v7, 4, v7
	v_add_u32_e32 v6, 0x1000000, v4
	v_sub_u32_e32 v5, v7, v5
	v_ashrrev_i32_e32 v6, 8, v6
	v_add_u32_e32 v5, 0x3c000000, v5
	v_and_or_b32 v5, v6, s2, v5
	v_cmp_ne_u32_e32 vcc, 0, v4
	v_cndmask_b32_e32 v4, 0, v5, vcc
	s_brev_b32 s2, 1
	v_and_or_b32 v3, v3, s2, v4
	v_cvt_i32_f32_e32 v3, v3
.LBB31_194:
	s_mov_b64 s[2:3], 0
.LBB31_195:
	s_andn2_b64 vcc, exec, s[2:3]
	s_cbranch_vccnz .LBB31_197
; %bb.196:
	global_load_ubyte v3, v[1:2], off
	s_movk_i32 s2, 0x7f00
	s_brev_b32 s3, 16
	s_waitcnt vmcnt(0)
	v_lshlrev_b16_e32 v4, 8, v3
	v_lshlrev_b32_e32 v3, 25, v3
	v_lshrrev_b32_e32 v5, 4, v3
	v_and_or_b32 v6, v4, s2, 0.5
	v_or_b32_e32 v5, 0x70000000, v5
	v_add_f32_e32 v6, -0.5, v6
	v_mul_f32_e32 v5, 0x7800000, v5
	v_cmp_gt_u32_e32 vcc, s3, v3
	v_bfe_i32 v4, v4, 0, 16
	v_cndmask_b32_e32 v3, v5, v6, vcc
	s_brev_b32 s2, 1
	v_and_or_b32 v3, v4, s2, v3
	v_cvt_i32_f32_e32 v3, v3
.LBB31_197:
	s_mov_b64 s[10:11], 0
	s_mov_b64 s[2:3], -1
.LBB31_198:
	s_andn2_b64 vcc, exec, s[10:11]
	s_cbranch_vccnz .LBB31_211
; %bb.199:
	s_cmp_gt_i32 s13, 14
	s_cbranch_scc0 .LBB31_202
; %bb.200:
	s_cmp_eq_u32 s13, 15
	s_cbranch_scc0 .LBB31_205
; %bb.201:
	global_load_ushort v3, v[1:2], off
	s_mov_b64 s[2:3], -1
	s_mov_b64 s[8:9], 0
	s_waitcnt vmcnt(0)
	v_lshlrev_b32_e32 v3, 16, v3
	v_cvt_i32_f32_e32 v3, v3
	s_branch .LBB31_206
.LBB31_202:
	s_mov_b64 s[10:11], -1
                                        ; implicit-def: $vgpr3
	s_branch .LBB31_207
.LBB31_203:
	s_andn2_saveexec_b64 s[2:3], s[2:3]
	s_cbranch_execz .LBB31_184
.LBB31_204:
	v_cmp_ne_u16_e32 vcc, 0, v4
	s_andn2_b64 s[10:11], s[10:11], exec
	s_and_b64 s[14:15], vcc, exec
	s_or_b64 s[10:11], s[10:11], s[14:15]
	s_or_b64 exec, exec, s[2:3]
	v_mov_b32_e32 v3, 0
	s_and_saveexec_b64 s[2:3], s[10:11]
	s_cbranch_execnz .LBB31_185
	s_branch .LBB31_186
.LBB31_205:
	s_mov_b64 s[8:9], -1
                                        ; implicit-def: $vgpr3
.LBB31_206:
	s_mov_b64 s[10:11], 0
.LBB31_207:
	s_and_b64 vcc, exec, s[10:11]
	s_cbranch_vccz .LBB31_211
; %bb.208:
	s_cmp_eq_u32 s13, 11
	s_cbranch_scc0 .LBB31_210
; %bb.209:
	global_load_ubyte v3, v[1:2], off
	s_mov_b64 s[2:3], -1
	s_mov_b64 s[8:9], 0
	s_waitcnt vmcnt(0)
	v_cmp_ne_u16_e32 vcc, 0, v3
	v_cndmask_b32_e64 v3, 0, 1, vcc
	s_branch .LBB31_211
.LBB31_210:
	s_mov_b64 s[8:9], -1
                                        ; implicit-def: $vgpr3
.LBB31_211:
	s_branch .LBB31_24
.LBB31_212:
	s_and_b32 s10, 0xffff, s12
	s_cmp_lt_i32 s10, 5
	s_cbranch_scc1 .LBB31_217
; %bb.213:
	s_cmp_lt_i32 s10, 8
	s_cbranch_scc1 .LBB31_218
; %bb.214:
	;; [unrolled: 3-line block ×3, first 2 shown]
	s_cmp_gt_i32 s10, 9
	s_cbranch_scc0 .LBB31_220
; %bb.216:
	global_load_dwordx2 v[3:4], v[1:2], off
	s_mov_b64 s[2:3], 0
	s_waitcnt vmcnt(0)
	v_cvt_i32_f64_e32 v3, v[3:4]
	s_branch .LBB31_221
.LBB31_217:
                                        ; implicit-def: $vgpr3
	s_branch .LBB31_239
.LBB31_218:
	s_mov_b64 s[2:3], -1
                                        ; implicit-def: $vgpr3
	s_branch .LBB31_227
.LBB31_219:
	s_mov_b64 s[2:3], -1
                                        ; implicit-def: $vgpr3
	s_branch .LBB31_224
.LBB31_220:
	s_mov_b64 s[2:3], -1
                                        ; implicit-def: $vgpr3
.LBB31_221:
	s_andn2_b64 vcc, exec, s[2:3]
	s_cbranch_vccnz .LBB31_223
; %bb.222:
	global_load_dword v3, v[1:2], off
	s_waitcnt vmcnt(0)
	v_cvt_i32_f32_e32 v3, v3
.LBB31_223:
	s_mov_b64 s[2:3], 0
.LBB31_224:
	s_andn2_b64 vcc, exec, s[2:3]
	s_cbranch_vccnz .LBB31_226
; %bb.225:
	global_load_dword v3, v[1:2], off
	s_waitcnt vmcnt(0)
	v_cvt_i16_f16_e32 v3, v3
.LBB31_226:
	s_mov_b64 s[2:3], 0
.LBB31_227:
	s_andn2_b64 vcc, exec, s[2:3]
	s_cbranch_vccnz .LBB31_238
; %bb.228:
	s_cmp_lt_i32 s10, 6
	s_cbranch_scc1 .LBB31_231
; %bb.229:
	s_cmp_gt_i32 s10, 6
	s_cbranch_scc0 .LBB31_232
; %bb.230:
	global_load_dwordx2 v[3:4], v[1:2], off
	s_mov_b64 s[2:3], 0
	s_waitcnt vmcnt(0)
	v_cvt_i32_f64_e32 v3, v[3:4]
	s_branch .LBB31_233
.LBB31_231:
	s_mov_b64 s[2:3], -1
                                        ; implicit-def: $vgpr3
	s_branch .LBB31_236
.LBB31_232:
	s_mov_b64 s[2:3], -1
                                        ; implicit-def: $vgpr3
.LBB31_233:
	s_andn2_b64 vcc, exec, s[2:3]
	s_cbranch_vccnz .LBB31_235
; %bb.234:
	global_load_dword v3, v[1:2], off
	s_waitcnt vmcnt(0)
	v_cvt_i32_f32_e32 v3, v3
.LBB31_235:
	s_mov_b64 s[2:3], 0
.LBB31_236:
	s_andn2_b64 vcc, exec, s[2:3]
	s_cbranch_vccnz .LBB31_238
; %bb.237:
	global_load_ushort v3, v[1:2], off
	s_waitcnt vmcnt(0)
	v_cvt_i16_f16_e32 v3, v3
.LBB31_238:
	s_cbranch_execnz .LBB31_258
.LBB31_239:
	s_cmp_lt_i32 s10, 2
	s_cbranch_scc1 .LBB31_243
; %bb.240:
	s_cmp_lt_i32 s10, 3
	s_cbranch_scc1 .LBB31_244
; %bb.241:
	s_cmp_gt_i32 s10, 3
	s_cbranch_scc0 .LBB31_245
; %bb.242:
	global_load_dwordx2 v[3:4], v[1:2], off
	s_mov_b64 s[2:3], 0
	s_branch .LBB31_246
.LBB31_243:
	s_mov_b64 s[2:3], -1
                                        ; implicit-def: $vgpr3
	s_branch .LBB31_252
.LBB31_244:
	s_mov_b64 s[2:3], -1
                                        ; implicit-def: $vgpr3
	s_branch .LBB31_249
.LBB31_245:
	s_mov_b64 s[2:3], -1
                                        ; implicit-def: $vgpr3
.LBB31_246:
	s_andn2_b64 vcc, exec, s[2:3]
	s_cbranch_vccnz .LBB31_248
; %bb.247:
	global_load_dword v3, v[1:2], off
.LBB31_248:
	s_mov_b64 s[2:3], 0
.LBB31_249:
	s_andn2_b64 vcc, exec, s[2:3]
	s_cbranch_vccnz .LBB31_251
; %bb.250:
	global_load_ushort v3, v[1:2], off
.LBB31_251:
	s_mov_b64 s[2:3], 0
.LBB31_252:
	s_andn2_b64 vcc, exec, s[2:3]
	s_cbranch_vccnz .LBB31_258
; %bb.253:
	s_cmp_gt_i32 s10, 0
	s_cbranch_scc0 .LBB31_255
; %bb.254:
	global_load_ubyte v3, v[1:2], off
	s_mov_b64 s[2:3], 0
	s_branch .LBB31_256
.LBB31_255:
	s_mov_b64 s[2:3], -1
                                        ; implicit-def: $vgpr3
.LBB31_256:
	s_andn2_b64 vcc, exec, s[2:3]
	s_cbranch_vccnz .LBB31_258
; %bb.257:
	global_load_ubyte v3, v[1:2], off
.LBB31_258:
	s_branch .LBB31_25
.LBB31_259:
	s_mov_b64 s[2:3], 0
.LBB31_260:
	s_mov_b64 s[10:11], 0
                                        ; implicit-def: $vgpr8
.LBB31_261:
	s_and_b64 s[60:61], s[2:3], exec
	s_and_b64 s[62:63], s[8:9], exec
	s_orn2_b64 s[2:3], s[10:11], exec
.LBB31_262:
	s_or_b64 exec, exec, s[64:65]
	s_mov_b64 s[12:13], 0
	s_mov_b64 s[10:11], 0
                                        ; implicit-def: $sgpr18
                                        ; implicit-def: $vgpr1_vgpr2
                                        ; implicit-def: $vgpr0
                                        ; implicit-def: $vgpr3
	s_and_saveexec_b64 s[64:65], s[2:3]
	s_cbranch_execz .LBB31_269
; %bb.263:
	v_cmp_gt_i32_e32 vcc, s76, v8
	s_mov_b64 s[2:3], -1
	s_mov_b64 s[66:67], s[62:63]
	s_mov_b64 s[68:69], s[60:61]
	s_and_saveexec_b64 s[70:71], vcc
	s_cbranch_execz .LBB31_534
; %bb.264:
	s_andn2_b64 vcc, exec, s[44:45]
	s_cbranch_vccnz .LBB31_272
; %bb.265:
	s_andn2_b64 vcc, exec, s[58:59]
	s_cbranch_vccnz .LBB31_273
; %bb.266:
	s_add_i32 s50, s80, 1
	s_cmp_eq_u32 s78, 2
	s_cbranch_scc1 .LBB31_274
; %bb.267:
	s_and_b32 s49, s50, 28
	v_mov_b32_e32 v2, 0
	s_mov_b32 s68, 0
	s_mov_b64 s[2:3], s[34:35]
	s_mov_b64 s[66:67], s[56:57]
	v_mov_b32_e32 v0, 0
	v_mov_b32_e32 v1, v8
.LBB31_268:                             ; =>This Inner Loop Header: Depth=1
	s_load_dwordx8 s[16:23], s[2:3], 0x4
	s_load_dwordx4 s[40:43], s[2:3], 0x24
	s_load_dwordx8 s[8:15], s[66:67], 0x0
	s_add_u32 s2, s2, 48
	s_addc_u32 s3, s3, 0
	s_waitcnt vmcnt(0) lgkmcnt(0)
	v_mul_hi_u32 v3, s17, v1
	s_add_i32 s68, s68, 4
	s_add_u32 s66, s66, 32
	s_addc_u32 s67, s67, 0
	v_add_u32_e32 v3, v1, v3
	v_lshrrev_b32_e32 v3, s18, v3
	v_mul_lo_u32 v4, v3, s16
	v_mul_hi_u32 v5, s20, v3
	s_cmp_eq_u32 s49, s68
	v_sub_u32_e32 v1, v1, v4
	v_add_u32_e32 v4, v3, v5
	v_mul_lo_u32 v5, v1, s8
	v_mul_lo_u32 v6, v1, s9
	v_lshrrev_b32_e32 v1, s21, v4
	v_mul_lo_u32 v4, v1, s19
	v_mul_hi_u32 v7, s23, v1
	v_sub_u32_e32 v3, v3, v4
	v_add_u32_e32 v4, v1, v7
	v_lshrrev_b32_e32 v4, s40, v4
	v_mul_hi_u32 v9, s42, v4
	v_mul_lo_u32 v10, v4, s22
	v_mul_lo_u32 v7, v3, s10
	;; [unrolled: 1-line block ×3, first 2 shown]
	v_sub_u32_e32 v10, v1, v10
	v_add_u32_e32 v1, v4, v9
	v_lshrrev_b32_e32 v1, s43, v1
	v_mul_lo_u32 v9, v1, s41
	v_mul_lo_u32 v11, v10, s12
	;; [unrolled: 1-line block ×3, first 2 shown]
	v_add3_u32 v0, v5, v0, v7
	v_sub_u32_e32 v4, v4, v9
	v_mul_lo_u32 v9, v4, s14
	v_mul_lo_u32 v4, v4, s15
	v_add3_u32 v2, v6, v2, v3
	v_add3_u32 v0, v11, v0, v9
	;; [unrolled: 1-line block ×3, first 2 shown]
	s_cbranch_scc0 .LBB31_268
	s_branch .LBB31_275
.LBB31_269:
	s_or_b64 exec, exec, s[64:65]
	s_mov_b64 s[2:3], 0
	s_and_saveexec_b64 s[8:9], s[62:63]
	s_cbranch_execnz .LBB31_902
.LBB31_270:
	s_or_b64 exec, exec, s[8:9]
	s_and_saveexec_b64 s[8:9], s[68:69]
	s_xor_b64 s[8:9], exec, s[8:9]
	s_cbranch_execz .LBB31_903
.LBB31_271:
	global_load_ubyte v3, v[1:2], off
	s_or_b64 s[10:11], s[10:11], exec
	s_waitcnt vmcnt(0)
	v_cmp_ne_u16_e32 vcc, 0, v3
	v_cndmask_b32_e64 v3, 0, 1, vcc
	s_or_b64 exec, exec, s[8:9]
	s_and_saveexec_b64 s[8:9], s[12:13]
	s_cbranch_execz .LBB31_949
	s_branch .LBB31_904
.LBB31_272:
                                        ; implicit-def: $vgpr0
                                        ; implicit-def: $vgpr2
	s_andn2_b64 vcc, exec, s[2:3]
	s_cbranch_vccz .LBB31_279
	s_branch .LBB31_281
.LBB31_273:
	v_mov_b32_e32 v0, 0
	v_mov_b32_e32 v2, 0
	s_branch .LBB31_278
.LBB31_274:
	s_mov_b32 s49, 0
	v_mov_b32_e32 v0, 0
	v_mov_b32_e32 v2, 0
	;; [unrolled: 1-line block ×3, first 2 shown]
.LBB31_275:
	s_and_b32 s10, s50, 3
	s_cmp_eq_u32 s10, 0
	s_cbranch_scc1 .LBB31_278
; %bb.276:
	s_lshl_b32 s2, s49, 3
	s_add_u32 s2, s34, s2
	s_addc_u32 s3, s35, 0
	s_add_u32 s2, s2, 0xc4
	s_addc_u32 s3, s3, 0
	s_mul_i32 s8, s49, 12
	s_add_u32 s8, s34, s8
	s_addc_u32 s9, s35, 0
.LBB31_277:                             ; =>This Inner Loop Header: Depth=1
	s_load_dwordx2 s[12:13], s[8:9], 0x4
	s_load_dword s11, s[8:9], 0xc
	s_load_dwordx2 s[14:15], s[2:3], 0x0
	s_add_u32 s8, s8, 12
	s_addc_u32 s9, s9, 0
	s_waitcnt vmcnt(0) lgkmcnt(0)
	v_mul_hi_u32 v3, s13, v1
	s_add_u32 s2, s2, 8
	s_addc_u32 s3, s3, 0
	s_add_i32 s10, s10, -1
	v_add_u32_e32 v3, v1, v3
	v_lshrrev_b32_e32 v4, s11, v3
	v_mul_lo_u32 v3, v4, s12
	s_cmp_lg_u32 s10, 0
	v_sub_u32_e32 v3, v1, v3
	v_mad_u64_u32 v[0:1], s[12:13], v3, s14, v[0:1]
	v_mad_u64_u32 v[2:3], s[12:13], v3, s15, v[2:3]
	v_mov_b32_e32 v1, v4
	s_cbranch_scc1 .LBB31_277
.LBB31_278:
	s_cbranch_execnz .LBB31_281
.LBB31_279:
	v_mul_hi_u32 v0, s29, v8
	s_andn2_b64 vcc, exec, s[54:55]
	v_add_u32_e32 v0, v8, v0
	v_lshrrev_b32_e32 v1, s30, v0
	v_mul_lo_u32 v0, v1, s28
	v_sub_u32_e32 v2, v8, v0
	v_mul_lo_u32 v0, v2, s36
	v_mul_lo_u32 v2, v2, s37
	s_cbranch_vccnz .LBB31_281
; %bb.280:
	s_waitcnt vmcnt(0)
	v_mul_hi_u32 v3, s52, v1
	v_add_u32_e32 v3, v1, v3
	v_lshrrev_b32_e32 v3, s53, v3
	v_mul_lo_u32 v3, v3, s31
	v_sub_u32_e32 v3, v1, v3
	v_mad_u64_u32 v[0:1], s[2:3], v3, s38, v[0:1]
	v_mad_u64_u32 v[2:3], s[2:3], v3, s39, v[2:3]
.LBB31_281:
	s_waitcnt vmcnt(0)
	v_mov_b32_e32 v3, s27
	s_and_b32 s12, s51, 0xff
	v_add_co_u32_e32 v1, vcc, s26, v2
	s_cmp_lt_i32 s12, 11
	v_addc_co_u32_e32 v2, vcc, 0, v3, vcc
	s_cbranch_scc1 .LBB31_288
; %bb.282:
	s_and_b32 s13, 0xffff, s12
	s_cmp_gt_i32 s13, 25
	s_cbranch_scc0 .LBB31_297
; %bb.283:
	s_cmp_gt_i32 s13, 28
	s_cbranch_scc0 .LBB31_299
; %bb.284:
	;; [unrolled: 3-line block ×4, first 2 shown]
	s_cmp_eq_u32 s13, 46
	s_mov_b64 s[10:11], 0
	s_cbranch_scc0 .LBB31_309
; %bb.287:
	global_load_dword v3, v[1:2], off
	s_mov_b64 s[2:3], -1
	s_mov_b64 s[8:9], 0
	s_waitcnt vmcnt(0)
	v_lshlrev_b32_e32 v3, 16, v3
	v_cvt_i32_f32_e32 v3, v3
	s_branch .LBB31_310
.LBB31_288:
	s_mov_b64 s[2:3], 0
                                        ; implicit-def: $vgpr3
	s_mov_b64 s[8:9], s[62:63]
	s_cbranch_execnz .LBB31_483
.LBB31_289:
	s_andn2_b64 vcc, exec, s[2:3]
	s_cbranch_vccnz .LBB31_531
.LBB31_290:
	v_mov_b32_e32 v1, s79
	s_waitcnt vmcnt(0)
	v_cndmask_b32_e64 v2, v1, v3, s[0:1]
	v_mov_b32_e32 v1, s25
	s_and_b32 s16, s48, 0xff
	v_add_co_u32_e32 v0, vcc, s24, v0
	s_cmp_lt_i32 s16, 11
	v_addc_co_u32_e32 v1, vcc, 0, v1, vcc
	s_cbranch_scc1 .LBB31_298
; %bb.291:
	s_and_b32 s17, 0xffff, s16
	s_cmp_gt_i32 s17, 25
	s_cbranch_scc0 .LBB31_300
; %bb.292:
	s_cmp_gt_i32 s17, 28
	s_cbranch_scc0 .LBB31_302
; %bb.293:
	;; [unrolled: 3-line block ×4, first 2 shown]
	s_mov_b64 s[12:13], 0
	s_mov_b64 s[2:3], -1
	s_cmp_eq_u32 s17, 46
	s_mov_b64 s[10:11], 0
	s_cbranch_scc0 .LBB31_314
; %bb.296:
	v_bfe_i32 v3, v2, 0, 8
	v_cvt_f32_i32_sdwa v3, sext(v3) dst_sel:DWORD dst_unused:UNUSED_PAD src0_sel:WORD_0
	s_movk_i32 s2, 0x7fff
	s_mov_b64 s[10:11], -1
	v_bfe_u32 v4, v3, 16, 1
	v_add3_u32 v3, v3, v4, s2
	v_lshrrev_b32_e32 v3, 16, v3
	global_store_dword v[0:1], v3, off
	s_mov_b64 s[2:3], 0
	s_branch .LBB31_314
.LBB31_297:
	s_mov_b64 s[10:11], -1
	s_mov_b64 s[2:3], 0
	s_mov_b64 s[8:9], s[62:63]
                                        ; implicit-def: $vgpr3
	s_branch .LBB31_449
.LBB31_298:
	s_mov_b64 s[12:13], -1
	s_mov_b64 s[10:11], 0
	s_mov_b64 s[2:3], s[60:61]
	s_branch .LBB31_383
.LBB31_299:
	s_mov_b64 s[10:11], -1
	s_mov_b64 s[2:3], 0
	s_mov_b64 s[8:9], s[62:63]
                                        ; implicit-def: $vgpr3
	s_branch .LBB31_432
.LBB31_300:
	s_mov_b64 s[12:13], -1
	s_mov_b64 s[10:11], 0
	s_mov_b64 s[2:3], s[60:61]
	s_branch .LBB31_341
.LBB31_301:
	s_mov_b64 s[10:11], -1
	s_mov_b64 s[2:3], 0
	s_mov_b64 s[8:9], s[62:63]
                                        ; implicit-def: $vgpr3
	s_branch .LBB31_427
.LBB31_302:
	s_mov_b64 s[12:13], -1
	s_mov_b64 s[10:11], 0
	s_mov_b64 s[2:3], s[60:61]
	s_branch .LBB31_324
.LBB31_303:
	s_andn2_saveexec_b64 s[14:15], s[14:15]
	s_cbranch_execz .LBB31_68
.LBB31_304:
	s_mov_b32 s18, 0x46000000
	v_add_f32_e64 v4, |v3|, s18
	v_and_b32_e32 v4, 0xff, v4
	v_cmp_ne_u32_e32 vcc, 0, v4
	s_andn2_b64 s[12:13], s[12:13], exec
	s_and_b64 s[18:19], vcc, exec
	s_or_b64 s[12:13], s[12:13], s[18:19]
	s_or_b64 exec, exec, s[14:15]
	v_mov_b32_e32 v5, 0
	s_and_saveexec_b64 s[14:15], s[12:13]
	s_cbranch_execnz .LBB31_69
	s_branch .LBB31_70
.LBB31_305:
	s_mov_b64 s[10:11], -1
	s_mov_b64 s[2:3], 0
	s_mov_b64 s[8:9], s[62:63]
                                        ; implicit-def: $vgpr3
	s_branch .LBB31_310
.LBB31_306:
	s_mov_b64 s[12:13], -1
	s_mov_b64 s[10:11], 0
	s_mov_b64 s[2:3], s[60:61]
	s_branch .LBB31_320
.LBB31_307:
	s_andn2_saveexec_b64 s[14:15], s[14:15]
	s_cbranch_execz .LBB31_81
.LBB31_308:
	s_mov_b32 s18, 0x42800000
	v_add_f32_e64 v4, |v3|, s18
	v_and_b32_e32 v4, 0xff, v4
	v_cmp_ne_u32_e32 vcc, 0, v4
	s_andn2_b64 s[12:13], s[12:13], exec
	s_and_b64 s[18:19], vcc, exec
	s_or_b64 s[12:13], s[12:13], s[18:19]
	s_or_b64 exec, exec, s[14:15]
	v_mov_b32_e32 v5, 0
	s_and_saveexec_b64 s[14:15], s[12:13]
	s_cbranch_execnz .LBB31_82
	s_branch .LBB31_83
.LBB31_309:
	s_mov_b64 s[8:9], -1
                                        ; implicit-def: $vgpr3
	s_mov_b64 s[2:3], 0
.LBB31_310:
	s_and_b64 vcc, exec, s[10:11]
	s_cbranch_vccz .LBB31_426
; %bb.311:
	s_cmp_eq_u32 s13, 44
	s_cbranch_scc0 .LBB31_425
; %bb.312:
	global_load_ubyte v3, v[1:2], off
	s_mov_b64 s[2:3], -1
	s_mov_b64 s[8:9], 0
	s_waitcnt vmcnt(0)
	v_lshlrev_b32_e32 v4, 23, v3
	v_cvt_i32_f32_e32 v4, v4
	v_cmp_ne_u32_e32 vcc, 0, v3
	v_cndmask_b32_e32 v3, 0, v4, vcc
	s_branch .LBB31_426
.LBB31_313:
	s_mov_b64 s[12:13], -1
	s_mov_b64 s[10:11], 0
	s_mov_b64 s[2:3], s[60:61]
.LBB31_314:
	s_and_b64 vcc, exec, s[12:13]
	s_cbranch_vccz .LBB31_319
; %bb.315:
	s_cmp_eq_u32 s17, 44
	s_mov_b64 s[2:3], -1
	s_cbranch_scc0 .LBB31_319
; %bb.316:
	v_bfe_i32 v3, v2, 0, 8
	v_cvt_f32_i32_sdwa v3, sext(v3) dst_sel:DWORD dst_unused:UNUSED_PAD src0_sel:WORD_0
	s_movk_i32 s2, 0xff
	v_mov_b32_e32 v5, 0xff
	v_bfe_u32 v4, v3, 23, 8
	v_cmp_ne_u32_e32 vcc, s2, v4
	s_and_saveexec_b64 s[10:11], vcc
; %bb.317:
	s_mov_b32 s2, 0x3fffff
	v_lshrrev_b32_e32 v5, 23, v3
	v_and_b32_e32 v6, 0x400000, v3
	v_and_or_b32 v3, v3, s2, v4
	v_cmp_ne_u32_e32 vcc, 0, v6
	v_cmp_ne_u32_e64 s[2:3], 0, v3
	s_and_b64 s[2:3], vcc, s[2:3]
	v_cndmask_b32_e64 v3, 0, 1, s[2:3]
	v_add_u32_e32 v5, v5, v3
; %bb.318:
	s_or_b64 exec, exec, s[10:11]
	s_mov_b64 s[10:11], -1
	s_mov_b64 s[2:3], 0
	global_store_byte v[0:1], v5, off
.LBB31_319:
	s_mov_b64 s[12:13], 0
.LBB31_320:
	s_and_b64 vcc, exec, s[12:13]
	s_cbranch_vccz .LBB31_323
; %bb.321:
	s_cmp_eq_u32 s17, 29
	s_mov_b64 s[2:3], -1
	s_cbranch_scc0 .LBB31_323
; %bb.322:
	v_bfe_i32 v3, v2, 0, 8
	v_ashrrev_i32_e32 v4, 31, v3
	global_store_dwordx2 v[0:1], v[3:4], off
	s_mov_b64 s[10:11], -1
	s_mov_b64 s[2:3], 0
.LBB31_323:
	s_mov_b64 s[12:13], 0
.LBB31_324:
	s_and_b64 vcc, exec, s[12:13]
	s_cbranch_vccz .LBB31_340
; %bb.325:
	s_cmp_lt_i32 s17, 27
	s_mov_b64 s[10:11], -1
	s_cbranch_scc1 .LBB31_331
; %bb.326:
	s_cmp_gt_i32 s17, 27
	s_cbranch_scc0 .LBB31_328
; %bb.327:
	v_bfe_i32 v3, v2, 0, 8
	s_mov_b64 s[10:11], 0
	global_store_dword v[0:1], v3, off
.LBB31_328:
	s_andn2_b64 vcc, exec, s[10:11]
	s_cbranch_vccnz .LBB31_330
; %bb.329:
	v_bfe_i32 v3, v2, 0, 8
	global_store_short v[0:1], v3, off
.LBB31_330:
	s_mov_b64 s[10:11], 0
.LBB31_331:
	s_andn2_b64 vcc, exec, s[10:11]
	s_cbranch_vccnz .LBB31_339
; %bb.332:
	v_bfe_i32 v3, v2, 0, 8
	v_cvt_f32_i32_sdwa v3, sext(v3) dst_sel:DWORD dst_unused:UNUSED_PAD src0_sel:WORD_0
	s_mov_b32 s10, 0x43800000
	v_mov_b32_e32 v5, 0x80
	v_and_b32_e32 v4, 0x7fffffff, v3
	v_cmp_gt_u32_e32 vcc, s10, v4
	s_and_saveexec_b64 s[10:11], vcc
	s_cbranch_execz .LBB31_338
; %bb.333:
	s_mov_b32 s12, 0x3bffffff
	v_cmp_lt_u32_e32 vcc, s12, v4
	s_mov_b64 s[12:13], 0
                                        ; implicit-def: $vgpr4
	s_and_saveexec_b64 s[14:15], vcc
	s_xor_b64 s[14:15], exec, s[14:15]
	s_cbranch_execz .LBB31_562
; %bb.334:
	v_bfe_u32 v4, v3, 20, 1
	s_mov_b32 s18, 0x487ffff
	v_add3_u32 v4, v3, v4, s18
	s_mov_b64 s[12:13], exec
	v_lshrrev_b32_e32 v4, 20, v4
	s_andn2_saveexec_b64 s[14:15], s[14:15]
	s_cbranch_execnz .LBB31_563
.LBB31_335:
	s_or_b64 exec, exec, s[14:15]
	v_mov_b32_e32 v5, 0
	s_and_saveexec_b64 s[14:15], s[12:13]
.LBB31_336:
	v_lshrrev_b32_e32 v3, 24, v3
	s_movk_i32 s12, 0x80
	v_and_or_b32 v5, v3, s12, v4
.LBB31_337:
	s_or_b64 exec, exec, s[14:15]
.LBB31_338:
	s_or_b64 exec, exec, s[10:11]
	global_store_byte v[0:1], v5, off
.LBB31_339:
	s_mov_b64 s[10:11], -1
.LBB31_340:
	s_mov_b64 s[12:13], 0
.LBB31_341:
	s_and_b64 vcc, exec, s[12:13]
	s_cbranch_vccz .LBB31_382
; %bb.342:
	s_cmp_gt_i32 s17, 22
	s_mov_b64 s[12:13], -1
	s_cbranch_scc0 .LBB31_374
; %bb.343:
	s_cmp_lt_i32 s17, 24
	s_mov_b64 s[10:11], -1
	s_cbranch_scc1 .LBB31_363
; %bb.344:
	s_cmp_gt_i32 s17, 24
	s_cbranch_scc0 .LBB31_352
; %bb.345:
	v_bfe_i32 v3, v2, 0, 8
	v_cvt_f32_i32_sdwa v3, sext(v3) dst_sel:DWORD dst_unused:UNUSED_PAD src0_sel:WORD_0
	s_mov_b32 s10, 0x47800000
	v_mov_b32_e32 v5, 0x80
	v_and_b32_e32 v4, 0x7fffffff, v3
	v_cmp_gt_u32_e32 vcc, s10, v4
	s_and_saveexec_b64 s[10:11], vcc
	s_cbranch_execz .LBB31_351
; %bb.346:
	s_mov_b32 s12, 0x37ffffff
	v_cmp_lt_u32_e32 vcc, s12, v4
	s_mov_b64 s[12:13], 0
                                        ; implicit-def: $vgpr4
	s_and_saveexec_b64 s[14:15], vcc
	s_xor_b64 s[14:15], exec, s[14:15]
	s_cbranch_execz .LBB31_565
; %bb.347:
	v_bfe_u32 v4, v3, 21, 1
	s_mov_b32 s18, 0x88fffff
	v_add3_u32 v4, v3, v4, s18
	s_mov_b64 s[12:13], exec
	v_lshrrev_b32_e32 v4, 21, v4
	s_andn2_saveexec_b64 s[14:15], s[14:15]
	s_cbranch_execnz .LBB31_566
.LBB31_348:
	s_or_b64 exec, exec, s[14:15]
	v_mov_b32_e32 v5, 0
	s_and_saveexec_b64 s[14:15], s[12:13]
.LBB31_349:
	v_lshrrev_b32_e32 v3, 24, v3
	s_movk_i32 s12, 0x80
	v_and_or_b32 v5, v3, s12, v4
.LBB31_350:
	s_or_b64 exec, exec, s[14:15]
.LBB31_351:
	s_or_b64 exec, exec, s[10:11]
	s_mov_b64 s[10:11], 0
	global_store_byte v[0:1], v5, off
.LBB31_352:
	s_and_b64 vcc, exec, s[10:11]
	s_cbranch_vccz .LBB31_362
; %bb.353:
	v_bfe_i32 v3, v2, 0, 8
	v_cvt_f32_i32_sdwa v3, sext(v3) dst_sel:DWORD dst_unused:UNUSED_PAD src0_sel:WORD_0
	s_mov_b32 s10, 0x43f00000
                                        ; implicit-def: $vgpr4
	v_and_b32_e32 v5, 0x7fffffff, v3
	v_cmp_gt_u32_e32 vcc, s10, v5
	s_and_saveexec_b64 s[10:11], vcc
	s_xor_b64 s[10:11], exec, s[10:11]
	s_cbranch_execz .LBB31_359
; %bb.354:
	s_mov_b32 s12, 0x3c7fffff
	v_cmp_lt_u32_e32 vcc, s12, v5
                                        ; implicit-def: $vgpr4
	s_and_saveexec_b64 s[12:13], vcc
	s_xor_b64 s[12:13], exec, s[12:13]
; %bb.355:
	v_bfe_u32 v4, v3, 20, 1
	s_mov_b32 s14, 0x407ffff
	v_add3_u32 v4, v3, v4, s14
	v_lshrrev_b32_e32 v5, 20, v4
	v_and_b32_e32 v4, 0xff00000, v4
	s_mov_b32 s14, 0x7f00000
	v_mov_b32_e32 v6, 0x7e
	v_cmp_ne_u32_e32 vcc, s14, v4
	v_cndmask_b32_e32 v4, v6, v5, vcc
; %bb.356:
	s_andn2_saveexec_b64 s[12:13], s[12:13]
; %bb.357:
	s_mov_b32 s14, 0x46800000
	v_add_f32_e64 v4, |v3|, s14
; %bb.358:
	s_or_b64 exec, exec, s[12:13]
                                        ; implicit-def: $vgpr5
.LBB31_359:
	s_andn2_saveexec_b64 s[10:11], s[10:11]
; %bb.360:
	s_mov_b32 s12, 0x7f800000
	v_mov_b32_e32 v4, 0x7e
	v_mov_b32_e32 v6, 0x7f
	v_cmp_lt_u32_e32 vcc, s12, v5
	v_cndmask_b32_e32 v4, v4, v6, vcc
; %bb.361:
	s_or_b64 exec, exec, s[10:11]
	v_lshrrev_b32_e32 v3, 24, v3
	s_movk_i32 s10, 0x80
	v_and_or_b32 v3, v3, s10, v4
	global_store_byte v[0:1], v3, off
.LBB31_362:
	s_mov_b64 s[10:11], 0
.LBB31_363:
	s_andn2_b64 vcc, exec, s[10:11]
	s_cbranch_vccnz .LBB31_373
; %bb.364:
	v_bfe_i32 v3, v2, 0, 8
	v_cvt_f32_i32_sdwa v3, sext(v3) dst_sel:DWORD dst_unused:UNUSED_PAD src0_sel:WORD_0
	s_mov_b32 s10, 0x47800000
                                        ; implicit-def: $vgpr4
	v_and_b32_e32 v5, 0x7fffffff, v3
	v_cmp_gt_u32_e32 vcc, s10, v5
	s_and_saveexec_b64 s[10:11], vcc
	s_xor_b64 s[10:11], exec, s[10:11]
	s_cbranch_execz .LBB31_370
; %bb.365:
	s_mov_b32 s12, 0x387fffff
	v_cmp_lt_u32_e32 vcc, s12, v5
                                        ; implicit-def: $vgpr4
	s_and_saveexec_b64 s[12:13], vcc
	s_xor_b64 s[12:13], exec, s[12:13]
; %bb.366:
	v_bfe_u32 v4, v3, 21, 1
	s_mov_b32 s14, 0x80fffff
	v_add3_u32 v4, v3, v4, s14
	v_lshrrev_b32_e32 v4, 21, v4
; %bb.367:
	s_andn2_saveexec_b64 s[12:13], s[12:13]
; %bb.368:
	s_mov_b32 s14, 0x43000000
	v_add_f32_e64 v4, |v3|, s14
; %bb.369:
	s_or_b64 exec, exec, s[12:13]
                                        ; implicit-def: $vgpr5
.LBB31_370:
	s_andn2_saveexec_b64 s[10:11], s[10:11]
; %bb.371:
	s_mov_b32 s12, 0x7f800000
	v_mov_b32_e32 v4, 0x7c
	v_mov_b32_e32 v6, 0x7f
	v_cmp_lt_u32_e32 vcc, s12, v5
	v_cndmask_b32_e32 v4, v4, v6, vcc
; %bb.372:
	s_or_b64 exec, exec, s[10:11]
	v_lshrrev_b32_e32 v3, 24, v3
	s_movk_i32 s10, 0x80
	v_and_or_b32 v3, v3, s10, v4
	global_store_byte v[0:1], v3, off
.LBB31_373:
	s_mov_b64 s[12:13], 0
	s_mov_b64 s[10:11], -1
.LBB31_374:
	s_andn2_b64 vcc, exec, s[12:13]
	s_cbranch_vccnz .LBB31_382
; %bb.375:
	s_cmp_gt_i32 s17, 14
	s_mov_b64 s[12:13], -1
	s_cbranch_scc0 .LBB31_379
; %bb.376:
	s_cmp_eq_u32 s17, 15
	s_mov_b64 s[2:3], -1
	s_cbranch_scc0 .LBB31_378
; %bb.377:
	v_bfe_i32 v3, v2, 0, 8
	v_cvt_f32_i32_sdwa v3, sext(v3) dst_sel:DWORD dst_unused:UNUSED_PAD src0_sel:WORD_0
	s_movk_i32 s2, 0x7fff
	s_mov_b64 s[10:11], -1
	v_bfe_u32 v4, v3, 16, 1
	v_add3_u32 v3, v3, v4, s2
	global_store_short_d16_hi v[0:1], v3, off
	s_mov_b64 s[2:3], 0
.LBB31_378:
	s_mov_b64 s[12:13], 0
.LBB31_379:
	s_and_b64 vcc, exec, s[12:13]
	s_cbranch_vccz .LBB31_382
; %bb.380:
	s_cmp_eq_u32 s17, 11
	s_mov_b64 s[2:3], -1
	s_cbranch_scc0 .LBB31_382
; %bb.381:
	v_mov_b32_e32 v3, 0
	v_cmp_ne_u16_sdwa s[2:3], v2, v3 src0_sel:BYTE_0 src1_sel:DWORD
	v_cndmask_b32_e64 v3, 0, 1, s[2:3]
	s_mov_b64 s[10:11], -1
	s_mov_b64 s[2:3], 0
	global_store_byte v[0:1], v3, off
.LBB31_382:
	s_mov_b64 s[12:13], 0
.LBB31_383:
	s_and_b64 vcc, exec, s[12:13]
	s_cbranch_vccz .LBB31_422
; %bb.384:
	s_and_b32 s12, 0xffff, s16
	s_cmp_lt_i32 s12, 5
	s_mov_b64 s[10:11], -1
	s_cbranch_scc1 .LBB31_405
; %bb.385:
	s_cmp_lt_i32 s12, 8
	s_cbranch_scc1 .LBB31_395
; %bb.386:
	s_cmp_lt_i32 s12, 9
	s_cbranch_scc1 .LBB31_392
; %bb.387:
	s_cmp_gt_i32 s12, 9
	s_cbranch_scc0 .LBB31_389
; %bb.388:
	v_bfe_i32 v3, v2, 0, 8
	v_bfe_i32 v3, v3, 0, 16
	v_cvt_f64_i32_e32 v[3:4], v3
	v_mov_b32_e32 v5, 0
	v_mov_b32_e32 v6, v5
	s_mov_b64 s[10:11], 0
	global_store_dwordx4 v[0:1], v[3:6], off
.LBB31_389:
	s_andn2_b64 vcc, exec, s[10:11]
	s_cbranch_vccnz .LBB31_391
; %bb.390:
	v_bfe_i32 v3, v2, 0, 8
	v_cvt_f32_i32_sdwa v3, sext(v3) dst_sel:DWORD dst_unused:UNUSED_PAD src0_sel:WORD_0
	v_mov_b32_e32 v4, 0
	global_store_dwordx2 v[0:1], v[3:4], off
.LBB31_391:
	s_mov_b64 s[10:11], 0
.LBB31_392:
	s_andn2_b64 vcc, exec, s[10:11]
	s_cbranch_vccnz .LBB31_394
; %bb.393:
	v_cvt_f16_i16_sdwa v3, sext(v2) dst_sel:DWORD dst_unused:UNUSED_PAD src0_sel:BYTE_0
	global_store_dword v[0:1], v3, off
.LBB31_394:
	s_mov_b64 s[10:11], 0
.LBB31_395:
	s_andn2_b64 vcc, exec, s[10:11]
	s_cbranch_vccnz .LBB31_404
; %bb.396:
	s_cmp_lt_i32 s12, 6
	s_mov_b64 s[10:11], -1
	s_cbranch_scc1 .LBB31_402
; %bb.397:
	s_cmp_gt_i32 s12, 6
	s_cbranch_scc0 .LBB31_399
; %bb.398:
	v_bfe_i32 v3, v2, 0, 8
	v_bfe_i32 v3, v3, 0, 16
	v_cvt_f64_i32_e32 v[3:4], v3
	s_mov_b64 s[10:11], 0
	global_store_dwordx2 v[0:1], v[3:4], off
.LBB31_399:
	s_andn2_b64 vcc, exec, s[10:11]
	s_cbranch_vccnz .LBB31_401
; %bb.400:
	v_bfe_i32 v3, v2, 0, 8
	v_cvt_f32_i32_sdwa v3, sext(v3) dst_sel:DWORD dst_unused:UNUSED_PAD src0_sel:WORD_0
	global_store_dword v[0:1], v3, off
.LBB31_401:
	s_mov_b64 s[10:11], 0
.LBB31_402:
	s_andn2_b64 vcc, exec, s[10:11]
	s_cbranch_vccnz .LBB31_404
; %bb.403:
	v_cvt_f16_i16_sdwa v3, sext(v2) dst_sel:DWORD dst_unused:UNUSED_PAD src0_sel:BYTE_0
	global_store_short v[0:1], v3, off
.LBB31_404:
	s_mov_b64 s[10:11], 0
.LBB31_405:
	s_andn2_b64 vcc, exec, s[10:11]
	s_cbranch_vccnz .LBB31_421
; %bb.406:
	s_cmp_lt_i32 s12, 2
	s_mov_b64 s[10:11], -1
	s_cbranch_scc1 .LBB31_416
; %bb.407:
	s_cmp_lt_i32 s12, 3
	s_cbranch_scc1 .LBB31_413
; %bb.408:
	s_cmp_gt_i32 s12, 3
	s_cbranch_scc0 .LBB31_410
; %bb.409:
	v_bfe_i32 v3, v2, 0, 8
	v_ashrrev_i32_e32 v4, 31, v3
	s_mov_b64 s[10:11], 0
	global_store_dwordx2 v[0:1], v[3:4], off
.LBB31_410:
	s_andn2_b64 vcc, exec, s[10:11]
	s_cbranch_vccnz .LBB31_412
; %bb.411:
	v_bfe_i32 v3, v2, 0, 8
	global_store_dword v[0:1], v3, off
.LBB31_412:
	s_mov_b64 s[10:11], 0
.LBB31_413:
	s_andn2_b64 vcc, exec, s[10:11]
	s_cbranch_vccnz .LBB31_415
; %bb.414:
	v_bfe_i32 v3, v2, 0, 8
	global_store_short v[0:1], v3, off
.LBB31_415:
	s_mov_b64 s[10:11], 0
.LBB31_416:
	s_andn2_b64 vcc, exec, s[10:11]
	s_cbranch_vccnz .LBB31_421
; %bb.417:
	s_cmp_gt_i32 s12, 0
	s_mov_b64 s[10:11], -1
	s_cbranch_scc0 .LBB31_419
; %bb.418:
	s_mov_b64 s[10:11], 0
	global_store_byte v[0:1], v2, off
.LBB31_419:
	s_andn2_b64 vcc, exec, s[10:11]
	s_cbranch_vccnz .LBB31_421
; %bb.420:
	global_store_byte v[0:1], v2, off
.LBB31_421:
	s_mov_b64 s[10:11], -1
.LBB31_422:
	s_andn2_b64 vcc, exec, s[10:11]
	s_cbranch_vccnz .LBB31_424
; %bb.423:
	v_add_u32_e32 v8, 0x80, v8
	s_mov_b64 s[10:11], -1
	s_branch .LBB31_533
.LBB31_424:
	s_mov_b64 s[10:11], 0
	s_branch .LBB31_532
.LBB31_425:
	s_mov_b64 s[8:9], -1
                                        ; implicit-def: $vgpr3
.LBB31_426:
	s_mov_b64 s[10:11], 0
.LBB31_427:
	s_and_b64 vcc, exec, s[10:11]
	s_cbranch_vccz .LBB31_431
; %bb.428:
	s_cmp_eq_u32 s13, 29
	s_cbranch_scc0 .LBB31_430
; %bb.429:
	global_load_dwordx2 v[3:4], v[1:2], off
	s_mov_b64 s[2:3], -1
	s_mov_b64 s[8:9], 0
	s_branch .LBB31_431
.LBB31_430:
	s_mov_b64 s[8:9], -1
                                        ; implicit-def: $vgpr3
.LBB31_431:
	s_mov_b64 s[10:11], 0
.LBB31_432:
	s_and_b64 vcc, exec, s[10:11]
	s_cbranch_vccz .LBB31_448
; %bb.433:
	s_cmp_lt_i32 s13, 27
	s_cbranch_scc1 .LBB31_436
; %bb.434:
	s_cmp_gt_i32 s13, 27
	s_cbranch_scc0 .LBB31_437
; %bb.435:
	global_load_dword v3, v[1:2], off
	s_mov_b64 s[2:3], 0
	s_branch .LBB31_438
.LBB31_436:
	s_mov_b64 s[2:3], -1
                                        ; implicit-def: $vgpr3
	s_branch .LBB31_441
.LBB31_437:
	s_mov_b64 s[2:3], -1
                                        ; implicit-def: $vgpr3
.LBB31_438:
	s_andn2_b64 vcc, exec, s[2:3]
	s_cbranch_vccnz .LBB31_440
; %bb.439:
	global_load_ushort v3, v[1:2], off
.LBB31_440:
	s_mov_b64 s[2:3], 0
.LBB31_441:
	s_andn2_b64 vcc, exec, s[2:3]
	s_cbranch_vccnz .LBB31_447
; %bb.442:
	global_load_ubyte v4, v[1:2], off
	s_movk_i32 s2, 0x7f
	s_mov_b64 s[10:11], 0
	s_waitcnt vmcnt(0)
	v_cmp_lt_i16_e32 vcc, s2, v4
	s_and_saveexec_b64 s[2:3], vcc
	s_xor_b64 s[2:3], exec, s[2:3]
	s_cbranch_execz .LBB31_459
; %bb.443:
	s_movk_i32 s10, 0x80
	v_cmp_ne_u16_e32 vcc, s10, v4
	s_and_b64 s[10:11], vcc, exec
	s_andn2_saveexec_b64 s[2:3], s[2:3]
	s_cbranch_execnz .LBB31_460
.LBB31_444:
	s_or_b64 exec, exec, s[2:3]
	v_mov_b32_e32 v3, 0
	s_and_saveexec_b64 s[2:3], s[10:11]
	s_cbranch_execz .LBB31_446
.LBB31_445:
	v_lshlrev_b32_e32 v3, 24, v4
	v_and_b32_e32 v4, 0xffff, v4
	v_and_b32_e32 v5, 7, v4
	v_ffbh_u32_e32 v7, v5
	v_min_u32_e32 v7, 32, v7
	v_subrev_u32_e32 v9, 28, v7
	v_bfe_u32 v6, v4, 3, 4
	v_lshlrev_b32_e32 v4, v9, v4
	v_sub_u32_e32 v7, 29, v7
	v_and_b32_e32 v4, 7, v4
	v_cmp_eq_u32_e32 vcc, 0, v6
	v_cndmask_b32_e32 v6, v6, v7, vcc
	v_cndmask_b32_e32 v4, v5, v4, vcc
	v_mov_b32_e32 v5, 0x3b800000
	v_lshlrev_b32_e32 v4, 20, v4
	v_and_b32_e32 v3, 0x80000000, v3
	v_lshl_add_u32 v5, v6, 23, v5
	v_or3_b32 v3, v3, v5, v4
	v_cvt_i32_f32_e32 v3, v3
.LBB31_446:
	s_or_b64 exec, exec, s[2:3]
.LBB31_447:
	s_mov_b64 s[2:3], -1
.LBB31_448:
	s_mov_b64 s[10:11], 0
.LBB31_449:
	s_and_b64 vcc, exec, s[10:11]
	s_cbranch_vccz .LBB31_482
; %bb.450:
	s_cmp_gt_i32 s13, 22
	s_cbranch_scc0 .LBB31_458
; %bb.451:
	s_cmp_lt_i32 s13, 24
	s_cbranch_scc1 .LBB31_461
; %bb.452:
	s_cmp_gt_i32 s13, 24
	s_cbranch_scc0 .LBB31_462
; %bb.453:
	global_load_ubyte v4, v[1:2], off
	s_movk_i32 s2, 0x7f
	s_mov_b64 s[10:11], 0
	s_waitcnt vmcnt(0)
	v_cmp_lt_i16_e32 vcc, s2, v4
	s_and_saveexec_b64 s[2:3], vcc
	s_xor_b64 s[2:3], exec, s[2:3]
	s_cbranch_execz .LBB31_474
; %bb.454:
	s_movk_i32 s10, 0x80
	v_cmp_ne_u16_e32 vcc, s10, v4
	s_and_b64 s[10:11], vcc, exec
	s_andn2_saveexec_b64 s[2:3], s[2:3]
	s_cbranch_execnz .LBB31_475
.LBB31_455:
	s_or_b64 exec, exec, s[2:3]
	v_mov_b32_e32 v3, 0
	s_and_saveexec_b64 s[2:3], s[10:11]
	s_cbranch_execz .LBB31_457
.LBB31_456:
	v_lshlrev_b32_e32 v3, 24, v4
	v_and_b32_e32 v4, 0xffff, v4
	v_and_b32_e32 v5, 3, v4
	v_ffbh_u32_e32 v7, v5
	v_min_u32_e32 v7, 32, v7
	v_subrev_u32_e32 v9, 29, v7
	v_bfe_u32 v6, v4, 2, 5
	v_lshlrev_b32_e32 v4, v9, v4
	v_sub_u32_e32 v7, 30, v7
	v_and_b32_e32 v4, 3, v4
	v_cmp_eq_u32_e32 vcc, 0, v6
	v_cndmask_b32_e32 v6, v6, v7, vcc
	v_cndmask_b32_e32 v4, v5, v4, vcc
	v_mov_b32_e32 v5, 0x37800000
	v_lshlrev_b32_e32 v4, 21, v4
	v_and_b32_e32 v3, 0x80000000, v3
	v_lshl_add_u32 v5, v6, 23, v5
	v_or3_b32 v3, v3, v5, v4
	v_cvt_i32_f32_e32 v3, v3
.LBB31_457:
	s_or_b64 exec, exec, s[2:3]
	s_mov_b64 s[2:3], 0
	s_branch .LBB31_463
.LBB31_458:
	s_mov_b64 s[10:11], -1
                                        ; implicit-def: $vgpr3
	s_branch .LBB31_469
.LBB31_459:
	s_andn2_saveexec_b64 s[2:3], s[2:3]
	s_cbranch_execz .LBB31_444
.LBB31_460:
	v_cmp_ne_u16_e32 vcc, 0, v4
	s_andn2_b64 s[10:11], s[10:11], exec
	s_and_b64 s[14:15], vcc, exec
	s_or_b64 s[10:11], s[10:11], s[14:15]
	s_or_b64 exec, exec, s[2:3]
	v_mov_b32_e32 v3, 0
	s_and_saveexec_b64 s[2:3], s[10:11]
	s_cbranch_execnz .LBB31_445
	s_branch .LBB31_446
.LBB31_461:
	s_mov_b64 s[2:3], -1
                                        ; implicit-def: $vgpr3
	s_branch .LBB31_466
.LBB31_462:
	s_mov_b64 s[2:3], -1
                                        ; implicit-def: $vgpr3
.LBB31_463:
	s_and_b64 vcc, exec, s[2:3]
	s_cbranch_vccz .LBB31_465
; %bb.464:
	global_load_ubyte v3, v[1:2], off
	s_mov_b32 s2, 0x7f800000
	s_waitcnt vmcnt(0)
	v_lshlrev_b32_e32 v3, 24, v3
	v_and_b32_e32 v4, 0x7f000000, v3
	v_ffbh_u32_e32 v5, v4
	v_min_u32_e32 v5, 32, v5
	v_sub_u32_e64 v5, v5, 4 clamp
	v_lshlrev_b32_e32 v7, v5, v4
	v_lshlrev_b32_e32 v5, 23, v5
	v_lshrrev_b32_e32 v7, 4, v7
	v_add_u32_e32 v6, 0x1000000, v4
	v_sub_u32_e32 v5, v7, v5
	v_ashrrev_i32_e32 v6, 8, v6
	v_add_u32_e32 v5, 0x3c000000, v5
	v_and_or_b32 v5, v6, s2, v5
	v_cmp_ne_u32_e32 vcc, 0, v4
	v_cndmask_b32_e32 v4, 0, v5, vcc
	s_brev_b32 s2, 1
	v_and_or_b32 v3, v3, s2, v4
	v_cvt_i32_f32_e32 v3, v3
.LBB31_465:
	s_mov_b64 s[2:3], 0
.LBB31_466:
	s_andn2_b64 vcc, exec, s[2:3]
	s_cbranch_vccnz .LBB31_468
; %bb.467:
	global_load_ubyte v3, v[1:2], off
	s_movk_i32 s2, 0x7f00
	s_brev_b32 s3, 16
	s_waitcnt vmcnt(0)
	v_lshlrev_b16_e32 v4, 8, v3
	v_lshlrev_b32_e32 v3, 25, v3
	v_lshrrev_b32_e32 v5, 4, v3
	v_and_or_b32 v6, v4, s2, 0.5
	v_or_b32_e32 v5, 0x70000000, v5
	v_add_f32_e32 v6, -0.5, v6
	v_mul_f32_e32 v5, 0x7800000, v5
	v_cmp_gt_u32_e32 vcc, s3, v3
	v_bfe_i32 v4, v4, 0, 16
	v_cndmask_b32_e32 v3, v5, v6, vcc
	s_brev_b32 s2, 1
	v_and_or_b32 v3, v4, s2, v3
	v_cvt_i32_f32_e32 v3, v3
.LBB31_468:
	s_mov_b64 s[10:11], 0
	s_mov_b64 s[2:3], -1
.LBB31_469:
	s_andn2_b64 vcc, exec, s[10:11]
	s_cbranch_vccnz .LBB31_482
; %bb.470:
	s_cmp_gt_i32 s13, 14
	s_cbranch_scc0 .LBB31_473
; %bb.471:
	s_cmp_eq_u32 s13, 15
	s_cbranch_scc0 .LBB31_476
; %bb.472:
	global_load_ushort v3, v[1:2], off
	s_mov_b64 s[2:3], -1
	s_mov_b64 s[8:9], 0
	s_waitcnt vmcnt(0)
	v_lshlrev_b32_e32 v3, 16, v3
	v_cvt_i32_f32_e32 v3, v3
	s_branch .LBB31_477
.LBB31_473:
	s_mov_b64 s[10:11], -1
                                        ; implicit-def: $vgpr3
	s_branch .LBB31_478
.LBB31_474:
	s_andn2_saveexec_b64 s[2:3], s[2:3]
	s_cbranch_execz .LBB31_455
.LBB31_475:
	v_cmp_ne_u16_e32 vcc, 0, v4
	s_andn2_b64 s[10:11], s[10:11], exec
	s_and_b64 s[14:15], vcc, exec
	s_or_b64 s[10:11], s[10:11], s[14:15]
	s_or_b64 exec, exec, s[2:3]
	v_mov_b32_e32 v3, 0
	s_and_saveexec_b64 s[2:3], s[10:11]
	s_cbranch_execnz .LBB31_456
	s_branch .LBB31_457
.LBB31_476:
	s_mov_b64 s[8:9], -1
                                        ; implicit-def: $vgpr3
.LBB31_477:
	s_mov_b64 s[10:11], 0
.LBB31_478:
	s_and_b64 vcc, exec, s[10:11]
	s_cbranch_vccz .LBB31_482
; %bb.479:
	s_cmp_eq_u32 s13, 11
	s_cbranch_scc0 .LBB31_481
; %bb.480:
	global_load_ubyte v3, v[1:2], off
	s_mov_b64 s[2:3], -1
	s_mov_b64 s[8:9], 0
	s_waitcnt vmcnt(0)
	v_cmp_ne_u16_e32 vcc, 0, v3
	v_cndmask_b32_e64 v3, 0, 1, vcc
	s_branch .LBB31_482
.LBB31_481:
	s_mov_b64 s[8:9], -1
                                        ; implicit-def: $vgpr3
.LBB31_482:
	s_branch .LBB31_289
.LBB31_483:
	s_and_b32 s10, 0xffff, s12
	s_cmp_lt_i32 s10, 5
	s_cbranch_scc1 .LBB31_488
; %bb.484:
	s_cmp_lt_i32 s10, 8
	s_cbranch_scc1 .LBB31_489
; %bb.485:
	;; [unrolled: 3-line block ×3, first 2 shown]
	s_cmp_gt_i32 s10, 9
	s_cbranch_scc0 .LBB31_491
; %bb.487:
	global_load_dwordx2 v[3:4], v[1:2], off
	s_mov_b64 s[2:3], 0
	s_waitcnt vmcnt(0)
	v_cvt_i32_f64_e32 v3, v[3:4]
	s_branch .LBB31_492
.LBB31_488:
	s_mov_b64 s[2:3], -1
                                        ; implicit-def: $vgpr3
	s_branch .LBB31_510
.LBB31_489:
	s_mov_b64 s[2:3], -1
                                        ; implicit-def: $vgpr3
	s_branch .LBB31_498
.LBB31_490:
	s_mov_b64 s[2:3], -1
                                        ; implicit-def: $vgpr3
	s_branch .LBB31_495
.LBB31_491:
	s_mov_b64 s[2:3], -1
                                        ; implicit-def: $vgpr3
.LBB31_492:
	s_andn2_b64 vcc, exec, s[2:3]
	s_cbranch_vccnz .LBB31_494
; %bb.493:
	global_load_dword v3, v[1:2], off
	s_waitcnt vmcnt(0)
	v_cvt_i32_f32_e32 v3, v3
.LBB31_494:
	s_mov_b64 s[2:3], 0
.LBB31_495:
	s_andn2_b64 vcc, exec, s[2:3]
	s_cbranch_vccnz .LBB31_497
; %bb.496:
	global_load_dword v3, v[1:2], off
	s_waitcnt vmcnt(0)
	v_cvt_i16_f16_e32 v3, v3
.LBB31_497:
	s_mov_b64 s[2:3], 0
.LBB31_498:
	s_andn2_b64 vcc, exec, s[2:3]
	s_cbranch_vccnz .LBB31_509
; %bb.499:
	s_cmp_lt_i32 s10, 6
	s_cbranch_scc1 .LBB31_502
; %bb.500:
	s_cmp_gt_i32 s10, 6
	s_cbranch_scc0 .LBB31_503
; %bb.501:
	global_load_dwordx2 v[3:4], v[1:2], off
	s_mov_b64 s[2:3], 0
	s_waitcnt vmcnt(0)
	v_cvt_i32_f64_e32 v3, v[3:4]
	s_branch .LBB31_504
.LBB31_502:
	s_mov_b64 s[2:3], -1
                                        ; implicit-def: $vgpr3
	s_branch .LBB31_507
.LBB31_503:
	s_mov_b64 s[2:3], -1
                                        ; implicit-def: $vgpr3
.LBB31_504:
	s_andn2_b64 vcc, exec, s[2:3]
	s_cbranch_vccnz .LBB31_506
; %bb.505:
	global_load_dword v3, v[1:2], off
	s_waitcnt vmcnt(0)
	v_cvt_i32_f32_e32 v3, v3
.LBB31_506:
	s_mov_b64 s[2:3], 0
.LBB31_507:
	s_andn2_b64 vcc, exec, s[2:3]
	s_cbranch_vccnz .LBB31_509
; %bb.508:
	global_load_ushort v3, v[1:2], off
	s_waitcnt vmcnt(0)
	v_cvt_i16_f16_e32 v3, v3
.LBB31_509:
	s_mov_b64 s[2:3], 0
.LBB31_510:
	s_andn2_b64 vcc, exec, s[2:3]
	s_cbranch_vccnz .LBB31_530
; %bb.511:
	s_cmp_lt_i32 s10, 2
	s_cbranch_scc1 .LBB31_515
; %bb.512:
	s_cmp_lt_i32 s10, 3
	s_cbranch_scc1 .LBB31_516
; %bb.513:
	s_cmp_gt_i32 s10, 3
	s_cbranch_scc0 .LBB31_517
; %bb.514:
	global_load_dwordx2 v[3:4], v[1:2], off
	s_mov_b64 s[2:3], 0
	s_branch .LBB31_518
.LBB31_515:
	s_mov_b64 s[2:3], -1
                                        ; implicit-def: $vgpr3
	s_branch .LBB31_524
.LBB31_516:
	s_mov_b64 s[2:3], -1
                                        ; implicit-def: $vgpr3
	s_branch .LBB31_521
.LBB31_517:
	s_mov_b64 s[2:3], -1
                                        ; implicit-def: $vgpr3
.LBB31_518:
	s_andn2_b64 vcc, exec, s[2:3]
	s_cbranch_vccnz .LBB31_520
; %bb.519:
	global_load_dword v3, v[1:2], off
.LBB31_520:
	s_mov_b64 s[2:3], 0
.LBB31_521:
	s_andn2_b64 vcc, exec, s[2:3]
	s_cbranch_vccnz .LBB31_523
; %bb.522:
	global_load_ushort v3, v[1:2], off
.LBB31_523:
	s_mov_b64 s[2:3], 0
.LBB31_524:
	s_andn2_b64 vcc, exec, s[2:3]
	s_cbranch_vccnz .LBB31_530
; %bb.525:
	s_cmp_gt_i32 s10, 0
	s_cbranch_scc0 .LBB31_527
; %bb.526:
	global_load_ubyte v3, v[1:2], off
	s_mov_b64 s[2:3], 0
	s_branch .LBB31_528
.LBB31_527:
	s_mov_b64 s[2:3], -1
                                        ; implicit-def: $vgpr3
.LBB31_528:
	s_andn2_b64 vcc, exec, s[2:3]
	s_cbranch_vccnz .LBB31_530
; %bb.529:
	global_load_ubyte v3, v[1:2], off
.LBB31_530:
	s_branch .LBB31_290
.LBB31_531:
	s_mov_b64 s[10:11], 0
	s_mov_b64 s[2:3], s[60:61]
.LBB31_532:
                                        ; implicit-def: $vgpr8
.LBB31_533:
	s_andn2_b64 s[12:13], s[60:61], exec
	s_and_b64 s[2:3], s[2:3], exec
	s_or_b64 s[68:69], s[12:13], s[2:3]
	s_andn2_b64 s[2:3], s[62:63], exec
	s_and_b64 s[8:9], s[8:9], exec
	s_or_b64 s[66:67], s[2:3], s[8:9]
	s_orn2_b64 s[2:3], s[10:11], exec
.LBB31_534:
	s_or_b64 exec, exec, s[70:71]
	s_mov_b64 s[8:9], 0
	s_mov_b64 s[12:13], 0
	;; [unrolled: 1-line block ×3, first 2 shown]
                                        ; implicit-def: $sgpr18
                                        ; implicit-def: $vgpr1_vgpr2
                                        ; implicit-def: $vgpr0
                                        ; implicit-def: $vgpr3
	s_and_saveexec_b64 s[70:71], s[2:3]
	s_cbranch_execz .LBB31_901
; %bb.535:
	v_cmp_gt_i32_e32 vcc, s76, v8
	s_mov_b64 s[10:11], -1
	s_mov_b64 s[2:3], s[66:67]
	s_mov_b64 s[74:75], s[68:69]
	s_and_saveexec_b64 s[72:73], vcc
	s_cbranch_execz .LBB31_805
; %bb.536:
	s_andn2_b64 vcc, exec, s[44:45]
	s_cbranch_vccnz .LBB31_541
; %bb.537:
	s_andn2_b64 vcc, exec, s[58:59]
	s_cbranch_vccnz .LBB31_542
; %bb.538:
	s_add_i32 s50, s80, 1
	s_cmp_eq_u32 s78, 2
	s_cbranch_scc1 .LBB31_543
; %bb.539:
	s_and_b32 s49, s50, 28
	v_mov_b32_e32 v2, 0
	s_mov_b32 s77, 0
	s_mov_b64 s[2:3], s[34:35]
	s_mov_b64 s[74:75], s[56:57]
	v_mov_b32_e32 v0, 0
	v_mov_b32_e32 v1, v8
.LBB31_540:                             ; =>This Inner Loop Header: Depth=1
	s_load_dwordx8 s[16:23], s[2:3], 0x4
	s_load_dwordx4 s[40:43], s[2:3], 0x24
	s_load_dwordx8 s[8:15], s[74:75], 0x0
	s_add_u32 s2, s2, 48
	s_addc_u32 s3, s3, 0
	s_waitcnt vmcnt(0) lgkmcnt(0)
	v_mul_hi_u32 v3, s17, v1
	s_add_i32 s77, s77, 4
	s_add_u32 s74, s74, 32
	s_addc_u32 s75, s75, 0
	v_add_u32_e32 v3, v1, v3
	v_lshrrev_b32_e32 v3, s18, v3
	v_mul_lo_u32 v4, v3, s16
	v_mul_hi_u32 v5, s20, v3
	s_cmp_eq_u32 s49, s77
	v_sub_u32_e32 v1, v1, v4
	v_add_u32_e32 v4, v3, v5
	v_mul_lo_u32 v5, v1, s8
	v_mul_lo_u32 v6, v1, s9
	v_lshrrev_b32_e32 v1, s21, v4
	v_mul_lo_u32 v4, v1, s19
	v_mul_hi_u32 v7, s23, v1
	v_sub_u32_e32 v3, v3, v4
	v_add_u32_e32 v4, v1, v7
	v_lshrrev_b32_e32 v4, s40, v4
	v_mul_hi_u32 v9, s42, v4
	v_mul_lo_u32 v10, v4, s22
	v_mul_lo_u32 v7, v3, s10
	;; [unrolled: 1-line block ×3, first 2 shown]
	v_sub_u32_e32 v10, v1, v10
	v_add_u32_e32 v1, v4, v9
	v_lshrrev_b32_e32 v1, s43, v1
	v_mul_lo_u32 v9, v1, s41
	v_mul_lo_u32 v11, v10, s12
	;; [unrolled: 1-line block ×3, first 2 shown]
	v_add3_u32 v0, v5, v0, v7
	v_sub_u32_e32 v4, v4, v9
	v_mul_lo_u32 v9, v4, s14
	v_mul_lo_u32 v4, v4, s15
	v_add3_u32 v2, v6, v2, v3
	v_add3_u32 v0, v11, v0, v9
	;; [unrolled: 1-line block ×3, first 2 shown]
	s_cbranch_scc0 .LBB31_540
	s_branch .LBB31_544
.LBB31_541:
	s_mov_b64 s[2:3], -1
                                        ; implicit-def: $vgpr0
                                        ; implicit-def: $vgpr2
	s_branch .LBB31_548
.LBB31_542:
	v_mov_b32_e32 v0, 0
	v_mov_b32_e32 v2, 0
	s_branch .LBB31_547
.LBB31_543:
	s_mov_b32 s49, 0
	v_mov_b32_e32 v0, 0
	v_mov_b32_e32 v2, 0
	;; [unrolled: 1-line block ×3, first 2 shown]
.LBB31_544:
	s_and_b32 s10, s50, 3
	s_cmp_eq_u32 s10, 0
	s_cbranch_scc1 .LBB31_547
; %bb.545:
	s_lshl_b32 s2, s49, 3
	s_add_u32 s2, s34, s2
	s_addc_u32 s3, s35, 0
	s_add_u32 s2, s2, 0xc4
	s_addc_u32 s3, s3, 0
	s_mul_i32 s8, s49, 12
	s_add_u32 s8, s34, s8
	s_addc_u32 s9, s35, 0
.LBB31_546:                             ; =>This Inner Loop Header: Depth=1
	s_load_dwordx2 s[12:13], s[8:9], 0x4
	s_load_dword s11, s[8:9], 0xc
	s_load_dwordx2 s[14:15], s[2:3], 0x0
	s_add_u32 s8, s8, 12
	s_addc_u32 s9, s9, 0
	s_waitcnt vmcnt(0) lgkmcnt(0)
	v_mul_hi_u32 v3, s13, v1
	s_add_u32 s2, s2, 8
	s_addc_u32 s3, s3, 0
	s_add_i32 s10, s10, -1
	v_add_u32_e32 v3, v1, v3
	v_lshrrev_b32_e32 v4, s11, v3
	v_mul_lo_u32 v3, v4, s12
	s_cmp_lg_u32 s10, 0
	v_sub_u32_e32 v3, v1, v3
	v_mad_u64_u32 v[0:1], s[12:13], v3, s14, v[0:1]
	v_mad_u64_u32 v[2:3], s[12:13], v3, s15, v[2:3]
	v_mov_b32_e32 v1, v4
	s_cbranch_scc1 .LBB31_546
.LBB31_547:
	s_mov_b64 s[2:3], 0
.LBB31_548:
	s_andn2_b64 vcc, exec, s[2:3]
	s_cbranch_vccnz .LBB31_551
; %bb.549:
	v_mul_hi_u32 v0, s29, v8
	s_andn2_b64 vcc, exec, s[54:55]
	v_add_u32_e32 v0, v8, v0
	v_lshrrev_b32_e32 v1, s30, v0
	v_mul_lo_u32 v0, v1, s28
	v_sub_u32_e32 v2, v8, v0
	v_mul_lo_u32 v0, v2, s36
	v_mul_lo_u32 v2, v2, s37
	s_cbranch_vccnz .LBB31_551
; %bb.550:
	s_waitcnt vmcnt(0)
	v_mul_hi_u32 v3, s52, v1
	v_add_u32_e32 v3, v1, v3
	v_lshrrev_b32_e32 v3, s53, v3
	v_mul_lo_u32 v3, v3, s31
	v_sub_u32_e32 v3, v1, v3
	v_mad_u64_u32 v[0:1], s[2:3], v3, s38, v[0:1]
	v_mad_u64_u32 v[2:3], s[2:3], v3, s39, v[2:3]
.LBB31_551:
	s_waitcnt vmcnt(0)
	v_mov_b32_e32 v3, s27
	s_and_b32 s12, s51, 0xff
	v_add_co_u32_e32 v1, vcc, s26, v2
	s_cmp_lt_i32 s12, 11
	v_addc_co_u32_e32 v2, vcc, 0, v3, vcc
	s_cbranch_scc1 .LBB31_558
; %bb.552:
	s_and_b32 s13, 0xffff, s12
	s_cmp_gt_i32 s13, 25
	s_cbranch_scc0 .LBB31_559
; %bb.553:
	s_cmp_gt_i32 s13, 28
	s_cbranch_scc0 .LBB31_560
; %bb.554:
	s_cmp_gt_i32 s13, 43
	s_cbranch_scc0 .LBB31_561
; %bb.555:
	s_cmp_gt_i32 s13, 45
	s_cbranch_scc0 .LBB31_564
; %bb.556:
	s_cmp_eq_u32 s13, 46
	s_mov_b64 s[10:11], 0
	s_cbranch_scc0 .LBB31_567
; %bb.557:
	global_load_dword v3, v[1:2], off
	s_mov_b64 s[2:3], -1
	s_mov_b64 s[8:9], 0
	s_waitcnt vmcnt(0)
	v_lshlrev_b32_e32 v3, 16, v3
	v_cvt_i32_f32_e32 v3, v3
	s_branch .LBB31_568
.LBB31_558:
	s_mov_b64 s[10:11], -1
	s_mov_b64 s[2:3], 0
                                        ; implicit-def: $vgpr3
	s_mov_b64 s[8:9], s[66:67]
	s_branch .LBB31_629
.LBB31_559:
	s_mov_b64 s[10:11], -1
	s_mov_b64 s[2:3], 0
	s_mov_b64 s[8:9], s[66:67]
                                        ; implicit-def: $vgpr3
	s_branch .LBB31_595
.LBB31_560:
	s_mov_b64 s[10:11], -1
	s_mov_b64 s[2:3], 0
	s_mov_b64 s[8:9], s[66:67]
                                        ; implicit-def: $vgpr3
	s_branch .LBB31_578
.LBB31_561:
	s_mov_b64 s[10:11], -1
	s_mov_b64 s[2:3], 0
	s_mov_b64 s[8:9], s[66:67]
                                        ; implicit-def: $vgpr3
	s_branch .LBB31_573
.LBB31_562:
	s_andn2_saveexec_b64 s[14:15], s[14:15]
	s_cbranch_execz .LBB31_335
.LBB31_563:
	s_mov_b32 s18, 0x46000000
	v_add_f32_e64 v4, |v3|, s18
	v_and_b32_e32 v4, 0xff, v4
	v_cmp_ne_u32_e32 vcc, 0, v4
	s_andn2_b64 s[12:13], s[12:13], exec
	s_and_b64 s[18:19], vcc, exec
	s_or_b64 s[12:13], s[12:13], s[18:19]
	s_or_b64 exec, exec, s[14:15]
	v_mov_b32_e32 v5, 0
	s_and_saveexec_b64 s[14:15], s[12:13]
	s_cbranch_execnz .LBB31_336
	s_branch .LBB31_337
.LBB31_564:
	s_mov_b64 s[10:11], -1
	s_mov_b64 s[2:3], 0
	s_mov_b64 s[8:9], s[66:67]
                                        ; implicit-def: $vgpr3
	s_branch .LBB31_568
.LBB31_565:
	s_andn2_saveexec_b64 s[14:15], s[14:15]
	s_cbranch_execz .LBB31_348
.LBB31_566:
	s_mov_b32 s18, 0x42800000
	v_add_f32_e64 v4, |v3|, s18
	v_and_b32_e32 v4, 0xff, v4
	v_cmp_ne_u32_e32 vcc, 0, v4
	s_andn2_b64 s[12:13], s[12:13], exec
	s_and_b64 s[18:19], vcc, exec
	s_or_b64 s[12:13], s[12:13], s[18:19]
	s_or_b64 exec, exec, s[14:15]
	v_mov_b32_e32 v5, 0
	s_and_saveexec_b64 s[14:15], s[12:13]
	s_cbranch_execnz .LBB31_349
	s_branch .LBB31_350
.LBB31_567:
	s_mov_b64 s[8:9], -1
                                        ; implicit-def: $vgpr3
	s_mov_b64 s[2:3], 0
.LBB31_568:
	s_and_b64 vcc, exec, s[10:11]
	s_cbranch_vccz .LBB31_572
; %bb.569:
	s_cmp_eq_u32 s13, 44
	s_cbranch_scc0 .LBB31_571
; %bb.570:
	global_load_ubyte v3, v[1:2], off
	s_mov_b64 s[2:3], -1
	s_mov_b64 s[8:9], 0
	s_waitcnt vmcnt(0)
	v_lshlrev_b32_e32 v4, 23, v3
	v_cvt_i32_f32_e32 v4, v4
	v_cmp_ne_u32_e32 vcc, 0, v3
	v_cndmask_b32_e32 v3, 0, v4, vcc
	s_branch .LBB31_572
.LBB31_571:
	s_mov_b64 s[8:9], -1
                                        ; implicit-def: $vgpr3
.LBB31_572:
	s_mov_b64 s[10:11], 0
.LBB31_573:
	s_and_b64 vcc, exec, s[10:11]
	s_cbranch_vccz .LBB31_577
; %bb.574:
	s_cmp_eq_u32 s13, 29
	s_cbranch_scc0 .LBB31_576
; %bb.575:
	global_load_dwordx2 v[3:4], v[1:2], off
	s_mov_b64 s[2:3], -1
	s_mov_b64 s[8:9], 0
	s_branch .LBB31_577
.LBB31_576:
	s_mov_b64 s[8:9], -1
                                        ; implicit-def: $vgpr3
.LBB31_577:
	s_mov_b64 s[10:11], 0
.LBB31_578:
	s_and_b64 vcc, exec, s[10:11]
	s_cbranch_vccz .LBB31_594
; %bb.579:
	s_cmp_lt_i32 s13, 27
	s_cbranch_scc1 .LBB31_582
; %bb.580:
	s_cmp_gt_i32 s13, 27
	s_cbranch_scc0 .LBB31_583
; %bb.581:
	global_load_dword v3, v[1:2], off
	s_mov_b64 s[2:3], 0
	s_branch .LBB31_584
.LBB31_582:
	s_mov_b64 s[2:3], -1
                                        ; implicit-def: $vgpr3
	s_branch .LBB31_587
.LBB31_583:
	s_mov_b64 s[2:3], -1
                                        ; implicit-def: $vgpr3
.LBB31_584:
	s_andn2_b64 vcc, exec, s[2:3]
	s_cbranch_vccnz .LBB31_586
; %bb.585:
	global_load_ushort v3, v[1:2], off
.LBB31_586:
	s_mov_b64 s[2:3], 0
.LBB31_587:
	s_andn2_b64 vcc, exec, s[2:3]
	s_cbranch_vccnz .LBB31_593
; %bb.588:
	global_load_ubyte v4, v[1:2], off
	s_movk_i32 s2, 0x7f
	s_mov_b64 s[10:11], 0
	s_waitcnt vmcnt(0)
	v_cmp_lt_i16_e32 vcc, s2, v4
	s_and_saveexec_b64 s[2:3], vcc
	s_xor_b64 s[2:3], exec, s[2:3]
	s_cbranch_execz .LBB31_605
; %bb.589:
	s_movk_i32 s10, 0x80
	v_cmp_ne_u16_e32 vcc, s10, v4
	s_and_b64 s[10:11], vcc, exec
	s_andn2_saveexec_b64 s[2:3], s[2:3]
	s_cbranch_execnz .LBB31_606
.LBB31_590:
	s_or_b64 exec, exec, s[2:3]
	v_mov_b32_e32 v3, 0
	s_and_saveexec_b64 s[2:3], s[10:11]
	s_cbranch_execz .LBB31_592
.LBB31_591:
	v_lshlrev_b32_e32 v3, 24, v4
	v_and_b32_e32 v4, 0xffff, v4
	v_and_b32_e32 v5, 7, v4
	v_ffbh_u32_e32 v7, v5
	v_min_u32_e32 v7, 32, v7
	v_subrev_u32_e32 v9, 28, v7
	v_bfe_u32 v6, v4, 3, 4
	v_lshlrev_b32_e32 v4, v9, v4
	v_sub_u32_e32 v7, 29, v7
	v_and_b32_e32 v4, 7, v4
	v_cmp_eq_u32_e32 vcc, 0, v6
	v_cndmask_b32_e32 v6, v6, v7, vcc
	v_cndmask_b32_e32 v4, v5, v4, vcc
	v_mov_b32_e32 v5, 0x3b800000
	v_lshlrev_b32_e32 v4, 20, v4
	v_and_b32_e32 v3, 0x80000000, v3
	v_lshl_add_u32 v5, v6, 23, v5
	v_or3_b32 v3, v3, v5, v4
	v_cvt_i32_f32_e32 v3, v3
.LBB31_592:
	s_or_b64 exec, exec, s[2:3]
.LBB31_593:
	s_mov_b64 s[2:3], -1
.LBB31_594:
	s_mov_b64 s[10:11], 0
.LBB31_595:
	s_and_b64 vcc, exec, s[10:11]
	s_cbranch_vccz .LBB31_628
; %bb.596:
	s_cmp_gt_i32 s13, 22
	s_cbranch_scc0 .LBB31_604
; %bb.597:
	s_cmp_lt_i32 s13, 24
	s_cbranch_scc1 .LBB31_607
; %bb.598:
	s_cmp_gt_i32 s13, 24
	s_cbranch_scc0 .LBB31_608
; %bb.599:
	global_load_ubyte v4, v[1:2], off
	s_movk_i32 s2, 0x7f
	s_mov_b64 s[10:11], 0
	s_waitcnt vmcnt(0)
	v_cmp_lt_i16_e32 vcc, s2, v4
	s_and_saveexec_b64 s[2:3], vcc
	s_xor_b64 s[2:3], exec, s[2:3]
	s_cbranch_execz .LBB31_620
; %bb.600:
	s_movk_i32 s10, 0x80
	v_cmp_ne_u16_e32 vcc, s10, v4
	s_and_b64 s[10:11], vcc, exec
	s_andn2_saveexec_b64 s[2:3], s[2:3]
	s_cbranch_execnz .LBB31_621
.LBB31_601:
	s_or_b64 exec, exec, s[2:3]
	v_mov_b32_e32 v3, 0
	s_and_saveexec_b64 s[2:3], s[10:11]
	s_cbranch_execz .LBB31_603
.LBB31_602:
	v_lshlrev_b32_e32 v3, 24, v4
	v_and_b32_e32 v4, 0xffff, v4
	v_and_b32_e32 v5, 3, v4
	v_ffbh_u32_e32 v7, v5
	v_min_u32_e32 v7, 32, v7
	v_subrev_u32_e32 v9, 29, v7
	v_bfe_u32 v6, v4, 2, 5
	v_lshlrev_b32_e32 v4, v9, v4
	v_sub_u32_e32 v7, 30, v7
	v_and_b32_e32 v4, 3, v4
	v_cmp_eq_u32_e32 vcc, 0, v6
	v_cndmask_b32_e32 v6, v6, v7, vcc
	v_cndmask_b32_e32 v4, v5, v4, vcc
	v_mov_b32_e32 v5, 0x37800000
	v_lshlrev_b32_e32 v4, 21, v4
	v_and_b32_e32 v3, 0x80000000, v3
	v_lshl_add_u32 v5, v6, 23, v5
	v_or3_b32 v3, v3, v5, v4
	v_cvt_i32_f32_e32 v3, v3
.LBB31_603:
	s_or_b64 exec, exec, s[2:3]
	s_mov_b64 s[2:3], 0
	s_branch .LBB31_609
.LBB31_604:
	s_mov_b64 s[10:11], -1
                                        ; implicit-def: $vgpr3
	s_branch .LBB31_615
.LBB31_605:
	s_andn2_saveexec_b64 s[2:3], s[2:3]
	s_cbranch_execz .LBB31_590
.LBB31_606:
	v_cmp_ne_u16_e32 vcc, 0, v4
	s_andn2_b64 s[10:11], s[10:11], exec
	s_and_b64 s[14:15], vcc, exec
	s_or_b64 s[10:11], s[10:11], s[14:15]
	s_or_b64 exec, exec, s[2:3]
	v_mov_b32_e32 v3, 0
	s_and_saveexec_b64 s[2:3], s[10:11]
	s_cbranch_execnz .LBB31_591
	s_branch .LBB31_592
.LBB31_607:
	s_mov_b64 s[2:3], -1
                                        ; implicit-def: $vgpr3
	s_branch .LBB31_612
.LBB31_608:
	s_mov_b64 s[2:3], -1
                                        ; implicit-def: $vgpr3
.LBB31_609:
	s_and_b64 vcc, exec, s[2:3]
	s_cbranch_vccz .LBB31_611
; %bb.610:
	global_load_ubyte v3, v[1:2], off
	s_mov_b32 s2, 0x7f800000
	s_waitcnt vmcnt(0)
	v_lshlrev_b32_e32 v3, 24, v3
	v_and_b32_e32 v4, 0x7f000000, v3
	v_ffbh_u32_e32 v5, v4
	v_min_u32_e32 v5, 32, v5
	v_sub_u32_e64 v5, v5, 4 clamp
	v_lshlrev_b32_e32 v7, v5, v4
	v_lshlrev_b32_e32 v5, 23, v5
	v_lshrrev_b32_e32 v7, 4, v7
	v_add_u32_e32 v6, 0x1000000, v4
	v_sub_u32_e32 v5, v7, v5
	v_ashrrev_i32_e32 v6, 8, v6
	v_add_u32_e32 v5, 0x3c000000, v5
	v_and_or_b32 v5, v6, s2, v5
	v_cmp_ne_u32_e32 vcc, 0, v4
	v_cndmask_b32_e32 v4, 0, v5, vcc
	s_brev_b32 s2, 1
	v_and_or_b32 v3, v3, s2, v4
	v_cvt_i32_f32_e32 v3, v3
.LBB31_611:
	s_mov_b64 s[2:3], 0
.LBB31_612:
	s_andn2_b64 vcc, exec, s[2:3]
	s_cbranch_vccnz .LBB31_614
; %bb.613:
	global_load_ubyte v3, v[1:2], off
	s_movk_i32 s2, 0x7f00
	s_brev_b32 s3, 16
	s_waitcnt vmcnt(0)
	v_lshlrev_b16_e32 v4, 8, v3
	v_lshlrev_b32_e32 v3, 25, v3
	v_lshrrev_b32_e32 v5, 4, v3
	v_and_or_b32 v6, v4, s2, 0.5
	v_or_b32_e32 v5, 0x70000000, v5
	v_add_f32_e32 v6, -0.5, v6
	v_mul_f32_e32 v5, 0x7800000, v5
	v_cmp_gt_u32_e32 vcc, s3, v3
	v_bfe_i32 v4, v4, 0, 16
	v_cndmask_b32_e32 v3, v5, v6, vcc
	s_brev_b32 s2, 1
	v_and_or_b32 v3, v4, s2, v3
	v_cvt_i32_f32_e32 v3, v3
.LBB31_614:
	s_mov_b64 s[10:11], 0
	s_mov_b64 s[2:3], -1
.LBB31_615:
	s_andn2_b64 vcc, exec, s[10:11]
	s_cbranch_vccnz .LBB31_628
; %bb.616:
	s_cmp_gt_i32 s13, 14
	s_cbranch_scc0 .LBB31_619
; %bb.617:
	s_cmp_eq_u32 s13, 15
	s_cbranch_scc0 .LBB31_622
; %bb.618:
	global_load_ushort v3, v[1:2], off
	s_mov_b64 s[2:3], -1
	s_mov_b64 s[8:9], 0
	s_waitcnt vmcnt(0)
	v_lshlrev_b32_e32 v3, 16, v3
	v_cvt_i32_f32_e32 v3, v3
	s_branch .LBB31_623
.LBB31_619:
	s_mov_b64 s[10:11], -1
                                        ; implicit-def: $vgpr3
	s_branch .LBB31_624
.LBB31_620:
	s_andn2_saveexec_b64 s[2:3], s[2:3]
	s_cbranch_execz .LBB31_601
.LBB31_621:
	v_cmp_ne_u16_e32 vcc, 0, v4
	s_andn2_b64 s[10:11], s[10:11], exec
	s_and_b64 s[14:15], vcc, exec
	s_or_b64 s[10:11], s[10:11], s[14:15]
	s_or_b64 exec, exec, s[2:3]
	v_mov_b32_e32 v3, 0
	s_and_saveexec_b64 s[2:3], s[10:11]
	s_cbranch_execnz .LBB31_602
	s_branch .LBB31_603
.LBB31_622:
	s_mov_b64 s[8:9], -1
                                        ; implicit-def: $vgpr3
.LBB31_623:
	s_mov_b64 s[10:11], 0
.LBB31_624:
	s_and_b64 vcc, exec, s[10:11]
	s_cbranch_vccz .LBB31_628
; %bb.625:
	s_cmp_eq_u32 s13, 11
	s_cbranch_scc0 .LBB31_627
; %bb.626:
	global_load_ubyte v3, v[1:2], off
	s_mov_b64 s[2:3], -1
	s_mov_b64 s[8:9], 0
	s_waitcnt vmcnt(0)
	v_cmp_ne_u16_e32 vcc, 0, v3
	v_cndmask_b32_e64 v3, 0, 1, vcc
	s_branch .LBB31_628
.LBB31_627:
	s_mov_b64 s[8:9], -1
                                        ; implicit-def: $vgpr3
.LBB31_628:
	s_mov_b64 s[10:11], 0
.LBB31_629:
	s_and_b64 vcc, exec, s[10:11]
	s_cbranch_vccz .LBB31_678
; %bb.630:
	s_and_b32 s10, 0xffff, s12
	s_cmp_lt_i32 s10, 5
	s_cbranch_scc1 .LBB31_635
; %bb.631:
	s_cmp_lt_i32 s10, 8
	s_cbranch_scc1 .LBB31_636
; %bb.632:
	;; [unrolled: 3-line block ×3, first 2 shown]
	s_cmp_gt_i32 s10, 9
	s_cbranch_scc0 .LBB31_638
; %bb.634:
	global_load_dwordx2 v[3:4], v[1:2], off
	s_mov_b64 s[2:3], 0
	s_waitcnt vmcnt(0)
	v_cvt_i32_f64_e32 v3, v[3:4]
	s_branch .LBB31_639
.LBB31_635:
	s_mov_b64 s[2:3], -1
                                        ; implicit-def: $vgpr3
	s_branch .LBB31_657
.LBB31_636:
	s_mov_b64 s[2:3], -1
                                        ; implicit-def: $vgpr3
	s_branch .LBB31_645
.LBB31_637:
	s_mov_b64 s[2:3], -1
                                        ; implicit-def: $vgpr3
	s_branch .LBB31_642
.LBB31_638:
	s_mov_b64 s[2:3], -1
                                        ; implicit-def: $vgpr3
.LBB31_639:
	s_andn2_b64 vcc, exec, s[2:3]
	s_cbranch_vccnz .LBB31_641
; %bb.640:
	global_load_dword v3, v[1:2], off
	s_waitcnt vmcnt(0)
	v_cvt_i32_f32_e32 v3, v3
.LBB31_641:
	s_mov_b64 s[2:3], 0
.LBB31_642:
	s_andn2_b64 vcc, exec, s[2:3]
	s_cbranch_vccnz .LBB31_644
; %bb.643:
	global_load_dword v3, v[1:2], off
	s_waitcnt vmcnt(0)
	v_cvt_i16_f16_e32 v3, v3
.LBB31_644:
	s_mov_b64 s[2:3], 0
.LBB31_645:
	s_andn2_b64 vcc, exec, s[2:3]
	s_cbranch_vccnz .LBB31_656
; %bb.646:
	s_cmp_lt_i32 s10, 6
	s_cbranch_scc1 .LBB31_649
; %bb.647:
	s_cmp_gt_i32 s10, 6
	s_cbranch_scc0 .LBB31_650
; %bb.648:
	global_load_dwordx2 v[3:4], v[1:2], off
	s_mov_b64 s[2:3], 0
	s_waitcnt vmcnt(0)
	v_cvt_i32_f64_e32 v3, v[3:4]
	s_branch .LBB31_651
.LBB31_649:
	s_mov_b64 s[2:3], -1
                                        ; implicit-def: $vgpr3
	s_branch .LBB31_654
.LBB31_650:
	s_mov_b64 s[2:3], -1
                                        ; implicit-def: $vgpr3
.LBB31_651:
	s_andn2_b64 vcc, exec, s[2:3]
	s_cbranch_vccnz .LBB31_653
; %bb.652:
	global_load_dword v3, v[1:2], off
	s_waitcnt vmcnt(0)
	v_cvt_i32_f32_e32 v3, v3
.LBB31_653:
	s_mov_b64 s[2:3], 0
.LBB31_654:
	s_andn2_b64 vcc, exec, s[2:3]
	s_cbranch_vccnz .LBB31_656
; %bb.655:
	global_load_ushort v3, v[1:2], off
	s_waitcnt vmcnt(0)
	v_cvt_i16_f16_e32 v3, v3
.LBB31_656:
	s_mov_b64 s[2:3], 0
.LBB31_657:
	s_andn2_b64 vcc, exec, s[2:3]
	s_cbranch_vccnz .LBB31_677
; %bb.658:
	s_cmp_lt_i32 s10, 2
	s_cbranch_scc1 .LBB31_662
; %bb.659:
	s_cmp_lt_i32 s10, 3
	s_cbranch_scc1 .LBB31_663
; %bb.660:
	s_cmp_gt_i32 s10, 3
	s_cbranch_scc0 .LBB31_664
; %bb.661:
	global_load_dwordx2 v[3:4], v[1:2], off
	s_mov_b64 s[2:3], 0
	s_branch .LBB31_665
.LBB31_662:
	s_mov_b64 s[2:3], -1
                                        ; implicit-def: $vgpr3
	s_branch .LBB31_671
.LBB31_663:
	s_mov_b64 s[2:3], -1
                                        ; implicit-def: $vgpr3
	s_branch .LBB31_668
.LBB31_664:
	s_mov_b64 s[2:3], -1
                                        ; implicit-def: $vgpr3
.LBB31_665:
	s_andn2_b64 vcc, exec, s[2:3]
	s_cbranch_vccnz .LBB31_667
; %bb.666:
	global_load_dword v3, v[1:2], off
.LBB31_667:
	s_mov_b64 s[2:3], 0
.LBB31_668:
	s_andn2_b64 vcc, exec, s[2:3]
	s_cbranch_vccnz .LBB31_670
; %bb.669:
	global_load_ushort v3, v[1:2], off
.LBB31_670:
	s_mov_b64 s[2:3], 0
.LBB31_671:
	s_andn2_b64 vcc, exec, s[2:3]
	s_cbranch_vccnz .LBB31_677
; %bb.672:
	s_cmp_gt_i32 s10, 0
	s_cbranch_scc0 .LBB31_674
; %bb.673:
	global_load_ubyte v3, v[1:2], off
	s_mov_b64 s[2:3], 0
	s_branch .LBB31_675
.LBB31_674:
	s_mov_b64 s[2:3], -1
                                        ; implicit-def: $vgpr3
.LBB31_675:
	s_andn2_b64 vcc, exec, s[2:3]
	s_cbranch_vccnz .LBB31_677
; %bb.676:
	global_load_ubyte v3, v[1:2], off
.LBB31_677:
	s_mov_b64 s[2:3], -1
.LBB31_678:
	s_andn2_b64 vcc, exec, s[2:3]
	s_cbranch_vccnz .LBB31_686
; %bb.679:
	v_mov_b32_e32 v1, s79
	s_waitcnt vmcnt(0)
	v_cndmask_b32_e64 v2, v1, v3, s[0:1]
	v_mov_b32_e32 v1, s25
	s_and_b32 s16, s48, 0xff
	v_add_co_u32_e32 v0, vcc, s24, v0
	s_cmp_lt_i32 s16, 11
	v_addc_co_u32_e32 v1, vcc, 0, v1, vcc
	s_cbranch_scc1 .LBB31_687
; %bb.680:
	s_and_b32 s17, 0xffff, s16
	s_cmp_gt_i32 s17, 25
	s_cbranch_scc0 .LBB31_688
; %bb.681:
	s_cmp_gt_i32 s17, 28
	s_cbranch_scc0 .LBB31_689
; %bb.682:
	;; [unrolled: 3-line block ×4, first 2 shown]
	s_mov_b64 s[12:13], 0
	s_mov_b64 s[2:3], -1
	s_cmp_eq_u32 s17, 46
	s_mov_b64 s[10:11], 0
	s_cbranch_scc0 .LBB31_692
; %bb.685:
	v_bfe_i32 v3, v2, 0, 8
	v_cvt_f32_i32_sdwa v3, sext(v3) dst_sel:DWORD dst_unused:UNUSED_PAD src0_sel:WORD_0
	s_movk_i32 s2, 0x7fff
	s_mov_b64 s[10:11], -1
	v_bfe_u32 v4, v3, 16, 1
	v_add3_u32 v3, v3, v4, s2
	v_lshrrev_b32_e32 v3, 16, v3
	global_store_dword v[0:1], v3, off
	s_mov_b64 s[2:3], 0
	s_branch .LBB31_692
.LBB31_686:
	s_mov_b64 s[10:11], 0
	s_mov_b64 s[2:3], s[68:69]
	s_branch .LBB31_803
.LBB31_687:
	s_mov_b64 s[12:13], -1
	s_mov_b64 s[10:11], 0
	s_mov_b64 s[2:3], s[68:69]
	s_branch .LBB31_761
.LBB31_688:
	s_mov_b64 s[12:13], -1
	s_mov_b64 s[10:11], 0
	s_mov_b64 s[2:3], s[68:69]
	s_branch .LBB31_719
.LBB31_689:
	s_mov_b64 s[12:13], -1
	s_mov_b64 s[10:11], 0
	s_mov_b64 s[2:3], s[68:69]
	s_branch .LBB31_702
.LBB31_690:
	s_mov_b64 s[12:13], -1
	s_mov_b64 s[10:11], 0
	s_mov_b64 s[2:3], s[68:69]
	s_branch .LBB31_698
.LBB31_691:
	s_mov_b64 s[12:13], -1
	s_mov_b64 s[10:11], 0
	s_mov_b64 s[2:3], s[68:69]
.LBB31_692:
	s_and_b64 vcc, exec, s[12:13]
	s_cbranch_vccz .LBB31_697
; %bb.693:
	s_cmp_eq_u32 s17, 44
	s_mov_b64 s[2:3], -1
	s_cbranch_scc0 .LBB31_697
; %bb.694:
	v_bfe_i32 v3, v2, 0, 8
	v_cvt_f32_i32_sdwa v3, sext(v3) dst_sel:DWORD dst_unused:UNUSED_PAD src0_sel:WORD_0
	s_movk_i32 s2, 0xff
	v_mov_b32_e32 v5, 0xff
	v_bfe_u32 v4, v3, 23, 8
	v_cmp_ne_u32_e32 vcc, s2, v4
	s_and_saveexec_b64 s[10:11], vcc
; %bb.695:
	s_mov_b32 s2, 0x3fffff
	v_lshrrev_b32_e32 v5, 23, v3
	v_and_b32_e32 v6, 0x400000, v3
	v_and_or_b32 v3, v3, s2, v4
	v_cmp_ne_u32_e32 vcc, 0, v6
	v_cmp_ne_u32_e64 s[2:3], 0, v3
	s_and_b64 s[2:3], vcc, s[2:3]
	v_cndmask_b32_e64 v3, 0, 1, s[2:3]
	v_add_u32_e32 v5, v5, v3
; %bb.696:
	s_or_b64 exec, exec, s[10:11]
	s_mov_b64 s[10:11], -1
	s_mov_b64 s[2:3], 0
	global_store_byte v[0:1], v5, off
.LBB31_697:
	s_mov_b64 s[12:13], 0
.LBB31_698:
	s_and_b64 vcc, exec, s[12:13]
	s_cbranch_vccz .LBB31_701
; %bb.699:
	s_cmp_eq_u32 s17, 29
	s_mov_b64 s[2:3], -1
	s_cbranch_scc0 .LBB31_701
; %bb.700:
	v_bfe_i32 v3, v2, 0, 8
	v_ashrrev_i32_e32 v4, 31, v3
	global_store_dwordx2 v[0:1], v[3:4], off
	s_mov_b64 s[10:11], -1
	s_mov_b64 s[2:3], 0
.LBB31_701:
	s_mov_b64 s[12:13], 0
.LBB31_702:
	s_and_b64 vcc, exec, s[12:13]
	s_cbranch_vccz .LBB31_718
; %bb.703:
	s_cmp_lt_i32 s17, 27
	s_mov_b64 s[10:11], -1
	s_cbranch_scc1 .LBB31_709
; %bb.704:
	s_cmp_gt_i32 s17, 27
	s_cbranch_scc0 .LBB31_706
; %bb.705:
	v_bfe_i32 v3, v2, 0, 8
	s_mov_b64 s[10:11], 0
	global_store_dword v[0:1], v3, off
.LBB31_706:
	s_andn2_b64 vcc, exec, s[10:11]
	s_cbranch_vccnz .LBB31_708
; %bb.707:
	v_bfe_i32 v3, v2, 0, 8
	global_store_short v[0:1], v3, off
.LBB31_708:
	s_mov_b64 s[10:11], 0
.LBB31_709:
	s_andn2_b64 vcc, exec, s[10:11]
	s_cbranch_vccnz .LBB31_717
; %bb.710:
	v_bfe_i32 v3, v2, 0, 8
	v_cvt_f32_i32_sdwa v3, sext(v3) dst_sel:DWORD dst_unused:UNUSED_PAD src0_sel:WORD_0
	s_mov_b32 s10, 0x43800000
	v_mov_b32_e32 v5, 0x80
	v_and_b32_e32 v4, 0x7fffffff, v3
	v_cmp_gt_u32_e32 vcc, s10, v4
	s_and_saveexec_b64 s[10:11], vcc
	s_cbranch_execz .LBB31_716
; %bb.711:
	s_mov_b32 s12, 0x3bffffff
	v_cmp_lt_u32_e32 vcc, s12, v4
	s_mov_b64 s[12:13], 0
                                        ; implicit-def: $vgpr4
	s_and_saveexec_b64 s[14:15], vcc
	s_xor_b64 s[14:15], exec, s[14:15]
	s_cbranch_execz .LBB31_833
; %bb.712:
	v_bfe_u32 v4, v3, 20, 1
	s_mov_b32 s18, 0x487ffff
	v_add3_u32 v4, v3, v4, s18
	s_mov_b64 s[12:13], exec
	v_lshrrev_b32_e32 v4, 20, v4
	s_andn2_saveexec_b64 s[14:15], s[14:15]
	s_cbranch_execnz .LBB31_834
.LBB31_713:
	s_or_b64 exec, exec, s[14:15]
	v_mov_b32_e32 v5, 0
	s_and_saveexec_b64 s[14:15], s[12:13]
.LBB31_714:
	v_lshrrev_b32_e32 v3, 24, v3
	s_movk_i32 s12, 0x80
	v_and_or_b32 v5, v3, s12, v4
.LBB31_715:
	s_or_b64 exec, exec, s[14:15]
.LBB31_716:
	s_or_b64 exec, exec, s[10:11]
	global_store_byte v[0:1], v5, off
.LBB31_717:
	s_mov_b64 s[10:11], -1
.LBB31_718:
	s_mov_b64 s[12:13], 0
.LBB31_719:
	s_and_b64 vcc, exec, s[12:13]
	s_cbranch_vccz .LBB31_760
; %bb.720:
	s_cmp_gt_i32 s17, 22
	s_mov_b64 s[12:13], -1
	s_cbranch_scc0 .LBB31_752
; %bb.721:
	s_cmp_lt_i32 s17, 24
	s_mov_b64 s[10:11], -1
	s_cbranch_scc1 .LBB31_741
; %bb.722:
	s_cmp_gt_i32 s17, 24
	s_cbranch_scc0 .LBB31_730
; %bb.723:
	v_bfe_i32 v3, v2, 0, 8
	v_cvt_f32_i32_sdwa v3, sext(v3) dst_sel:DWORD dst_unused:UNUSED_PAD src0_sel:WORD_0
	s_mov_b32 s10, 0x47800000
	v_mov_b32_e32 v5, 0x80
	v_and_b32_e32 v4, 0x7fffffff, v3
	v_cmp_gt_u32_e32 vcc, s10, v4
	s_and_saveexec_b64 s[10:11], vcc
	s_cbranch_execz .LBB31_729
; %bb.724:
	s_mov_b32 s12, 0x37ffffff
	v_cmp_lt_u32_e32 vcc, s12, v4
	s_mov_b64 s[12:13], 0
                                        ; implicit-def: $vgpr4
	s_and_saveexec_b64 s[14:15], vcc
	s_xor_b64 s[14:15], exec, s[14:15]
	s_cbranch_execz .LBB31_836
; %bb.725:
	v_bfe_u32 v4, v3, 21, 1
	s_mov_b32 s18, 0x88fffff
	v_add3_u32 v4, v3, v4, s18
	s_mov_b64 s[12:13], exec
	v_lshrrev_b32_e32 v4, 21, v4
	s_andn2_saveexec_b64 s[14:15], s[14:15]
	s_cbranch_execnz .LBB31_837
.LBB31_726:
	s_or_b64 exec, exec, s[14:15]
	v_mov_b32_e32 v5, 0
	s_and_saveexec_b64 s[14:15], s[12:13]
.LBB31_727:
	v_lshrrev_b32_e32 v3, 24, v3
	s_movk_i32 s12, 0x80
	v_and_or_b32 v5, v3, s12, v4
.LBB31_728:
	s_or_b64 exec, exec, s[14:15]
.LBB31_729:
	s_or_b64 exec, exec, s[10:11]
	s_mov_b64 s[10:11], 0
	global_store_byte v[0:1], v5, off
.LBB31_730:
	s_and_b64 vcc, exec, s[10:11]
	s_cbranch_vccz .LBB31_740
; %bb.731:
	v_bfe_i32 v3, v2, 0, 8
	v_cvt_f32_i32_sdwa v3, sext(v3) dst_sel:DWORD dst_unused:UNUSED_PAD src0_sel:WORD_0
	s_mov_b32 s10, 0x43f00000
                                        ; implicit-def: $vgpr4
	v_and_b32_e32 v5, 0x7fffffff, v3
	v_cmp_gt_u32_e32 vcc, s10, v5
	s_and_saveexec_b64 s[10:11], vcc
	s_xor_b64 s[10:11], exec, s[10:11]
	s_cbranch_execz .LBB31_737
; %bb.732:
	s_mov_b32 s12, 0x3c7fffff
	v_cmp_lt_u32_e32 vcc, s12, v5
                                        ; implicit-def: $vgpr4
	s_and_saveexec_b64 s[12:13], vcc
	s_xor_b64 s[12:13], exec, s[12:13]
; %bb.733:
	v_bfe_u32 v4, v3, 20, 1
	s_mov_b32 s14, 0x407ffff
	v_add3_u32 v4, v3, v4, s14
	v_lshrrev_b32_e32 v5, 20, v4
	v_and_b32_e32 v4, 0xff00000, v4
	s_mov_b32 s14, 0x7f00000
	v_mov_b32_e32 v6, 0x7e
	v_cmp_ne_u32_e32 vcc, s14, v4
	v_cndmask_b32_e32 v4, v6, v5, vcc
; %bb.734:
	s_andn2_saveexec_b64 s[12:13], s[12:13]
; %bb.735:
	s_mov_b32 s14, 0x46800000
	v_add_f32_e64 v4, |v3|, s14
; %bb.736:
	s_or_b64 exec, exec, s[12:13]
                                        ; implicit-def: $vgpr5
.LBB31_737:
	s_andn2_saveexec_b64 s[10:11], s[10:11]
; %bb.738:
	s_mov_b32 s12, 0x7f800000
	v_mov_b32_e32 v4, 0x7e
	v_mov_b32_e32 v6, 0x7f
	v_cmp_lt_u32_e32 vcc, s12, v5
	v_cndmask_b32_e32 v4, v4, v6, vcc
; %bb.739:
	s_or_b64 exec, exec, s[10:11]
	v_lshrrev_b32_e32 v3, 24, v3
	s_movk_i32 s10, 0x80
	v_and_or_b32 v3, v3, s10, v4
	global_store_byte v[0:1], v3, off
.LBB31_740:
	s_mov_b64 s[10:11], 0
.LBB31_741:
	s_andn2_b64 vcc, exec, s[10:11]
	s_cbranch_vccnz .LBB31_751
; %bb.742:
	v_bfe_i32 v3, v2, 0, 8
	v_cvt_f32_i32_sdwa v3, sext(v3) dst_sel:DWORD dst_unused:UNUSED_PAD src0_sel:WORD_0
	s_mov_b32 s10, 0x47800000
                                        ; implicit-def: $vgpr4
	v_and_b32_e32 v5, 0x7fffffff, v3
	v_cmp_gt_u32_e32 vcc, s10, v5
	s_and_saveexec_b64 s[10:11], vcc
	s_xor_b64 s[10:11], exec, s[10:11]
	s_cbranch_execz .LBB31_748
; %bb.743:
	s_mov_b32 s12, 0x387fffff
	v_cmp_lt_u32_e32 vcc, s12, v5
                                        ; implicit-def: $vgpr4
	s_and_saveexec_b64 s[12:13], vcc
	s_xor_b64 s[12:13], exec, s[12:13]
; %bb.744:
	v_bfe_u32 v4, v3, 21, 1
	s_mov_b32 s14, 0x80fffff
	v_add3_u32 v4, v3, v4, s14
	v_lshrrev_b32_e32 v4, 21, v4
; %bb.745:
	s_andn2_saveexec_b64 s[12:13], s[12:13]
; %bb.746:
	s_mov_b32 s14, 0x43000000
	v_add_f32_e64 v4, |v3|, s14
; %bb.747:
	s_or_b64 exec, exec, s[12:13]
                                        ; implicit-def: $vgpr5
.LBB31_748:
	s_andn2_saveexec_b64 s[10:11], s[10:11]
; %bb.749:
	s_mov_b32 s12, 0x7f800000
	v_mov_b32_e32 v4, 0x7c
	v_mov_b32_e32 v6, 0x7f
	v_cmp_lt_u32_e32 vcc, s12, v5
	v_cndmask_b32_e32 v4, v4, v6, vcc
; %bb.750:
	s_or_b64 exec, exec, s[10:11]
	v_lshrrev_b32_e32 v3, 24, v3
	s_movk_i32 s10, 0x80
	v_and_or_b32 v3, v3, s10, v4
	global_store_byte v[0:1], v3, off
.LBB31_751:
	s_mov_b64 s[12:13], 0
	s_mov_b64 s[10:11], -1
.LBB31_752:
	s_andn2_b64 vcc, exec, s[12:13]
	s_cbranch_vccnz .LBB31_760
; %bb.753:
	s_cmp_gt_i32 s17, 14
	s_mov_b64 s[12:13], -1
	s_cbranch_scc0 .LBB31_757
; %bb.754:
	s_cmp_eq_u32 s17, 15
	s_mov_b64 s[2:3], -1
	s_cbranch_scc0 .LBB31_756
; %bb.755:
	v_bfe_i32 v3, v2, 0, 8
	v_cvt_f32_i32_sdwa v3, sext(v3) dst_sel:DWORD dst_unused:UNUSED_PAD src0_sel:WORD_0
	s_movk_i32 s2, 0x7fff
	s_mov_b64 s[10:11], -1
	v_bfe_u32 v4, v3, 16, 1
	v_add3_u32 v3, v3, v4, s2
	global_store_short_d16_hi v[0:1], v3, off
	s_mov_b64 s[2:3], 0
.LBB31_756:
	s_mov_b64 s[12:13], 0
.LBB31_757:
	s_and_b64 vcc, exec, s[12:13]
	s_cbranch_vccz .LBB31_760
; %bb.758:
	s_cmp_eq_u32 s17, 11
	s_mov_b64 s[2:3], -1
	s_cbranch_scc0 .LBB31_760
; %bb.759:
	v_mov_b32_e32 v3, 0
	v_cmp_ne_u16_sdwa s[2:3], v2, v3 src0_sel:BYTE_0 src1_sel:DWORD
	v_cndmask_b32_e64 v3, 0, 1, s[2:3]
	s_mov_b64 s[10:11], -1
	s_mov_b64 s[2:3], 0
	global_store_byte v[0:1], v3, off
.LBB31_760:
	s_mov_b64 s[12:13], 0
.LBB31_761:
	s_and_b64 vcc, exec, s[12:13]
	s_cbranch_vccz .LBB31_800
; %bb.762:
	s_and_b32 s12, 0xffff, s16
	s_cmp_lt_i32 s12, 5
	s_mov_b64 s[10:11], -1
	s_cbranch_scc1 .LBB31_783
; %bb.763:
	s_cmp_lt_i32 s12, 8
	s_cbranch_scc1 .LBB31_773
; %bb.764:
	s_cmp_lt_i32 s12, 9
	s_cbranch_scc1 .LBB31_770
; %bb.765:
	s_cmp_gt_i32 s12, 9
	s_cbranch_scc0 .LBB31_767
; %bb.766:
	v_bfe_i32 v3, v2, 0, 8
	v_bfe_i32 v3, v3, 0, 16
	v_cvt_f64_i32_e32 v[3:4], v3
	v_mov_b32_e32 v5, 0
	v_mov_b32_e32 v6, v5
	s_mov_b64 s[10:11], 0
	global_store_dwordx4 v[0:1], v[3:6], off
.LBB31_767:
	s_andn2_b64 vcc, exec, s[10:11]
	s_cbranch_vccnz .LBB31_769
; %bb.768:
	v_bfe_i32 v3, v2, 0, 8
	v_cvt_f32_i32_sdwa v3, sext(v3) dst_sel:DWORD dst_unused:UNUSED_PAD src0_sel:WORD_0
	v_mov_b32_e32 v4, 0
	global_store_dwordx2 v[0:1], v[3:4], off
.LBB31_769:
	s_mov_b64 s[10:11], 0
.LBB31_770:
	s_andn2_b64 vcc, exec, s[10:11]
	s_cbranch_vccnz .LBB31_772
; %bb.771:
	v_cvt_f16_i16_sdwa v3, sext(v2) dst_sel:DWORD dst_unused:UNUSED_PAD src0_sel:BYTE_0
	global_store_dword v[0:1], v3, off
.LBB31_772:
	s_mov_b64 s[10:11], 0
.LBB31_773:
	s_andn2_b64 vcc, exec, s[10:11]
	s_cbranch_vccnz .LBB31_782
; %bb.774:
	s_cmp_lt_i32 s12, 6
	s_mov_b64 s[10:11], -1
	s_cbranch_scc1 .LBB31_780
; %bb.775:
	s_cmp_gt_i32 s12, 6
	s_cbranch_scc0 .LBB31_777
; %bb.776:
	v_bfe_i32 v3, v2, 0, 8
	v_bfe_i32 v3, v3, 0, 16
	v_cvt_f64_i32_e32 v[3:4], v3
	s_mov_b64 s[10:11], 0
	global_store_dwordx2 v[0:1], v[3:4], off
.LBB31_777:
	s_andn2_b64 vcc, exec, s[10:11]
	s_cbranch_vccnz .LBB31_779
; %bb.778:
	v_bfe_i32 v3, v2, 0, 8
	v_cvt_f32_i32_sdwa v3, sext(v3) dst_sel:DWORD dst_unused:UNUSED_PAD src0_sel:WORD_0
	global_store_dword v[0:1], v3, off
.LBB31_779:
	s_mov_b64 s[10:11], 0
.LBB31_780:
	s_andn2_b64 vcc, exec, s[10:11]
	s_cbranch_vccnz .LBB31_782
; %bb.781:
	v_cvt_f16_i16_sdwa v3, sext(v2) dst_sel:DWORD dst_unused:UNUSED_PAD src0_sel:BYTE_0
	global_store_short v[0:1], v3, off
.LBB31_782:
	s_mov_b64 s[10:11], 0
.LBB31_783:
	s_andn2_b64 vcc, exec, s[10:11]
	s_cbranch_vccnz .LBB31_799
; %bb.784:
	s_cmp_lt_i32 s12, 2
	s_mov_b64 s[10:11], -1
	s_cbranch_scc1 .LBB31_794
; %bb.785:
	s_cmp_lt_i32 s12, 3
	s_cbranch_scc1 .LBB31_791
; %bb.786:
	s_cmp_gt_i32 s12, 3
	s_cbranch_scc0 .LBB31_788
; %bb.787:
	v_bfe_i32 v3, v2, 0, 8
	v_ashrrev_i32_e32 v4, 31, v3
	s_mov_b64 s[10:11], 0
	global_store_dwordx2 v[0:1], v[3:4], off
.LBB31_788:
	s_andn2_b64 vcc, exec, s[10:11]
	s_cbranch_vccnz .LBB31_790
; %bb.789:
	v_bfe_i32 v3, v2, 0, 8
	global_store_dword v[0:1], v3, off
.LBB31_790:
	s_mov_b64 s[10:11], 0
.LBB31_791:
	s_andn2_b64 vcc, exec, s[10:11]
	s_cbranch_vccnz .LBB31_793
; %bb.792:
	v_bfe_i32 v3, v2, 0, 8
	global_store_short v[0:1], v3, off
.LBB31_793:
	s_mov_b64 s[10:11], 0
.LBB31_794:
	s_andn2_b64 vcc, exec, s[10:11]
	s_cbranch_vccnz .LBB31_799
; %bb.795:
	s_cmp_gt_i32 s12, 0
	s_mov_b64 s[10:11], -1
	s_cbranch_scc0 .LBB31_797
; %bb.796:
	s_mov_b64 s[10:11], 0
	global_store_byte v[0:1], v2, off
.LBB31_797:
	s_andn2_b64 vcc, exec, s[10:11]
	s_cbranch_vccnz .LBB31_799
; %bb.798:
	global_store_byte v[0:1], v2, off
.LBB31_799:
	s_mov_b64 s[10:11], -1
.LBB31_800:
	s_andn2_b64 vcc, exec, s[10:11]
	s_cbranch_vccnz .LBB31_802
; %bb.801:
	v_add_u32_e32 v8, 0x80, v8
	s_mov_b64 s[10:11], -1
	s_branch .LBB31_804
.LBB31_802:
	s_mov_b64 s[10:11], 0
.LBB31_803:
                                        ; implicit-def: $vgpr8
.LBB31_804:
	s_andn2_b64 s[12:13], s[68:69], exec
	s_and_b64 s[2:3], s[2:3], exec
	s_or_b64 s[74:75], s[12:13], s[2:3]
	s_andn2_b64 s[2:3], s[66:67], exec
	s_and_b64 s[8:9], s[8:9], exec
	s_or_b64 s[2:3], s[2:3], s[8:9]
	s_orn2_b64 s[10:11], s[10:11], exec
.LBB31_805:
	s_or_b64 exec, exec, s[72:73]
	s_mov_b64 s[8:9], 0
	s_mov_b64 s[12:13], 0
	;; [unrolled: 1-line block ×3, first 2 shown]
                                        ; implicit-def: $sgpr18
                                        ; implicit-def: $vgpr1_vgpr2
                                        ; implicit-def: $vgpr0
                                        ; implicit-def: $vgpr3
	s_and_saveexec_b64 s[72:73], s[10:11]
	s_cbranch_execz .LBB31_900
; %bb.806:
	v_cmp_gt_i32_e32 vcc, s76, v8
	s_mov_b64 s[10:11], 0
	s_mov_b64 s[16:17], s[2:3]
                                        ; implicit-def: $sgpr18
                                        ; implicit-def: $vgpr1_vgpr2
                                        ; implicit-def: $vgpr0
                                        ; implicit-def: $vgpr3
	s_and_saveexec_b64 s[76:77], vcc
	s_cbranch_execz .LBB31_899
; %bb.807:
	s_andn2_b64 vcc, exec, s[44:45]
	s_cbranch_vccnz .LBB31_812
; %bb.808:
	s_andn2_b64 vcc, exec, s[58:59]
	s_cbranch_vccnz .LBB31_813
; %bb.809:
	s_add_i32 s80, s80, 1
	s_cmp_eq_u32 s78, 2
	s_cbranch_scc1 .LBB31_814
; %bb.810:
	s_and_b32 s49, s80, 28
	v_mov_b32_e32 v2, 0
	s_mov_b32 s50, 0
	s_mov_b64 s[58:59], s[34:35]
	v_mov_b32_e32 v0, 0
	v_mov_b32_e32 v1, v8
.LBB31_811:                             ; =>This Inner Loop Header: Depth=1
	s_load_dwordx8 s[16:23], s[58:59], 0x4
	s_load_dwordx4 s[40:43], s[58:59], 0x24
	s_load_dwordx8 s[8:15], s[56:57], 0x0
	s_add_u32 s58, s58, 48
	s_addc_u32 s59, s59, 0
	s_waitcnt vmcnt(0) lgkmcnt(0)
	v_mul_hi_u32 v3, s17, v1
	s_add_i32 s50, s50, 4
	s_add_u32 s56, s56, 32
	s_addc_u32 s57, s57, 0
	v_add_u32_e32 v3, v1, v3
	v_lshrrev_b32_e32 v3, s18, v3
	v_mul_lo_u32 v4, v3, s16
	v_mul_hi_u32 v5, s20, v3
	s_cmp_eq_u32 s49, s50
	v_sub_u32_e32 v1, v1, v4
	v_add_u32_e32 v4, v3, v5
	v_mul_lo_u32 v5, v1, s8
	v_mul_lo_u32 v6, v1, s9
	v_lshrrev_b32_e32 v1, s21, v4
	v_mul_lo_u32 v4, v1, s19
	v_mul_hi_u32 v7, s23, v1
	v_sub_u32_e32 v3, v3, v4
	v_add_u32_e32 v4, v1, v7
	v_lshrrev_b32_e32 v4, s40, v4
	v_mul_hi_u32 v9, s42, v4
	v_mul_lo_u32 v10, v4, s22
	v_mul_lo_u32 v7, v3, s10
	;; [unrolled: 1-line block ×3, first 2 shown]
	v_sub_u32_e32 v10, v1, v10
	v_add_u32_e32 v1, v4, v9
	v_lshrrev_b32_e32 v1, s43, v1
	v_mul_lo_u32 v9, v1, s41
	v_mul_lo_u32 v11, v10, s12
	;; [unrolled: 1-line block ×3, first 2 shown]
	v_add3_u32 v0, v5, v0, v7
	v_sub_u32_e32 v4, v4, v9
	v_mul_lo_u32 v9, v4, s14
	v_mul_lo_u32 v4, v4, s15
	v_add3_u32 v2, v6, v2, v3
	v_add3_u32 v0, v11, v0, v9
	;; [unrolled: 1-line block ×3, first 2 shown]
	s_cbranch_scc0 .LBB31_811
	s_branch .LBB31_815
.LBB31_812:
	s_mov_b64 s[8:9], -1
                                        ; implicit-def: $vgpr0
                                        ; implicit-def: $vgpr2
	s_branch .LBB31_819
.LBB31_813:
	v_mov_b32_e32 v0, 0
	v_mov_b32_e32 v2, 0
	s_branch .LBB31_818
.LBB31_814:
	s_mov_b32 s49, 0
	v_mov_b32_e32 v0, 0
	v_mov_b32_e32 v2, 0
	;; [unrolled: 1-line block ×3, first 2 shown]
.LBB31_815:
	s_and_b32 s12, s80, 3
	s_cmp_eq_u32 s12, 0
	s_cbranch_scc1 .LBB31_818
; %bb.816:
	s_lshl_b32 s8, s49, 3
	s_add_u32 s8, s34, s8
	s_addc_u32 s9, s35, 0
	s_add_u32 s8, s8, 0xc4
	s_addc_u32 s9, s9, 0
	s_mul_i32 s10, s49, 12
	s_add_u32 s10, s34, s10
	s_addc_u32 s11, s35, 0
.LBB31_817:                             ; =>This Inner Loop Header: Depth=1
	s_load_dwordx2 s[14:15], s[10:11], 0x4
	s_load_dword s13, s[10:11], 0xc
	s_load_dwordx2 s[16:17], s[8:9], 0x0
	s_add_u32 s10, s10, 12
	s_addc_u32 s11, s11, 0
	s_waitcnt vmcnt(0) lgkmcnt(0)
	v_mul_hi_u32 v3, s15, v1
	s_add_u32 s8, s8, 8
	s_addc_u32 s9, s9, 0
	s_add_i32 s12, s12, -1
	v_add_u32_e32 v3, v1, v3
	v_lshrrev_b32_e32 v4, s13, v3
	v_mul_lo_u32 v3, v4, s14
	s_cmp_lg_u32 s12, 0
	v_sub_u32_e32 v3, v1, v3
	v_mad_u64_u32 v[0:1], s[14:15], v3, s16, v[0:1]
	v_mad_u64_u32 v[2:3], s[14:15], v3, s17, v[2:3]
	v_mov_b32_e32 v1, v4
	s_cbranch_scc1 .LBB31_817
.LBB31_818:
	s_mov_b64 s[8:9], 0
.LBB31_819:
	s_andn2_b64 vcc, exec, s[8:9]
	s_cbranch_vccnz .LBB31_822
; %bb.820:
	v_mul_hi_u32 v0, s29, v8
	s_andn2_b64 vcc, exec, s[54:55]
	v_add_u32_e32 v0, v8, v0
	v_lshrrev_b32_e32 v1, s30, v0
	v_mul_lo_u32 v0, v1, s28
	v_sub_u32_e32 v2, v8, v0
	v_mul_lo_u32 v0, v2, s36
	v_mul_lo_u32 v2, v2, s37
	s_cbranch_vccnz .LBB31_822
; %bb.821:
	s_waitcnt vmcnt(0)
	v_mul_hi_u32 v3, s52, v1
	v_add_u32_e32 v3, v1, v3
	v_lshrrev_b32_e32 v3, s53, v3
	v_mul_lo_u32 v3, v3, s31
	v_sub_u32_e32 v3, v1, v3
	v_mad_u64_u32 v[0:1], s[8:9], v3, s38, v[0:1]
	v_mad_u64_u32 v[2:3], s[8:9], v3, s39, v[2:3]
.LBB31_822:
	s_waitcnt vmcnt(0)
	v_mov_b32_e32 v3, s27
	s_and_b32 s18, s51, 0xff
	v_add_co_u32_e32 v1, vcc, s26, v2
	s_cmp_lt_i32 s18, 11
	v_addc_co_u32_e32 v2, vcc, 0, v3, vcc
	s_cbranch_scc1 .LBB31_829
; %bb.823:
	s_and_b32 s16, 0xffff, s18
	s_cmp_gt_i32 s16, 25
	s_mov_b64 s[10:11], 0
	s_cbranch_scc0 .LBB31_830
; %bb.824:
	s_cmp_gt_i32 s16, 28
	s_cbranch_scc0 .LBB31_831
; %bb.825:
	s_cmp_gt_i32 s16, 43
	;; [unrolled: 3-line block ×3, first 2 shown]
	s_cbranch_scc0 .LBB31_835
; %bb.827:
	s_cmp_eq_u32 s16, 46
	s_mov_b64 s[14:15], 0
	s_cbranch_scc0 .LBB31_838
; %bb.828:
	global_load_dword v3, v[1:2], off
	s_mov_b64 s[8:9], 0
	s_mov_b64 s[12:13], -1
	s_waitcnt vmcnt(0)
	v_lshlrev_b32_e32 v3, 16, v3
	v_cvt_i32_f32_e32 v3, v3
	s_branch .LBB31_839
.LBB31_829:
	s_mov_b64 s[16:17], -1
	s_mov_b64 s[12:13], 0
	s_mov_b64 s[10:11], 0
	;; [unrolled: 1-line block ×3, first 2 shown]
                                        ; implicit-def: $vgpr3
	s_branch .LBB31_898
.LBB31_830:
	s_mov_b64 s[14:15], -1
	s_mov_b64 s[12:13], 0
	s_mov_b64 s[8:9], s[2:3]
                                        ; implicit-def: $vgpr3
	s_branch .LBB31_866
.LBB31_831:
	s_mov_b64 s[14:15], -1
	s_mov_b64 s[12:13], 0
	s_mov_b64 s[8:9], s[2:3]
                                        ; implicit-def: $vgpr3
	s_branch .LBB31_849
.LBB31_832:
	s_mov_b64 s[14:15], -1
	s_mov_b64 s[12:13], 0
	s_mov_b64 s[8:9], s[2:3]
                                        ; implicit-def: $vgpr3
	s_branch .LBB31_844
.LBB31_833:
	s_andn2_saveexec_b64 s[14:15], s[14:15]
	s_cbranch_execz .LBB31_713
.LBB31_834:
	s_mov_b32 s18, 0x46000000
	v_add_f32_e64 v4, |v3|, s18
	v_and_b32_e32 v4, 0xff, v4
	v_cmp_ne_u32_e32 vcc, 0, v4
	s_andn2_b64 s[12:13], s[12:13], exec
	s_and_b64 s[18:19], vcc, exec
	s_or_b64 s[12:13], s[12:13], s[18:19]
	s_or_b64 exec, exec, s[14:15]
	v_mov_b32_e32 v5, 0
	s_and_saveexec_b64 s[14:15], s[12:13]
	s_cbranch_execnz .LBB31_714
	s_branch .LBB31_715
.LBB31_835:
	s_mov_b64 s[14:15], -1
	s_mov_b64 s[12:13], 0
	s_mov_b64 s[8:9], s[2:3]
                                        ; implicit-def: $vgpr3
	s_branch .LBB31_839
.LBB31_836:
	s_andn2_saveexec_b64 s[14:15], s[14:15]
	s_cbranch_execz .LBB31_726
.LBB31_837:
	s_mov_b32 s18, 0x42800000
	v_add_f32_e64 v4, |v3|, s18
	v_and_b32_e32 v4, 0xff, v4
	v_cmp_ne_u32_e32 vcc, 0, v4
	s_andn2_b64 s[12:13], s[12:13], exec
	s_and_b64 s[18:19], vcc, exec
	s_or_b64 s[12:13], s[12:13], s[18:19]
	s_or_b64 exec, exec, s[14:15]
	v_mov_b32_e32 v5, 0
	s_and_saveexec_b64 s[14:15], s[12:13]
	s_cbranch_execnz .LBB31_727
	s_branch .LBB31_728
.LBB31_838:
	s_mov_b64 s[8:9], -1
                                        ; implicit-def: $vgpr3
	s_mov_b64 s[12:13], 0
.LBB31_839:
	s_and_b64 vcc, exec, s[14:15]
	s_cbranch_vccz .LBB31_843
; %bb.840:
	s_cmp_eq_u32 s16, 44
	s_cbranch_scc0 .LBB31_842
; %bb.841:
	global_load_ubyte v3, v[1:2], off
	s_mov_b64 s[8:9], 0
	s_mov_b64 s[12:13], -1
	s_waitcnt vmcnt(0)
	v_lshlrev_b32_e32 v4, 23, v3
	v_cvt_i32_f32_e32 v4, v4
	v_cmp_ne_u32_e32 vcc, 0, v3
	v_cndmask_b32_e32 v3, 0, v4, vcc
	s_branch .LBB31_843
.LBB31_842:
	s_mov_b64 s[8:9], -1
                                        ; implicit-def: $vgpr3
.LBB31_843:
	s_mov_b64 s[14:15], 0
.LBB31_844:
	s_and_b64 vcc, exec, s[14:15]
	s_cbranch_vccz .LBB31_848
; %bb.845:
	s_cmp_eq_u32 s16, 29
	s_cbranch_scc0 .LBB31_847
; %bb.846:
	global_load_dwordx2 v[3:4], v[1:2], off
	s_mov_b64 s[8:9], 0
	s_mov_b64 s[12:13], -1
	s_branch .LBB31_848
.LBB31_847:
	s_mov_b64 s[8:9], -1
                                        ; implicit-def: $vgpr3
.LBB31_848:
	s_mov_b64 s[14:15], 0
.LBB31_849:
	s_and_b64 vcc, exec, s[14:15]
	s_cbranch_vccz .LBB31_865
; %bb.850:
	s_cmp_lt_i32 s16, 27
	s_cbranch_scc1 .LBB31_853
; %bb.851:
	s_cmp_gt_i32 s16, 27
	s_cbranch_scc0 .LBB31_854
; %bb.852:
	global_load_dword v3, v[1:2], off
	s_mov_b64 s[12:13], 0
	s_branch .LBB31_855
.LBB31_853:
	s_mov_b64 s[12:13], -1
                                        ; implicit-def: $vgpr3
	s_branch .LBB31_858
.LBB31_854:
	s_mov_b64 s[12:13], -1
                                        ; implicit-def: $vgpr3
.LBB31_855:
	s_andn2_b64 vcc, exec, s[12:13]
	s_cbranch_vccnz .LBB31_857
; %bb.856:
	global_load_ushort v3, v[1:2], off
.LBB31_857:
	s_mov_b64 s[12:13], 0
.LBB31_858:
	s_andn2_b64 vcc, exec, s[12:13]
	s_cbranch_vccnz .LBB31_864
; %bb.859:
	global_load_ubyte v4, v[1:2], off
	s_movk_i32 s12, 0x7f
	s_mov_b64 s[14:15], 0
	s_waitcnt vmcnt(0)
	v_cmp_lt_i16_e32 vcc, s12, v4
	s_and_saveexec_b64 s[12:13], vcc
	s_xor_b64 s[12:13], exec, s[12:13]
	s_cbranch_execz .LBB31_876
; %bb.860:
	s_movk_i32 s14, 0x80
	v_cmp_ne_u16_e32 vcc, s14, v4
	s_and_b64 s[14:15], vcc, exec
	s_andn2_saveexec_b64 s[12:13], s[12:13]
	s_cbranch_execnz .LBB31_877
.LBB31_861:
	s_or_b64 exec, exec, s[12:13]
	v_mov_b32_e32 v3, 0
	s_and_saveexec_b64 s[12:13], s[14:15]
	s_cbranch_execz .LBB31_863
.LBB31_862:
	v_lshlrev_b32_e32 v3, 24, v4
	v_and_b32_e32 v4, 0xffff, v4
	v_and_b32_e32 v5, 7, v4
	v_ffbh_u32_e32 v7, v5
	v_min_u32_e32 v7, 32, v7
	v_subrev_u32_e32 v8, 28, v7
	v_bfe_u32 v6, v4, 3, 4
	v_lshlrev_b32_e32 v4, v8, v4
	v_sub_u32_e32 v7, 29, v7
	v_and_b32_e32 v4, 7, v4
	v_cmp_eq_u32_e32 vcc, 0, v6
	v_cndmask_b32_e32 v6, v6, v7, vcc
	v_cndmask_b32_e32 v4, v5, v4, vcc
	v_mov_b32_e32 v5, 0x3b800000
	v_lshlrev_b32_e32 v4, 20, v4
	v_and_b32_e32 v3, 0x80000000, v3
	v_lshl_add_u32 v5, v6, 23, v5
	v_or3_b32 v3, v3, v5, v4
	v_cvt_i32_f32_e32 v3, v3
.LBB31_863:
	s_or_b64 exec, exec, s[12:13]
.LBB31_864:
	s_mov_b64 s[12:13], -1
.LBB31_865:
	s_mov_b64 s[14:15], 0
.LBB31_866:
	s_and_b64 vcc, exec, s[14:15]
	s_cbranch_vccz .LBB31_897
; %bb.867:
	s_cmp_gt_i32 s16, 22
	s_cbranch_scc0 .LBB31_875
; %bb.868:
	s_cmp_lt_i32 s16, 24
	s_cbranch_scc1 .LBB31_878
; %bb.869:
	s_cmp_gt_i32 s16, 24
	s_cbranch_scc0 .LBB31_879
; %bb.870:
	global_load_ubyte v4, v[1:2], off
	s_movk_i32 s10, 0x7f
	s_mov_b64 s[12:13], 0
	s_waitcnt vmcnt(0)
	v_cmp_lt_i16_e32 vcc, s10, v4
	s_and_saveexec_b64 s[10:11], vcc
	s_xor_b64 s[10:11], exec, s[10:11]
	s_cbranch_execz .LBB31_891
; %bb.871:
	s_movk_i32 s12, 0x80
	v_cmp_ne_u16_e32 vcc, s12, v4
	s_and_b64 s[12:13], vcc, exec
	s_andn2_saveexec_b64 s[10:11], s[10:11]
	s_cbranch_execnz .LBB31_892
.LBB31_872:
	s_or_b64 exec, exec, s[10:11]
	v_mov_b32_e32 v3, 0
	s_and_saveexec_b64 s[10:11], s[12:13]
	s_cbranch_execz .LBB31_874
.LBB31_873:
	v_lshlrev_b32_e32 v3, 24, v4
	v_and_b32_e32 v4, 0xffff, v4
	v_and_b32_e32 v5, 3, v4
	v_ffbh_u32_e32 v7, v5
	v_min_u32_e32 v7, 32, v7
	v_subrev_u32_e32 v8, 29, v7
	v_bfe_u32 v6, v4, 2, 5
	v_lshlrev_b32_e32 v4, v8, v4
	v_sub_u32_e32 v7, 30, v7
	v_and_b32_e32 v4, 3, v4
	v_cmp_eq_u32_e32 vcc, 0, v6
	v_cndmask_b32_e32 v6, v6, v7, vcc
	v_cndmask_b32_e32 v4, v5, v4, vcc
	v_mov_b32_e32 v5, 0x37800000
	v_lshlrev_b32_e32 v4, 21, v4
	v_and_b32_e32 v3, 0x80000000, v3
	v_lshl_add_u32 v5, v6, 23, v5
	v_or3_b32 v3, v3, v5, v4
	v_cvt_i32_f32_e32 v3, v3
.LBB31_874:
	s_or_b64 exec, exec, s[10:11]
	s_mov_b64 s[10:11], 0
	s_branch .LBB31_880
.LBB31_875:
	s_mov_b64 s[10:11], -1
                                        ; implicit-def: $vgpr3
	s_branch .LBB31_886
.LBB31_876:
	s_andn2_saveexec_b64 s[12:13], s[12:13]
	s_cbranch_execz .LBB31_861
.LBB31_877:
	v_cmp_ne_u16_e32 vcc, 0, v4
	s_andn2_b64 s[14:15], s[14:15], exec
	s_and_b64 s[20:21], vcc, exec
	s_or_b64 s[14:15], s[14:15], s[20:21]
	s_or_b64 exec, exec, s[12:13]
	v_mov_b32_e32 v3, 0
	s_and_saveexec_b64 s[12:13], s[14:15]
	s_cbranch_execnz .LBB31_862
	s_branch .LBB31_863
.LBB31_878:
	s_mov_b64 s[10:11], -1
                                        ; implicit-def: $vgpr3
	s_branch .LBB31_883
.LBB31_879:
	s_mov_b64 s[10:11], -1
                                        ; implicit-def: $vgpr3
.LBB31_880:
	s_and_b64 vcc, exec, s[10:11]
	s_cbranch_vccz .LBB31_882
; %bb.881:
	global_load_ubyte v3, v[1:2], off
	s_mov_b32 s10, 0x7f800000
	s_waitcnt vmcnt(0)
	v_lshlrev_b32_e32 v3, 24, v3
	v_and_b32_e32 v4, 0x7f000000, v3
	v_ffbh_u32_e32 v5, v4
	v_min_u32_e32 v5, 32, v5
	v_sub_u32_e64 v5, v5, 4 clamp
	v_lshlrev_b32_e32 v7, v5, v4
	v_lshlrev_b32_e32 v5, 23, v5
	v_lshrrev_b32_e32 v7, 4, v7
	v_add_u32_e32 v6, 0x1000000, v4
	v_sub_u32_e32 v5, v7, v5
	v_ashrrev_i32_e32 v6, 8, v6
	v_add_u32_e32 v5, 0x3c000000, v5
	v_and_or_b32 v5, v6, s10, v5
	v_cmp_ne_u32_e32 vcc, 0, v4
	v_cndmask_b32_e32 v4, 0, v5, vcc
	s_brev_b32 s10, 1
	v_and_or_b32 v3, v3, s10, v4
	v_cvt_i32_f32_e32 v3, v3
.LBB31_882:
	s_mov_b64 s[10:11], 0
.LBB31_883:
	s_andn2_b64 vcc, exec, s[10:11]
	s_cbranch_vccnz .LBB31_885
; %bb.884:
	global_load_ubyte v3, v[1:2], off
	s_movk_i32 s10, 0x7f00
	s_brev_b32 s11, 16
	s_waitcnt vmcnt(0)
	v_lshlrev_b16_e32 v4, 8, v3
	v_lshlrev_b32_e32 v3, 25, v3
	v_lshrrev_b32_e32 v5, 4, v3
	v_and_or_b32 v6, v4, s10, 0.5
	v_or_b32_e32 v5, 0x70000000, v5
	v_add_f32_e32 v6, -0.5, v6
	v_mul_f32_e32 v5, 0x7800000, v5
	v_cmp_gt_u32_e32 vcc, s11, v3
	v_bfe_i32 v4, v4, 0, 16
	v_cndmask_b32_e32 v3, v5, v6, vcc
	s_brev_b32 s10, 1
	v_and_or_b32 v3, v4, s10, v3
	v_cvt_i32_f32_e32 v3, v3
.LBB31_885:
	s_mov_b64 s[10:11], 0
	s_mov_b64 s[12:13], -1
.LBB31_886:
	s_andn2_b64 vcc, exec, s[10:11]
	s_mov_b64 s[10:11], 0
	s_cbranch_vccnz .LBB31_897
; %bb.887:
	s_cmp_gt_i32 s16, 14
	s_cbranch_scc0 .LBB31_890
; %bb.888:
	s_cmp_eq_u32 s16, 15
	s_cbranch_scc0 .LBB31_893
; %bb.889:
	global_load_ushort v3, v[1:2], off
	s_mov_b64 s[8:9], 0
	s_mov_b64 s[12:13], -1
	s_waitcnt vmcnt(0)
	v_lshlrev_b32_e32 v3, 16, v3
	v_cvt_i32_f32_e32 v3, v3
	s_branch .LBB31_894
.LBB31_890:
	s_mov_b64 s[14:15], -1
                                        ; implicit-def: $vgpr3
	s_branch .LBB31_895
.LBB31_891:
	s_andn2_saveexec_b64 s[10:11], s[10:11]
	s_cbranch_execz .LBB31_872
.LBB31_892:
	v_cmp_ne_u16_e32 vcc, 0, v4
	s_andn2_b64 s[12:13], s[12:13], exec
	s_and_b64 s[14:15], vcc, exec
	s_or_b64 s[12:13], s[12:13], s[14:15]
	s_or_b64 exec, exec, s[10:11]
	v_mov_b32_e32 v3, 0
	s_and_saveexec_b64 s[10:11], s[12:13]
	s_cbranch_execnz .LBB31_873
	s_branch .LBB31_874
.LBB31_893:
	s_mov_b64 s[8:9], -1
                                        ; implicit-def: $vgpr3
.LBB31_894:
	s_mov_b64 s[14:15], 0
.LBB31_895:
	s_and_b64 vcc, exec, s[14:15]
	s_cbranch_vccz .LBB31_897
; %bb.896:
	s_cmp_lg_u32 s16, 11
	s_cselect_b64 s[14:15], -1, 0
	s_andn2_b64 s[8:9], s[8:9], exec
	s_and_b64 s[14:15], s[14:15], exec
	s_mov_b64 s[10:11], -1
	s_or_b64 s[8:9], s[8:9], s[14:15]
.LBB31_897:
	s_mov_b64 s[16:17], 0
.LBB31_898:
	s_and_b64 s[14:15], s[12:13], exec
	s_and_b64 s[12:13], s[16:17], exec
	s_andn2_b64 s[16:17], s[2:3], exec
	s_and_b64 s[8:9], s[8:9], exec
	s_and_b64 s[10:11], s[10:11], exec
	s_or_b64 s[16:17], s[16:17], s[8:9]
.LBB31_899:
	s_or_b64 exec, exec, s[76:77]
	s_and_b64 s[8:9], s[10:11], exec
	s_andn2_b64 s[2:3], s[2:3], exec
	s_and_b64 s[10:11], s[16:17], exec
	s_and_b64 s[14:15], s[14:15], exec
	s_and_b64 s[12:13], s[12:13], exec
	s_or_b64 s[2:3], s[2:3], s[10:11]
.LBB31_900:
	s_or_b64 exec, exec, s[72:73]
	s_andn2_b64 s[10:11], s[68:69], exec
	s_and_b64 s[16:17], s[74:75], exec
	s_or_b64 s[68:69], s[10:11], s[16:17]
	s_and_b64 s[10:11], s[14:15], exec
	s_andn2_b64 s[14:15], s[66:67], exec
	s_and_b64 s[2:3], s[2:3], exec
	s_and_b64 s[12:13], s[12:13], exec
	;; [unrolled: 1-line block ×3, first 2 shown]
	s_or_b64 s[66:67], s[14:15], s[2:3]
.LBB31_901:
	s_or_b64 exec, exec, s[70:71]
	s_andn2_b64 s[2:3], s[60:61], exec
	s_and_b64 s[14:15], s[68:69], exec
	s_or_b64 s[60:61], s[2:3], s[14:15]
	s_and_b64 s[68:69], s[8:9], exec
	s_andn2_b64 s[2:3], s[62:63], exec
	s_and_b64 s[8:9], s[66:67], exec
	s_and_b64 s[10:11], s[10:11], exec
	;; [unrolled: 1-line block ×3, first 2 shown]
	s_or_b64 s[62:63], s[2:3], s[8:9]
	s_or_b64 exec, exec, s[64:65]
	s_mov_b64 s[2:3], 0
	s_and_saveexec_b64 s[8:9], s[62:63]
	s_cbranch_execz .LBB31_270
.LBB31_902:
	s_mov_b64 s[2:3], exec
	s_andn2_b64 s[68:69], s[68:69], exec
	s_trap 2
	s_or_b64 exec, exec, s[8:9]
	s_and_saveexec_b64 s[8:9], s[68:69]
	s_xor_b64 s[8:9], exec, s[8:9]
	s_cbranch_execnz .LBB31_271
.LBB31_903:
	s_or_b64 exec, exec, s[8:9]
	s_and_saveexec_b64 s[8:9], s[12:13]
	s_cbranch_execz .LBB31_949
.LBB31_904:
	s_sext_i32_i16 s12, s18
	s_cmp_lt_i32 s12, 5
	s_cbranch_scc1 .LBB31_909
; %bb.905:
	s_cmp_lt_i32 s12, 8
	s_cbranch_scc1 .LBB31_910
; %bb.906:
	s_cmp_lt_i32 s12, 9
	s_cbranch_scc1 .LBB31_911
; %bb.907:
	s_cmp_gt_i32 s12, 9
	s_cbranch_scc0 .LBB31_912
; %bb.908:
	global_load_dwordx2 v[3:4], v[1:2], off
	s_mov_b64 s[12:13], 0
	s_waitcnt vmcnt(0)
	v_cvt_i32_f64_e32 v3, v[3:4]
	s_branch .LBB31_913
.LBB31_909:
                                        ; implicit-def: $vgpr3
	s_branch .LBB31_930
.LBB31_910:
                                        ; implicit-def: $vgpr3
	s_branch .LBB31_919
.LBB31_911:
	s_mov_b64 s[12:13], -1
                                        ; implicit-def: $vgpr3
	s_branch .LBB31_916
.LBB31_912:
	s_mov_b64 s[12:13], -1
                                        ; implicit-def: $vgpr3
.LBB31_913:
	s_andn2_b64 vcc, exec, s[12:13]
	s_cbranch_vccnz .LBB31_915
; %bb.914:
	global_load_dword v3, v[1:2], off
	s_waitcnt vmcnt(0)
	v_cvt_i32_f32_e32 v3, v3
.LBB31_915:
	s_mov_b64 s[12:13], 0
.LBB31_916:
	s_andn2_b64 vcc, exec, s[12:13]
	s_cbranch_vccnz .LBB31_918
; %bb.917:
	global_load_dword v3, v[1:2], off
	s_waitcnt vmcnt(0)
	v_cvt_i16_f16_e32 v3, v3
.LBB31_918:
	s_cbranch_execnz .LBB31_929
.LBB31_919:
	s_sext_i32_i16 s12, s18
	s_cmp_lt_i32 s12, 6
	s_cbranch_scc1 .LBB31_922
; %bb.920:
	s_cmp_gt_i32 s12, 6
	s_cbranch_scc0 .LBB31_923
; %bb.921:
	global_load_dwordx2 v[3:4], v[1:2], off
	s_mov_b64 s[12:13], 0
	s_waitcnt vmcnt(0)
	v_cvt_i32_f64_e32 v3, v[3:4]
	s_branch .LBB31_924
.LBB31_922:
	s_mov_b64 s[12:13], -1
                                        ; implicit-def: $vgpr3
	s_branch .LBB31_927
.LBB31_923:
	s_mov_b64 s[12:13], -1
                                        ; implicit-def: $vgpr3
.LBB31_924:
	s_andn2_b64 vcc, exec, s[12:13]
	s_cbranch_vccnz .LBB31_926
; %bb.925:
	global_load_dword v3, v[1:2], off
	s_waitcnt vmcnt(0)
	v_cvt_i32_f32_e32 v3, v3
.LBB31_926:
	s_mov_b64 s[12:13], 0
.LBB31_927:
	s_andn2_b64 vcc, exec, s[12:13]
	s_cbranch_vccnz .LBB31_929
; %bb.928:
	global_load_ushort v3, v[1:2], off
	s_waitcnt vmcnt(0)
	v_cvt_i16_f16_e32 v3, v3
.LBB31_929:
	s_cbranch_execnz .LBB31_948
.LBB31_930:
	s_sext_i32_i16 s12, s18
	s_cmp_lt_i32 s12, 2
	s_cbranch_scc1 .LBB31_934
; %bb.931:
	s_cmp_lt_i32 s12, 3
	s_cbranch_scc1 .LBB31_935
; %bb.932:
	s_cmp_gt_i32 s12, 3
	s_cbranch_scc0 .LBB31_936
; %bb.933:
	global_load_dwordx2 v[3:4], v[1:2], off
	s_mov_b64 s[12:13], 0
	s_branch .LBB31_937
.LBB31_934:
                                        ; implicit-def: $vgpr3
	s_branch .LBB31_943
.LBB31_935:
	s_mov_b64 s[12:13], -1
                                        ; implicit-def: $vgpr3
	s_branch .LBB31_940
.LBB31_936:
	s_mov_b64 s[12:13], -1
                                        ; implicit-def: $vgpr3
.LBB31_937:
	s_andn2_b64 vcc, exec, s[12:13]
	s_cbranch_vccnz .LBB31_939
; %bb.938:
	global_load_dword v3, v[1:2], off
.LBB31_939:
	s_mov_b64 s[12:13], 0
.LBB31_940:
	s_andn2_b64 vcc, exec, s[12:13]
	s_cbranch_vccnz .LBB31_942
; %bb.941:
	global_load_ushort v3, v[1:2], off
.LBB31_942:
	s_cbranch_execnz .LBB31_948
.LBB31_943:
	s_sext_i32_i16 s12, s18
	s_cmp_gt_i32 s12, 0
	s_cbranch_scc0 .LBB31_945
; %bb.944:
	global_load_ubyte v3, v[1:2], off
	s_mov_b64 s[12:13], 0
	s_branch .LBB31_946
.LBB31_945:
	s_mov_b64 s[12:13], -1
                                        ; implicit-def: $vgpr3
.LBB31_946:
	s_andn2_b64 vcc, exec, s[12:13]
	s_cbranch_vccnz .LBB31_948
; %bb.947:
	global_load_ubyte v3, v[1:2], off
.LBB31_948:
	s_or_b64 s[10:11], s[10:11], exec
.LBB31_949:
	s_or_b64 exec, exec, s[8:9]
	s_mov_b64 s[14:15], 0
	s_mov_b64 s[12:13], 0
                                        ; implicit-def: $sgpr18
                                        ; implicit-def: $vgpr1_vgpr2
                                        ; implicit-def: $vgpr4
	s_and_saveexec_b64 s[8:9], s[10:11]
	s_cbranch_execz .LBB31_957
; %bb.950:
	v_mov_b32_e32 v1, s79
	s_waitcnt vmcnt(0)
	v_cndmask_b32_e64 v4, v1, v3, s[0:1]
	v_mov_b32_e32 v2, s25
	s_and_b32 s18, s48, 0xff
	v_add_co_u32_e32 v1, vcc, s24, v0
	s_cmp_lt_i32 s18, 11
	v_addc_co_u32_e32 v2, vcc, 0, v2, vcc
	s_cbranch_scc1 .LBB31_960
; %bb.951:
	s_and_b32 s19, 0xffff, s18
	s_mov_b64 s[12:13], -1
	s_cmp_gt_i32 s19, 25
	s_mov_b64 s[0:1], s[60:61]
	s_cbranch_scc0 .LBB31_988
; %bb.952:
	s_mov_b64 s[10:11], -1
	s_cmp_gt_i32 s19, 28
	s_mov_b64 s[0:1], s[60:61]
	s_cbranch_scc0 .LBB31_972
; %bb.953:
	s_cmp_gt_i32 s19, 43
	s_mov_b64 s[0:1], s[60:61]
	s_cbranch_scc0 .LBB31_968
; %bb.954:
	;; [unrolled: 4-line block ×3, first 2 shown]
	s_cmp_eq_u32 s19, 46
	s_mov_b64 s[0:1], -1
	s_cbranch_scc0 .LBB31_961
; %bb.956:
	v_bfe_i32 v0, v4, 0, 8
	v_cvt_f32_i32_sdwa v0, sext(v0) dst_sel:DWORD dst_unused:UNUSED_PAD src0_sel:WORD_0
	s_movk_i32 s0, 0x7fff
	s_mov_b64 s[10:11], 0
	v_bfe_u32 v3, v0, 16, 1
	v_add3_u32 v0, v0, v3, s0
	v_lshrrev_b32_e32 v0, 16, v0
	global_store_dword v[1:2], v0, off
	s_mov_b64 s[0:1], 0
	s_branch .LBB31_962
.LBB31_957:
	s_or_b64 exec, exec, s[8:9]
	s_and_saveexec_b64 s[0:1], s[60:61]
	s_cbranch_execnz .LBB31_1030
.LBB31_958:
	s_or_b64 exec, exec, s[0:1]
	s_and_saveexec_b64 s[0:1], s[14:15]
	s_xor_b64 s[0:1], exec, s[0:1]
	s_cbranch_execz .LBB31_1031
.LBB31_959:
	v_mov_b32_e32 v0, 0
	s_waitcnt vmcnt(0)
	v_cmp_ne_u16_sdwa s[8:9], v4, v0 src0_sel:BYTE_0 src1_sel:DWORD
	v_cndmask_b32_e64 v0, 0, 1, s[8:9]
	global_store_byte v[1:2], v0, off
	s_or_b64 exec, exec, s[0:1]
	s_and_saveexec_b64 s[0:1], s[12:13]
	s_xor_b64 s[0:1], exec, s[0:1]
	s_cbranch_execz .LBB31_1069
	s_branch .LBB31_1032
.LBB31_960:
	s_mov_b64 s[10:11], -1
	s_mov_b64 s[0:1], s[60:61]
	s_branch .LBB31_1029
.LBB31_961:
	s_mov_b64 s[10:11], 0
.LBB31_962:
	s_and_b64 vcc, exec, s[10:11]
	s_cbranch_vccz .LBB31_967
; %bb.963:
	s_cmp_eq_u32 s19, 44
	s_mov_b64 s[0:1], -1
	s_cbranch_scc0 .LBB31_967
; %bb.964:
	v_bfe_i32 v0, v4, 0, 8
	v_cvt_f32_i32_sdwa v0, sext(v0) dst_sel:DWORD dst_unused:UNUSED_PAD src0_sel:WORD_0
	s_movk_i32 s0, 0xff
	v_mov_b32_e32 v5, 0xff
	v_bfe_u32 v3, v0, 23, 8
	v_cmp_ne_u32_e32 vcc, s0, v3
	s_and_saveexec_b64 s[10:11], vcc
; %bb.965:
	s_mov_b32 s0, 0x3fffff
	v_lshrrev_b32_e32 v5, 23, v0
	v_and_b32_e32 v6, 0x400000, v0
	v_and_or_b32 v0, v0, s0, v3
	v_cmp_ne_u32_e32 vcc, 0, v6
	v_cmp_ne_u32_e64 s[0:1], 0, v0
	s_and_b64 s[0:1], vcc, s[0:1]
	v_cndmask_b32_e64 v0, 0, 1, s[0:1]
	v_add_u32_e32 v5, v5, v0
; %bb.966:
	s_or_b64 exec, exec, s[10:11]
	s_mov_b64 s[0:1], 0
	global_store_byte v[1:2], v5, off
.LBB31_967:
	s_mov_b64 s[10:11], 0
.LBB31_968:
	s_and_b64 vcc, exec, s[10:11]
	s_cbranch_vccz .LBB31_971
; %bb.969:
	s_cmp_eq_u32 s19, 29
	s_mov_b64 s[0:1], -1
	s_cbranch_scc0 .LBB31_971
; %bb.970:
	v_bfe_i32 v5, v4, 0, 8
	v_ashrrev_i32_e32 v6, 31, v5
	global_store_dwordx2 v[1:2], v[5:6], off
	s_mov_b64 s[0:1], 0
.LBB31_971:
	s_mov_b64 s[10:11], 0
.LBB31_972:
	s_and_b64 vcc, exec, s[10:11]
	s_cbranch_vccz .LBB31_987
; %bb.973:
	s_cmp_lt_i32 s19, 27
	s_mov_b64 s[10:11], -1
	s_cbranch_scc1 .LBB31_979
; %bb.974:
	s_cmp_gt_i32 s19, 27
	s_cbranch_scc0 .LBB31_976
; %bb.975:
	v_bfe_i32 v0, v4, 0, 8
	s_mov_b64 s[10:11], 0
	global_store_dword v[1:2], v0, off
.LBB31_976:
	s_andn2_b64 vcc, exec, s[10:11]
	s_cbranch_vccnz .LBB31_978
; %bb.977:
	v_bfe_i32 v0, v4, 0, 8
	global_store_short v[1:2], v0, off
.LBB31_978:
	s_mov_b64 s[10:11], 0
.LBB31_979:
	s_andn2_b64 vcc, exec, s[10:11]
	s_cbranch_vccnz .LBB31_987
; %bb.980:
	v_bfe_i32 v0, v4, 0, 8
	v_cvt_f32_i32_sdwa v0, sext(v0) dst_sel:DWORD dst_unused:UNUSED_PAD src0_sel:WORD_0
	s_mov_b32 s10, 0x43800000
	v_mov_b32_e32 v5, 0x80
	v_and_b32_e32 v3, 0x7fffffff, v0
	v_cmp_gt_u32_e32 vcc, s10, v3
	s_and_saveexec_b64 s[10:11], vcc
	s_cbranch_execz .LBB31_986
; %bb.981:
	s_mov_b32 s12, 0x3bffffff
	v_cmp_lt_u32_e32 vcc, s12, v3
	s_mov_b64 s[12:13], 0
                                        ; implicit-def: $vgpr3
	s_and_saveexec_b64 s[14:15], vcc
	s_xor_b64 s[14:15], exec, s[14:15]
	s_cbranch_execz .LBB31_1140
; %bb.982:
	v_bfe_u32 v3, v0, 20, 1
	s_mov_b32 s16, 0x487ffff
	v_add3_u32 v3, v0, v3, s16
	s_mov_b64 s[12:13], exec
	v_lshrrev_b32_e32 v3, 20, v3
	s_andn2_saveexec_b64 s[14:15], s[14:15]
	s_cbranch_execnz .LBB31_1141
.LBB31_983:
	s_or_b64 exec, exec, s[14:15]
	v_mov_b32_e32 v5, 0
	s_and_saveexec_b64 s[14:15], s[12:13]
.LBB31_984:
	v_lshrrev_b32_e32 v0, 24, v0
	s_movk_i32 s12, 0x80
	v_and_or_b32 v5, v0, s12, v3
.LBB31_985:
	s_or_b64 exec, exec, s[14:15]
.LBB31_986:
	s_or_b64 exec, exec, s[10:11]
	global_store_byte v[1:2], v5, off
.LBB31_987:
	s_mov_b64 s[12:13], 0
.LBB31_988:
	s_mov_b64 s[10:11], 0
	s_and_b64 vcc, exec, s[12:13]
	s_cbranch_vccz .LBB31_1028
; %bb.989:
	s_cmp_gt_i32 s19, 22
	s_mov_b64 s[12:13], -1
	s_cbranch_scc0 .LBB31_1021
; %bb.990:
	s_cmp_lt_i32 s19, 24
	s_cbranch_scc1 .LBB31_1010
; %bb.991:
	s_cmp_gt_i32 s19, 24
	s_cbranch_scc0 .LBB31_999
; %bb.992:
	v_bfe_i32 v0, v4, 0, 8
	v_cvt_f32_i32_sdwa v0, sext(v0) dst_sel:DWORD dst_unused:UNUSED_PAD src0_sel:WORD_0
	s_mov_b32 s12, 0x47800000
	v_mov_b32_e32 v5, 0x80
	v_and_b32_e32 v3, 0x7fffffff, v0
	v_cmp_gt_u32_e32 vcc, s12, v3
	s_and_saveexec_b64 s[12:13], vcc
	s_cbranch_execz .LBB31_998
; %bb.993:
	s_mov_b32 s14, 0x37ffffff
	v_cmp_lt_u32_e32 vcc, s14, v3
	s_mov_b64 s[14:15], 0
                                        ; implicit-def: $vgpr3
	s_and_saveexec_b64 s[16:17], vcc
	s_xor_b64 s[16:17], exec, s[16:17]
	s_cbranch_execz .LBB31_1260
; %bb.994:
	v_bfe_u32 v3, v0, 21, 1
	s_mov_b32 s20, 0x88fffff
	v_add3_u32 v3, v0, v3, s20
	s_mov_b64 s[14:15], exec
	v_lshrrev_b32_e32 v3, 21, v3
	s_andn2_saveexec_b64 s[16:17], s[16:17]
	s_cbranch_execnz .LBB31_1261
.LBB31_995:
	s_or_b64 exec, exec, s[16:17]
	v_mov_b32_e32 v5, 0
	s_and_saveexec_b64 s[16:17], s[14:15]
.LBB31_996:
	v_lshrrev_b32_e32 v0, 24, v0
	s_movk_i32 s14, 0x80
	v_and_or_b32 v5, v0, s14, v3
.LBB31_997:
	s_or_b64 exec, exec, s[16:17]
.LBB31_998:
	s_or_b64 exec, exec, s[12:13]
	s_mov_b64 s[12:13], 0
	global_store_byte v[1:2], v5, off
.LBB31_999:
	s_and_b64 vcc, exec, s[12:13]
	s_cbranch_vccz .LBB31_1009
; %bb.1000:
	v_bfe_i32 v0, v4, 0, 8
	v_cvt_f32_i32_sdwa v0, sext(v0) dst_sel:DWORD dst_unused:UNUSED_PAD src0_sel:WORD_0
	s_mov_b32 s12, 0x43f00000
                                        ; implicit-def: $vgpr3
	v_and_b32_e32 v5, 0x7fffffff, v0
	v_cmp_gt_u32_e32 vcc, s12, v5
	s_and_saveexec_b64 s[12:13], vcc
	s_xor_b64 s[12:13], exec, s[12:13]
	s_cbranch_execz .LBB31_1006
; %bb.1001:
	s_mov_b32 s14, 0x3c7fffff
	v_cmp_lt_u32_e32 vcc, s14, v5
                                        ; implicit-def: $vgpr3
	s_and_saveexec_b64 s[14:15], vcc
	s_xor_b64 s[14:15], exec, s[14:15]
; %bb.1002:
	v_bfe_u32 v3, v0, 20, 1
	s_mov_b32 s16, 0x407ffff
	v_add3_u32 v3, v0, v3, s16
	v_lshrrev_b32_e32 v5, 20, v3
	v_and_b32_e32 v3, 0xff00000, v3
	s_mov_b32 s16, 0x7f00000
	v_mov_b32_e32 v6, 0x7e
	v_cmp_ne_u32_e32 vcc, s16, v3
	v_cndmask_b32_e32 v3, v6, v5, vcc
; %bb.1003:
	s_andn2_saveexec_b64 s[14:15], s[14:15]
; %bb.1004:
	s_mov_b32 s16, 0x46800000
	v_add_f32_e64 v3, |v0|, s16
; %bb.1005:
	s_or_b64 exec, exec, s[14:15]
                                        ; implicit-def: $vgpr5
.LBB31_1006:
	s_andn2_saveexec_b64 s[12:13], s[12:13]
; %bb.1007:
	s_mov_b32 s14, 0x7f800000
	v_mov_b32_e32 v3, 0x7e
	v_mov_b32_e32 v6, 0x7f
	v_cmp_lt_u32_e32 vcc, s14, v5
	v_cndmask_b32_e32 v3, v3, v6, vcc
; %bb.1008:
	s_or_b64 exec, exec, s[12:13]
	v_lshrrev_b32_e32 v0, 24, v0
	s_movk_i32 s12, 0x80
	v_and_or_b32 v0, v0, s12, v3
	global_store_byte v[1:2], v0, off
.LBB31_1009:
	s_mov_b64 s[12:13], 0
.LBB31_1010:
	s_andn2_b64 vcc, exec, s[12:13]
	s_cbranch_vccnz .LBB31_1020
; %bb.1011:
	v_bfe_i32 v0, v4, 0, 8
	v_cvt_f32_i32_sdwa v0, sext(v0) dst_sel:DWORD dst_unused:UNUSED_PAD src0_sel:WORD_0
	s_mov_b32 s12, 0x47800000
                                        ; implicit-def: $vgpr3
	v_and_b32_e32 v5, 0x7fffffff, v0
	v_cmp_gt_u32_e32 vcc, s12, v5
	s_and_saveexec_b64 s[12:13], vcc
	s_xor_b64 s[12:13], exec, s[12:13]
	s_cbranch_execz .LBB31_1017
; %bb.1012:
	s_mov_b32 s14, 0x387fffff
	v_cmp_lt_u32_e32 vcc, s14, v5
                                        ; implicit-def: $vgpr3
	s_and_saveexec_b64 s[14:15], vcc
	s_xor_b64 s[14:15], exec, s[14:15]
; %bb.1013:
	v_bfe_u32 v3, v0, 21, 1
	s_mov_b32 s16, 0x80fffff
	v_add3_u32 v3, v0, v3, s16
	v_lshrrev_b32_e32 v3, 21, v3
; %bb.1014:
	s_andn2_saveexec_b64 s[14:15], s[14:15]
; %bb.1015:
	s_mov_b32 s16, 0x43000000
	v_add_f32_e64 v3, |v0|, s16
; %bb.1016:
	s_or_b64 exec, exec, s[14:15]
                                        ; implicit-def: $vgpr5
.LBB31_1017:
	s_andn2_saveexec_b64 s[12:13], s[12:13]
; %bb.1018:
	s_mov_b32 s14, 0x7f800000
	v_mov_b32_e32 v3, 0x7c
	v_mov_b32_e32 v6, 0x7f
	v_cmp_lt_u32_e32 vcc, s14, v5
	v_cndmask_b32_e32 v3, v3, v6, vcc
; %bb.1019:
	s_or_b64 exec, exec, s[12:13]
	v_lshrrev_b32_e32 v0, 24, v0
	s_movk_i32 s12, 0x80
	v_and_or_b32 v0, v0, s12, v3
	global_store_byte v[1:2], v0, off
.LBB31_1020:
	s_mov_b64 s[12:13], 0
.LBB31_1021:
	s_andn2_b64 vcc, exec, s[12:13]
	s_mov_b64 s[14:15], 0
	s_cbranch_vccnz .LBB31_1029
; %bb.1022:
	s_cmp_gt_i32 s19, 14
	s_mov_b64 s[12:13], -1
	s_cbranch_scc0 .LBB31_1026
; %bb.1023:
	s_cmp_eq_u32 s19, 15
	s_mov_b64 s[0:1], -1
	s_cbranch_scc0 .LBB31_1025
; %bb.1024:
	v_bfe_i32 v0, v4, 0, 8
	v_cvt_f32_i32_sdwa v0, sext(v0) dst_sel:DWORD dst_unused:UNUSED_PAD src0_sel:WORD_0
	s_movk_i32 s0, 0x7fff
	v_bfe_u32 v3, v0, 16, 1
	v_add3_u32 v0, v0, v3, s0
	global_store_short_d16_hi v[1:2], v0, off
	s_mov_b64 s[0:1], 0
.LBB31_1025:
	s_mov_b64 s[12:13], 0
.LBB31_1026:
	s_and_b64 vcc, exec, s[12:13]
	s_cbranch_vccz .LBB31_1029
; %bb.1027:
	s_cmp_lg_u32 s19, 11
	s_cselect_b64 s[12:13], -1, 0
	s_andn2_b64 s[0:1], s[0:1], exec
	s_and_b64 s[12:13], s[12:13], exec
	s_mov_b64 s[14:15], -1
	s_or_b64 s[0:1], s[0:1], s[12:13]
	s_branch .LBB31_1029
.LBB31_1028:
	s_mov_b64 s[14:15], 0
.LBB31_1029:
	s_and_b64 s[12:13], s[10:11], exec
	s_andn2_b64 s[10:11], s[60:61], exec
	s_and_b64 s[0:1], s[0:1], exec
	s_and_b64 s[14:15], s[14:15], exec
	s_or_b64 s[60:61], s[10:11], s[0:1]
	s_or_b64 exec, exec, s[8:9]
	s_and_saveexec_b64 s[0:1], s[60:61]
	s_cbranch_execz .LBB31_958
.LBB31_1030:
	s_or_b64 s[2:3], s[2:3], exec
	s_andn2_b64 s[14:15], s[14:15], exec
	s_trap 2
	s_or_b64 exec, exec, s[0:1]
	s_and_saveexec_b64 s[0:1], s[14:15]
	s_xor_b64 s[0:1], exec, s[0:1]
	s_cbranch_execnz .LBB31_959
.LBB31_1031:
	s_or_b64 exec, exec, s[0:1]
	s_and_saveexec_b64 s[0:1], s[12:13]
	s_xor_b64 s[0:1], exec, s[0:1]
	s_cbranch_execz .LBB31_1069
.LBB31_1032:
	s_sext_i32_i16 s10, s18
	s_cmp_lt_i32 s10, 5
	s_mov_b64 s[8:9], -1
	s_cbranch_scc1 .LBB31_1053
; %bb.1033:
	s_cmp_lt_i32 s10, 8
	s_cbranch_scc1 .LBB31_1043
; %bb.1034:
	s_cmp_lt_i32 s10, 9
	s_cbranch_scc1 .LBB31_1040
; %bb.1035:
	s_cmp_gt_i32 s10, 9
	s_cbranch_scc0 .LBB31_1037
; %bb.1036:
	s_waitcnt vmcnt(0)
	v_bfe_i32 v0, v4, 0, 8
	v_bfe_i32 v0, v0, 0, 16
	v_cvt_f64_i32_e32 v[5:6], v0
	v_mov_b32_e32 v7, 0
	v_mov_b32_e32 v8, v7
	s_mov_b64 s[8:9], 0
	global_store_dwordx4 v[1:2], v[5:8], off
.LBB31_1037:
	s_andn2_b64 vcc, exec, s[8:9]
	s_cbranch_vccnz .LBB31_1039
; %bb.1038:
	s_waitcnt vmcnt(0)
	v_bfe_i32 v0, v4, 0, 8
	v_cvt_f32_i32_sdwa v5, sext(v0) dst_sel:DWORD dst_unused:UNUSED_PAD src0_sel:WORD_0
	v_mov_b32_e32 v6, 0
	global_store_dwordx2 v[1:2], v[5:6], off
.LBB31_1039:
	s_mov_b64 s[8:9], 0
.LBB31_1040:
	s_andn2_b64 vcc, exec, s[8:9]
	s_cbranch_vccnz .LBB31_1042
; %bb.1041:
	s_waitcnt vmcnt(0)
	v_cvt_f16_i16_sdwa v0, sext(v4) dst_sel:DWORD dst_unused:UNUSED_PAD src0_sel:BYTE_0
	global_store_dword v[1:2], v0, off
.LBB31_1042:
	s_mov_b64 s[8:9], 0
.LBB31_1043:
	s_andn2_b64 vcc, exec, s[8:9]
	s_cbranch_vccnz .LBB31_1052
; %bb.1044:
	s_sext_i32_i16 s10, s18
	s_cmp_lt_i32 s10, 6
	s_mov_b64 s[8:9], -1
	s_cbranch_scc1 .LBB31_1050
; %bb.1045:
	s_cmp_gt_i32 s10, 6
	s_cbranch_scc0 .LBB31_1047
; %bb.1046:
	s_waitcnt vmcnt(0)
	v_bfe_i32 v0, v4, 0, 8
	v_bfe_i32 v0, v0, 0, 16
	v_cvt_f64_i32_e32 v[5:6], v0
	s_mov_b64 s[8:9], 0
	global_store_dwordx2 v[1:2], v[5:6], off
.LBB31_1047:
	s_andn2_b64 vcc, exec, s[8:9]
	s_cbranch_vccnz .LBB31_1049
; %bb.1048:
	s_waitcnt vmcnt(0)
	v_bfe_i32 v0, v4, 0, 8
	v_cvt_f32_i32_sdwa v0, sext(v0) dst_sel:DWORD dst_unused:UNUSED_PAD src0_sel:WORD_0
	global_store_dword v[1:2], v0, off
.LBB31_1049:
	s_mov_b64 s[8:9], 0
.LBB31_1050:
	s_andn2_b64 vcc, exec, s[8:9]
	s_cbranch_vccnz .LBB31_1052
; %bb.1051:
	s_waitcnt vmcnt(0)
	v_cvt_f16_i16_sdwa v0, sext(v4) dst_sel:DWORD dst_unused:UNUSED_PAD src0_sel:BYTE_0
	global_store_short v[1:2], v0, off
.LBB31_1052:
	s_mov_b64 s[8:9], 0
.LBB31_1053:
	s_andn2_b64 vcc, exec, s[8:9]
	s_cbranch_vccnz .LBB31_1069
; %bb.1054:
	s_sext_i32_i16 s10, s18
	s_cmp_lt_i32 s10, 2
	s_mov_b64 s[8:9], -1
	s_cbranch_scc1 .LBB31_1064
; %bb.1055:
	s_cmp_lt_i32 s10, 3
	s_cbranch_scc1 .LBB31_1061
; %bb.1056:
	s_cmp_gt_i32 s10, 3
	s_cbranch_scc0 .LBB31_1058
; %bb.1057:
	s_waitcnt vmcnt(0)
	v_bfe_i32 v5, v4, 0, 8
	v_ashrrev_i32_e32 v6, 31, v5
	s_mov_b64 s[8:9], 0
	global_store_dwordx2 v[1:2], v[5:6], off
.LBB31_1058:
	s_andn2_b64 vcc, exec, s[8:9]
	s_cbranch_vccnz .LBB31_1060
; %bb.1059:
	s_waitcnt vmcnt(0)
	v_bfe_i32 v0, v4, 0, 8
	global_store_dword v[1:2], v0, off
.LBB31_1060:
	s_mov_b64 s[8:9], 0
.LBB31_1061:
	s_andn2_b64 vcc, exec, s[8:9]
	s_cbranch_vccnz .LBB31_1063
; %bb.1062:
	s_waitcnt vmcnt(0)
	v_bfe_i32 v0, v4, 0, 8
	global_store_short v[1:2], v0, off
.LBB31_1063:
	s_mov_b64 s[8:9], 0
.LBB31_1064:
	s_andn2_b64 vcc, exec, s[8:9]
	s_cbranch_vccnz .LBB31_1069
; %bb.1065:
	s_sext_i32_i16 s8, s18
	s_cmp_gt_i32 s8, 0
	s_mov_b64 s[8:9], -1
	s_cbranch_scc0 .LBB31_1067
; %bb.1066:
	s_mov_b64 s[8:9], 0
	s_waitcnt vmcnt(0)
	global_store_byte v[1:2], v4, off
.LBB31_1067:
	s_andn2_b64 vcc, exec, s[8:9]
	s_cbranch_vccnz .LBB31_1069
; %bb.1068:
	s_waitcnt vmcnt(0)
	global_store_byte v[1:2], v4, off
.LBB31_1069:
	s_or_b64 exec, exec, s[0:1]
	s_and_b64 s[28:29], s[2:3], exec
                                        ; implicit-def: $vgpr15
                                        ; implicit-def: $vgpr8
.LBB31_1070:
	s_or_saveexec_b64 s[30:31], s[46:47]
	s_mov_b64 s[0:1], 0
                                        ; implicit-def: $vgpr0_vgpr1
                                        ; implicit-def: $sgpr16
                                        ; implicit-def: $vgpr2
	s_xor_b64 exec, exec, s[30:31]
	s_cbranch_execz .LBB31_2057
; %bb.1071:
	v_cndmask_b32_e64 v0, 0, 1, s[44:45]
	v_cmp_ne_u32_e64 s[0:1], 1, v0
	s_andn2_b64 vcc, exec, s[44:45]
	s_cbranch_vccnz .LBB31_1077
; %bb.1072:
	s_cmp_lg_u32 s33, 0
	s_mov_b32 s36, 0
	s_cbranch_scc0 .LBB31_1078
; %bb.1073:
	s_min_u32 s37, s78, 15
	s_add_i32 s37, s37, 1
	s_cmp_eq_u32 s78, 2
	s_cbranch_scc1 .LBB31_1079
; %bb.1074:
	s_and_b32 s36, s37, 28
	s_add_u32 s2, s34, 0xc4
	s_addc_u32 s3, s35, 0
	v_mov_b32_e32 v13, 0
	s_mov_b32 s38, 0
	s_mov_b64 s[6:7], s[34:35]
	v_mov_b32_e32 v6, 0
	v_mov_b32_e32 v0, v8
.LBB31_1075:                            ; =>This Inner Loop Header: Depth=1
	s_load_dwordx8 s[16:23], s[6:7], 0x4
	s_load_dwordx4 s[24:27], s[6:7], 0x24
	s_load_dwordx8 s[8:15], s[2:3], 0x0
	s_add_u32 s6, s6, 48
	s_addc_u32 s7, s7, 0
	s_waitcnt lgkmcnt(0)
	v_mul_hi_u32 v1, s17, v0
	s_add_i32 s38, s38, 4
	s_add_u32 s2, s2, 32
	s_addc_u32 s3, s3, 0
	v_add_u32_e32 v1, v0, v1
	v_lshrrev_b32_e32 v1, s18, v1
	v_mul_lo_u32 v2, v1, s16
	s_waitcnt vmcnt(0)
	v_mul_hi_u32 v3, s20, v1
	s_cmp_lg_u32 s36, s38
	v_sub_u32_e32 v0, v0, v2
	v_add_u32_e32 v2, v1, v3
	v_mul_lo_u32 v3, v0, s8
	v_mul_lo_u32 v4, v0, s9
	v_lshrrev_b32_e32 v0, s21, v2
	v_mul_lo_u32 v2, v0, s19
	v_mul_hi_u32 v5, s23, v0
	v_sub_u32_e32 v1, v1, v2
	v_add_u32_e32 v2, v0, v5
	v_lshrrev_b32_e32 v2, s24, v2
	v_mul_hi_u32 v7, s26, v2
	v_mul_lo_u32 v9, v2, s22
	v_mul_lo_u32 v5, v1, s10
	;; [unrolled: 1-line block ×3, first 2 shown]
	v_sub_u32_e32 v9, v0, v9
	v_add_u32_e32 v0, v2, v7
	v_lshrrev_b32_e32 v0, s27, v0
	v_mul_lo_u32 v7, v0, s25
	v_mul_lo_u32 v10, v9, s12
	;; [unrolled: 1-line block ×3, first 2 shown]
	v_add3_u32 v3, v3, v6, v5
	v_sub_u32_e32 v2, v2, v7
	v_mul_lo_u32 v7, v2, s14
	v_mul_lo_u32 v2, v2, s15
	v_add3_u32 v1, v4, v13, v1
	v_add3_u32 v6, v10, v3, v7
	;; [unrolled: 1-line block ×3, first 2 shown]
	s_cbranch_scc1 .LBB31_1075
; %bb.1076:
	s_and_b32 s8, s37, 3
	s_cmp_eq_u32 s8, 0
	s_cbranch_scc0 .LBB31_1080
	s_branch .LBB31_1082
.LBB31_1077:
                                        ; implicit-def: $vgpr6
                                        ; implicit-def: $vgpr13
	s_branch .LBB31_1083
.LBB31_1078:
	v_mov_b32_e32 v6, 0
	v_mov_b32_e32 v13, 0
	s_branch .LBB31_1082
.LBB31_1079:
	v_mov_b32_e32 v6, 0
	v_mov_b32_e32 v13, 0
	;; [unrolled: 1-line block ×3, first 2 shown]
	s_and_b32 s8, s37, 3
	s_cmp_eq_u32 s8, 0
	s_cbranch_scc1 .LBB31_1082
.LBB31_1080:
	s_lshl_b32 s2, s36, 3
	s_add_u32 s2, s34, s2
	s_addc_u32 s3, s35, 0
	s_add_u32 s2, s2, 0xc4
	s_addc_u32 s3, s3, 0
	s_mul_i32 s6, s36, 12
	s_add_u32 s6, s34, s6
	s_addc_u32 s7, s35, 0
.LBB31_1081:                            ; =>This Inner Loop Header: Depth=1
	s_load_dwordx2 s[10:11], s[6:7], 0x4
	s_load_dword s9, s[6:7], 0xc
	s_load_dwordx2 s[12:13], s[2:3], 0x0
	s_add_u32 s6, s6, 12
	s_addc_u32 s7, s7, 0
	s_waitcnt lgkmcnt(0)
	v_mul_hi_u32 v1, s11, v0
	s_add_u32 s2, s2, 8
	s_addc_u32 s3, s3, 0
	s_add_i32 s8, s8, -1
	v_add_u32_e32 v1, v0, v1
	v_lshrrev_b32_e32 v1, s9, v1
	v_mul_lo_u32 v2, v1, s10
	s_cmp_lg_u32 s8, 0
	v_sub_u32_e32 v0, v0, v2
	v_mad_u64_u32 v[6:7], s[10:11], v0, s12, v[6:7]
	v_mad_u64_u32 v[13:14], s[10:11], v0, s13, v[13:14]
	v_mov_b32_e32 v0, v1
	s_cbranch_scc1 .LBB31_1081
.LBB31_1082:
	s_cbranch_execnz .LBB31_1085
.LBB31_1083:
	s_load_dwordx4 s[8:11], s[34:35], 0x4
	s_load_dwordx2 s[2:3], s[34:35], 0xc4
	s_cmp_lt_u32 s33, 2
	s_waitcnt lgkmcnt(0)
	v_mul_hi_u32 v0, s9, v8
	v_add_u32_e32 v0, v8, v0
	v_lshrrev_b32_e32 v0, s10, v0
	v_mul_lo_u32 v1, v0, s8
	v_sub_u32_e32 v1, v8, v1
	v_mul_lo_u32 v6, v1, s2
	v_mul_lo_u32 v13, v1, s3
	s_cbranch_scc1 .LBB31_1085
; %bb.1084:
	s_load_dwordx4 s[8:11], s[34:35], 0x10
	s_load_dwordx2 s[2:3], s[34:35], 0xcc
	s_waitcnt lgkmcnt(0)
	v_mul_hi_u32 v1, s9, v0
	v_add_u32_e32 v1, v0, v1
	v_lshrrev_b32_e32 v1, s10, v1
	v_mul_lo_u32 v1, v1, s8
	v_sub_u32_e32 v0, v0, v1
	v_mad_u64_u32 v[6:7], s[6:7], v0, s2, v[6:7]
	v_mad_u64_u32 v[13:14], s[2:3], v0, s3, v[13:14]
.LBB31_1085:
	s_and_b64 vcc, exec, s[0:1]
	v_add_u32_e32 v0, 0x80, v8
	s_cbranch_vccnz .LBB31_1091
; %bb.1086:
	s_cmp_lg_u32 s33, 0
	s_mov_b32 s36, 0
	s_cbranch_scc0 .LBB31_1092
; %bb.1087:
	s_min_u32 s37, s78, 15
	s_add_i32 s37, s37, 1
	s_cmp_eq_u32 s78, 2
	s_cbranch_scc1 .LBB31_1093
; %bb.1088:
	s_and_b32 s36, s37, 28
	s_add_u32 s2, s34, 0xc4
	s_addc_u32 s3, s35, 0
	v_mov_b32_e32 v11, 0
	s_mov_b32 s38, 0
	s_mov_b64 s[6:7], s[34:35]
	s_waitcnt vmcnt(0)
	v_mov_b32_e32 v4, 0
	v_mov_b32_e32 v1, v0
.LBB31_1089:                            ; =>This Inner Loop Header: Depth=1
	s_load_dwordx8 s[16:23], s[6:7], 0x4
	s_load_dwordx4 s[24:27], s[6:7], 0x24
	s_load_dwordx8 s[8:15], s[2:3], 0x0
	s_add_u32 s6, s6, 48
	s_addc_u32 s7, s7, 0
	s_waitcnt lgkmcnt(0)
	v_mul_hi_u32 v2, s17, v1
	s_add_i32 s38, s38, 4
	s_add_u32 s2, s2, 32
	s_addc_u32 s3, s3, 0
	v_add_u32_e32 v2, v1, v2
	v_lshrrev_b32_e32 v2, s18, v2
	v_mul_lo_u32 v3, v2, s16
	v_mul_hi_u32 v5, s20, v2
	s_cmp_lg_u32 s36, s38
	v_sub_u32_e32 v1, v1, v3
	v_add_u32_e32 v3, v2, v5
	v_mul_lo_u32 v5, v1, s8
	v_mul_lo_u32 v7, v1, s9
	v_lshrrev_b32_e32 v1, s21, v3
	v_mul_lo_u32 v3, v1, s19
	v_mul_hi_u32 v9, s23, v1
	v_sub_u32_e32 v2, v2, v3
	v_add_u32_e32 v3, v1, v9
	v_lshrrev_b32_e32 v3, s24, v3
	v_mul_hi_u32 v10, s26, v3
	v_mul_lo_u32 v12, v3, s22
	v_mul_lo_u32 v9, v2, s10
	;; [unrolled: 1-line block ×3, first 2 shown]
	v_sub_u32_e32 v12, v1, v12
	v_add_u32_e32 v1, v3, v10
	v_lshrrev_b32_e32 v1, s27, v1
	v_mul_lo_u32 v10, v1, s25
	v_mul_lo_u32 v14, v12, s12
	;; [unrolled: 1-line block ×3, first 2 shown]
	v_add3_u32 v4, v5, v4, v9
	v_sub_u32_e32 v3, v3, v10
	v_mul_lo_u32 v10, v3, s14
	v_mul_lo_u32 v3, v3, s15
	v_add3_u32 v2, v7, v11, v2
	v_add3_u32 v4, v14, v4, v10
	;; [unrolled: 1-line block ×3, first 2 shown]
	s_cbranch_scc1 .LBB31_1089
; %bb.1090:
	s_and_b32 s8, s37, 3
	s_cmp_eq_u32 s8, 0
	s_cbranch_scc0 .LBB31_1094
	s_branch .LBB31_1096
.LBB31_1091:
                                        ; implicit-def: $vgpr4
                                        ; implicit-def: $vgpr11
	s_branch .LBB31_1097
.LBB31_1092:
	s_waitcnt vmcnt(0)
	v_mov_b32_e32 v4, 0
	v_mov_b32_e32 v11, 0
	s_branch .LBB31_1096
.LBB31_1093:
	s_waitcnt vmcnt(0)
	v_mov_b32_e32 v4, 0
	v_mov_b32_e32 v11, 0
	;; [unrolled: 1-line block ×3, first 2 shown]
	s_and_b32 s8, s37, 3
	s_cmp_eq_u32 s8, 0
	s_cbranch_scc1 .LBB31_1096
.LBB31_1094:
	s_lshl_b32 s2, s36, 3
	s_add_u32 s2, s34, s2
	s_addc_u32 s3, s35, 0
	s_add_u32 s2, s2, 0xc4
	s_addc_u32 s3, s3, 0
	s_mul_i32 s6, s36, 12
	s_add_u32 s6, s34, s6
	s_addc_u32 s7, s35, 0
.LBB31_1095:                            ; =>This Inner Loop Header: Depth=1
	s_load_dwordx2 s[10:11], s[6:7], 0x4
	s_load_dword s9, s[6:7], 0xc
	s_load_dwordx2 s[12:13], s[2:3], 0x0
	s_add_u32 s6, s6, 12
	s_addc_u32 s7, s7, 0
	s_waitcnt lgkmcnt(0)
	v_mul_hi_u32 v2, s11, v1
	s_add_u32 s2, s2, 8
	s_addc_u32 s3, s3, 0
	s_add_i32 s8, s8, -1
	v_add_u32_e32 v2, v1, v2
	v_lshrrev_b32_e32 v2, s9, v2
	v_mul_lo_u32 v3, v2, s10
	s_cmp_lg_u32 s8, 0
	v_sub_u32_e32 v1, v1, v3
	v_mad_u64_u32 v[4:5], s[10:11], v1, s12, v[4:5]
	v_mad_u64_u32 v[11:12], s[10:11], v1, s13, v[11:12]
	v_mov_b32_e32 v1, v2
	s_cbranch_scc1 .LBB31_1095
.LBB31_1096:
	s_cbranch_execnz .LBB31_1099
.LBB31_1097:
	s_load_dwordx4 s[8:11], s[34:35], 0x4
	s_load_dwordx2 s[2:3], s[34:35], 0xc4
	s_cmp_lt_u32 s33, 2
	s_waitcnt lgkmcnt(0)
	v_mul_hi_u32 v1, s9, v0
	v_add_u32_e32 v1, v0, v1
	v_lshrrev_b32_e32 v1, s10, v1
	v_mul_lo_u32 v2, v1, s8
	v_sub_u32_e32 v0, v0, v2
	s_waitcnt vmcnt(0)
	v_mul_lo_u32 v4, v0, s2
	v_mul_lo_u32 v11, v0, s3
	s_cbranch_scc1 .LBB31_1099
; %bb.1098:
	s_load_dwordx4 s[8:11], s[34:35], 0x10
	s_load_dwordx2 s[2:3], s[34:35], 0xcc
	s_waitcnt lgkmcnt(0)
	v_mul_hi_u32 v0, s9, v1
	v_add_u32_e32 v0, v1, v0
	v_lshrrev_b32_e32 v0, s10, v0
	v_mul_lo_u32 v0, v0, s8
	v_sub_u32_e32 v0, v1, v0
	v_mad_u64_u32 v[4:5], s[6:7], v0, s2, v[4:5]
	v_mad_u64_u32 v[11:12], s[2:3], v0, s3, v[11:12]
.LBB31_1099:
	s_and_b64 vcc, exec, s[0:1]
	v_add_u32_e32 v0, 0x100, v8
	s_cbranch_vccnz .LBB31_1105
; %bb.1100:
	s_cmp_lg_u32 s33, 0
	s_mov_b32 s36, 0
	s_cbranch_scc0 .LBB31_1106
; %bb.1101:
	s_min_u32 s37, s78, 15
	s_add_i32 s37, s37, 1
	s_cmp_eq_u32 s78, 2
	s_cbranch_scc1 .LBB31_1107
; %bb.1102:
	s_and_b32 s36, s37, 28
	s_add_u32 s2, s34, 0xc4
	s_addc_u32 s3, s35, 0
	v_mov_b32_e32 v9, 0
	s_mov_b32 s38, 0
	s_mov_b64 s[6:7], s[34:35]
	v_mov_b32_e32 v2, 0
	v_mov_b32_e32 v1, v0
.LBB31_1103:                            ; =>This Inner Loop Header: Depth=1
	s_load_dwordx8 s[16:23], s[6:7], 0x4
	s_load_dwordx4 s[24:27], s[6:7], 0x24
	s_load_dwordx8 s[8:15], s[2:3], 0x0
	s_add_u32 s6, s6, 48
	s_addc_u32 s7, s7, 0
	s_waitcnt vmcnt(0) lgkmcnt(0)
	v_mul_hi_u32 v3, s17, v1
	s_add_i32 s38, s38, 4
	s_add_u32 s2, s2, 32
	s_addc_u32 s3, s3, 0
	v_add_u32_e32 v3, v1, v3
	v_lshrrev_b32_e32 v3, s18, v3
	v_mul_lo_u32 v5, v3, s16
	v_mul_hi_u32 v7, s20, v3
	s_cmp_lg_u32 s36, s38
	v_sub_u32_e32 v1, v1, v5
	v_add_u32_e32 v5, v3, v7
	v_mul_lo_u32 v7, v1, s8
	v_mul_lo_u32 v8, v1, s9
	v_lshrrev_b32_e32 v1, s21, v5
	v_mul_lo_u32 v5, v1, s19
	v_mul_hi_u32 v10, s23, v1
	v_sub_u32_e32 v3, v3, v5
	v_add_u32_e32 v5, v1, v10
	v_lshrrev_b32_e32 v5, s24, v5
	v_mul_hi_u32 v12, s26, v5
	v_mul_lo_u32 v14, v5, s22
	v_mul_lo_u32 v10, v3, s10
	;; [unrolled: 1-line block ×3, first 2 shown]
	v_sub_u32_e32 v14, v1, v14
	v_add_u32_e32 v1, v5, v12
	v_lshrrev_b32_e32 v1, s27, v1
	v_mul_lo_u32 v12, v1, s25
	v_mul_lo_u32 v16, v14, s12
	v_mul_lo_u32 v14, v14, s13
	v_add3_u32 v2, v7, v2, v10
	v_sub_u32_e32 v5, v5, v12
	v_mul_lo_u32 v12, v5, s14
	v_mul_lo_u32 v5, v5, s15
	v_add3_u32 v3, v8, v9, v3
	v_add3_u32 v2, v16, v2, v12
	;; [unrolled: 1-line block ×3, first 2 shown]
	s_cbranch_scc1 .LBB31_1103
; %bb.1104:
	s_and_b32 s8, s37, 3
	s_cmp_eq_u32 s8, 0
	s_cbranch_scc0 .LBB31_1108
	s_branch .LBB31_1110
.LBB31_1105:
                                        ; implicit-def: $vgpr2
                                        ; implicit-def: $vgpr9
	s_branch .LBB31_1111
.LBB31_1106:
	v_mov_b32_e32 v2, 0
	v_mov_b32_e32 v9, 0
	s_branch .LBB31_1110
.LBB31_1107:
	v_mov_b32_e32 v2, 0
	v_mov_b32_e32 v9, 0
	;; [unrolled: 1-line block ×3, first 2 shown]
	s_and_b32 s8, s37, 3
	s_cmp_eq_u32 s8, 0
	s_cbranch_scc1 .LBB31_1110
.LBB31_1108:
	s_lshl_b32 s2, s36, 3
	s_add_u32 s2, s34, s2
	s_addc_u32 s3, s35, 0
	s_add_u32 s2, s2, 0xc4
	s_addc_u32 s3, s3, 0
	s_mul_i32 s6, s36, 12
	s_add_u32 s6, s34, s6
	s_addc_u32 s7, s35, 0
.LBB31_1109:                            ; =>This Inner Loop Header: Depth=1
	s_load_dwordx2 s[10:11], s[6:7], 0x4
	s_load_dword s9, s[6:7], 0xc
	s_load_dwordx2 s[12:13], s[2:3], 0x0
	s_add_u32 s6, s6, 12
	s_addc_u32 s7, s7, 0
	s_waitcnt vmcnt(0) lgkmcnt(0)
	v_mul_hi_u32 v3, s11, v1
	s_add_u32 s2, s2, 8
	s_addc_u32 s3, s3, 0
	s_add_i32 s8, s8, -1
	v_add_u32_e32 v3, v1, v3
	v_lshrrev_b32_e32 v5, s9, v3
	v_mul_lo_u32 v3, v5, s10
	s_cmp_lg_u32 s8, 0
	v_sub_u32_e32 v1, v1, v3
	v_mad_u64_u32 v[2:3], s[10:11], v1, s12, v[2:3]
	v_mad_u64_u32 v[9:10], s[10:11], v1, s13, v[9:10]
	v_mov_b32_e32 v1, v5
	s_cbranch_scc1 .LBB31_1109
.LBB31_1110:
	s_cbranch_execnz .LBB31_1113
.LBB31_1111:
	s_load_dwordx4 s[8:11], s[34:35], 0x4
	s_load_dwordx2 s[2:3], s[34:35], 0xc4
	s_cmp_lt_u32 s33, 2
	s_waitcnt lgkmcnt(0)
	v_mul_hi_u32 v1, s9, v0
	v_add_u32_e32 v1, v0, v1
	v_lshrrev_b32_e32 v1, s10, v1
	v_mul_lo_u32 v2, v1, s8
	v_sub_u32_e32 v0, v0, v2
	v_mul_lo_u32 v2, v0, s2
	v_mul_lo_u32 v9, v0, s3
	s_cbranch_scc1 .LBB31_1113
; %bb.1112:
	s_load_dwordx4 s[8:11], s[34:35], 0x10
	s_load_dwordx2 s[2:3], s[34:35], 0xcc
	s_waitcnt lgkmcnt(0)
	v_mul_hi_u32 v0, s9, v1
	v_add_u32_e32 v0, v1, v0
	v_lshrrev_b32_e32 v0, s10, v0
	v_mul_lo_u32 v0, v0, s8
	v_sub_u32_e32 v0, v1, v0
	s_waitcnt vmcnt(0)
	v_mad_u64_u32 v[2:3], s[6:7], v0, s2, v[2:3]
	v_mad_u64_u32 v[9:10], s[2:3], v0, s3, v[9:10]
.LBB31_1113:
	s_and_b64 vcc, exec, s[0:1]
	s_cbranch_vccnz .LBB31_1119
; %bb.1114:
	s_cmp_lg_u32 s33, 0
	s_mov_b32 s26, 0
	s_cbranch_scc0 .LBB31_1120
; %bb.1115:
	s_min_u32 s27, s78, 15
	s_add_i32 s27, s27, 1
	s_cmp_eq_u32 s78, 2
	s_cbranch_scc1 .LBB31_1121
; %bb.1116:
	s_and_b32 s26, s27, 28
	s_add_u32 s6, s34, 0xc4
	s_addc_u32 s7, s35, 0
	v_mov_b32_e32 v7, 0
	s_mov_b32 s36, 0
	s_mov_b64 s[24:25], s[34:35]
	v_mov_b32_e32 v0, 0
	v_mov_b32_e32 v1, v15
.LBB31_1117:                            ; =>This Inner Loop Header: Depth=1
	s_load_dwordx8 s[16:23], s[24:25], 0x4
	s_load_dwordx4 s[0:3], s[24:25], 0x24
	s_load_dwordx8 s[8:15], s[6:7], 0x0
	s_add_u32 s24, s24, 48
	s_addc_u32 s25, s25, 0
	s_waitcnt vmcnt(0) lgkmcnt(0)
	v_mul_hi_u32 v3, s17, v1
	s_add_i32 s36, s36, 4
	s_add_u32 s6, s6, 32
	s_addc_u32 s7, s7, 0
	v_add_u32_e32 v3, v1, v3
	v_lshrrev_b32_e32 v3, s18, v3
	v_mul_lo_u32 v5, v3, s16
	v_mul_hi_u32 v8, s20, v3
	s_cmp_lg_u32 s26, s36
	v_sub_u32_e32 v1, v1, v5
	v_add_u32_e32 v5, v3, v8
	v_mul_lo_u32 v8, v1, s8
	v_mul_lo_u32 v10, v1, s9
	v_lshrrev_b32_e32 v1, s21, v5
	v_mul_lo_u32 v5, v1, s19
	v_mul_hi_u32 v12, s23, v1
	v_sub_u32_e32 v3, v3, v5
	v_add_u32_e32 v5, v1, v12
	v_lshrrev_b32_e32 v5, s0, v5
	v_mul_hi_u32 v14, s2, v5
	v_mul_lo_u32 v16, v5, s22
	v_mul_lo_u32 v12, v3, s10
	v_mul_lo_u32 v3, v3, s11
	v_sub_u32_e32 v16, v1, v16
	v_add_u32_e32 v1, v5, v14
	v_lshrrev_b32_e32 v1, s3, v1
	v_mul_lo_u32 v14, v1, s1
	v_mul_lo_u32 v17, v16, s12
	;; [unrolled: 1-line block ×3, first 2 shown]
	v_add3_u32 v0, v8, v0, v12
	v_sub_u32_e32 v5, v5, v14
	v_mul_lo_u32 v14, v5, s14
	v_mul_lo_u32 v5, v5, s15
	v_add3_u32 v3, v10, v7, v3
	v_add3_u32 v0, v17, v0, v14
	;; [unrolled: 1-line block ×3, first 2 shown]
	s_cbranch_scc1 .LBB31_1117
; %bb.1118:
	s_and_b32 s6, s27, 3
	s_cmp_eq_u32 s6, 0
	s_cbranch_scc0 .LBB31_1122
	s_branch .LBB31_1124
.LBB31_1119:
                                        ; implicit-def: $vgpr0
                                        ; implicit-def: $vgpr7
	s_branch .LBB31_1125
.LBB31_1120:
	v_mov_b32_e32 v0, 0
	v_mov_b32_e32 v7, 0
	s_branch .LBB31_1124
.LBB31_1121:
	v_mov_b32_e32 v0, 0
	v_mov_b32_e32 v7, 0
	;; [unrolled: 1-line block ×3, first 2 shown]
	s_and_b32 s6, s27, 3
	s_cmp_eq_u32 s6, 0
	s_cbranch_scc1 .LBB31_1124
.LBB31_1122:
	s_lshl_b32 s0, s26, 3
	s_add_u32 s0, s34, s0
	s_addc_u32 s1, s35, 0
	s_add_u32 s0, s0, 0xc4
	s_addc_u32 s1, s1, 0
	s_mul_i32 s2, s26, 12
	s_add_u32 s2, s34, s2
	s_addc_u32 s3, s35, 0
.LBB31_1123:                            ; =>This Inner Loop Header: Depth=1
	s_load_dwordx2 s[8:9], s[2:3], 0x4
	s_load_dword s7, s[2:3], 0xc
	s_load_dwordx2 s[10:11], s[0:1], 0x0
	s_add_u32 s2, s2, 12
	s_addc_u32 s3, s3, 0
	s_waitcnt vmcnt(0) lgkmcnt(0)
	v_mul_hi_u32 v3, s9, v1
	s_add_u32 s0, s0, 8
	s_addc_u32 s1, s1, 0
	s_add_i32 s6, s6, -1
	v_add_u32_e32 v3, v1, v3
	v_lshrrev_b32_e32 v3, s7, v3
	v_mul_lo_u32 v5, v3, s8
	s_cmp_lg_u32 s6, 0
	v_sub_u32_e32 v5, v1, v5
	v_mad_u64_u32 v[0:1], s[8:9], v5, s10, v[0:1]
	v_mad_u64_u32 v[7:8], s[8:9], v5, s11, v[7:8]
	v_mov_b32_e32 v1, v3
	s_cbranch_scc1 .LBB31_1123
.LBB31_1124:
	s_cbranch_execnz .LBB31_1127
.LBB31_1125:
	s_load_dwordx4 s[0:3], s[34:35], 0x4
	s_load_dwordx2 s[6:7], s[34:35], 0xc4
	s_cmp_lt_u32 s33, 2
	s_waitcnt lgkmcnt(0)
	v_mul_hi_u32 v0, s1, v15
	v_add_u32_e32 v0, v15, v0
	v_lshrrev_b32_e32 v1, s2, v0
	v_mul_lo_u32 v0, v1, s0
	s_waitcnt vmcnt(0)
	v_sub_u32_e32 v3, v15, v0
	v_mul_lo_u32 v0, v3, s6
	v_mul_lo_u32 v7, v3, s7
	s_cbranch_scc1 .LBB31_1127
; %bb.1126:
	s_load_dwordx4 s[0:3], s[34:35], 0x10
	s_load_dwordx2 s[6:7], s[34:35], 0xcc
	s_waitcnt lgkmcnt(0)
	v_mul_hi_u32 v3, s1, v1
	v_add_u32_e32 v3, v1, v3
	v_lshrrev_b32_e32 v3, s2, v3
	v_mul_lo_u32 v3, v3, s0
	v_sub_u32_e32 v3, v1, v3
	v_mad_u64_u32 v[0:1], s[0:1], v3, s6, v[0:1]
	v_mad_u64_u32 v[7:8], s[0:1], v3, s7, v[7:8]
.LBB31_1127:
	s_load_dword s0, s[34:35], 0x15c
	s_load_dwordx4 s[8:11], s[34:35], 0x148
	s_waitcnt lgkmcnt(0)
	s_and_b32 s14, s0, 0xff
	v_mov_b32_e32 v1, s11
	v_add_co_u32_e32 v15, vcc, s10, v13
	s_cmp_lt_i32 s14, 11
	v_addc_co_u32_e32 v16, vcc, 0, v1, vcc
	s_cbranch_scc1 .LBB31_1134
; %bb.1128:
	s_and_b32 s15, 0xffff, s14
	s_cmp_gt_i32 s15, 25
	s_mov_b64 s[2:3], 0
	s_cbranch_scc0 .LBB31_1136
; %bb.1129:
	s_cmp_gt_i32 s15, 28
	s_cbranch_scc0 .LBB31_1137
; %bb.1130:
	s_cmp_gt_i32 s15, 43
	;; [unrolled: 3-line block ×3, first 2 shown]
	s_cbranch_scc0 .LBB31_1139
; %bb.1132:
	s_cmp_eq_u32 s15, 46
	s_mov_b64 s[12:13], 0
	s_cbranch_scc0 .LBB31_1142
; %bb.1133:
	global_load_dword v1, v[15:16], off
	s_mov_b64 s[0:1], 0
	s_mov_b64 s[6:7], -1
	s_waitcnt vmcnt(0)
	v_lshlrev_b32_e32 v1, 16, v1
	v_cvt_i32_f32_e32 v13, v1
	s_branch .LBB31_1143
.LBB31_1134:
	s_mov_b64 s[6:7], 0
                                        ; implicit-def: $vgpr13
	s_mov_b64 s[12:13], s[28:29]
	s_cbranch_execnz .LBB31_1201
.LBB31_1135:
	s_andn2_b64 vcc, exec, s[6:7]
	s_cbranch_vccz .LBB31_1246
	s_branch .LBB31_2055
.LBB31_1136:
	s_mov_b64 s[6:7], 0
	s_mov_b64 s[0:1], 0
                                        ; implicit-def: $vgpr13
	s_cbranch_execnz .LBB31_1168
	s_branch .LBB31_1197
.LBB31_1137:
	s_mov_b64 s[6:7], 0
	s_mov_b64 s[0:1], 0
                                        ; implicit-def: $vgpr13
	s_cbranch_execz .LBB31_1167
	s_branch .LBB31_1152
.LBB31_1138:
	s_mov_b64 s[6:7], 0
	s_mov_b64 s[0:1], 0
                                        ; implicit-def: $vgpr13
	s_cbranch_execnz .LBB31_1148
	s_branch .LBB31_1151
.LBB31_1139:
	s_mov_b64 s[12:13], -1
	s_mov_b64 s[6:7], 0
	s_mov_b64 s[0:1], 0
                                        ; implicit-def: $vgpr13
	s_branch .LBB31_1143
.LBB31_1140:
	s_andn2_saveexec_b64 s[14:15], s[14:15]
	s_cbranch_execz .LBB31_983
.LBB31_1141:
	s_mov_b32 s16, 0x46000000
	v_add_f32_e64 v3, |v0|, s16
	v_and_b32_e32 v3, 0xff, v3
	v_cmp_ne_u32_e32 vcc, 0, v3
	s_andn2_b64 s[12:13], s[12:13], exec
	s_and_b64 s[16:17], vcc, exec
	s_or_b64 s[12:13], s[12:13], s[16:17]
	s_or_b64 exec, exec, s[14:15]
	v_mov_b32_e32 v5, 0
	s_and_saveexec_b64 s[14:15], s[12:13]
	s_cbranch_execnz .LBB31_984
	s_branch .LBB31_985
.LBB31_1142:
	s_mov_b64 s[0:1], -1
                                        ; implicit-def: $vgpr13
	s_mov_b64 s[6:7], 0
.LBB31_1143:
	s_and_b64 vcc, exec, s[12:13]
	s_cbranch_vccz .LBB31_1146
; %bb.1144:
	s_cmp_eq_u32 s15, 44
	s_cbranch_scc0 .LBB31_1147
; %bb.1145:
	global_load_ubyte v1, v[15:16], off
	s_mov_b64 s[0:1], 0
	s_mov_b64 s[6:7], -1
	s_waitcnt vmcnt(0)
	v_lshlrev_b32_e32 v3, 23, v1
	v_cvt_i32_f32_e32 v3, v3
	v_cmp_ne_u32_e32 vcc, 0, v1
	v_cndmask_b32_e32 v13, 0, v3, vcc
.LBB31_1146:
	s_branch .LBB31_1151
.LBB31_1147:
	s_mov_b64 s[0:1], -1
                                        ; implicit-def: $vgpr13
	s_branch .LBB31_1151
.LBB31_1148:
	s_cmp_eq_u32 s15, 29
	s_cbranch_scc0 .LBB31_1150
; %bb.1149:
	global_load_dwordx2 v[13:14], v[15:16], off
	s_mov_b64 s[0:1], 0
	s_mov_b64 s[6:7], -1
	s_branch .LBB31_1151
.LBB31_1150:
	s_mov_b64 s[0:1], -1
                                        ; implicit-def: $vgpr13
.LBB31_1151:
	s_branch .LBB31_1167
.LBB31_1152:
	s_cmp_lt_i32 s15, 27
	s_cbranch_scc1 .LBB31_1155
; %bb.1153:
	s_cmp_gt_i32 s15, 27
	s_cbranch_scc0 .LBB31_1156
; %bb.1154:
	global_load_dword v13, v[15:16], off
	s_mov_b64 s[6:7], 0
	s_branch .LBB31_1157
.LBB31_1155:
	s_mov_b64 s[6:7], -1
                                        ; implicit-def: $vgpr13
	s_branch .LBB31_1160
.LBB31_1156:
	s_mov_b64 s[6:7], -1
                                        ; implicit-def: $vgpr13
.LBB31_1157:
	s_andn2_b64 vcc, exec, s[6:7]
	s_cbranch_vccnz .LBB31_1159
; %bb.1158:
	global_load_ushort v13, v[15:16], off
.LBB31_1159:
	s_mov_b64 s[6:7], 0
.LBB31_1160:
	s_andn2_b64 vcc, exec, s[6:7]
	s_cbranch_vccnz .LBB31_1166
; %bb.1161:
	global_load_ubyte v1, v[15:16], off
	s_movk_i32 s6, 0x7f
	s_mov_b64 s[12:13], 0
	s_waitcnt vmcnt(0)
	v_cmp_lt_i16_e32 vcc, s6, v1
	s_and_saveexec_b64 s[6:7], vcc
	s_xor_b64 s[6:7], exec, s[6:7]
	s_cbranch_execz .LBB31_1177
; %bb.1162:
	s_movk_i32 s12, 0x80
	v_cmp_ne_u16_e32 vcc, s12, v1
	s_and_b64 s[12:13], vcc, exec
	s_andn2_saveexec_b64 s[6:7], s[6:7]
	s_cbranch_execnz .LBB31_1178
.LBB31_1163:
	s_or_b64 exec, exec, s[6:7]
	v_mov_b32_e32 v13, 0
	s_and_saveexec_b64 s[6:7], s[12:13]
	s_cbranch_execz .LBB31_1165
.LBB31_1164:
	v_lshlrev_b32_e32 v3, 24, v1
	v_and_b32_e32 v1, 0xffff, v1
	v_and_b32_e32 v5, 7, v1
	v_ffbh_u32_e32 v10, v5
	v_min_u32_e32 v10, 32, v10
	v_subrev_u32_e32 v12, 28, v10
	v_bfe_u32 v8, v1, 3, 4
	v_lshlrev_b32_e32 v1, v12, v1
	v_sub_u32_e32 v10, 29, v10
	v_and_b32_e32 v1, 7, v1
	v_cmp_eq_u32_e32 vcc, 0, v8
	v_cndmask_b32_e32 v8, v8, v10, vcc
	v_cndmask_b32_e32 v1, v5, v1, vcc
	v_mov_b32_e32 v5, 0x3b800000
	v_lshlrev_b32_e32 v1, 20, v1
	v_and_b32_e32 v3, 0x80000000, v3
	v_lshl_add_u32 v5, v8, 23, v5
	v_or3_b32 v1, v3, v5, v1
	v_cvt_i32_f32_e32 v13, v1
.LBB31_1165:
	s_or_b64 exec, exec, s[6:7]
.LBB31_1166:
	s_mov_b64 s[6:7], -1
.LBB31_1167:
	s_branch .LBB31_1197
.LBB31_1168:
	s_cmp_gt_i32 s15, 22
	s_cbranch_scc0 .LBB31_1176
; %bb.1169:
	s_cmp_lt_i32 s15, 24
	s_cbranch_scc1 .LBB31_1179
; %bb.1170:
	s_cmp_gt_i32 s15, 24
	s_cbranch_scc0 .LBB31_1180
; %bb.1171:
	global_load_ubyte v1, v[15:16], off
	s_movk_i32 s2, 0x7f
	s_mov_b64 s[6:7], 0
	s_waitcnt vmcnt(0)
	v_cmp_lt_i16_e32 vcc, s2, v1
	s_and_saveexec_b64 s[2:3], vcc
	s_xor_b64 s[2:3], exec, s[2:3]
	s_cbranch_execz .LBB31_1191
; %bb.1172:
	s_movk_i32 s6, 0x80
	v_cmp_ne_u16_e32 vcc, s6, v1
	s_and_b64 s[6:7], vcc, exec
	s_andn2_saveexec_b64 s[2:3], s[2:3]
	s_cbranch_execnz .LBB31_1192
.LBB31_1173:
	s_or_b64 exec, exec, s[2:3]
	v_mov_b32_e32 v13, 0
	s_and_saveexec_b64 s[2:3], s[6:7]
	s_cbranch_execz .LBB31_1175
.LBB31_1174:
	v_lshlrev_b32_e32 v3, 24, v1
	v_and_b32_e32 v1, 0xffff, v1
	v_and_b32_e32 v5, 3, v1
	v_ffbh_u32_e32 v10, v5
	v_min_u32_e32 v10, 32, v10
	v_subrev_u32_e32 v12, 29, v10
	v_bfe_u32 v8, v1, 2, 5
	v_lshlrev_b32_e32 v1, v12, v1
	v_sub_u32_e32 v10, 30, v10
	v_and_b32_e32 v1, 3, v1
	v_cmp_eq_u32_e32 vcc, 0, v8
	v_cndmask_b32_e32 v8, v8, v10, vcc
	v_cndmask_b32_e32 v1, v5, v1, vcc
	v_mov_b32_e32 v5, 0x37800000
	v_lshlrev_b32_e32 v1, 21, v1
	v_and_b32_e32 v3, 0x80000000, v3
	v_lshl_add_u32 v5, v8, 23, v5
	v_or3_b32 v1, v3, v5, v1
	v_cvt_i32_f32_e32 v13, v1
.LBB31_1175:
	s_or_b64 exec, exec, s[2:3]
	s_mov_b64 s[2:3], 0
	s_branch .LBB31_1181
.LBB31_1176:
                                        ; implicit-def: $vgpr13
	s_mov_b64 s[2:3], 0
	s_branch .LBB31_1187
.LBB31_1177:
	s_andn2_saveexec_b64 s[6:7], s[6:7]
	s_cbranch_execz .LBB31_1163
.LBB31_1178:
	v_cmp_ne_u16_e32 vcc, 0, v1
	s_andn2_b64 s[12:13], s[12:13], exec
	s_and_b64 s[16:17], vcc, exec
	s_or_b64 s[12:13], s[12:13], s[16:17]
	s_or_b64 exec, exec, s[6:7]
	v_mov_b32_e32 v13, 0
	s_and_saveexec_b64 s[6:7], s[12:13]
	s_cbranch_execnz .LBB31_1164
	s_branch .LBB31_1165
.LBB31_1179:
	s_mov_b64 s[2:3], -1
                                        ; implicit-def: $vgpr13
	s_branch .LBB31_1184
.LBB31_1180:
	s_mov_b64 s[2:3], -1
                                        ; implicit-def: $vgpr13
.LBB31_1181:
	s_and_b64 vcc, exec, s[2:3]
	s_cbranch_vccz .LBB31_1183
; %bb.1182:
	global_load_ubyte v1, v[15:16], off
	s_mov_b32 s2, 0x7f800000
	s_waitcnt vmcnt(0)
	v_lshlrev_b32_e32 v1, 24, v1
	v_and_b32_e32 v3, 0x7f000000, v1
	v_ffbh_u32_e32 v5, v3
	v_min_u32_e32 v5, 32, v5
	v_sub_u32_e64 v5, v5, 4 clamp
	v_lshlrev_b32_e32 v10, v5, v3
	v_lshlrev_b32_e32 v5, 23, v5
	v_lshrrev_b32_e32 v10, 4, v10
	v_add_u32_e32 v8, 0x1000000, v3
	v_sub_u32_e32 v5, v10, v5
	v_ashrrev_i32_e32 v8, 8, v8
	v_add_u32_e32 v5, 0x3c000000, v5
	v_and_or_b32 v5, v8, s2, v5
	v_cmp_ne_u32_e32 vcc, 0, v3
	v_cndmask_b32_e32 v3, 0, v5, vcc
	s_brev_b32 s2, 1
	v_and_or_b32 v1, v1, s2, v3
	v_cvt_i32_f32_e32 v13, v1
.LBB31_1183:
	s_mov_b64 s[2:3], 0
.LBB31_1184:
	s_andn2_b64 vcc, exec, s[2:3]
	s_cbranch_vccnz .LBB31_1186
; %bb.1185:
	global_load_ubyte v1, v[15:16], off
	s_movk_i32 s2, 0x7f00
	s_brev_b32 s3, 16
	s_waitcnt vmcnt(0)
	v_lshlrev_b16_e32 v3, 8, v1
	v_lshlrev_b32_e32 v1, 25, v1
	v_lshrrev_b32_e32 v5, 4, v1
	v_and_or_b32 v8, v3, s2, 0.5
	v_or_b32_e32 v5, 0x70000000, v5
	v_add_f32_e32 v8, -0.5, v8
	v_mul_f32_e32 v5, 0x7800000, v5
	v_cmp_gt_u32_e32 vcc, s3, v1
	v_bfe_i32 v3, v3, 0, 16
	v_cndmask_b32_e32 v1, v5, v8, vcc
	s_brev_b32 s2, 1
	v_and_or_b32 v1, v3, s2, v1
	v_cvt_i32_f32_e32 v13, v1
.LBB31_1186:
	s_mov_b64 s[6:7], -1
	s_mov_b64 s[2:3], 0
	s_cbranch_execnz .LBB31_1197
.LBB31_1187:
	s_cmp_gt_i32 s15, 14
	s_cbranch_scc0 .LBB31_1190
; %bb.1188:
	s_cmp_eq_u32 s15, 15
	s_cbranch_scc0 .LBB31_1193
; %bb.1189:
	global_load_ushort v1, v[15:16], off
	s_mov_b64 s[0:1], 0
	s_mov_b64 s[6:7], -1
	s_waitcnt vmcnt(0)
	v_lshlrev_b32_e32 v1, 16, v1
	v_cvt_i32_f32_e32 v13, v1
	s_branch .LBB31_1194
.LBB31_1190:
	s_mov_b64 s[12:13], -1
                                        ; implicit-def: $vgpr13
	s_branch .LBB31_1195
.LBB31_1191:
	s_andn2_saveexec_b64 s[2:3], s[2:3]
	s_cbranch_execz .LBB31_1173
.LBB31_1192:
	v_cmp_ne_u16_e32 vcc, 0, v1
	s_andn2_b64 s[6:7], s[6:7], exec
	s_and_b64 s[12:13], vcc, exec
	s_or_b64 s[6:7], s[6:7], s[12:13]
	s_or_b64 exec, exec, s[2:3]
	v_mov_b32_e32 v13, 0
	s_and_saveexec_b64 s[2:3], s[6:7]
	s_cbranch_execnz .LBB31_1174
	s_branch .LBB31_1175
.LBB31_1193:
	s_mov_b64 s[0:1], -1
                                        ; implicit-def: $vgpr13
.LBB31_1194:
	s_mov_b64 s[12:13], 0
.LBB31_1195:
	s_and_b64 vcc, exec, s[12:13]
	s_cbranch_vccz .LBB31_1197
; %bb.1196:
	s_cmp_lg_u32 s15, 11
	s_mov_b64 s[2:3], -1
	s_cselect_b64 s[0:1], -1, 0
.LBB31_1197:
	s_and_b64 vcc, exec, s[0:1]
	s_mov_b64 s[12:13], s[28:29]
	s_cbranch_vccnz .LBB31_1258
; %bb.1198:
	s_andn2_b64 vcc, exec, s[2:3]
	s_cbranch_vccnz .LBB31_1200
.LBB31_1199:
	global_load_ubyte v1, v[15:16], off
	s_mov_b64 s[6:7], -1
	s_waitcnt vmcnt(0)
	v_cmp_ne_u16_e32 vcc, 0, v1
	v_cndmask_b32_e64 v13, 0, 1, vcc
.LBB31_1200:
	s_branch .LBB31_1135
.LBB31_1201:
	s_and_b32 s2, 0xffff, s14
	s_cmp_lt_i32 s2, 5
	s_cbranch_scc1 .LBB31_1206
; %bb.1202:
	s_cmp_lt_i32 s2, 8
	s_cbranch_scc1 .LBB31_1207
; %bb.1203:
	;; [unrolled: 3-line block ×3, first 2 shown]
	s_cmp_gt_i32 s2, 9
	s_cbranch_scc0 .LBB31_1209
; %bb.1205:
	global_load_dwordx2 v[12:13], v[15:16], off
	s_mov_b64 s[0:1], 0
	s_waitcnt vmcnt(0)
	v_cvt_i32_f64_e32 v13, v[12:13]
	s_branch .LBB31_1210
.LBB31_1206:
                                        ; implicit-def: $vgpr13
	s_branch .LBB31_1227
.LBB31_1207:
                                        ; implicit-def: $vgpr13
	s_branch .LBB31_1216
.LBB31_1208:
	s_mov_b64 s[0:1], -1
                                        ; implicit-def: $vgpr13
	s_branch .LBB31_1213
.LBB31_1209:
	s_mov_b64 s[0:1], -1
                                        ; implicit-def: $vgpr13
.LBB31_1210:
	s_andn2_b64 vcc, exec, s[0:1]
	s_cbranch_vccnz .LBB31_1212
; %bb.1211:
	global_load_dword v1, v[15:16], off
	s_waitcnt vmcnt(0)
	v_cvt_i32_f32_e32 v13, v1
.LBB31_1212:
	s_mov_b64 s[0:1], 0
.LBB31_1213:
	s_andn2_b64 vcc, exec, s[0:1]
	s_cbranch_vccnz .LBB31_1215
; %bb.1214:
	global_load_dword v1, v[15:16], off
	s_waitcnt vmcnt(0)
	v_cvt_i16_f16_e32 v13, v1
.LBB31_1215:
	s_cbranch_execnz .LBB31_1226
.LBB31_1216:
	s_cmp_lt_i32 s2, 6
	s_cbranch_scc1 .LBB31_1219
; %bb.1217:
	s_cmp_gt_i32 s2, 6
	s_cbranch_scc0 .LBB31_1220
; %bb.1218:
	global_load_dwordx2 v[12:13], v[15:16], off
	s_mov_b64 s[0:1], 0
	s_waitcnt vmcnt(0)
	v_cvt_i32_f64_e32 v13, v[12:13]
	s_branch .LBB31_1221
.LBB31_1219:
	s_mov_b64 s[0:1], -1
                                        ; implicit-def: $vgpr13
	s_branch .LBB31_1224
.LBB31_1220:
	s_mov_b64 s[0:1], -1
                                        ; implicit-def: $vgpr13
.LBB31_1221:
	s_andn2_b64 vcc, exec, s[0:1]
	s_cbranch_vccnz .LBB31_1223
; %bb.1222:
	global_load_dword v1, v[15:16], off
	s_waitcnt vmcnt(0)
	v_cvt_i32_f32_e32 v13, v1
.LBB31_1223:
	s_mov_b64 s[0:1], 0
.LBB31_1224:
	s_andn2_b64 vcc, exec, s[0:1]
	s_cbranch_vccnz .LBB31_1226
; %bb.1225:
	global_load_ushort v1, v[15:16], off
	s_waitcnt vmcnt(0)
	v_cvt_i16_f16_e32 v13, v1
.LBB31_1226:
	s_cbranch_execnz .LBB31_1245
.LBB31_1227:
	s_cmp_lt_i32 s2, 2
	s_cbranch_scc1 .LBB31_1231
; %bb.1228:
	s_cmp_lt_i32 s2, 3
	s_cbranch_scc1 .LBB31_1232
; %bb.1229:
	s_cmp_gt_i32 s2, 3
	s_cbranch_scc0 .LBB31_1233
; %bb.1230:
	global_load_dwordx2 v[13:14], v[15:16], off
	s_mov_b64 s[0:1], 0
	s_branch .LBB31_1234
.LBB31_1231:
                                        ; implicit-def: $vgpr13
	s_branch .LBB31_1240
.LBB31_1232:
	s_mov_b64 s[0:1], -1
                                        ; implicit-def: $vgpr13
	s_branch .LBB31_1237
.LBB31_1233:
	s_mov_b64 s[0:1], -1
                                        ; implicit-def: $vgpr13
.LBB31_1234:
	s_andn2_b64 vcc, exec, s[0:1]
	s_cbranch_vccnz .LBB31_1236
; %bb.1235:
	global_load_dword v13, v[15:16], off
.LBB31_1236:
	s_mov_b64 s[0:1], 0
.LBB31_1237:
	s_andn2_b64 vcc, exec, s[0:1]
	s_cbranch_vccnz .LBB31_1239
; %bb.1238:
	global_load_ushort v13, v[15:16], off
.LBB31_1239:
	s_cbranch_execnz .LBB31_1245
.LBB31_1240:
	s_cmp_gt_i32 s2, 0
	s_cbranch_scc0 .LBB31_1242
; %bb.1241:
	global_load_ubyte v13, v[15:16], off
	s_mov_b64 s[0:1], 0
	s_branch .LBB31_1243
.LBB31_1242:
	s_mov_b64 s[0:1], -1
                                        ; implicit-def: $vgpr13
.LBB31_1243:
	s_andn2_b64 vcc, exec, s[0:1]
	s_cbranch_vccnz .LBB31_1245
; %bb.1244:
	global_load_ubyte v13, v[15:16], off
.LBB31_1245:
.LBB31_1246:
	v_mov_b32_e32 v1, s11
	s_and_b32 s16, 0xffff, s14
	s_waitcnt vmcnt(0)
	v_add_co_u32_e32 v14, vcc, s10, v11
	s_cmp_lt_i32 s16, 11
	v_addc_co_u32_e32 v15, vcc, 0, v1, vcc
	s_cbranch_scc1 .LBB31_1253
; %bb.1247:
	s_cmp_gt_i32 s16, 25
	s_mov_b64 s[2:3], 0
	s_cbranch_scc0 .LBB31_1255
; %bb.1248:
	s_cmp_gt_i32 s16, 28
	s_cbranch_scc0 .LBB31_1256
; %bb.1249:
	s_cmp_gt_i32 s16, 43
	;; [unrolled: 3-line block ×3, first 2 shown]
	s_cbranch_scc0 .LBB31_1259
; %bb.1251:
	s_cmp_eq_u32 s16, 46
	s_mov_b64 s[14:15], 0
	s_cbranch_scc0 .LBB31_1262
; %bb.1252:
	global_load_dword v1, v[14:15], off
	s_mov_b64 s[0:1], 0
	s_mov_b64 s[6:7], -1
	s_waitcnt vmcnt(0)
	v_lshlrev_b32_e32 v1, 16, v1
	v_cvt_i32_f32_e32 v11, v1
	s_branch .LBB31_1263
.LBB31_1253:
	s_mov_b64 s[6:7], 0
                                        ; implicit-def: $vgpr11
	s_cbranch_execnz .LBB31_1324
.LBB31_1254:
	s_andn2_b64 vcc, exec, s[6:7]
	s_cbranch_vccnz .LBB31_2055
	s_branch .LBB31_1371
.LBB31_1255:
	s_mov_b64 s[6:7], 0
	s_mov_b64 s[0:1], 0
                                        ; implicit-def: $vgpr11
	s_cbranch_execnz .LBB31_1290
	s_branch .LBB31_1320
.LBB31_1256:
	s_mov_b64 s[14:15], -1
	s_mov_b64 s[6:7], 0
	s_mov_b64 s[0:1], 0
                                        ; implicit-def: $vgpr11
	s_branch .LBB31_1273
.LBB31_1257:
	s_mov_b64 s[14:15], -1
	s_mov_b64 s[6:7], 0
	s_mov_b64 s[0:1], 0
                                        ; implicit-def: $vgpr11
	s_branch .LBB31_1268
.LBB31_1258:
	s_or_b64 s[12:13], s[28:29], exec
	s_trap 2
	s_cbranch_execz .LBB31_1199
	s_branch .LBB31_1200
.LBB31_1259:
	s_mov_b64 s[14:15], -1
	s_mov_b64 s[6:7], 0
	s_mov_b64 s[0:1], 0
                                        ; implicit-def: $vgpr11
	s_branch .LBB31_1263
.LBB31_1260:
	s_andn2_saveexec_b64 s[16:17], s[16:17]
	s_cbranch_execz .LBB31_995
.LBB31_1261:
	s_mov_b32 s20, 0x42800000
	v_add_f32_e64 v3, |v0|, s20
	v_and_b32_e32 v3, 0xff, v3
	v_cmp_ne_u32_e32 vcc, 0, v3
	s_andn2_b64 s[14:15], s[14:15], exec
	s_and_b64 s[20:21], vcc, exec
	s_or_b64 s[14:15], s[14:15], s[20:21]
	s_or_b64 exec, exec, s[16:17]
	v_mov_b32_e32 v5, 0
	s_and_saveexec_b64 s[16:17], s[14:15]
	s_cbranch_execnz .LBB31_996
	s_branch .LBB31_997
.LBB31_1262:
	s_mov_b64 s[0:1], -1
                                        ; implicit-def: $vgpr11
	s_mov_b64 s[6:7], 0
.LBB31_1263:
	s_and_b64 vcc, exec, s[14:15]
	s_cbranch_vccz .LBB31_1267
; %bb.1264:
	s_cmp_eq_u32 s16, 44
	s_cbranch_scc0 .LBB31_1266
; %bb.1265:
	global_load_ubyte v1, v[14:15], off
	s_mov_b64 s[0:1], 0
	s_mov_b64 s[6:7], -1
	s_waitcnt vmcnt(0)
	v_lshlrev_b32_e32 v3, 23, v1
	v_cvt_i32_f32_e32 v3, v3
	v_cmp_ne_u32_e32 vcc, 0, v1
	v_cndmask_b32_e32 v11, 0, v3, vcc
	s_branch .LBB31_1267
.LBB31_1266:
	s_mov_b64 s[0:1], -1
                                        ; implicit-def: $vgpr11
.LBB31_1267:
	s_mov_b64 s[14:15], 0
.LBB31_1268:
	s_and_b64 vcc, exec, s[14:15]
	s_cbranch_vccz .LBB31_1272
; %bb.1269:
	s_cmp_eq_u32 s16, 29
	s_cbranch_scc0 .LBB31_1271
; %bb.1270:
	global_load_dwordx2 v[11:12], v[14:15], off
	s_mov_b64 s[0:1], 0
	s_mov_b64 s[6:7], -1
	s_branch .LBB31_1272
.LBB31_1271:
	s_mov_b64 s[0:1], -1
                                        ; implicit-def: $vgpr11
.LBB31_1272:
	s_mov_b64 s[14:15], 0
.LBB31_1273:
	s_and_b64 vcc, exec, s[14:15]
	s_cbranch_vccz .LBB31_1289
; %bb.1274:
	s_cmp_lt_i32 s16, 27
	s_cbranch_scc1 .LBB31_1277
; %bb.1275:
	s_cmp_gt_i32 s16, 27
	s_cbranch_scc0 .LBB31_1278
; %bb.1276:
	global_load_dword v11, v[14:15], off
	s_mov_b64 s[6:7], 0
	s_branch .LBB31_1279
.LBB31_1277:
	s_mov_b64 s[6:7], -1
                                        ; implicit-def: $vgpr11
	s_branch .LBB31_1282
.LBB31_1278:
	s_mov_b64 s[6:7], -1
                                        ; implicit-def: $vgpr11
.LBB31_1279:
	s_andn2_b64 vcc, exec, s[6:7]
	s_cbranch_vccnz .LBB31_1281
; %bb.1280:
	global_load_ushort v11, v[14:15], off
.LBB31_1281:
	s_mov_b64 s[6:7], 0
.LBB31_1282:
	s_andn2_b64 vcc, exec, s[6:7]
	s_cbranch_vccnz .LBB31_1288
; %bb.1283:
	global_load_ubyte v1, v[14:15], off
	s_movk_i32 s6, 0x7f
	s_mov_b64 s[14:15], 0
	s_waitcnt vmcnt(0)
	v_cmp_lt_i16_e32 vcc, s6, v1
	s_and_saveexec_b64 s[6:7], vcc
	s_xor_b64 s[6:7], exec, s[6:7]
	s_cbranch_execz .LBB31_1299
; %bb.1284:
	s_movk_i32 s14, 0x80
	v_cmp_ne_u16_e32 vcc, s14, v1
	s_and_b64 s[14:15], vcc, exec
	s_andn2_saveexec_b64 s[6:7], s[6:7]
	s_cbranch_execnz .LBB31_1300
.LBB31_1285:
	s_or_b64 exec, exec, s[6:7]
	v_mov_b32_e32 v11, 0
	s_and_saveexec_b64 s[6:7], s[14:15]
	s_cbranch_execz .LBB31_1287
.LBB31_1286:
	v_lshlrev_b32_e32 v3, 24, v1
	v_and_b32_e32 v1, 0xffff, v1
	v_and_b32_e32 v5, 7, v1
	v_ffbh_u32_e32 v10, v5
	v_min_u32_e32 v10, 32, v10
	v_subrev_u32_e32 v11, 28, v10
	v_bfe_u32 v8, v1, 3, 4
	v_lshlrev_b32_e32 v1, v11, v1
	v_sub_u32_e32 v10, 29, v10
	v_and_b32_e32 v1, 7, v1
	v_cmp_eq_u32_e32 vcc, 0, v8
	v_cndmask_b32_e32 v8, v8, v10, vcc
	v_cndmask_b32_e32 v1, v5, v1, vcc
	v_mov_b32_e32 v5, 0x3b800000
	v_lshlrev_b32_e32 v1, 20, v1
	v_and_b32_e32 v3, 0x80000000, v3
	v_lshl_add_u32 v5, v8, 23, v5
	v_or3_b32 v1, v3, v5, v1
	v_cvt_i32_f32_e32 v11, v1
.LBB31_1287:
	s_or_b64 exec, exec, s[6:7]
.LBB31_1288:
	s_mov_b64 s[6:7], -1
.LBB31_1289:
	s_branch .LBB31_1320
.LBB31_1290:
	s_cmp_gt_i32 s16, 22
	s_cbranch_scc0 .LBB31_1298
; %bb.1291:
	s_cmp_lt_i32 s16, 24
	s_cbranch_scc1 .LBB31_1301
; %bb.1292:
	s_cmp_gt_i32 s16, 24
	s_cbranch_scc0 .LBB31_1302
; %bb.1293:
	global_load_ubyte v1, v[14:15], off
	s_movk_i32 s2, 0x7f
	s_mov_b64 s[6:7], 0
	s_waitcnt vmcnt(0)
	v_cmp_lt_i16_e32 vcc, s2, v1
	s_and_saveexec_b64 s[2:3], vcc
	s_xor_b64 s[2:3], exec, s[2:3]
	s_cbranch_execz .LBB31_1314
; %bb.1294:
	s_movk_i32 s6, 0x80
	v_cmp_ne_u16_e32 vcc, s6, v1
	s_and_b64 s[6:7], vcc, exec
	s_andn2_saveexec_b64 s[2:3], s[2:3]
	s_cbranch_execnz .LBB31_1315
.LBB31_1295:
	s_or_b64 exec, exec, s[2:3]
	v_mov_b32_e32 v11, 0
	s_and_saveexec_b64 s[2:3], s[6:7]
	s_cbranch_execz .LBB31_1297
.LBB31_1296:
	v_lshlrev_b32_e32 v3, 24, v1
	v_and_b32_e32 v1, 0xffff, v1
	v_and_b32_e32 v5, 3, v1
	v_ffbh_u32_e32 v10, v5
	v_min_u32_e32 v10, 32, v10
	v_subrev_u32_e32 v11, 29, v10
	v_bfe_u32 v8, v1, 2, 5
	v_lshlrev_b32_e32 v1, v11, v1
	v_sub_u32_e32 v10, 30, v10
	v_and_b32_e32 v1, 3, v1
	v_cmp_eq_u32_e32 vcc, 0, v8
	v_cndmask_b32_e32 v8, v8, v10, vcc
	v_cndmask_b32_e32 v1, v5, v1, vcc
	v_mov_b32_e32 v5, 0x37800000
	v_lshlrev_b32_e32 v1, 21, v1
	v_and_b32_e32 v3, 0x80000000, v3
	v_lshl_add_u32 v5, v8, 23, v5
	v_or3_b32 v1, v3, v5, v1
	v_cvt_i32_f32_e32 v11, v1
.LBB31_1297:
	s_or_b64 exec, exec, s[2:3]
	s_mov_b64 s[2:3], 0
	s_branch .LBB31_1303
.LBB31_1298:
	s_mov_b64 s[2:3], -1
                                        ; implicit-def: $vgpr11
	s_branch .LBB31_1309
.LBB31_1299:
	s_andn2_saveexec_b64 s[6:7], s[6:7]
	s_cbranch_execz .LBB31_1285
.LBB31_1300:
	v_cmp_ne_u16_e32 vcc, 0, v1
	s_andn2_b64 s[14:15], s[14:15], exec
	s_and_b64 s[18:19], vcc, exec
	s_or_b64 s[14:15], s[14:15], s[18:19]
	s_or_b64 exec, exec, s[6:7]
	v_mov_b32_e32 v11, 0
	s_and_saveexec_b64 s[6:7], s[14:15]
	s_cbranch_execnz .LBB31_1286
	s_branch .LBB31_1287
.LBB31_1301:
	s_mov_b64 s[2:3], -1
                                        ; implicit-def: $vgpr11
	s_branch .LBB31_1306
.LBB31_1302:
	s_mov_b64 s[2:3], -1
                                        ; implicit-def: $vgpr11
.LBB31_1303:
	s_and_b64 vcc, exec, s[2:3]
	s_cbranch_vccz .LBB31_1305
; %bb.1304:
	global_load_ubyte v1, v[14:15], off
	s_mov_b32 s2, 0x7f800000
	s_waitcnt vmcnt(0)
	v_lshlrev_b32_e32 v1, 24, v1
	v_and_b32_e32 v3, 0x7f000000, v1
	v_ffbh_u32_e32 v5, v3
	v_min_u32_e32 v5, 32, v5
	v_sub_u32_e64 v5, v5, 4 clamp
	v_lshlrev_b32_e32 v10, v5, v3
	v_lshlrev_b32_e32 v5, 23, v5
	v_lshrrev_b32_e32 v10, 4, v10
	v_add_u32_e32 v8, 0x1000000, v3
	v_sub_u32_e32 v5, v10, v5
	v_ashrrev_i32_e32 v8, 8, v8
	v_add_u32_e32 v5, 0x3c000000, v5
	v_and_or_b32 v5, v8, s2, v5
	v_cmp_ne_u32_e32 vcc, 0, v3
	v_cndmask_b32_e32 v3, 0, v5, vcc
	s_brev_b32 s2, 1
	v_and_or_b32 v1, v1, s2, v3
	v_cvt_i32_f32_e32 v11, v1
.LBB31_1305:
	s_mov_b64 s[2:3], 0
.LBB31_1306:
	s_andn2_b64 vcc, exec, s[2:3]
	s_cbranch_vccnz .LBB31_1308
; %bb.1307:
	global_load_ubyte v1, v[14:15], off
	s_movk_i32 s2, 0x7f00
	s_brev_b32 s3, 16
	s_waitcnt vmcnt(0)
	v_lshlrev_b16_e32 v3, 8, v1
	v_lshlrev_b32_e32 v1, 25, v1
	v_lshrrev_b32_e32 v5, 4, v1
	v_and_or_b32 v8, v3, s2, 0.5
	v_or_b32_e32 v5, 0x70000000, v5
	v_add_f32_e32 v8, -0.5, v8
	v_mul_f32_e32 v5, 0x7800000, v5
	v_cmp_gt_u32_e32 vcc, s3, v1
	v_bfe_i32 v3, v3, 0, 16
	v_cndmask_b32_e32 v1, v5, v8, vcc
	s_brev_b32 s2, 1
	v_and_or_b32 v1, v3, s2, v1
	v_cvt_i32_f32_e32 v11, v1
.LBB31_1308:
	s_mov_b64 s[2:3], 0
	s_mov_b64 s[6:7], -1
.LBB31_1309:
	s_andn2_b64 vcc, exec, s[2:3]
	s_mov_b64 s[2:3], 0
	s_cbranch_vccnz .LBB31_1320
; %bb.1310:
	s_cmp_gt_i32 s16, 14
	s_cbranch_scc0 .LBB31_1313
; %bb.1311:
	s_cmp_eq_u32 s16, 15
	s_cbranch_scc0 .LBB31_1316
; %bb.1312:
	global_load_ushort v1, v[14:15], off
	s_mov_b64 s[0:1], 0
	s_mov_b64 s[6:7], -1
	s_waitcnt vmcnt(0)
	v_lshlrev_b32_e32 v1, 16, v1
	v_cvt_i32_f32_e32 v11, v1
	s_branch .LBB31_1317
.LBB31_1313:
	s_mov_b64 s[14:15], -1
                                        ; implicit-def: $vgpr11
	s_branch .LBB31_1318
.LBB31_1314:
	s_andn2_saveexec_b64 s[2:3], s[2:3]
	s_cbranch_execz .LBB31_1295
.LBB31_1315:
	v_cmp_ne_u16_e32 vcc, 0, v1
	s_andn2_b64 s[6:7], s[6:7], exec
	s_and_b64 s[14:15], vcc, exec
	s_or_b64 s[6:7], s[6:7], s[14:15]
	s_or_b64 exec, exec, s[2:3]
	v_mov_b32_e32 v11, 0
	s_and_saveexec_b64 s[2:3], s[6:7]
	s_cbranch_execnz .LBB31_1296
	s_branch .LBB31_1297
.LBB31_1316:
	s_mov_b64 s[0:1], -1
                                        ; implicit-def: $vgpr11
.LBB31_1317:
	s_mov_b64 s[14:15], 0
.LBB31_1318:
	s_and_b64 vcc, exec, s[14:15]
	s_cbranch_vccz .LBB31_1320
; %bb.1319:
	s_cmp_lg_u32 s16, 11
	s_mov_b64 s[2:3], -1
	s_cselect_b64 s[0:1], -1, 0
.LBB31_1320:
	s_and_b64 vcc, exec, s[0:1]
	s_cbranch_vccnz .LBB31_1383
; %bb.1321:
	s_andn2_b64 vcc, exec, s[2:3]
	s_cbranch_vccnz .LBB31_1323
.LBB31_1322:
	global_load_ubyte v1, v[14:15], off
	s_mov_b64 s[6:7], -1
	s_waitcnt vmcnt(0)
	v_cmp_ne_u16_e32 vcc, 0, v1
	v_cndmask_b32_e64 v11, 0, 1, vcc
.LBB31_1323:
	s_branch .LBB31_1254
.LBB31_1324:
	s_cmp_lt_i32 s16, 5
	s_cbranch_scc1 .LBB31_1329
; %bb.1325:
	s_cmp_lt_i32 s16, 8
	s_cbranch_scc1 .LBB31_1330
; %bb.1326:
	;; [unrolled: 3-line block ×3, first 2 shown]
	s_cmp_gt_i32 s16, 9
	s_cbranch_scc0 .LBB31_1332
; %bb.1328:
	global_load_dwordx2 v[10:11], v[14:15], off
	s_mov_b64 s[0:1], 0
	s_waitcnt vmcnt(0)
	v_cvt_i32_f64_e32 v11, v[10:11]
	s_branch .LBB31_1333
.LBB31_1329:
                                        ; implicit-def: $vgpr11
	s_branch .LBB31_1351
.LBB31_1330:
	s_mov_b64 s[0:1], -1
                                        ; implicit-def: $vgpr11
	s_branch .LBB31_1339
.LBB31_1331:
	s_mov_b64 s[0:1], -1
                                        ; implicit-def: $vgpr11
	s_branch .LBB31_1336
.LBB31_1332:
	s_mov_b64 s[0:1], -1
                                        ; implicit-def: $vgpr11
.LBB31_1333:
	s_andn2_b64 vcc, exec, s[0:1]
	s_cbranch_vccnz .LBB31_1335
; %bb.1334:
	global_load_dword v1, v[14:15], off
	s_waitcnt vmcnt(0)
	v_cvt_i32_f32_e32 v11, v1
.LBB31_1335:
	s_mov_b64 s[0:1], 0
.LBB31_1336:
	s_andn2_b64 vcc, exec, s[0:1]
	s_cbranch_vccnz .LBB31_1338
; %bb.1337:
	global_load_dword v1, v[14:15], off
	s_waitcnt vmcnt(0)
	v_cvt_i16_f16_e32 v11, v1
.LBB31_1338:
	s_mov_b64 s[0:1], 0
.LBB31_1339:
	s_andn2_b64 vcc, exec, s[0:1]
	s_cbranch_vccnz .LBB31_1350
; %bb.1340:
	s_cmp_lt_i32 s16, 6
	s_cbranch_scc1 .LBB31_1343
; %bb.1341:
	s_cmp_gt_i32 s16, 6
	s_cbranch_scc0 .LBB31_1344
; %bb.1342:
	global_load_dwordx2 v[10:11], v[14:15], off
	s_mov_b64 s[0:1], 0
	s_waitcnt vmcnt(0)
	v_cvt_i32_f64_e32 v11, v[10:11]
	s_branch .LBB31_1345
.LBB31_1343:
	s_mov_b64 s[0:1], -1
                                        ; implicit-def: $vgpr11
	s_branch .LBB31_1348
.LBB31_1344:
	s_mov_b64 s[0:1], -1
                                        ; implicit-def: $vgpr11
.LBB31_1345:
	s_andn2_b64 vcc, exec, s[0:1]
	s_cbranch_vccnz .LBB31_1347
; %bb.1346:
	global_load_dword v1, v[14:15], off
	s_waitcnt vmcnt(0)
	v_cvt_i32_f32_e32 v11, v1
.LBB31_1347:
	s_mov_b64 s[0:1], 0
.LBB31_1348:
	s_andn2_b64 vcc, exec, s[0:1]
	s_cbranch_vccnz .LBB31_1350
; %bb.1349:
	global_load_ushort v1, v[14:15], off
	s_waitcnt vmcnt(0)
	v_cvt_i16_f16_e32 v11, v1
.LBB31_1350:
	s_cbranch_execnz .LBB31_1370
.LBB31_1351:
	s_cmp_lt_i32 s16, 2
	s_cbranch_scc1 .LBB31_1355
; %bb.1352:
	s_cmp_lt_i32 s16, 3
	s_cbranch_scc1 .LBB31_1356
; %bb.1353:
	s_cmp_gt_i32 s16, 3
	s_cbranch_scc0 .LBB31_1357
; %bb.1354:
	global_load_dwordx2 v[11:12], v[14:15], off
	s_mov_b64 s[0:1], 0
	s_branch .LBB31_1358
.LBB31_1355:
	s_mov_b64 s[0:1], -1
                                        ; implicit-def: $vgpr11
	s_branch .LBB31_1364
.LBB31_1356:
	s_mov_b64 s[0:1], -1
                                        ; implicit-def: $vgpr11
	s_branch .LBB31_1361
.LBB31_1357:
	s_mov_b64 s[0:1], -1
                                        ; implicit-def: $vgpr11
.LBB31_1358:
	s_andn2_b64 vcc, exec, s[0:1]
	s_cbranch_vccnz .LBB31_1360
; %bb.1359:
	global_load_dword v11, v[14:15], off
.LBB31_1360:
	s_mov_b64 s[0:1], 0
.LBB31_1361:
	s_andn2_b64 vcc, exec, s[0:1]
	s_cbranch_vccnz .LBB31_1363
; %bb.1362:
	global_load_ushort v11, v[14:15], off
.LBB31_1363:
	s_mov_b64 s[0:1], 0
.LBB31_1364:
	s_andn2_b64 vcc, exec, s[0:1]
	s_cbranch_vccnz .LBB31_1370
; %bb.1365:
	s_cmp_gt_i32 s16, 0
	s_cbranch_scc0 .LBB31_1367
; %bb.1366:
	global_load_ubyte v11, v[14:15], off
	s_mov_b64 s[0:1], 0
	s_branch .LBB31_1368
.LBB31_1367:
	s_mov_b64 s[0:1], -1
                                        ; implicit-def: $vgpr11
.LBB31_1368:
	s_andn2_b64 vcc, exec, s[0:1]
	s_cbranch_vccnz .LBB31_1370
; %bb.1369:
	global_load_ubyte v11, v[14:15], off
.LBB31_1370:
.LBB31_1371:
	v_mov_b32_e32 v1, s11
	v_add_co_u32_e32 v14, vcc, s10, v9
	s_cmp_lt_i32 s16, 11
	v_addc_co_u32_e32 v15, vcc, 0, v1, vcc
	s_cbranch_scc1 .LBB31_1378
; %bb.1372:
	s_cmp_gt_i32 s16, 25
	s_mov_b64 s[2:3], 0
	s_cbranch_scc0 .LBB31_1380
; %bb.1373:
	s_cmp_gt_i32 s16, 28
	s_cbranch_scc0 .LBB31_1381
; %bb.1374:
	s_cmp_gt_i32 s16, 43
	;; [unrolled: 3-line block ×3, first 2 shown]
	s_cbranch_scc0 .LBB31_1384
; %bb.1376:
	s_cmp_eq_u32 s16, 46
	s_mov_b64 s[14:15], 0
	s_cbranch_scc0 .LBB31_1385
; %bb.1377:
	global_load_dword v1, v[14:15], off
	s_mov_b64 s[0:1], 0
	s_mov_b64 s[6:7], -1
	s_waitcnt vmcnt(0)
	v_lshlrev_b32_e32 v1, 16, v1
	v_cvt_i32_f32_e32 v9, v1
	s_branch .LBB31_1386
.LBB31_1378:
	s_mov_b64 s[6:7], 0
                                        ; implicit-def: $vgpr9
	s_cbranch_execnz .LBB31_1448
.LBB31_1379:
	s_andn2_b64 vcc, exec, s[6:7]
	s_cbranch_vccnz .LBB31_2055
	s_branch .LBB31_1496
.LBB31_1380:
	s_mov_b64 s[14:15], -1
	s_mov_b64 s[6:7], 0
	s_mov_b64 s[0:1], 0
                                        ; implicit-def: $vgpr9
	s_branch .LBB31_1413
.LBB31_1381:
	s_mov_b64 s[14:15], -1
	s_mov_b64 s[6:7], 0
	s_mov_b64 s[0:1], 0
                                        ; implicit-def: $vgpr9
	s_branch .LBB31_1396
.LBB31_1382:
	s_mov_b64 s[14:15], -1
	s_mov_b64 s[6:7], 0
	s_mov_b64 s[0:1], 0
                                        ; implicit-def: $vgpr9
	s_branch .LBB31_1391
.LBB31_1383:
	s_trap 2
	s_or_b64 s[12:13], s[12:13], exec
	s_cbranch_execz .LBB31_1322
	s_branch .LBB31_1323
.LBB31_1384:
	s_mov_b64 s[14:15], -1
	s_mov_b64 s[6:7], 0
	s_mov_b64 s[0:1], 0
                                        ; implicit-def: $vgpr9
	s_branch .LBB31_1386
.LBB31_1385:
	s_mov_b64 s[0:1], -1
                                        ; implicit-def: $vgpr9
	s_mov_b64 s[6:7], 0
.LBB31_1386:
	s_and_b64 vcc, exec, s[14:15]
	s_cbranch_vccz .LBB31_1390
; %bb.1387:
	s_cmp_eq_u32 s16, 44
	s_cbranch_scc0 .LBB31_1389
; %bb.1388:
	global_load_ubyte v1, v[14:15], off
	s_mov_b64 s[0:1], 0
	s_mov_b64 s[6:7], -1
	s_waitcnt vmcnt(0)
	v_lshlrev_b32_e32 v3, 23, v1
	v_cvt_i32_f32_e32 v3, v3
	v_cmp_ne_u32_e32 vcc, 0, v1
	v_cndmask_b32_e32 v9, 0, v3, vcc
	s_branch .LBB31_1390
.LBB31_1389:
	s_mov_b64 s[0:1], -1
                                        ; implicit-def: $vgpr9
.LBB31_1390:
	s_mov_b64 s[14:15], 0
.LBB31_1391:
	s_and_b64 vcc, exec, s[14:15]
	s_cbranch_vccz .LBB31_1395
; %bb.1392:
	s_cmp_eq_u32 s16, 29
	s_cbranch_scc0 .LBB31_1394
; %bb.1393:
	global_load_dwordx2 v[9:10], v[14:15], off
	s_mov_b64 s[0:1], 0
	s_mov_b64 s[6:7], -1
	s_branch .LBB31_1395
.LBB31_1394:
	s_mov_b64 s[0:1], -1
                                        ; implicit-def: $vgpr9
.LBB31_1395:
	s_mov_b64 s[14:15], 0
.LBB31_1396:
	s_and_b64 vcc, exec, s[14:15]
	s_cbranch_vccz .LBB31_1412
; %bb.1397:
	s_cmp_lt_i32 s16, 27
	s_cbranch_scc1 .LBB31_1400
; %bb.1398:
	s_cmp_gt_i32 s16, 27
	s_cbranch_scc0 .LBB31_1401
; %bb.1399:
	global_load_dword v9, v[14:15], off
	s_mov_b64 s[6:7], 0
	s_branch .LBB31_1402
.LBB31_1400:
	s_mov_b64 s[6:7], -1
                                        ; implicit-def: $vgpr9
	s_branch .LBB31_1405
.LBB31_1401:
	s_mov_b64 s[6:7], -1
                                        ; implicit-def: $vgpr9
.LBB31_1402:
	s_andn2_b64 vcc, exec, s[6:7]
	s_cbranch_vccnz .LBB31_1404
; %bb.1403:
	global_load_ushort v9, v[14:15], off
.LBB31_1404:
	s_mov_b64 s[6:7], 0
.LBB31_1405:
	s_andn2_b64 vcc, exec, s[6:7]
	s_cbranch_vccnz .LBB31_1411
; %bb.1406:
	global_load_ubyte v1, v[14:15], off
	s_movk_i32 s6, 0x7f
	s_mov_b64 s[14:15], 0
	s_waitcnt vmcnt(0)
	v_cmp_lt_i16_e32 vcc, s6, v1
	s_and_saveexec_b64 s[6:7], vcc
	s_xor_b64 s[6:7], exec, s[6:7]
	s_cbranch_execz .LBB31_1423
; %bb.1407:
	s_movk_i32 s14, 0x80
	v_cmp_ne_u16_e32 vcc, s14, v1
	s_and_b64 s[14:15], vcc, exec
	s_andn2_saveexec_b64 s[6:7], s[6:7]
	s_cbranch_execnz .LBB31_1424
.LBB31_1408:
	s_or_b64 exec, exec, s[6:7]
	v_mov_b32_e32 v9, 0
	s_and_saveexec_b64 s[6:7], s[14:15]
	s_cbranch_execz .LBB31_1410
.LBB31_1409:
	v_lshlrev_b32_e32 v3, 24, v1
	v_and_b32_e32 v1, 0xffff, v1
	v_and_b32_e32 v5, 7, v1
	v_ffbh_u32_e32 v9, v5
	v_min_u32_e32 v9, 32, v9
	v_subrev_u32_e32 v10, 28, v9
	v_bfe_u32 v8, v1, 3, 4
	v_lshlrev_b32_e32 v1, v10, v1
	v_sub_u32_e32 v9, 29, v9
	v_and_b32_e32 v1, 7, v1
	v_cmp_eq_u32_e32 vcc, 0, v8
	v_cndmask_b32_e32 v8, v8, v9, vcc
	v_cndmask_b32_e32 v1, v5, v1, vcc
	v_mov_b32_e32 v5, 0x3b800000
	v_lshlrev_b32_e32 v1, 20, v1
	v_and_b32_e32 v3, 0x80000000, v3
	v_lshl_add_u32 v5, v8, 23, v5
	v_or3_b32 v1, v3, v5, v1
	v_cvt_i32_f32_e32 v9, v1
.LBB31_1410:
	s_or_b64 exec, exec, s[6:7]
.LBB31_1411:
	s_mov_b64 s[6:7], -1
.LBB31_1412:
	s_mov_b64 s[14:15], 0
.LBB31_1413:
	s_and_b64 vcc, exec, s[14:15]
	s_cbranch_vccz .LBB31_1444
; %bb.1414:
	s_cmp_gt_i32 s16, 22
	s_cbranch_scc0 .LBB31_1422
; %bb.1415:
	s_cmp_lt_i32 s16, 24
	s_cbranch_scc1 .LBB31_1425
; %bb.1416:
	s_cmp_gt_i32 s16, 24
	s_cbranch_scc0 .LBB31_1426
; %bb.1417:
	global_load_ubyte v1, v[14:15], off
	s_movk_i32 s2, 0x7f
	s_mov_b64 s[6:7], 0
	s_waitcnt vmcnt(0)
	v_cmp_lt_i16_e32 vcc, s2, v1
	s_and_saveexec_b64 s[2:3], vcc
	s_xor_b64 s[2:3], exec, s[2:3]
	s_cbranch_execz .LBB31_1438
; %bb.1418:
	s_movk_i32 s6, 0x80
	v_cmp_ne_u16_e32 vcc, s6, v1
	s_and_b64 s[6:7], vcc, exec
	s_andn2_saveexec_b64 s[2:3], s[2:3]
	s_cbranch_execnz .LBB31_1439
.LBB31_1419:
	s_or_b64 exec, exec, s[2:3]
	v_mov_b32_e32 v9, 0
	s_and_saveexec_b64 s[2:3], s[6:7]
	s_cbranch_execz .LBB31_1421
.LBB31_1420:
	v_lshlrev_b32_e32 v3, 24, v1
	v_and_b32_e32 v1, 0xffff, v1
	v_and_b32_e32 v5, 3, v1
	v_ffbh_u32_e32 v9, v5
	v_min_u32_e32 v9, 32, v9
	v_subrev_u32_e32 v10, 29, v9
	v_bfe_u32 v8, v1, 2, 5
	v_lshlrev_b32_e32 v1, v10, v1
	v_sub_u32_e32 v9, 30, v9
	v_and_b32_e32 v1, 3, v1
	v_cmp_eq_u32_e32 vcc, 0, v8
	v_cndmask_b32_e32 v8, v8, v9, vcc
	v_cndmask_b32_e32 v1, v5, v1, vcc
	v_mov_b32_e32 v5, 0x37800000
	v_lshlrev_b32_e32 v1, 21, v1
	v_and_b32_e32 v3, 0x80000000, v3
	v_lshl_add_u32 v5, v8, 23, v5
	v_or3_b32 v1, v3, v5, v1
	v_cvt_i32_f32_e32 v9, v1
.LBB31_1421:
	s_or_b64 exec, exec, s[2:3]
	s_mov_b64 s[2:3], 0
	s_branch .LBB31_1427
.LBB31_1422:
	s_mov_b64 s[2:3], -1
                                        ; implicit-def: $vgpr9
	s_branch .LBB31_1433
.LBB31_1423:
	s_andn2_saveexec_b64 s[6:7], s[6:7]
	s_cbranch_execz .LBB31_1408
.LBB31_1424:
	v_cmp_ne_u16_e32 vcc, 0, v1
	s_andn2_b64 s[14:15], s[14:15], exec
	s_and_b64 s[18:19], vcc, exec
	s_or_b64 s[14:15], s[14:15], s[18:19]
	s_or_b64 exec, exec, s[6:7]
	v_mov_b32_e32 v9, 0
	s_and_saveexec_b64 s[6:7], s[14:15]
	s_cbranch_execnz .LBB31_1409
	s_branch .LBB31_1410
.LBB31_1425:
	s_mov_b64 s[2:3], -1
                                        ; implicit-def: $vgpr9
	s_branch .LBB31_1430
.LBB31_1426:
	s_mov_b64 s[2:3], -1
                                        ; implicit-def: $vgpr9
.LBB31_1427:
	s_and_b64 vcc, exec, s[2:3]
	s_cbranch_vccz .LBB31_1429
; %bb.1428:
	global_load_ubyte v1, v[14:15], off
	s_mov_b32 s2, 0x7f800000
	s_waitcnt vmcnt(0)
	v_lshlrev_b32_e32 v1, 24, v1
	v_and_b32_e32 v3, 0x7f000000, v1
	v_ffbh_u32_e32 v5, v3
	v_min_u32_e32 v5, 32, v5
	v_sub_u32_e64 v5, v5, 4 clamp
	v_lshlrev_b32_e32 v9, v5, v3
	v_lshlrev_b32_e32 v5, 23, v5
	v_lshrrev_b32_e32 v9, 4, v9
	v_add_u32_e32 v8, 0x1000000, v3
	v_sub_u32_e32 v5, v9, v5
	v_ashrrev_i32_e32 v8, 8, v8
	v_add_u32_e32 v5, 0x3c000000, v5
	v_and_or_b32 v5, v8, s2, v5
	v_cmp_ne_u32_e32 vcc, 0, v3
	v_cndmask_b32_e32 v3, 0, v5, vcc
	s_brev_b32 s2, 1
	v_and_or_b32 v1, v1, s2, v3
	v_cvt_i32_f32_e32 v9, v1
.LBB31_1429:
	s_mov_b64 s[2:3], 0
.LBB31_1430:
	s_andn2_b64 vcc, exec, s[2:3]
	s_cbranch_vccnz .LBB31_1432
; %bb.1431:
	global_load_ubyte v1, v[14:15], off
	s_movk_i32 s2, 0x7f00
	s_brev_b32 s3, 16
	s_waitcnt vmcnt(0)
	v_lshlrev_b16_e32 v3, 8, v1
	v_lshlrev_b32_e32 v1, 25, v1
	v_lshrrev_b32_e32 v5, 4, v1
	v_and_or_b32 v8, v3, s2, 0.5
	v_or_b32_e32 v5, 0x70000000, v5
	v_add_f32_e32 v8, -0.5, v8
	v_mul_f32_e32 v5, 0x7800000, v5
	v_cmp_gt_u32_e32 vcc, s3, v1
	v_bfe_i32 v3, v3, 0, 16
	v_cndmask_b32_e32 v1, v5, v8, vcc
	s_brev_b32 s2, 1
	v_and_or_b32 v1, v3, s2, v1
	v_cvt_i32_f32_e32 v9, v1
.LBB31_1432:
	s_mov_b64 s[2:3], 0
	s_mov_b64 s[6:7], -1
.LBB31_1433:
	s_andn2_b64 vcc, exec, s[2:3]
	s_mov_b64 s[2:3], 0
	s_cbranch_vccnz .LBB31_1444
; %bb.1434:
	s_cmp_gt_i32 s16, 14
	s_cbranch_scc0 .LBB31_1437
; %bb.1435:
	s_cmp_eq_u32 s16, 15
	s_cbranch_scc0 .LBB31_1440
; %bb.1436:
	global_load_ushort v1, v[14:15], off
	s_mov_b64 s[0:1], 0
	s_mov_b64 s[6:7], -1
	s_waitcnt vmcnt(0)
	v_lshlrev_b32_e32 v1, 16, v1
	v_cvt_i32_f32_e32 v9, v1
	s_branch .LBB31_1441
.LBB31_1437:
	s_mov_b64 s[14:15], -1
                                        ; implicit-def: $vgpr9
	s_branch .LBB31_1442
.LBB31_1438:
	s_andn2_saveexec_b64 s[2:3], s[2:3]
	s_cbranch_execz .LBB31_1419
.LBB31_1439:
	v_cmp_ne_u16_e32 vcc, 0, v1
	s_andn2_b64 s[6:7], s[6:7], exec
	s_and_b64 s[14:15], vcc, exec
	s_or_b64 s[6:7], s[6:7], s[14:15]
	s_or_b64 exec, exec, s[2:3]
	v_mov_b32_e32 v9, 0
	s_and_saveexec_b64 s[2:3], s[6:7]
	s_cbranch_execnz .LBB31_1420
	s_branch .LBB31_1421
.LBB31_1440:
	s_mov_b64 s[0:1], -1
                                        ; implicit-def: $vgpr9
.LBB31_1441:
	s_mov_b64 s[14:15], 0
.LBB31_1442:
	s_and_b64 vcc, exec, s[14:15]
	s_cbranch_vccz .LBB31_1444
; %bb.1443:
	s_cmp_lg_u32 s16, 11
	s_mov_b64 s[2:3], -1
	s_cselect_b64 s[0:1], -1, 0
.LBB31_1444:
	s_and_b64 vcc, exec, s[0:1]
	s_cbranch_vccnz .LBB31_1507
; %bb.1445:
	s_andn2_b64 vcc, exec, s[2:3]
	s_cbranch_vccnz .LBB31_1447
.LBB31_1446:
	global_load_ubyte v1, v[14:15], off
	s_mov_b64 s[6:7], -1
	s_waitcnt vmcnt(0)
	v_cmp_ne_u16_e32 vcc, 0, v1
	v_cndmask_b32_e64 v9, 0, 1, vcc
.LBB31_1447:
	s_branch .LBB31_1379
.LBB31_1448:
	s_cmp_lt_i32 s16, 5
	s_cbranch_scc1 .LBB31_1453
; %bb.1449:
	s_cmp_lt_i32 s16, 8
	s_cbranch_scc1 .LBB31_1454
; %bb.1450:
	;; [unrolled: 3-line block ×3, first 2 shown]
	s_cmp_gt_i32 s16, 9
	s_cbranch_scc0 .LBB31_1456
; %bb.1452:
	global_load_dwordx2 v[8:9], v[14:15], off
	s_mov_b64 s[0:1], 0
	s_waitcnt vmcnt(0)
	v_cvt_i32_f64_e32 v9, v[8:9]
	s_branch .LBB31_1457
.LBB31_1453:
	s_mov_b64 s[0:1], -1
                                        ; implicit-def: $vgpr9
	s_branch .LBB31_1475
.LBB31_1454:
	s_mov_b64 s[0:1], -1
                                        ; implicit-def: $vgpr9
	s_branch .LBB31_1463
.LBB31_1455:
	s_mov_b64 s[0:1], -1
                                        ; implicit-def: $vgpr9
	s_branch .LBB31_1460
.LBB31_1456:
	s_mov_b64 s[0:1], -1
                                        ; implicit-def: $vgpr9
.LBB31_1457:
	s_andn2_b64 vcc, exec, s[0:1]
	s_cbranch_vccnz .LBB31_1459
; %bb.1458:
	global_load_dword v1, v[14:15], off
	s_waitcnt vmcnt(0)
	v_cvt_i32_f32_e32 v9, v1
.LBB31_1459:
	s_mov_b64 s[0:1], 0
.LBB31_1460:
	s_andn2_b64 vcc, exec, s[0:1]
	s_cbranch_vccnz .LBB31_1462
; %bb.1461:
	global_load_dword v1, v[14:15], off
	s_waitcnt vmcnt(0)
	v_cvt_i16_f16_e32 v9, v1
.LBB31_1462:
	s_mov_b64 s[0:1], 0
.LBB31_1463:
	s_andn2_b64 vcc, exec, s[0:1]
	s_cbranch_vccnz .LBB31_1474
; %bb.1464:
	s_cmp_lt_i32 s16, 6
	s_cbranch_scc1 .LBB31_1467
; %bb.1465:
	s_cmp_gt_i32 s16, 6
	s_cbranch_scc0 .LBB31_1468
; %bb.1466:
	global_load_dwordx2 v[8:9], v[14:15], off
	s_mov_b64 s[0:1], 0
	s_waitcnt vmcnt(0)
	v_cvt_i32_f64_e32 v9, v[8:9]
	s_branch .LBB31_1469
.LBB31_1467:
	s_mov_b64 s[0:1], -1
                                        ; implicit-def: $vgpr9
	s_branch .LBB31_1472
.LBB31_1468:
	s_mov_b64 s[0:1], -1
                                        ; implicit-def: $vgpr9
.LBB31_1469:
	s_andn2_b64 vcc, exec, s[0:1]
	s_cbranch_vccnz .LBB31_1471
; %bb.1470:
	global_load_dword v1, v[14:15], off
	s_waitcnt vmcnt(0)
	v_cvt_i32_f32_e32 v9, v1
.LBB31_1471:
	s_mov_b64 s[0:1], 0
.LBB31_1472:
	s_andn2_b64 vcc, exec, s[0:1]
	s_cbranch_vccnz .LBB31_1474
; %bb.1473:
	global_load_ushort v1, v[14:15], off
	s_waitcnt vmcnt(0)
	v_cvt_i16_f16_e32 v9, v1
.LBB31_1474:
	s_mov_b64 s[0:1], 0
.LBB31_1475:
	s_andn2_b64 vcc, exec, s[0:1]
	s_cbranch_vccnz .LBB31_1495
; %bb.1476:
	s_cmp_lt_i32 s16, 2
	s_cbranch_scc1 .LBB31_1480
; %bb.1477:
	s_cmp_lt_i32 s16, 3
	s_cbranch_scc1 .LBB31_1481
; %bb.1478:
	s_cmp_gt_i32 s16, 3
	s_cbranch_scc0 .LBB31_1482
; %bb.1479:
	global_load_dwordx2 v[9:10], v[14:15], off
	s_mov_b64 s[0:1], 0
	s_branch .LBB31_1483
.LBB31_1480:
	s_mov_b64 s[0:1], -1
                                        ; implicit-def: $vgpr9
	s_branch .LBB31_1489
.LBB31_1481:
	s_mov_b64 s[0:1], -1
                                        ; implicit-def: $vgpr9
	s_branch .LBB31_1486
.LBB31_1482:
	s_mov_b64 s[0:1], -1
                                        ; implicit-def: $vgpr9
.LBB31_1483:
	s_andn2_b64 vcc, exec, s[0:1]
	s_cbranch_vccnz .LBB31_1485
; %bb.1484:
	global_load_dword v9, v[14:15], off
.LBB31_1485:
	s_mov_b64 s[0:1], 0
.LBB31_1486:
	s_andn2_b64 vcc, exec, s[0:1]
	s_cbranch_vccnz .LBB31_1488
; %bb.1487:
	global_load_ushort v9, v[14:15], off
.LBB31_1488:
	s_mov_b64 s[0:1], 0
.LBB31_1489:
	s_andn2_b64 vcc, exec, s[0:1]
	s_cbranch_vccnz .LBB31_1495
; %bb.1490:
	s_cmp_gt_i32 s16, 0
	s_cbranch_scc0 .LBB31_1492
; %bb.1491:
	global_load_ubyte v9, v[14:15], off
	s_mov_b64 s[0:1], 0
	s_branch .LBB31_1493
.LBB31_1492:
	s_mov_b64 s[0:1], -1
                                        ; implicit-def: $vgpr9
.LBB31_1493:
	s_andn2_b64 vcc, exec, s[0:1]
	s_cbranch_vccnz .LBB31_1495
; %bb.1494:
	global_load_ubyte v9, v[14:15], off
.LBB31_1495:
.LBB31_1496:
	v_mov_b32_e32 v1, s11
	v_add_co_u32_e32 v14, vcc, s10, v7
	s_cmp_lt_i32 s16, 11
	v_addc_co_u32_e32 v15, vcc, 0, v1, vcc
	s_cbranch_scc1 .LBB31_1503
; %bb.1497:
	s_cmp_gt_i32 s16, 25
	s_mov_b64 s[2:3], 0
	s_cbranch_scc0 .LBB31_1504
; %bb.1498:
	s_cmp_gt_i32 s16, 28
	s_cbranch_scc0 .LBB31_1505
; %bb.1499:
	s_cmp_gt_i32 s16, 43
	;; [unrolled: 3-line block ×3, first 2 shown]
	s_cbranch_scc0 .LBB31_1508
; %bb.1501:
	s_cmp_eq_u32 s16, 46
	s_mov_b64 s[10:11], 0
	s_cbranch_scc0 .LBB31_1509
; %bb.1502:
	global_load_dword v1, v[14:15], off
	s_mov_b64 s[0:1], 0
	s_mov_b64 s[6:7], -1
	s_waitcnt vmcnt(0)
	v_lshlrev_b32_e32 v1, 16, v1
	v_cvt_i32_f32_e32 v7, v1
	s_branch .LBB31_1510
.LBB31_1503:
	s_mov_b64 s[0:1], -1
	s_mov_b64 s[6:7], 0
                                        ; implicit-def: $vgpr7
	s_branch .LBB31_1572
.LBB31_1504:
	s_mov_b64 s[10:11], -1
	s_mov_b64 s[6:7], 0
	s_mov_b64 s[0:1], 0
                                        ; implicit-def: $vgpr7
	s_branch .LBB31_1537
.LBB31_1505:
	s_mov_b64 s[10:11], -1
	s_mov_b64 s[6:7], 0
	s_mov_b64 s[0:1], 0
                                        ; implicit-def: $vgpr7
	s_branch .LBB31_1520
.LBB31_1506:
	s_mov_b64 s[10:11], -1
	s_mov_b64 s[6:7], 0
	s_mov_b64 s[0:1], 0
                                        ; implicit-def: $vgpr7
	s_branch .LBB31_1515
.LBB31_1507:
	s_trap 2
	s_or_b64 s[12:13], s[12:13], exec
	s_cbranch_execz .LBB31_1446
	s_branch .LBB31_1447
.LBB31_1508:
	s_mov_b64 s[10:11], -1
	s_mov_b64 s[6:7], 0
	s_mov_b64 s[0:1], 0
                                        ; implicit-def: $vgpr7
	s_branch .LBB31_1510
.LBB31_1509:
	s_mov_b64 s[0:1], -1
                                        ; implicit-def: $vgpr7
	s_mov_b64 s[6:7], 0
.LBB31_1510:
	s_and_b64 vcc, exec, s[10:11]
	s_cbranch_vccz .LBB31_1514
; %bb.1511:
	s_cmp_eq_u32 s16, 44
	s_cbranch_scc0 .LBB31_1513
; %bb.1512:
	global_load_ubyte v1, v[14:15], off
	s_mov_b64 s[0:1], 0
	s_mov_b64 s[6:7], -1
	s_waitcnt vmcnt(0)
	v_lshlrev_b32_e32 v3, 23, v1
	v_cvt_i32_f32_e32 v3, v3
	v_cmp_ne_u32_e32 vcc, 0, v1
	v_cndmask_b32_e32 v7, 0, v3, vcc
	s_branch .LBB31_1514
.LBB31_1513:
	s_mov_b64 s[0:1], -1
                                        ; implicit-def: $vgpr7
.LBB31_1514:
	s_mov_b64 s[10:11], 0
.LBB31_1515:
	s_and_b64 vcc, exec, s[10:11]
	s_cbranch_vccz .LBB31_1519
; %bb.1516:
	s_cmp_eq_u32 s16, 29
	s_cbranch_scc0 .LBB31_1518
; %bb.1517:
	global_load_dwordx2 v[7:8], v[14:15], off
	s_mov_b64 s[0:1], 0
	s_mov_b64 s[6:7], -1
	s_branch .LBB31_1519
.LBB31_1518:
	s_mov_b64 s[0:1], -1
                                        ; implicit-def: $vgpr7
.LBB31_1519:
	s_mov_b64 s[10:11], 0
.LBB31_1520:
	s_and_b64 vcc, exec, s[10:11]
	s_cbranch_vccz .LBB31_1536
; %bb.1521:
	s_cmp_lt_i32 s16, 27
	s_cbranch_scc1 .LBB31_1524
; %bb.1522:
	s_cmp_gt_i32 s16, 27
	s_cbranch_scc0 .LBB31_1525
; %bb.1523:
	global_load_dword v7, v[14:15], off
	s_mov_b64 s[6:7], 0
	s_branch .LBB31_1526
.LBB31_1524:
	s_mov_b64 s[6:7], -1
                                        ; implicit-def: $vgpr7
	s_branch .LBB31_1529
.LBB31_1525:
	s_mov_b64 s[6:7], -1
                                        ; implicit-def: $vgpr7
.LBB31_1526:
	s_andn2_b64 vcc, exec, s[6:7]
	s_cbranch_vccnz .LBB31_1528
; %bb.1527:
	global_load_ushort v7, v[14:15], off
.LBB31_1528:
	s_mov_b64 s[6:7], 0
.LBB31_1529:
	s_andn2_b64 vcc, exec, s[6:7]
	s_cbranch_vccnz .LBB31_1535
; %bb.1530:
	global_load_ubyte v1, v[14:15], off
	s_movk_i32 s6, 0x7f
	s_mov_b64 s[10:11], 0
	s_waitcnt vmcnt(0)
	v_cmp_lt_i16_e32 vcc, s6, v1
	s_and_saveexec_b64 s[6:7], vcc
	s_xor_b64 s[6:7], exec, s[6:7]
	s_cbranch_execz .LBB31_1547
; %bb.1531:
	s_movk_i32 s10, 0x80
	v_cmp_ne_u16_e32 vcc, s10, v1
	s_and_b64 s[10:11], vcc, exec
	s_andn2_saveexec_b64 s[6:7], s[6:7]
	s_cbranch_execnz .LBB31_1548
.LBB31_1532:
	s_or_b64 exec, exec, s[6:7]
	v_mov_b32_e32 v7, 0
	s_and_saveexec_b64 s[6:7], s[10:11]
	s_cbranch_execz .LBB31_1534
.LBB31_1533:
	v_lshlrev_b32_e32 v3, 24, v1
	v_and_b32_e32 v1, 0xffff, v1
	v_and_b32_e32 v5, 7, v1
	v_ffbh_u32_e32 v8, v5
	v_min_u32_e32 v8, 32, v8
	v_subrev_u32_e32 v10, 28, v8
	v_bfe_u32 v7, v1, 3, 4
	v_lshlrev_b32_e32 v1, v10, v1
	v_sub_u32_e32 v8, 29, v8
	v_and_b32_e32 v1, 7, v1
	v_cmp_eq_u32_e32 vcc, 0, v7
	v_cndmask_b32_e32 v7, v7, v8, vcc
	v_cndmask_b32_e32 v1, v5, v1, vcc
	v_mov_b32_e32 v5, 0x3b800000
	v_lshlrev_b32_e32 v1, 20, v1
	v_and_b32_e32 v3, 0x80000000, v3
	v_lshl_add_u32 v5, v7, 23, v5
	v_or3_b32 v1, v3, v5, v1
	v_cvt_i32_f32_e32 v7, v1
.LBB31_1534:
	s_or_b64 exec, exec, s[6:7]
.LBB31_1535:
	s_mov_b64 s[6:7], -1
.LBB31_1536:
	s_mov_b64 s[10:11], 0
.LBB31_1537:
	s_and_b64 vcc, exec, s[10:11]
	s_cbranch_vccz .LBB31_1568
; %bb.1538:
	s_cmp_gt_i32 s16, 22
	s_cbranch_scc0 .LBB31_1546
; %bb.1539:
	s_cmp_lt_i32 s16, 24
	s_cbranch_scc1 .LBB31_1549
; %bb.1540:
	s_cmp_gt_i32 s16, 24
	s_cbranch_scc0 .LBB31_1550
; %bb.1541:
	global_load_ubyte v1, v[14:15], off
	s_movk_i32 s2, 0x7f
	s_mov_b64 s[6:7], 0
	s_waitcnt vmcnt(0)
	v_cmp_lt_i16_e32 vcc, s2, v1
	s_and_saveexec_b64 s[2:3], vcc
	s_xor_b64 s[2:3], exec, s[2:3]
	s_cbranch_execz .LBB31_1562
; %bb.1542:
	s_movk_i32 s6, 0x80
	v_cmp_ne_u16_e32 vcc, s6, v1
	s_and_b64 s[6:7], vcc, exec
	s_andn2_saveexec_b64 s[2:3], s[2:3]
	s_cbranch_execnz .LBB31_1563
.LBB31_1543:
	s_or_b64 exec, exec, s[2:3]
	v_mov_b32_e32 v7, 0
	s_and_saveexec_b64 s[2:3], s[6:7]
	s_cbranch_execz .LBB31_1545
.LBB31_1544:
	v_lshlrev_b32_e32 v3, 24, v1
	v_and_b32_e32 v1, 0xffff, v1
	v_and_b32_e32 v5, 3, v1
	v_ffbh_u32_e32 v8, v5
	v_min_u32_e32 v8, 32, v8
	v_subrev_u32_e32 v10, 29, v8
	v_bfe_u32 v7, v1, 2, 5
	v_lshlrev_b32_e32 v1, v10, v1
	v_sub_u32_e32 v8, 30, v8
	v_and_b32_e32 v1, 3, v1
	v_cmp_eq_u32_e32 vcc, 0, v7
	v_cndmask_b32_e32 v7, v7, v8, vcc
	v_cndmask_b32_e32 v1, v5, v1, vcc
	v_mov_b32_e32 v5, 0x37800000
	v_lshlrev_b32_e32 v1, 21, v1
	v_and_b32_e32 v3, 0x80000000, v3
	v_lshl_add_u32 v5, v7, 23, v5
	v_or3_b32 v1, v3, v5, v1
	v_cvt_i32_f32_e32 v7, v1
.LBB31_1545:
	s_or_b64 exec, exec, s[2:3]
	s_mov_b64 s[2:3], 0
	s_branch .LBB31_1551
.LBB31_1546:
	s_mov_b64 s[2:3], -1
                                        ; implicit-def: $vgpr7
	s_branch .LBB31_1557
.LBB31_1547:
	s_andn2_saveexec_b64 s[6:7], s[6:7]
	s_cbranch_execz .LBB31_1532
.LBB31_1548:
	v_cmp_ne_u16_e32 vcc, 0, v1
	s_andn2_b64 s[10:11], s[10:11], exec
	s_and_b64 s[14:15], vcc, exec
	s_or_b64 s[10:11], s[10:11], s[14:15]
	s_or_b64 exec, exec, s[6:7]
	v_mov_b32_e32 v7, 0
	s_and_saveexec_b64 s[6:7], s[10:11]
	s_cbranch_execnz .LBB31_1533
	s_branch .LBB31_1534
.LBB31_1549:
	s_mov_b64 s[2:3], -1
                                        ; implicit-def: $vgpr7
	s_branch .LBB31_1554
.LBB31_1550:
	s_mov_b64 s[2:3], -1
                                        ; implicit-def: $vgpr7
.LBB31_1551:
	s_and_b64 vcc, exec, s[2:3]
	s_cbranch_vccz .LBB31_1553
; %bb.1552:
	global_load_ubyte v1, v[14:15], off
	s_mov_b32 s2, 0x7f800000
	s_waitcnt vmcnt(0)
	v_lshlrev_b32_e32 v1, 24, v1
	v_and_b32_e32 v3, 0x7f000000, v1
	v_ffbh_u32_e32 v5, v3
	v_min_u32_e32 v5, 32, v5
	v_sub_u32_e64 v5, v5, 4 clamp
	v_lshlrev_b32_e32 v8, v5, v3
	v_lshlrev_b32_e32 v5, 23, v5
	v_lshrrev_b32_e32 v8, 4, v8
	v_add_u32_e32 v7, 0x1000000, v3
	v_sub_u32_e32 v5, v8, v5
	v_ashrrev_i32_e32 v7, 8, v7
	v_add_u32_e32 v5, 0x3c000000, v5
	v_and_or_b32 v5, v7, s2, v5
	v_cmp_ne_u32_e32 vcc, 0, v3
	v_cndmask_b32_e32 v3, 0, v5, vcc
	s_brev_b32 s2, 1
	v_and_or_b32 v1, v1, s2, v3
	v_cvt_i32_f32_e32 v7, v1
.LBB31_1553:
	s_mov_b64 s[2:3], 0
.LBB31_1554:
	s_andn2_b64 vcc, exec, s[2:3]
	s_cbranch_vccnz .LBB31_1556
; %bb.1555:
	global_load_ubyte v1, v[14:15], off
	s_movk_i32 s2, 0x7f00
	s_brev_b32 s3, 16
	s_waitcnt vmcnt(0)
	v_lshlrev_b16_e32 v3, 8, v1
	v_lshlrev_b32_e32 v1, 25, v1
	v_lshrrev_b32_e32 v5, 4, v1
	v_and_or_b32 v7, v3, s2, 0.5
	v_or_b32_e32 v5, 0x70000000, v5
	v_add_f32_e32 v7, -0.5, v7
	v_mul_f32_e32 v5, 0x7800000, v5
	v_cmp_gt_u32_e32 vcc, s3, v1
	v_bfe_i32 v3, v3, 0, 16
	v_cndmask_b32_e32 v1, v5, v7, vcc
	s_brev_b32 s2, 1
	v_and_or_b32 v1, v3, s2, v1
	v_cvt_i32_f32_e32 v7, v1
.LBB31_1556:
	s_mov_b64 s[2:3], 0
	s_mov_b64 s[6:7], -1
.LBB31_1557:
	s_andn2_b64 vcc, exec, s[2:3]
	s_mov_b64 s[2:3], 0
	s_cbranch_vccnz .LBB31_1568
; %bb.1558:
	s_cmp_gt_i32 s16, 14
	s_cbranch_scc0 .LBB31_1561
; %bb.1559:
	s_cmp_eq_u32 s16, 15
	s_cbranch_scc0 .LBB31_1564
; %bb.1560:
	global_load_ushort v1, v[14:15], off
	s_mov_b64 s[0:1], 0
	s_mov_b64 s[6:7], -1
	s_waitcnt vmcnt(0)
	v_lshlrev_b32_e32 v1, 16, v1
	v_cvt_i32_f32_e32 v7, v1
	s_branch .LBB31_1565
.LBB31_1561:
	s_mov_b64 s[10:11], -1
                                        ; implicit-def: $vgpr7
	s_branch .LBB31_1566
.LBB31_1562:
	s_andn2_saveexec_b64 s[2:3], s[2:3]
	s_cbranch_execz .LBB31_1543
.LBB31_1563:
	v_cmp_ne_u16_e32 vcc, 0, v1
	s_andn2_b64 s[6:7], s[6:7], exec
	s_and_b64 s[10:11], vcc, exec
	s_or_b64 s[6:7], s[6:7], s[10:11]
	s_or_b64 exec, exec, s[2:3]
	v_mov_b32_e32 v7, 0
	s_and_saveexec_b64 s[2:3], s[6:7]
	s_cbranch_execnz .LBB31_1544
	s_branch .LBB31_1545
.LBB31_1564:
	s_mov_b64 s[0:1], -1
                                        ; implicit-def: $vgpr7
.LBB31_1565:
	s_mov_b64 s[10:11], 0
.LBB31_1566:
	s_and_b64 vcc, exec, s[10:11]
	s_cbranch_vccz .LBB31_1568
; %bb.1567:
	s_cmp_lg_u32 s16, 11
	s_mov_b64 s[2:3], -1
	s_cselect_b64 s[0:1], -1, 0
.LBB31_1568:
	s_and_b64 vcc, exec, s[0:1]
	s_cbranch_vccnz .LBB31_2101
; %bb.1569:
	s_andn2_b64 vcc, exec, s[2:3]
	s_cbranch_vccnz .LBB31_1571
.LBB31_1570:
	global_load_ubyte v1, v[14:15], off
	s_mov_b64 s[6:7], -1
	s_waitcnt vmcnt(0)
	v_cmp_ne_u16_e32 vcc, 0, v1
	v_cndmask_b32_e64 v7, 0, 1, vcc
.LBB31_1571:
	s_mov_b64 s[0:1], 0
.LBB31_1572:
	s_and_b64 vcc, exec, s[0:1]
	s_cbranch_vccz .LBB31_1621
; %bb.1573:
	s_cmp_lt_i32 s16, 5
	s_cbranch_scc1 .LBB31_1578
; %bb.1574:
	s_cmp_lt_i32 s16, 8
	s_cbranch_scc1 .LBB31_1579
	;; [unrolled: 3-line block ×3, first 2 shown]
; %bb.1576:
	s_cmp_gt_i32 s16, 9
	s_cbranch_scc0 .LBB31_1581
; %bb.1577:
	global_load_dwordx2 v[7:8], v[14:15], off
	s_mov_b64 s[0:1], 0
	s_waitcnt vmcnt(0)
	v_cvt_i32_f64_e32 v7, v[7:8]
	s_branch .LBB31_1582
.LBB31_1578:
	s_mov_b64 s[0:1], -1
                                        ; implicit-def: $vgpr7
	s_branch .LBB31_1600
.LBB31_1579:
	s_mov_b64 s[0:1], -1
                                        ; implicit-def: $vgpr7
	s_branch .LBB31_1588
.LBB31_1580:
	s_mov_b64 s[0:1], -1
                                        ; implicit-def: $vgpr7
	s_branch .LBB31_1585
.LBB31_1581:
	s_mov_b64 s[0:1], -1
                                        ; implicit-def: $vgpr7
.LBB31_1582:
	s_andn2_b64 vcc, exec, s[0:1]
	s_cbranch_vccnz .LBB31_1584
; %bb.1583:
	global_load_dword v1, v[14:15], off
	s_waitcnt vmcnt(0)
	v_cvt_i32_f32_e32 v7, v1
.LBB31_1584:
	s_mov_b64 s[0:1], 0
.LBB31_1585:
	s_andn2_b64 vcc, exec, s[0:1]
	s_cbranch_vccnz .LBB31_1587
; %bb.1586:
	global_load_dword v1, v[14:15], off
	s_waitcnt vmcnt(0)
	v_cvt_i16_f16_e32 v7, v1
.LBB31_1587:
	s_mov_b64 s[0:1], 0
.LBB31_1588:
	s_andn2_b64 vcc, exec, s[0:1]
	s_cbranch_vccnz .LBB31_1599
; %bb.1589:
	s_cmp_lt_i32 s16, 6
	s_cbranch_scc1 .LBB31_1592
; %bb.1590:
	s_cmp_gt_i32 s16, 6
	s_cbranch_scc0 .LBB31_1593
; %bb.1591:
	global_load_dwordx2 v[7:8], v[14:15], off
	s_mov_b64 s[0:1], 0
	s_waitcnt vmcnt(0)
	v_cvt_i32_f64_e32 v7, v[7:8]
	s_branch .LBB31_1594
.LBB31_1592:
	s_mov_b64 s[0:1], -1
                                        ; implicit-def: $vgpr7
	s_branch .LBB31_1597
.LBB31_1593:
	s_mov_b64 s[0:1], -1
                                        ; implicit-def: $vgpr7
.LBB31_1594:
	s_andn2_b64 vcc, exec, s[0:1]
	s_cbranch_vccnz .LBB31_1596
; %bb.1595:
	global_load_dword v1, v[14:15], off
	s_waitcnt vmcnt(0)
	v_cvt_i32_f32_e32 v7, v1
.LBB31_1596:
	s_mov_b64 s[0:1], 0
.LBB31_1597:
	s_andn2_b64 vcc, exec, s[0:1]
	s_cbranch_vccnz .LBB31_1599
; %bb.1598:
	global_load_ushort v1, v[14:15], off
	s_waitcnt vmcnt(0)
	v_cvt_i16_f16_e32 v7, v1
.LBB31_1599:
	s_mov_b64 s[0:1], 0
.LBB31_1600:
	s_andn2_b64 vcc, exec, s[0:1]
	s_cbranch_vccnz .LBB31_1620
; %bb.1601:
	s_cmp_lt_i32 s16, 2
	s_cbranch_scc1 .LBB31_1605
; %bb.1602:
	s_cmp_lt_i32 s16, 3
	s_cbranch_scc1 .LBB31_1606
; %bb.1603:
	s_cmp_gt_i32 s16, 3
	s_cbranch_scc0 .LBB31_1607
; %bb.1604:
	global_load_dwordx2 v[7:8], v[14:15], off
	s_mov_b64 s[0:1], 0
	s_branch .LBB31_1608
.LBB31_1605:
	s_mov_b64 s[0:1], -1
                                        ; implicit-def: $vgpr7
	s_branch .LBB31_1614
.LBB31_1606:
	s_mov_b64 s[0:1], -1
                                        ; implicit-def: $vgpr7
	s_branch .LBB31_1611
.LBB31_1607:
	s_mov_b64 s[0:1], -1
                                        ; implicit-def: $vgpr7
.LBB31_1608:
	s_andn2_b64 vcc, exec, s[0:1]
	s_cbranch_vccnz .LBB31_1610
; %bb.1609:
	global_load_dword v7, v[14:15], off
.LBB31_1610:
	s_mov_b64 s[0:1], 0
.LBB31_1611:
	s_andn2_b64 vcc, exec, s[0:1]
	s_cbranch_vccnz .LBB31_1613
; %bb.1612:
	global_load_ushort v7, v[14:15], off
.LBB31_1613:
	s_mov_b64 s[0:1], 0
.LBB31_1614:
	s_andn2_b64 vcc, exec, s[0:1]
	s_cbranch_vccnz .LBB31_1620
; %bb.1615:
	s_cmp_gt_i32 s16, 0
	s_cbranch_scc0 .LBB31_1617
; %bb.1616:
	global_load_ubyte v7, v[14:15], off
	s_mov_b64 s[0:1], 0
	s_branch .LBB31_1618
.LBB31_1617:
	s_mov_b64 s[0:1], -1
                                        ; implicit-def: $vgpr7
.LBB31_1618:
	s_andn2_b64 vcc, exec, s[0:1]
	s_cbranch_vccnz .LBB31_1620
; %bb.1619:
	global_load_ubyte v7, v[14:15], off
.LBB31_1620:
	s_mov_b64 s[6:7], -1
.LBB31_1621:
	s_andn2_b64 vcc, exec, s[6:7]
	s_cbranch_vccnz .LBB31_2055
; %bb.1622:
	s_load_dword s0, s[34:35], 0x158
	s_load_dword s2, s[4:5], 0x160
	v_mov_b32_e32 v3, s9
	v_add_co_u32_e32 v5, vcc, s8, v6
	s_waitcnt lgkmcnt(0)
	s_lshr_b32 s1, s0, 16
	s_lshr_b32 s17, s0, 8
	s_bfe_i32 s0, s0, 0x80000
	s_bfe_i32 s1, s1, 0x80000
	s_sext_i32_i16 s0, s0
	s_sext_i32_i16 s1, s1
	s_cmp_gt_i32 s1, s0
	v_mov_b32_e32 v1, s17
	s_cselect_b64 s[0:1], -1, 0
	s_lshr_b32 s16, s2, 24
	v_cndmask_b32_e64 v1, v1, v13, s[0:1]
	s_cmp_lt_i32 s16, 11
	v_addc_co_u32_e32 v6, vcc, 0, v3, vcc
	s_cbranch_scc1 .LBB31_1700
; %bb.1623:
	s_and_b32 s18, 0xffff, s16
	s_mov_b64 s[10:11], -1
	s_mov_b64 s[4:5], 0
	s_cmp_gt_i32 s18, 25
	s_mov_b64 s[6:7], 0
	s_mov_b64 s[2:3], 0
	s_cbranch_scc0 .LBB31_1656
; %bb.1624:
	s_cmp_gt_i32 s18, 28
	s_cbranch_scc0 .LBB31_1639
; %bb.1625:
	s_cmp_gt_i32 s18, 43
	;; [unrolled: 3-line block ×3, first 2 shown]
	s_cbranch_scc0 .LBB31_1629
; %bb.1627:
	s_mov_b64 s[2:3], -1
	s_mov_b64 s[10:11], 0
	s_cmp_eq_u32 s18, 46
	s_cbranch_scc0 .LBB31_1629
; %bb.1628:
	v_bfe_i32 v3, v1, 0, 8
	v_cvt_f32_i32_sdwa v3, sext(v3) dst_sel:DWORD dst_unused:UNUSED_PAD src0_sel:WORD_0
	s_movk_i32 s6, 0x7fff
	s_mov_b64 s[2:3], 0
	s_waitcnt vmcnt(0)
	v_bfe_u32 v8, v3, 16, 1
	v_add3_u32 v3, v3, v8, s6
	v_lshrrev_b32_e32 v3, 16, v3
	global_store_dword v[5:6], v3, off
	s_mov_b64 s[6:7], -1
.LBB31_1629:
	s_and_b64 vcc, exec, s[10:11]
	s_cbranch_vccz .LBB31_1634
; %bb.1630:
	s_cmp_eq_u32 s18, 44
	s_mov_b64 s[2:3], -1
	s_cbranch_scc0 .LBB31_1634
; %bb.1631:
	v_bfe_i32 v3, v1, 0, 8
	v_cvt_f32_i32_sdwa v3, sext(v3) dst_sel:DWORD dst_unused:UNUSED_PAD src0_sel:WORD_0
	s_movk_i32 s2, 0xff
	s_waitcnt vmcnt(0)
	v_mov_b32_e32 v10, 0xff
	v_bfe_u32 v8, v3, 23, 8
	v_cmp_ne_u32_e32 vcc, s2, v8
	s_and_saveexec_b64 s[6:7], vcc
; %bb.1632:
	s_mov_b32 s2, 0x3fffff
	v_lshrrev_b32_e32 v10, 23, v3
	v_and_b32_e32 v12, 0x400000, v3
	v_and_or_b32 v3, v3, s2, v8
	v_cmp_ne_u32_e32 vcc, 0, v12
	v_cmp_ne_u32_e64 s[2:3], 0, v3
	s_and_b64 s[2:3], vcc, s[2:3]
	v_cndmask_b32_e64 v3, 0, 1, s[2:3]
	v_add_u32_e32 v10, v10, v3
; %bb.1633:
	s_or_b64 exec, exec, s[6:7]
	s_mov_b64 s[2:3], 0
	s_mov_b64 s[6:7], -1
	global_store_byte v[5:6], v10, off
.LBB31_1634:
	s_mov_b64 s[10:11], 0
.LBB31_1635:
	s_and_b64 vcc, exec, s[10:11]
	s_cbranch_vccz .LBB31_1638
; %bb.1636:
	s_cmp_eq_u32 s18, 29
	s_mov_b64 s[2:3], -1
	s_cbranch_scc0 .LBB31_1638
; %bb.1637:
	s_waitcnt vmcnt(0)
	v_bfe_i32 v12, v1, 0, 8
	v_ashrrev_i32_e32 v13, 31, v12
	global_store_dwordx2 v[5:6], v[12:13], off
	s_mov_b64 s[2:3], 0
	s_mov_b64 s[6:7], -1
.LBB31_1638:
	s_mov_b64 s[10:11], 0
.LBB31_1639:
	s_and_b64 vcc, exec, s[10:11]
	s_cbranch_vccz .LBB31_1655
; %bb.1640:
	s_cmp_lt_i32 s18, 27
	s_mov_b64 s[6:7], -1
	s_cbranch_scc1 .LBB31_1646
; %bb.1641:
	s_cmp_gt_i32 s18, 27
	s_cbranch_scc0 .LBB31_1643
; %bb.1642:
	v_bfe_i32 v3, v1, 0, 8
	s_mov_b64 s[6:7], 0
	global_store_dword v[5:6], v3, off
.LBB31_1643:
	s_andn2_b64 vcc, exec, s[6:7]
	s_cbranch_vccnz .LBB31_1645
; %bb.1644:
	v_bfe_i32 v3, v1, 0, 8
	global_store_short v[5:6], v3, off
.LBB31_1645:
	s_mov_b64 s[6:7], 0
.LBB31_1646:
	s_andn2_b64 vcc, exec, s[6:7]
	s_cbranch_vccnz .LBB31_1654
; %bb.1647:
	v_bfe_i32 v3, v1, 0, 8
	v_cvt_f32_i32_sdwa v3, sext(v3) dst_sel:DWORD dst_unused:UNUSED_PAD src0_sel:WORD_0
	s_mov_b32 s6, 0x43800000
	s_waitcnt vmcnt(0)
	v_mov_b32_e32 v10, 0x80
	v_and_b32_e32 v8, 0x7fffffff, v3
	v_cmp_gt_u32_e32 vcc, s6, v8
	s_and_saveexec_b64 s[6:7], vcc
	s_cbranch_execz .LBB31_1653
; %bb.1648:
	s_mov_b32 s10, 0x3bffffff
	v_cmp_lt_u32_e32 vcc, s10, v8
	s_mov_b64 s[10:11], 0
                                        ; implicit-def: $vgpr8
	s_and_saveexec_b64 s[14:15], vcc
	s_xor_b64 s[14:15], exec, s[14:15]
	s_cbranch_execz .LBB31_2102
; %bb.1649:
	v_bfe_u32 v8, v3, 20, 1
	s_mov_b32 s19, 0x487ffff
	v_add3_u32 v8, v3, v8, s19
	s_mov_b64 s[10:11], exec
	v_lshrrev_b32_e32 v8, 20, v8
	s_andn2_saveexec_b64 s[14:15], s[14:15]
	s_cbranch_execnz .LBB31_2103
.LBB31_1650:
	s_or_b64 exec, exec, s[14:15]
	v_mov_b32_e32 v10, 0
	s_and_saveexec_b64 s[14:15], s[10:11]
.LBB31_1651:
	v_lshrrev_b32_e32 v3, 24, v3
	s_movk_i32 s10, 0x80
	v_and_or_b32 v10, v3, s10, v8
.LBB31_1652:
	s_or_b64 exec, exec, s[14:15]
.LBB31_1653:
	s_or_b64 exec, exec, s[6:7]
	global_store_byte v[5:6], v10, off
.LBB31_1654:
	s_mov_b64 s[6:7], -1
.LBB31_1655:
	s_mov_b64 s[10:11], 0
.LBB31_1656:
	s_and_b64 vcc, exec, s[10:11]
	s_cbranch_vccz .LBB31_1696
; %bb.1657:
	s_cmp_gt_i32 s18, 22
	s_mov_b64 s[4:5], -1
	s_cbranch_scc0 .LBB31_1689
; %bb.1658:
	s_cmp_lt_i32 s18, 24
	s_cbranch_scc1 .LBB31_1678
; %bb.1659:
	s_cmp_gt_i32 s18, 24
	s_cbranch_scc0 .LBB31_1667
; %bb.1660:
	v_bfe_i32 v3, v1, 0, 8
	v_cvt_f32_i32_sdwa v3, sext(v3) dst_sel:DWORD dst_unused:UNUSED_PAD src0_sel:WORD_0
	s_mov_b32 s4, 0x47800000
	s_waitcnt vmcnt(0)
	v_mov_b32_e32 v10, 0x80
	v_and_b32_e32 v8, 0x7fffffff, v3
	v_cmp_gt_u32_e32 vcc, s4, v8
	s_and_saveexec_b64 s[4:5], vcc
	s_cbranch_execz .LBB31_1666
; %bb.1661:
	s_mov_b32 s6, 0x37ffffff
	v_cmp_lt_u32_e32 vcc, s6, v8
	s_mov_b64 s[6:7], 0
                                        ; implicit-def: $vgpr8
	s_and_saveexec_b64 s[10:11], vcc
	s_xor_b64 s[10:11], exec, s[10:11]
	s_cbranch_execz .LBB31_2105
; %bb.1662:
	v_bfe_u32 v8, v3, 21, 1
	s_mov_b32 s14, 0x88fffff
	v_add3_u32 v8, v3, v8, s14
	s_mov_b64 s[6:7], exec
	v_lshrrev_b32_e32 v8, 21, v8
	s_andn2_saveexec_b64 s[10:11], s[10:11]
	s_cbranch_execnz .LBB31_2106
.LBB31_1663:
	s_or_b64 exec, exec, s[10:11]
	v_mov_b32_e32 v10, 0
	s_and_saveexec_b64 s[10:11], s[6:7]
.LBB31_1664:
	v_lshrrev_b32_e32 v3, 24, v3
	s_movk_i32 s6, 0x80
	v_and_or_b32 v10, v3, s6, v8
.LBB31_1665:
	s_or_b64 exec, exec, s[10:11]
.LBB31_1666:
	s_or_b64 exec, exec, s[4:5]
	s_mov_b64 s[4:5], 0
	global_store_byte v[5:6], v10, off
.LBB31_1667:
	s_and_b64 vcc, exec, s[4:5]
	s_cbranch_vccz .LBB31_1677
; %bb.1668:
	v_bfe_i32 v3, v1, 0, 8
	v_cvt_f32_i32_sdwa v3, sext(v3) dst_sel:DWORD dst_unused:UNUSED_PAD src0_sel:WORD_0
	s_mov_b32 s4, 0x43f00000
                                        ; implicit-def: $vgpr8
	s_waitcnt vmcnt(0)
	v_and_b32_e32 v10, 0x7fffffff, v3
	v_cmp_gt_u32_e32 vcc, s4, v10
	s_and_saveexec_b64 s[4:5], vcc
	s_xor_b64 s[4:5], exec, s[4:5]
	s_cbranch_execz .LBB31_1674
; %bb.1669:
	s_mov_b32 s6, 0x3c7fffff
	v_cmp_lt_u32_e32 vcc, s6, v10
                                        ; implicit-def: $vgpr8
	s_and_saveexec_b64 s[6:7], vcc
	s_xor_b64 s[6:7], exec, s[6:7]
; %bb.1670:
	v_bfe_u32 v8, v3, 20, 1
	s_mov_b32 s10, 0x407ffff
	v_add3_u32 v8, v3, v8, s10
	v_lshrrev_b32_e32 v10, 20, v8
	v_and_b32_e32 v8, 0xff00000, v8
	s_mov_b32 s10, 0x7f00000
	v_mov_b32_e32 v12, 0x7e
	v_cmp_ne_u32_e32 vcc, s10, v8
	v_cndmask_b32_e32 v8, v12, v10, vcc
; %bb.1671:
	s_andn2_saveexec_b64 s[6:7], s[6:7]
; %bb.1672:
	s_mov_b32 s10, 0x46800000
	v_add_f32_e64 v8, |v3|, s10
; %bb.1673:
	s_or_b64 exec, exec, s[6:7]
                                        ; implicit-def: $vgpr10
.LBB31_1674:
	s_andn2_saveexec_b64 s[4:5], s[4:5]
; %bb.1675:
	s_mov_b32 s6, 0x7f800000
	v_mov_b32_e32 v8, 0x7e
	v_mov_b32_e32 v12, 0x7f
	v_cmp_lt_u32_e32 vcc, s6, v10
	v_cndmask_b32_e32 v8, v8, v12, vcc
; %bb.1676:
	s_or_b64 exec, exec, s[4:5]
	v_lshrrev_b32_e32 v3, 24, v3
	s_movk_i32 s4, 0x80
	v_and_or_b32 v3, v3, s4, v8
	global_store_byte v[5:6], v3, off
.LBB31_1677:
	s_mov_b64 s[4:5], 0
.LBB31_1678:
	s_andn2_b64 vcc, exec, s[4:5]
	s_cbranch_vccnz .LBB31_1688
; %bb.1679:
	v_bfe_i32 v3, v1, 0, 8
	v_cvt_f32_i32_sdwa v3, sext(v3) dst_sel:DWORD dst_unused:UNUSED_PAD src0_sel:WORD_0
	s_mov_b32 s4, 0x47800000
                                        ; implicit-def: $vgpr8
	s_waitcnt vmcnt(0)
	v_and_b32_e32 v10, 0x7fffffff, v3
	v_cmp_gt_u32_e32 vcc, s4, v10
	s_and_saveexec_b64 s[4:5], vcc
	s_xor_b64 s[4:5], exec, s[4:5]
	s_cbranch_execz .LBB31_1685
; %bb.1680:
	s_mov_b32 s6, 0x387fffff
	v_cmp_lt_u32_e32 vcc, s6, v10
                                        ; implicit-def: $vgpr8
	s_and_saveexec_b64 s[6:7], vcc
	s_xor_b64 s[6:7], exec, s[6:7]
; %bb.1681:
	v_bfe_u32 v8, v3, 21, 1
	s_mov_b32 s10, 0x80fffff
	v_add3_u32 v8, v3, v8, s10
	v_lshrrev_b32_e32 v8, 21, v8
; %bb.1682:
	s_andn2_saveexec_b64 s[6:7], s[6:7]
; %bb.1683:
	s_mov_b32 s10, 0x43000000
	v_add_f32_e64 v8, |v3|, s10
; %bb.1684:
	s_or_b64 exec, exec, s[6:7]
                                        ; implicit-def: $vgpr10
.LBB31_1685:
	s_andn2_saveexec_b64 s[4:5], s[4:5]
; %bb.1686:
	s_mov_b32 s6, 0x7f800000
	v_mov_b32_e32 v8, 0x7c
	v_mov_b32_e32 v12, 0x7f
	v_cmp_lt_u32_e32 vcc, s6, v10
	v_cndmask_b32_e32 v8, v8, v12, vcc
; %bb.1687:
	s_or_b64 exec, exec, s[4:5]
	v_lshrrev_b32_e32 v3, 24, v3
	s_movk_i32 s4, 0x80
	v_and_or_b32 v3, v3, s4, v8
	global_store_byte v[5:6], v3, off
.LBB31_1688:
	s_mov_b64 s[4:5], 0
	s_mov_b64 s[6:7], -1
.LBB31_1689:
	s_andn2_b64 vcc, exec, s[4:5]
	s_mov_b64 s[4:5], 0
	s_cbranch_vccnz .LBB31_1696
; %bb.1690:
	s_cmp_gt_i32 s18, 14
	s_mov_b64 s[10:11], -1
	s_cbranch_scc0 .LBB31_1694
; %bb.1691:
	s_cmp_eq_u32 s18, 15
	s_mov_b64 s[2:3], -1
	s_cbranch_scc0 .LBB31_1693
; %bb.1692:
	v_bfe_i32 v3, v1, 0, 8
	v_cvt_f32_i32_sdwa v3, sext(v3) dst_sel:DWORD dst_unused:UNUSED_PAD src0_sel:WORD_0
	s_movk_i32 s4, 0x7fff
	s_mov_b64 s[2:3], 0
	s_mov_b64 s[6:7], -1
	s_waitcnt vmcnt(0)
	v_bfe_u32 v8, v3, 16, 1
	v_add3_u32 v3, v3, v8, s4
	global_store_short_d16_hi v[5:6], v3, off
.LBB31_1693:
	s_mov_b64 s[10:11], 0
.LBB31_1694:
	s_mov_b64 s[4:5], 0
	s_and_b64 vcc, exec, s[10:11]
	s_cbranch_vccz .LBB31_1696
; %bb.1695:
	s_cmp_lg_u32 s18, 11
	s_mov_b64 s[4:5], -1
	s_cselect_b64 s[2:3], -1, 0
.LBB31_1696:
	s_and_b64 vcc, exec, s[2:3]
	s_cbranch_vccnz .LBB31_2104
; %bb.1697:
	s_andn2_b64 vcc, exec, s[4:5]
	s_cbranch_vccnz .LBB31_1699
.LBB31_1698:
	v_mov_b32_e32 v3, 0
	v_cmp_ne_u16_sdwa s[2:3], v1, v3 src0_sel:BYTE_0 src1_sel:DWORD
	v_cndmask_b32_e64 v3, 0, 1, s[2:3]
	s_mov_b64 s[6:7], -1
	global_store_byte v[5:6], v3, off
.LBB31_1699:
	s_mov_b64 s[2:3], 0
	s_branch .LBB31_1701
.LBB31_1700:
	s_mov_b64 s[2:3], -1
	s_mov_b64 s[6:7], 0
.LBB31_1701:
	s_and_b64 vcc, exec, s[2:3]
	s_cbranch_vccz .LBB31_1740
; %bb.1702:
	s_and_b32 s4, 0xffff, s16
	s_cmp_lt_i32 s4, 5
	s_mov_b64 s[2:3], -1
	s_cbranch_scc1 .LBB31_1723
; %bb.1703:
	s_cmp_lt_i32 s4, 8
	s_cbranch_scc1 .LBB31_1713
; %bb.1704:
	s_cmp_lt_i32 s4, 9
	s_cbranch_scc1 .LBB31_1710
; %bb.1705:
	s_cmp_gt_i32 s4, 9
	s_cbranch_scc0 .LBB31_1707
; %bb.1706:
	v_bfe_i32 v3, v1, 0, 8
	v_bfe_i32 v3, v3, 0, 16
	s_waitcnt vmcnt(0)
	v_cvt_f64_i32_e32 v[12:13], v3
	v_mov_b32_e32 v14, 0
	v_mov_b32_e32 v15, v14
	s_mov_b64 s[2:3], 0
	global_store_dwordx4 v[5:6], v[12:15], off
.LBB31_1707:
	s_andn2_b64 vcc, exec, s[2:3]
	s_cbranch_vccnz .LBB31_1709
; %bb.1708:
	v_bfe_i32 v3, v1, 0, 8
	s_waitcnt vmcnt(0)
	v_cvt_f32_i32_sdwa v12, sext(v3) dst_sel:DWORD dst_unused:UNUSED_PAD src0_sel:WORD_0
	v_mov_b32_e32 v13, 0
	global_store_dwordx2 v[5:6], v[12:13], off
.LBB31_1709:
	s_mov_b64 s[2:3], 0
.LBB31_1710:
	s_andn2_b64 vcc, exec, s[2:3]
	s_cbranch_vccnz .LBB31_1712
; %bb.1711:
	v_cvt_f16_i16_sdwa v3, sext(v1) dst_sel:DWORD dst_unused:UNUSED_PAD src0_sel:BYTE_0
	global_store_dword v[5:6], v3, off
.LBB31_1712:
	s_mov_b64 s[2:3], 0
.LBB31_1713:
	s_andn2_b64 vcc, exec, s[2:3]
	s_cbranch_vccnz .LBB31_1722
; %bb.1714:
	s_cmp_lt_i32 s4, 6
	s_mov_b64 s[2:3], -1
	s_cbranch_scc1 .LBB31_1720
; %bb.1715:
	s_cmp_gt_i32 s4, 6
	s_cbranch_scc0 .LBB31_1717
; %bb.1716:
	v_bfe_i32 v3, v1, 0, 8
	v_bfe_i32 v3, v3, 0, 16
	s_waitcnt vmcnt(0)
	v_cvt_f64_i32_e32 v[12:13], v3
	s_mov_b64 s[2:3], 0
	global_store_dwordx2 v[5:6], v[12:13], off
.LBB31_1717:
	s_andn2_b64 vcc, exec, s[2:3]
	s_cbranch_vccnz .LBB31_1719
; %bb.1718:
	v_bfe_i32 v3, v1, 0, 8
	v_cvt_f32_i32_sdwa v3, sext(v3) dst_sel:DWORD dst_unused:UNUSED_PAD src0_sel:WORD_0
	global_store_dword v[5:6], v3, off
.LBB31_1719:
	s_mov_b64 s[2:3], 0
.LBB31_1720:
	s_andn2_b64 vcc, exec, s[2:3]
	s_cbranch_vccnz .LBB31_1722
; %bb.1721:
	v_cvt_f16_i16_sdwa v3, sext(v1) dst_sel:DWORD dst_unused:UNUSED_PAD src0_sel:BYTE_0
	global_store_short v[5:6], v3, off
.LBB31_1722:
	s_mov_b64 s[2:3], 0
.LBB31_1723:
	s_andn2_b64 vcc, exec, s[2:3]
	s_cbranch_vccnz .LBB31_1739
; %bb.1724:
	s_cmp_lt_i32 s4, 2
	s_mov_b64 s[2:3], -1
	s_cbranch_scc1 .LBB31_1734
; %bb.1725:
	s_cmp_lt_i32 s4, 3
	s_cbranch_scc1 .LBB31_1731
; %bb.1726:
	s_cmp_gt_i32 s4, 3
	s_cbranch_scc0 .LBB31_1728
; %bb.1727:
	s_waitcnt vmcnt(0)
	v_bfe_i32 v12, v1, 0, 8
	v_ashrrev_i32_e32 v13, 31, v12
	global_store_dwordx2 v[5:6], v[12:13], off
	s_mov_b64 s[2:3], 0
.LBB31_1728:
	s_andn2_b64 vcc, exec, s[2:3]
	s_cbranch_vccnz .LBB31_1730
; %bb.1729:
	v_bfe_i32 v3, v1, 0, 8
	global_store_dword v[5:6], v3, off
.LBB31_1730:
	s_mov_b64 s[2:3], 0
.LBB31_1731:
	s_andn2_b64 vcc, exec, s[2:3]
	s_cbranch_vccnz .LBB31_1733
; %bb.1732:
	v_bfe_i32 v3, v1, 0, 8
	global_store_short v[5:6], v3, off
.LBB31_1733:
	s_mov_b64 s[2:3], 0
.LBB31_1734:
	s_andn2_b64 vcc, exec, s[2:3]
	s_cbranch_vccnz .LBB31_1739
; %bb.1735:
	s_cmp_gt_i32 s4, 0
	s_mov_b64 s[2:3], -1
	s_cbranch_scc0 .LBB31_1737
; %bb.1736:
	global_store_byte v[5:6], v1, off
	s_mov_b64 s[2:3], 0
.LBB31_1737:
	s_andn2_b64 vcc, exec, s[2:3]
	s_cbranch_vccnz .LBB31_1739
; %bb.1738:
	global_store_byte v[5:6], v1, off
.LBB31_1739:
	s_mov_b64 s[6:7], -1
.LBB31_1740:
	s_andn2_b64 vcc, exec, s[6:7]
	s_cbranch_vccnz .LBB31_2055
; %bb.1741:
	v_mov_b32_e32 v1, s17
	v_mov_b32_e32 v5, s9
	s_and_b32 s18, 0xffff, s16
	v_add_co_u32_e32 v3, vcc, s8, v4
	s_waitcnt vmcnt(0)
	v_cndmask_b32_e64 v1, v1, v11, s[0:1]
	s_cmp_lt_i32 s18, 11
	v_addc_co_u32_e32 v4, vcc, 0, v5, vcc
	s_cbranch_scc1 .LBB31_1819
; %bb.1742:
	s_mov_b64 s[10:11], -1
	s_mov_b64 s[4:5], 0
	s_cmp_gt_i32 s18, 25
	s_mov_b64 s[6:7], 0
	s_mov_b64 s[2:3], 0
	s_cbranch_scc0 .LBB31_1775
; %bb.1743:
	s_cmp_gt_i32 s18, 28
	s_cbranch_scc0 .LBB31_1758
; %bb.1744:
	s_cmp_gt_i32 s18, 43
	;; [unrolled: 3-line block ×3, first 2 shown]
	s_cbranch_scc0 .LBB31_1748
; %bb.1746:
	s_mov_b64 s[2:3], -1
	s_mov_b64 s[10:11], 0
	s_cmp_eq_u32 s18, 46
	s_cbranch_scc0 .LBB31_1748
; %bb.1747:
	v_bfe_i32 v5, v1, 0, 8
	v_cvt_f32_i32_sdwa v5, sext(v5) dst_sel:DWORD dst_unused:UNUSED_PAD src0_sel:WORD_0
	s_movk_i32 s6, 0x7fff
	s_mov_b64 s[2:3], 0
	v_bfe_u32 v6, v5, 16, 1
	v_add3_u32 v5, v5, v6, s6
	v_lshrrev_b32_e32 v5, 16, v5
	global_store_dword v[3:4], v5, off
	s_mov_b64 s[6:7], -1
.LBB31_1748:
	s_and_b64 vcc, exec, s[10:11]
	s_cbranch_vccz .LBB31_1753
; %bb.1749:
	s_cmp_eq_u32 s18, 44
	s_mov_b64 s[2:3], -1
	s_cbranch_scc0 .LBB31_1753
; %bb.1750:
	v_bfe_i32 v5, v1, 0, 8
	v_cvt_f32_i32_sdwa v5, sext(v5) dst_sel:DWORD dst_unused:UNUSED_PAD src0_sel:WORD_0
	s_movk_i32 s2, 0xff
	v_mov_b32_e32 v8, 0xff
	v_bfe_u32 v6, v5, 23, 8
	v_cmp_ne_u32_e32 vcc, s2, v6
	s_and_saveexec_b64 s[6:7], vcc
; %bb.1751:
	s_mov_b32 s2, 0x3fffff
	v_lshrrev_b32_e32 v8, 23, v5
	v_and_b32_e32 v10, 0x400000, v5
	v_and_or_b32 v5, v5, s2, v6
	v_cmp_ne_u32_e32 vcc, 0, v10
	v_cmp_ne_u32_e64 s[2:3], 0, v5
	s_and_b64 s[2:3], vcc, s[2:3]
	v_cndmask_b32_e64 v5, 0, 1, s[2:3]
	v_add_u32_e32 v8, v8, v5
; %bb.1752:
	s_or_b64 exec, exec, s[6:7]
	s_mov_b64 s[2:3], 0
	s_mov_b64 s[6:7], -1
	global_store_byte v[3:4], v8, off
.LBB31_1753:
	s_mov_b64 s[10:11], 0
.LBB31_1754:
	s_and_b64 vcc, exec, s[10:11]
	s_cbranch_vccz .LBB31_1757
; %bb.1755:
	s_cmp_eq_u32 s18, 29
	s_mov_b64 s[2:3], -1
	s_cbranch_scc0 .LBB31_1757
; %bb.1756:
	v_bfe_i32 v5, v1, 0, 8
	v_ashrrev_i32_e32 v6, 31, v5
	global_store_dwordx2 v[3:4], v[5:6], off
	s_mov_b64 s[2:3], 0
	s_mov_b64 s[6:7], -1
.LBB31_1757:
	s_mov_b64 s[10:11], 0
.LBB31_1758:
	s_and_b64 vcc, exec, s[10:11]
	s_cbranch_vccz .LBB31_1774
; %bb.1759:
	s_cmp_lt_i32 s18, 27
	s_mov_b64 s[6:7], -1
	s_cbranch_scc1 .LBB31_1765
; %bb.1760:
	s_cmp_gt_i32 s18, 27
	s_cbranch_scc0 .LBB31_1762
; %bb.1761:
	v_bfe_i32 v5, v1, 0, 8
	s_mov_b64 s[6:7], 0
	global_store_dword v[3:4], v5, off
.LBB31_1762:
	s_andn2_b64 vcc, exec, s[6:7]
	s_cbranch_vccnz .LBB31_1764
; %bb.1763:
	v_bfe_i32 v5, v1, 0, 8
	global_store_short v[3:4], v5, off
.LBB31_1764:
	s_mov_b64 s[6:7], 0
.LBB31_1765:
	s_andn2_b64 vcc, exec, s[6:7]
	s_cbranch_vccnz .LBB31_1773
; %bb.1766:
	v_bfe_i32 v5, v1, 0, 8
	v_cvt_f32_i32_sdwa v5, sext(v5) dst_sel:DWORD dst_unused:UNUSED_PAD src0_sel:WORD_0
	s_mov_b32 s6, 0x43800000
	v_mov_b32_e32 v8, 0x80
	v_and_b32_e32 v6, 0x7fffffff, v5
	v_cmp_gt_u32_e32 vcc, s6, v6
	s_and_saveexec_b64 s[6:7], vcc
	s_cbranch_execz .LBB31_1772
; %bb.1767:
	s_mov_b32 s10, 0x3bffffff
	v_cmp_lt_u32_e32 vcc, s10, v6
	s_mov_b64 s[10:11], 0
                                        ; implicit-def: $vgpr6
	s_and_saveexec_b64 s[14:15], vcc
	s_xor_b64 s[14:15], exec, s[14:15]
	s_cbranch_execz .LBB31_2107
; %bb.1768:
	v_bfe_u32 v6, v5, 20, 1
	s_mov_b32 s19, 0x487ffff
	v_add3_u32 v6, v5, v6, s19
	s_mov_b64 s[10:11], exec
	v_lshrrev_b32_e32 v6, 20, v6
	s_andn2_saveexec_b64 s[14:15], s[14:15]
	s_cbranch_execnz .LBB31_2108
.LBB31_1769:
	s_or_b64 exec, exec, s[14:15]
	v_mov_b32_e32 v8, 0
	s_and_saveexec_b64 s[14:15], s[10:11]
.LBB31_1770:
	v_lshrrev_b32_e32 v5, 24, v5
	s_movk_i32 s10, 0x80
	v_and_or_b32 v8, v5, s10, v6
.LBB31_1771:
	s_or_b64 exec, exec, s[14:15]
.LBB31_1772:
	s_or_b64 exec, exec, s[6:7]
	global_store_byte v[3:4], v8, off
.LBB31_1773:
	s_mov_b64 s[6:7], -1
.LBB31_1774:
	s_mov_b64 s[10:11], 0
.LBB31_1775:
	s_and_b64 vcc, exec, s[10:11]
	s_cbranch_vccz .LBB31_1815
; %bb.1776:
	s_cmp_gt_i32 s18, 22
	s_mov_b64 s[4:5], -1
	s_cbranch_scc0 .LBB31_1808
; %bb.1777:
	s_cmp_lt_i32 s18, 24
	s_cbranch_scc1 .LBB31_1797
; %bb.1778:
	s_cmp_gt_i32 s18, 24
	s_cbranch_scc0 .LBB31_1786
; %bb.1779:
	v_bfe_i32 v5, v1, 0, 8
	v_cvt_f32_i32_sdwa v5, sext(v5) dst_sel:DWORD dst_unused:UNUSED_PAD src0_sel:WORD_0
	s_mov_b32 s4, 0x47800000
	v_mov_b32_e32 v8, 0x80
	v_and_b32_e32 v6, 0x7fffffff, v5
	v_cmp_gt_u32_e32 vcc, s4, v6
	s_and_saveexec_b64 s[4:5], vcc
	s_cbranch_execz .LBB31_1785
; %bb.1780:
	s_mov_b32 s6, 0x37ffffff
	v_cmp_lt_u32_e32 vcc, s6, v6
	s_mov_b64 s[6:7], 0
                                        ; implicit-def: $vgpr6
	s_and_saveexec_b64 s[10:11], vcc
	s_xor_b64 s[10:11], exec, s[10:11]
	s_cbranch_execz .LBB31_2110
; %bb.1781:
	v_bfe_u32 v6, v5, 21, 1
	s_mov_b32 s14, 0x88fffff
	v_add3_u32 v6, v5, v6, s14
	s_mov_b64 s[6:7], exec
	v_lshrrev_b32_e32 v6, 21, v6
	s_andn2_saveexec_b64 s[10:11], s[10:11]
	s_cbranch_execnz .LBB31_2111
.LBB31_1782:
	s_or_b64 exec, exec, s[10:11]
	v_mov_b32_e32 v8, 0
	s_and_saveexec_b64 s[10:11], s[6:7]
.LBB31_1783:
	v_lshrrev_b32_e32 v5, 24, v5
	s_movk_i32 s6, 0x80
	v_and_or_b32 v8, v5, s6, v6
.LBB31_1784:
	s_or_b64 exec, exec, s[10:11]
.LBB31_1785:
	s_or_b64 exec, exec, s[4:5]
	s_mov_b64 s[4:5], 0
	global_store_byte v[3:4], v8, off
.LBB31_1786:
	s_and_b64 vcc, exec, s[4:5]
	s_cbranch_vccz .LBB31_1796
; %bb.1787:
	v_bfe_i32 v5, v1, 0, 8
	v_cvt_f32_i32_sdwa v5, sext(v5) dst_sel:DWORD dst_unused:UNUSED_PAD src0_sel:WORD_0
	s_mov_b32 s4, 0x43f00000
                                        ; implicit-def: $vgpr6
	v_and_b32_e32 v8, 0x7fffffff, v5
	v_cmp_gt_u32_e32 vcc, s4, v8
	s_and_saveexec_b64 s[4:5], vcc
	s_xor_b64 s[4:5], exec, s[4:5]
	s_cbranch_execz .LBB31_1793
; %bb.1788:
	s_mov_b32 s6, 0x3c7fffff
	v_cmp_lt_u32_e32 vcc, s6, v8
                                        ; implicit-def: $vgpr6
	s_and_saveexec_b64 s[6:7], vcc
	s_xor_b64 s[6:7], exec, s[6:7]
; %bb.1789:
	v_bfe_u32 v6, v5, 20, 1
	s_mov_b32 s10, 0x407ffff
	v_add3_u32 v6, v5, v6, s10
	v_lshrrev_b32_e32 v8, 20, v6
	v_and_b32_e32 v6, 0xff00000, v6
	s_mov_b32 s10, 0x7f00000
	v_mov_b32_e32 v10, 0x7e
	v_cmp_ne_u32_e32 vcc, s10, v6
	v_cndmask_b32_e32 v6, v10, v8, vcc
; %bb.1790:
	s_andn2_saveexec_b64 s[6:7], s[6:7]
; %bb.1791:
	s_mov_b32 s10, 0x46800000
	v_add_f32_e64 v6, |v5|, s10
; %bb.1792:
	s_or_b64 exec, exec, s[6:7]
                                        ; implicit-def: $vgpr8
.LBB31_1793:
	s_andn2_saveexec_b64 s[4:5], s[4:5]
; %bb.1794:
	s_mov_b32 s6, 0x7f800000
	v_mov_b32_e32 v6, 0x7e
	v_mov_b32_e32 v10, 0x7f
	v_cmp_lt_u32_e32 vcc, s6, v8
	v_cndmask_b32_e32 v6, v6, v10, vcc
; %bb.1795:
	s_or_b64 exec, exec, s[4:5]
	v_lshrrev_b32_e32 v5, 24, v5
	s_movk_i32 s4, 0x80
	v_and_or_b32 v5, v5, s4, v6
	global_store_byte v[3:4], v5, off
.LBB31_1796:
	s_mov_b64 s[4:5], 0
.LBB31_1797:
	s_andn2_b64 vcc, exec, s[4:5]
	s_cbranch_vccnz .LBB31_1807
; %bb.1798:
	v_bfe_i32 v5, v1, 0, 8
	v_cvt_f32_i32_sdwa v5, sext(v5) dst_sel:DWORD dst_unused:UNUSED_PAD src0_sel:WORD_0
	s_mov_b32 s4, 0x47800000
                                        ; implicit-def: $vgpr6
	v_and_b32_e32 v8, 0x7fffffff, v5
	v_cmp_gt_u32_e32 vcc, s4, v8
	s_and_saveexec_b64 s[4:5], vcc
	s_xor_b64 s[4:5], exec, s[4:5]
	s_cbranch_execz .LBB31_1804
; %bb.1799:
	s_mov_b32 s6, 0x387fffff
	v_cmp_lt_u32_e32 vcc, s6, v8
                                        ; implicit-def: $vgpr6
	s_and_saveexec_b64 s[6:7], vcc
	s_xor_b64 s[6:7], exec, s[6:7]
; %bb.1800:
	v_bfe_u32 v6, v5, 21, 1
	s_mov_b32 s10, 0x80fffff
	v_add3_u32 v6, v5, v6, s10
	v_lshrrev_b32_e32 v6, 21, v6
; %bb.1801:
	s_andn2_saveexec_b64 s[6:7], s[6:7]
; %bb.1802:
	s_mov_b32 s10, 0x43000000
	v_add_f32_e64 v6, |v5|, s10
; %bb.1803:
	s_or_b64 exec, exec, s[6:7]
                                        ; implicit-def: $vgpr8
.LBB31_1804:
	s_andn2_saveexec_b64 s[4:5], s[4:5]
; %bb.1805:
	s_mov_b32 s6, 0x7f800000
	v_mov_b32_e32 v6, 0x7c
	v_mov_b32_e32 v10, 0x7f
	v_cmp_lt_u32_e32 vcc, s6, v8
	v_cndmask_b32_e32 v6, v6, v10, vcc
; %bb.1806:
	s_or_b64 exec, exec, s[4:5]
	v_lshrrev_b32_e32 v5, 24, v5
	s_movk_i32 s4, 0x80
	v_and_or_b32 v5, v5, s4, v6
	global_store_byte v[3:4], v5, off
.LBB31_1807:
	s_mov_b64 s[4:5], 0
	s_mov_b64 s[6:7], -1
.LBB31_1808:
	s_andn2_b64 vcc, exec, s[4:5]
	s_mov_b64 s[4:5], 0
	s_cbranch_vccnz .LBB31_1815
; %bb.1809:
	s_cmp_gt_i32 s18, 14
	s_mov_b64 s[10:11], -1
	s_cbranch_scc0 .LBB31_1813
; %bb.1810:
	s_cmp_eq_u32 s18, 15
	s_mov_b64 s[2:3], -1
	s_cbranch_scc0 .LBB31_1812
; %bb.1811:
	v_bfe_i32 v5, v1, 0, 8
	v_cvt_f32_i32_sdwa v5, sext(v5) dst_sel:DWORD dst_unused:UNUSED_PAD src0_sel:WORD_0
	s_movk_i32 s4, 0x7fff
	s_mov_b64 s[2:3], 0
	s_mov_b64 s[6:7], -1
	v_bfe_u32 v6, v5, 16, 1
	v_add3_u32 v5, v5, v6, s4
	global_store_short_d16_hi v[3:4], v5, off
.LBB31_1812:
	s_mov_b64 s[10:11], 0
.LBB31_1813:
	s_mov_b64 s[4:5], 0
	s_and_b64 vcc, exec, s[10:11]
	s_cbranch_vccz .LBB31_1815
; %bb.1814:
	s_cmp_lg_u32 s18, 11
	s_mov_b64 s[4:5], -1
	s_cselect_b64 s[2:3], -1, 0
.LBB31_1815:
	s_and_b64 vcc, exec, s[2:3]
	s_cbranch_vccnz .LBB31_2109
; %bb.1816:
	s_andn2_b64 vcc, exec, s[4:5]
	s_cbranch_vccnz .LBB31_1818
.LBB31_1817:
	v_mov_b32_e32 v5, 0
	v_cmp_ne_u16_sdwa s[2:3], v1, v5 src0_sel:BYTE_0 src1_sel:DWORD
	v_cndmask_b32_e64 v5, 0, 1, s[2:3]
	s_mov_b64 s[6:7], -1
	global_store_byte v[3:4], v5, off
.LBB31_1818:
	s_mov_b64 s[2:3], 0
	s_branch .LBB31_1820
.LBB31_1819:
	s_mov_b64 s[2:3], -1
	s_mov_b64 s[6:7], 0
.LBB31_1820:
	s_and_b64 vcc, exec, s[2:3]
	s_cbranch_vccz .LBB31_1859
; %bb.1821:
	s_cmp_lt_i32 s18, 5
	s_mov_b64 s[2:3], -1
	s_cbranch_scc1 .LBB31_1842
; %bb.1822:
	s_cmp_lt_i32 s18, 8
	s_cbranch_scc1 .LBB31_1832
; %bb.1823:
	s_cmp_lt_i32 s18, 9
	s_cbranch_scc1 .LBB31_1829
; %bb.1824:
	s_cmp_gt_i32 s18, 9
	s_cbranch_scc0 .LBB31_1826
; %bb.1825:
	v_bfe_i32 v5, v1, 0, 8
	v_bfe_i32 v5, v5, 0, 16
	v_cvt_f64_i32_e32 v[10:11], v5
	v_mov_b32_e32 v12, 0
	v_mov_b32_e32 v13, v12
	s_mov_b64 s[2:3], 0
	global_store_dwordx4 v[3:4], v[10:13], off
.LBB31_1826:
	s_andn2_b64 vcc, exec, s[2:3]
	s_cbranch_vccnz .LBB31_1828
; %bb.1827:
	v_bfe_i32 v5, v1, 0, 8
	v_cvt_f32_i32_sdwa v5, sext(v5) dst_sel:DWORD dst_unused:UNUSED_PAD src0_sel:WORD_0
	v_mov_b32_e32 v6, 0
	global_store_dwordx2 v[3:4], v[5:6], off
.LBB31_1828:
	s_mov_b64 s[2:3], 0
.LBB31_1829:
	s_andn2_b64 vcc, exec, s[2:3]
	s_cbranch_vccnz .LBB31_1831
; %bb.1830:
	v_cvt_f16_i16_sdwa v5, sext(v1) dst_sel:DWORD dst_unused:UNUSED_PAD src0_sel:BYTE_0
	global_store_dword v[3:4], v5, off
.LBB31_1831:
	s_mov_b64 s[2:3], 0
.LBB31_1832:
	s_andn2_b64 vcc, exec, s[2:3]
	s_cbranch_vccnz .LBB31_1841
; %bb.1833:
	s_cmp_lt_i32 s18, 6
	s_mov_b64 s[2:3], -1
	s_cbranch_scc1 .LBB31_1839
; %bb.1834:
	s_cmp_gt_i32 s18, 6
	s_cbranch_scc0 .LBB31_1836
; %bb.1835:
	v_bfe_i32 v5, v1, 0, 8
	v_bfe_i32 v5, v5, 0, 16
	v_cvt_f64_i32_e32 v[5:6], v5
	s_mov_b64 s[2:3], 0
	global_store_dwordx2 v[3:4], v[5:6], off
.LBB31_1836:
	s_andn2_b64 vcc, exec, s[2:3]
	s_cbranch_vccnz .LBB31_1838
; %bb.1837:
	v_bfe_i32 v5, v1, 0, 8
	v_cvt_f32_i32_sdwa v5, sext(v5) dst_sel:DWORD dst_unused:UNUSED_PAD src0_sel:WORD_0
	global_store_dword v[3:4], v5, off
.LBB31_1838:
	s_mov_b64 s[2:3], 0
.LBB31_1839:
	s_andn2_b64 vcc, exec, s[2:3]
	s_cbranch_vccnz .LBB31_1841
; %bb.1840:
	v_cvt_f16_i16_sdwa v5, sext(v1) dst_sel:DWORD dst_unused:UNUSED_PAD src0_sel:BYTE_0
	global_store_short v[3:4], v5, off
.LBB31_1841:
	s_mov_b64 s[2:3], 0
.LBB31_1842:
	s_andn2_b64 vcc, exec, s[2:3]
	s_cbranch_vccnz .LBB31_1858
; %bb.1843:
	s_cmp_lt_i32 s18, 2
	s_mov_b64 s[2:3], -1
	s_cbranch_scc1 .LBB31_1853
; %bb.1844:
	s_cmp_lt_i32 s18, 3
	s_cbranch_scc1 .LBB31_1850
; %bb.1845:
	s_cmp_gt_i32 s18, 3
	s_cbranch_scc0 .LBB31_1847
; %bb.1846:
	v_bfe_i32 v5, v1, 0, 8
	v_ashrrev_i32_e32 v6, 31, v5
	global_store_dwordx2 v[3:4], v[5:6], off
	s_mov_b64 s[2:3], 0
.LBB31_1847:
	s_andn2_b64 vcc, exec, s[2:3]
	s_cbranch_vccnz .LBB31_1849
; %bb.1848:
	v_bfe_i32 v5, v1, 0, 8
	global_store_dword v[3:4], v5, off
.LBB31_1849:
	s_mov_b64 s[2:3], 0
.LBB31_1850:
	s_andn2_b64 vcc, exec, s[2:3]
	s_cbranch_vccnz .LBB31_1852
; %bb.1851:
	v_bfe_i32 v5, v1, 0, 8
	global_store_short v[3:4], v5, off
.LBB31_1852:
	s_mov_b64 s[2:3], 0
.LBB31_1853:
	s_andn2_b64 vcc, exec, s[2:3]
	s_cbranch_vccnz .LBB31_1858
; %bb.1854:
	s_cmp_gt_i32 s18, 0
	s_mov_b64 s[2:3], -1
	s_cbranch_scc0 .LBB31_1856
; %bb.1855:
	global_store_byte v[3:4], v1, off
	s_mov_b64 s[2:3], 0
.LBB31_1856:
	s_andn2_b64 vcc, exec, s[2:3]
	s_cbranch_vccnz .LBB31_1858
; %bb.1857:
	global_store_byte v[3:4], v1, off
.LBB31_1858:
	s_mov_b64 s[6:7], -1
.LBB31_1859:
	s_andn2_b64 vcc, exec, s[6:7]
	s_cbranch_vccnz .LBB31_2055
; %bb.1860:
	v_mov_b32_e32 v1, s17
	v_cndmask_b32_e64 v3, v1, v9, s[0:1]
	v_mov_b32_e32 v4, s9
	v_add_co_u32_e32 v1, vcc, s8, v2
	s_cmp_lt_i32 s18, 11
	v_addc_co_u32_e32 v2, vcc, 0, v4, vcc
	s_cbranch_scc1 .LBB31_1938
; %bb.1861:
	s_mov_b64 s[10:11], -1
	s_mov_b64 s[4:5], 0
	s_cmp_gt_i32 s18, 25
	s_mov_b64 s[6:7], 0
	s_mov_b64 s[2:3], 0
	s_cbranch_scc0 .LBB31_1894
; %bb.1862:
	s_cmp_gt_i32 s18, 28
	s_cbranch_scc0 .LBB31_1877
; %bb.1863:
	s_cmp_gt_i32 s18, 43
	;; [unrolled: 3-line block ×3, first 2 shown]
	s_cbranch_scc0 .LBB31_1867
; %bb.1865:
	s_mov_b64 s[2:3], -1
	s_mov_b64 s[10:11], 0
	s_cmp_eq_u32 s18, 46
	s_cbranch_scc0 .LBB31_1867
; %bb.1866:
	v_bfe_i32 v4, v3, 0, 8
	v_cvt_f32_i32_sdwa v4, sext(v4) dst_sel:DWORD dst_unused:UNUSED_PAD src0_sel:WORD_0
	s_movk_i32 s6, 0x7fff
	s_mov_b64 s[2:3], 0
	v_bfe_u32 v5, v4, 16, 1
	v_add3_u32 v4, v4, v5, s6
	v_lshrrev_b32_e32 v4, 16, v4
	global_store_dword v[1:2], v4, off
	s_mov_b64 s[6:7], -1
.LBB31_1867:
	s_and_b64 vcc, exec, s[10:11]
	s_cbranch_vccz .LBB31_1872
; %bb.1868:
	s_cmp_eq_u32 s18, 44
	s_mov_b64 s[2:3], -1
	s_cbranch_scc0 .LBB31_1872
; %bb.1869:
	v_bfe_i32 v4, v3, 0, 8
	v_cvt_f32_i32_sdwa v4, sext(v4) dst_sel:DWORD dst_unused:UNUSED_PAD src0_sel:WORD_0
	s_movk_i32 s2, 0xff
	v_mov_b32_e32 v6, 0xff
	v_bfe_u32 v5, v4, 23, 8
	v_cmp_ne_u32_e32 vcc, s2, v5
	s_and_saveexec_b64 s[6:7], vcc
; %bb.1870:
	s_mov_b32 s2, 0x3fffff
	v_lshrrev_b32_e32 v6, 23, v4
	v_and_b32_e32 v8, 0x400000, v4
	v_and_or_b32 v4, v4, s2, v5
	v_cmp_ne_u32_e32 vcc, 0, v8
	v_cmp_ne_u32_e64 s[2:3], 0, v4
	s_and_b64 s[2:3], vcc, s[2:3]
	v_cndmask_b32_e64 v4, 0, 1, s[2:3]
	v_add_u32_e32 v6, v6, v4
; %bb.1871:
	s_or_b64 exec, exec, s[6:7]
	s_mov_b64 s[2:3], 0
	s_mov_b64 s[6:7], -1
	global_store_byte v[1:2], v6, off
.LBB31_1872:
	s_mov_b64 s[10:11], 0
.LBB31_1873:
	s_and_b64 vcc, exec, s[10:11]
	s_cbranch_vccz .LBB31_1876
; %bb.1874:
	s_cmp_eq_u32 s18, 29
	s_mov_b64 s[2:3], -1
	s_cbranch_scc0 .LBB31_1876
; %bb.1875:
	v_bfe_i32 v4, v3, 0, 8
	v_ashrrev_i32_e32 v5, 31, v4
	global_store_dwordx2 v[1:2], v[4:5], off
	s_mov_b64 s[2:3], 0
	s_mov_b64 s[6:7], -1
.LBB31_1876:
	s_mov_b64 s[10:11], 0
.LBB31_1877:
	s_and_b64 vcc, exec, s[10:11]
	s_cbranch_vccz .LBB31_1893
; %bb.1878:
	s_cmp_lt_i32 s18, 27
	s_mov_b64 s[6:7], -1
	s_cbranch_scc1 .LBB31_1884
; %bb.1879:
	s_cmp_gt_i32 s18, 27
	s_cbranch_scc0 .LBB31_1881
; %bb.1880:
	v_bfe_i32 v4, v3, 0, 8
	s_mov_b64 s[6:7], 0
	global_store_dword v[1:2], v4, off
.LBB31_1881:
	s_andn2_b64 vcc, exec, s[6:7]
	s_cbranch_vccnz .LBB31_1883
; %bb.1882:
	v_bfe_i32 v4, v3, 0, 8
	global_store_short v[1:2], v4, off
.LBB31_1883:
	s_mov_b64 s[6:7], 0
.LBB31_1884:
	s_andn2_b64 vcc, exec, s[6:7]
	s_cbranch_vccnz .LBB31_1892
; %bb.1885:
	v_bfe_i32 v4, v3, 0, 8
	v_cvt_f32_i32_sdwa v4, sext(v4) dst_sel:DWORD dst_unused:UNUSED_PAD src0_sel:WORD_0
	s_mov_b32 s6, 0x43800000
	v_mov_b32_e32 v6, 0x80
	v_and_b32_e32 v5, 0x7fffffff, v4
	v_cmp_gt_u32_e32 vcc, s6, v5
	s_and_saveexec_b64 s[6:7], vcc
	s_cbranch_execz .LBB31_1891
; %bb.1886:
	s_mov_b32 s10, 0x3bffffff
	v_cmp_lt_u32_e32 vcc, s10, v5
	s_mov_b64 s[10:11], 0
                                        ; implicit-def: $vgpr5
	s_and_saveexec_b64 s[14:15], vcc
	s_xor_b64 s[14:15], exec, s[14:15]
	s_cbranch_execz .LBB31_2112
; %bb.1887:
	v_bfe_u32 v5, v4, 20, 1
	s_mov_b32 s19, 0x487ffff
	v_add3_u32 v5, v4, v5, s19
	s_mov_b64 s[10:11], exec
	v_lshrrev_b32_e32 v5, 20, v5
	s_andn2_saveexec_b64 s[14:15], s[14:15]
	s_cbranch_execnz .LBB31_2113
.LBB31_1888:
	s_or_b64 exec, exec, s[14:15]
	v_mov_b32_e32 v6, 0
	s_and_saveexec_b64 s[14:15], s[10:11]
.LBB31_1889:
	v_lshrrev_b32_e32 v4, 24, v4
	s_movk_i32 s10, 0x80
	v_and_or_b32 v6, v4, s10, v5
.LBB31_1890:
	s_or_b64 exec, exec, s[14:15]
.LBB31_1891:
	s_or_b64 exec, exec, s[6:7]
	global_store_byte v[1:2], v6, off
.LBB31_1892:
	s_mov_b64 s[6:7], -1
.LBB31_1893:
	s_mov_b64 s[10:11], 0
.LBB31_1894:
	s_and_b64 vcc, exec, s[10:11]
	s_cbranch_vccz .LBB31_1934
; %bb.1895:
	s_cmp_gt_i32 s18, 22
	s_mov_b64 s[4:5], -1
	s_cbranch_scc0 .LBB31_1927
; %bb.1896:
	s_cmp_lt_i32 s18, 24
	s_cbranch_scc1 .LBB31_1916
; %bb.1897:
	s_cmp_gt_i32 s18, 24
	s_cbranch_scc0 .LBB31_1905
; %bb.1898:
	v_bfe_i32 v4, v3, 0, 8
	v_cvt_f32_i32_sdwa v4, sext(v4) dst_sel:DWORD dst_unused:UNUSED_PAD src0_sel:WORD_0
	s_mov_b32 s4, 0x47800000
	v_mov_b32_e32 v6, 0x80
	v_and_b32_e32 v5, 0x7fffffff, v4
	v_cmp_gt_u32_e32 vcc, s4, v5
	s_and_saveexec_b64 s[4:5], vcc
	s_cbranch_execz .LBB31_1904
; %bb.1899:
	s_mov_b32 s6, 0x37ffffff
	v_cmp_lt_u32_e32 vcc, s6, v5
	s_mov_b64 s[6:7], 0
                                        ; implicit-def: $vgpr5
	s_and_saveexec_b64 s[10:11], vcc
	s_xor_b64 s[10:11], exec, s[10:11]
	s_cbranch_execz .LBB31_2115
; %bb.1900:
	v_bfe_u32 v5, v4, 21, 1
	s_mov_b32 s14, 0x88fffff
	v_add3_u32 v5, v4, v5, s14
	s_mov_b64 s[6:7], exec
	v_lshrrev_b32_e32 v5, 21, v5
	s_andn2_saveexec_b64 s[10:11], s[10:11]
	s_cbranch_execnz .LBB31_2116
.LBB31_1901:
	s_or_b64 exec, exec, s[10:11]
	v_mov_b32_e32 v6, 0
	s_and_saveexec_b64 s[10:11], s[6:7]
.LBB31_1902:
	v_lshrrev_b32_e32 v4, 24, v4
	s_movk_i32 s6, 0x80
	v_and_or_b32 v6, v4, s6, v5
.LBB31_1903:
	s_or_b64 exec, exec, s[10:11]
.LBB31_1904:
	s_or_b64 exec, exec, s[4:5]
	s_mov_b64 s[4:5], 0
	global_store_byte v[1:2], v6, off
.LBB31_1905:
	s_and_b64 vcc, exec, s[4:5]
	s_cbranch_vccz .LBB31_1915
; %bb.1906:
	v_bfe_i32 v4, v3, 0, 8
	v_cvt_f32_i32_sdwa v4, sext(v4) dst_sel:DWORD dst_unused:UNUSED_PAD src0_sel:WORD_0
	s_mov_b32 s4, 0x43f00000
                                        ; implicit-def: $vgpr5
	v_and_b32_e32 v6, 0x7fffffff, v4
	v_cmp_gt_u32_e32 vcc, s4, v6
	s_and_saveexec_b64 s[4:5], vcc
	s_xor_b64 s[4:5], exec, s[4:5]
	s_cbranch_execz .LBB31_1912
; %bb.1907:
	s_mov_b32 s6, 0x3c7fffff
	v_cmp_lt_u32_e32 vcc, s6, v6
                                        ; implicit-def: $vgpr5
	s_and_saveexec_b64 s[6:7], vcc
	s_xor_b64 s[6:7], exec, s[6:7]
; %bb.1908:
	v_bfe_u32 v5, v4, 20, 1
	s_mov_b32 s10, 0x407ffff
	v_add3_u32 v5, v4, v5, s10
	v_lshrrev_b32_e32 v6, 20, v5
	v_and_b32_e32 v5, 0xff00000, v5
	s_mov_b32 s10, 0x7f00000
	v_mov_b32_e32 v8, 0x7e
	v_cmp_ne_u32_e32 vcc, s10, v5
	v_cndmask_b32_e32 v5, v8, v6, vcc
; %bb.1909:
	s_andn2_saveexec_b64 s[6:7], s[6:7]
; %bb.1910:
	s_mov_b32 s10, 0x46800000
	v_add_f32_e64 v5, |v4|, s10
; %bb.1911:
	s_or_b64 exec, exec, s[6:7]
                                        ; implicit-def: $vgpr6
.LBB31_1912:
	s_andn2_saveexec_b64 s[4:5], s[4:5]
; %bb.1913:
	s_mov_b32 s6, 0x7f800000
	v_mov_b32_e32 v5, 0x7e
	v_mov_b32_e32 v8, 0x7f
	v_cmp_lt_u32_e32 vcc, s6, v6
	v_cndmask_b32_e32 v5, v5, v8, vcc
; %bb.1914:
	s_or_b64 exec, exec, s[4:5]
	v_lshrrev_b32_e32 v4, 24, v4
	s_movk_i32 s4, 0x80
	v_and_or_b32 v4, v4, s4, v5
	global_store_byte v[1:2], v4, off
.LBB31_1915:
	s_mov_b64 s[4:5], 0
.LBB31_1916:
	s_andn2_b64 vcc, exec, s[4:5]
	s_cbranch_vccnz .LBB31_1926
; %bb.1917:
	v_bfe_i32 v4, v3, 0, 8
	v_cvt_f32_i32_sdwa v4, sext(v4) dst_sel:DWORD dst_unused:UNUSED_PAD src0_sel:WORD_0
	s_mov_b32 s4, 0x47800000
                                        ; implicit-def: $vgpr5
	v_and_b32_e32 v6, 0x7fffffff, v4
	v_cmp_gt_u32_e32 vcc, s4, v6
	s_and_saveexec_b64 s[4:5], vcc
	s_xor_b64 s[4:5], exec, s[4:5]
	s_cbranch_execz .LBB31_1923
; %bb.1918:
	s_mov_b32 s6, 0x387fffff
	v_cmp_lt_u32_e32 vcc, s6, v6
                                        ; implicit-def: $vgpr5
	s_and_saveexec_b64 s[6:7], vcc
	s_xor_b64 s[6:7], exec, s[6:7]
; %bb.1919:
	v_bfe_u32 v5, v4, 21, 1
	s_mov_b32 s10, 0x80fffff
	v_add3_u32 v5, v4, v5, s10
	v_lshrrev_b32_e32 v5, 21, v5
; %bb.1920:
	s_andn2_saveexec_b64 s[6:7], s[6:7]
; %bb.1921:
	s_mov_b32 s10, 0x43000000
	v_add_f32_e64 v5, |v4|, s10
; %bb.1922:
	s_or_b64 exec, exec, s[6:7]
                                        ; implicit-def: $vgpr6
.LBB31_1923:
	s_andn2_saveexec_b64 s[4:5], s[4:5]
; %bb.1924:
	s_mov_b32 s6, 0x7f800000
	v_mov_b32_e32 v5, 0x7c
	v_mov_b32_e32 v8, 0x7f
	v_cmp_lt_u32_e32 vcc, s6, v6
	v_cndmask_b32_e32 v5, v5, v8, vcc
; %bb.1925:
	s_or_b64 exec, exec, s[4:5]
	v_lshrrev_b32_e32 v4, 24, v4
	s_movk_i32 s4, 0x80
	v_and_or_b32 v4, v4, s4, v5
	global_store_byte v[1:2], v4, off
.LBB31_1926:
	s_mov_b64 s[4:5], 0
	s_mov_b64 s[6:7], -1
.LBB31_1927:
	s_andn2_b64 vcc, exec, s[4:5]
	s_mov_b64 s[4:5], 0
	s_cbranch_vccnz .LBB31_1934
; %bb.1928:
	s_cmp_gt_i32 s18, 14
	s_mov_b64 s[10:11], -1
	s_cbranch_scc0 .LBB31_1932
; %bb.1929:
	s_cmp_eq_u32 s18, 15
	s_mov_b64 s[2:3], -1
	s_cbranch_scc0 .LBB31_1931
; %bb.1930:
	v_bfe_i32 v4, v3, 0, 8
	v_cvt_f32_i32_sdwa v4, sext(v4) dst_sel:DWORD dst_unused:UNUSED_PAD src0_sel:WORD_0
	s_movk_i32 s4, 0x7fff
	s_mov_b64 s[2:3], 0
	s_mov_b64 s[6:7], -1
	v_bfe_u32 v5, v4, 16, 1
	v_add3_u32 v4, v4, v5, s4
	global_store_short_d16_hi v[1:2], v4, off
.LBB31_1931:
	s_mov_b64 s[10:11], 0
.LBB31_1932:
	s_mov_b64 s[4:5], 0
	s_and_b64 vcc, exec, s[10:11]
	s_cbranch_vccz .LBB31_1934
; %bb.1933:
	s_cmp_lg_u32 s18, 11
	s_mov_b64 s[4:5], -1
	s_cselect_b64 s[2:3], -1, 0
.LBB31_1934:
	s_and_b64 vcc, exec, s[2:3]
	s_cbranch_vccnz .LBB31_2114
; %bb.1935:
	s_andn2_b64 vcc, exec, s[4:5]
	s_cbranch_vccnz .LBB31_1937
.LBB31_1936:
	v_mov_b32_e32 v4, 0
	v_cmp_ne_u16_sdwa s[2:3], v3, v4 src0_sel:BYTE_0 src1_sel:DWORD
	v_cndmask_b32_e64 v4, 0, 1, s[2:3]
	s_mov_b64 s[6:7], -1
	global_store_byte v[1:2], v4, off
.LBB31_1937:
	s_mov_b64 s[2:3], 0
	s_branch .LBB31_1939
.LBB31_1938:
	s_mov_b64 s[2:3], -1
	s_mov_b64 s[6:7], 0
.LBB31_1939:
	s_and_b64 vcc, exec, s[2:3]
	s_cbranch_vccz .LBB31_1978
; %bb.1940:
	s_cmp_lt_i32 s18, 5
	s_mov_b64 s[2:3], -1
	s_cbranch_scc1 .LBB31_1961
; %bb.1941:
	s_cmp_lt_i32 s18, 8
	s_cbranch_scc1 .LBB31_1951
; %bb.1942:
	s_cmp_lt_i32 s18, 9
	s_cbranch_scc1 .LBB31_1948
; %bb.1943:
	s_cmp_gt_i32 s18, 9
	s_cbranch_scc0 .LBB31_1945
; %bb.1944:
	v_bfe_i32 v4, v3, 0, 8
	v_bfe_i32 v4, v4, 0, 16
	v_cvt_f64_i32_e32 v[8:9], v4
	v_mov_b32_e32 v10, 0
	v_mov_b32_e32 v11, v10
	s_mov_b64 s[2:3], 0
	global_store_dwordx4 v[1:2], v[8:11], off
.LBB31_1945:
	s_andn2_b64 vcc, exec, s[2:3]
	s_cbranch_vccnz .LBB31_1947
; %bb.1946:
	v_bfe_i32 v4, v3, 0, 8
	v_cvt_f32_i32_sdwa v4, sext(v4) dst_sel:DWORD dst_unused:UNUSED_PAD src0_sel:WORD_0
	v_mov_b32_e32 v5, 0
	global_store_dwordx2 v[1:2], v[4:5], off
.LBB31_1947:
	s_mov_b64 s[2:3], 0
.LBB31_1948:
	s_andn2_b64 vcc, exec, s[2:3]
	s_cbranch_vccnz .LBB31_1950
; %bb.1949:
	v_cvt_f16_i16_sdwa v4, sext(v3) dst_sel:DWORD dst_unused:UNUSED_PAD src0_sel:BYTE_0
	global_store_dword v[1:2], v4, off
.LBB31_1950:
	s_mov_b64 s[2:3], 0
.LBB31_1951:
	s_andn2_b64 vcc, exec, s[2:3]
	s_cbranch_vccnz .LBB31_1960
; %bb.1952:
	s_cmp_lt_i32 s18, 6
	s_mov_b64 s[2:3], -1
	s_cbranch_scc1 .LBB31_1958
; %bb.1953:
	s_cmp_gt_i32 s18, 6
	s_cbranch_scc0 .LBB31_1955
; %bb.1954:
	v_bfe_i32 v4, v3, 0, 8
	v_bfe_i32 v4, v4, 0, 16
	v_cvt_f64_i32_e32 v[4:5], v4
	s_mov_b64 s[2:3], 0
	global_store_dwordx2 v[1:2], v[4:5], off
.LBB31_1955:
	s_andn2_b64 vcc, exec, s[2:3]
	s_cbranch_vccnz .LBB31_1957
; %bb.1956:
	v_bfe_i32 v4, v3, 0, 8
	v_cvt_f32_i32_sdwa v4, sext(v4) dst_sel:DWORD dst_unused:UNUSED_PAD src0_sel:WORD_0
	global_store_dword v[1:2], v4, off
.LBB31_1957:
	s_mov_b64 s[2:3], 0
.LBB31_1958:
	s_andn2_b64 vcc, exec, s[2:3]
	s_cbranch_vccnz .LBB31_1960
; %bb.1959:
	v_cvt_f16_i16_sdwa v4, sext(v3) dst_sel:DWORD dst_unused:UNUSED_PAD src0_sel:BYTE_0
	global_store_short v[1:2], v4, off
.LBB31_1960:
	s_mov_b64 s[2:3], 0
.LBB31_1961:
	s_andn2_b64 vcc, exec, s[2:3]
	s_cbranch_vccnz .LBB31_1977
; %bb.1962:
	s_cmp_lt_i32 s18, 2
	s_mov_b64 s[2:3], -1
	s_cbranch_scc1 .LBB31_1972
; %bb.1963:
	s_cmp_lt_i32 s18, 3
	s_cbranch_scc1 .LBB31_1969
; %bb.1964:
	s_cmp_gt_i32 s18, 3
	s_cbranch_scc0 .LBB31_1966
; %bb.1965:
	v_bfe_i32 v4, v3, 0, 8
	v_ashrrev_i32_e32 v5, 31, v4
	global_store_dwordx2 v[1:2], v[4:5], off
	s_mov_b64 s[2:3], 0
.LBB31_1966:
	s_andn2_b64 vcc, exec, s[2:3]
	s_cbranch_vccnz .LBB31_1968
; %bb.1967:
	v_bfe_i32 v4, v3, 0, 8
	global_store_dword v[1:2], v4, off
.LBB31_1968:
	s_mov_b64 s[2:3], 0
.LBB31_1969:
	s_andn2_b64 vcc, exec, s[2:3]
	s_cbranch_vccnz .LBB31_1971
; %bb.1970:
	v_bfe_i32 v4, v3, 0, 8
	global_store_short v[1:2], v4, off
.LBB31_1971:
	s_mov_b64 s[2:3], 0
.LBB31_1972:
	s_andn2_b64 vcc, exec, s[2:3]
	s_cbranch_vccnz .LBB31_1977
; %bb.1973:
	s_cmp_gt_i32 s18, 0
	s_mov_b64 s[2:3], -1
	s_cbranch_scc0 .LBB31_1975
; %bb.1974:
	global_store_byte v[1:2], v3, off
	s_mov_b64 s[2:3], 0
.LBB31_1975:
	s_andn2_b64 vcc, exec, s[2:3]
	s_cbranch_vccnz .LBB31_1977
; %bb.1976:
	global_store_byte v[1:2], v3, off
.LBB31_1977:
	s_mov_b64 s[6:7], -1
.LBB31_1978:
	s_andn2_b64 vcc, exec, s[6:7]
	s_cbranch_vccnz .LBB31_2055
; %bb.1979:
	v_mov_b32_e32 v1, s17
	v_cndmask_b32_e64 v2, v1, v7, s[0:1]
	v_mov_b32_e32 v1, s9
	v_add_co_u32_e32 v0, vcc, s8, v0
	s_cmp_lt_i32 s18, 11
	v_addc_co_u32_e32 v1, vcc, 0, v1, vcc
	s_cbranch_scc1 .LBB31_2100
; %bb.1980:
	s_mov_b64 s[4:5], -1
	s_mov_b64 s[2:3], 0
	s_cmp_gt_i32 s18, 25
	s_mov_b64 s[0:1], 0
	s_cbranch_scc0 .LBB31_2013
; %bb.1981:
	s_cmp_gt_i32 s18, 28
	s_cbranch_scc0 .LBB31_1997
; %bb.1982:
	s_cmp_gt_i32 s18, 43
	;; [unrolled: 3-line block ×3, first 2 shown]
	s_cbranch_scc0 .LBB31_1987
; %bb.1984:
	s_cmp_eq_u32 s18, 46
	s_mov_b64 s[0:1], -1
	s_cbranch_scc0 .LBB31_1986
; %bb.1985:
	v_bfe_i32 v3, v2, 0, 8
	v_cvt_f32_i32_sdwa v3, sext(v3) dst_sel:DWORD dst_unused:UNUSED_PAD src0_sel:WORD_0
	s_movk_i32 s0, 0x7fff
	v_bfe_u32 v4, v3, 16, 1
	v_add3_u32 v3, v3, v4, s0
	v_lshrrev_b32_e32 v3, 16, v3
	global_store_dword v[0:1], v3, off
	s_mov_b64 s[0:1], 0
.LBB31_1986:
	s_mov_b64 s[4:5], 0
.LBB31_1987:
	s_and_b64 vcc, exec, s[4:5]
	s_cbranch_vccz .LBB31_1992
; %bb.1988:
	s_cmp_eq_u32 s18, 44
	s_mov_b64 s[0:1], -1
	s_cbranch_scc0 .LBB31_1992
; %bb.1989:
	v_bfe_i32 v3, v2, 0, 8
	v_cvt_f32_i32_sdwa v3, sext(v3) dst_sel:DWORD dst_unused:UNUSED_PAD src0_sel:WORD_0
	s_movk_i32 s0, 0xff
	v_mov_b32_e32 v5, 0xff
	v_bfe_u32 v4, v3, 23, 8
	v_cmp_ne_u32_e32 vcc, s0, v4
	s_and_saveexec_b64 s[4:5], vcc
; %bb.1990:
	s_mov_b32 s0, 0x3fffff
	v_lshrrev_b32_e32 v5, 23, v3
	v_and_b32_e32 v6, 0x400000, v3
	v_and_or_b32 v3, v3, s0, v4
	v_cmp_ne_u32_e32 vcc, 0, v6
	v_cmp_ne_u32_e64 s[0:1], 0, v3
	s_and_b64 s[0:1], vcc, s[0:1]
	v_cndmask_b32_e64 v3, 0, 1, s[0:1]
	v_add_u32_e32 v5, v5, v3
; %bb.1991:
	s_or_b64 exec, exec, s[4:5]
	s_mov_b64 s[0:1], 0
	global_store_byte v[0:1], v5, off
.LBB31_1992:
	s_mov_b64 s[4:5], 0
.LBB31_1993:
	s_and_b64 vcc, exec, s[4:5]
	s_cbranch_vccz .LBB31_1996
; %bb.1994:
	s_cmp_eq_u32 s18, 29
	s_mov_b64 s[0:1], -1
	s_cbranch_scc0 .LBB31_1996
; %bb.1995:
	v_bfe_i32 v3, v2, 0, 8
	v_ashrrev_i32_e32 v4, 31, v3
	global_store_dwordx2 v[0:1], v[3:4], off
	s_mov_b64 s[0:1], 0
.LBB31_1996:
	s_mov_b64 s[4:5], 0
.LBB31_1997:
	s_and_b64 vcc, exec, s[4:5]
	s_cbranch_vccz .LBB31_2012
; %bb.1998:
	s_cmp_lt_i32 s18, 27
	s_mov_b64 s[4:5], -1
	s_cbranch_scc1 .LBB31_2004
; %bb.1999:
	s_cmp_gt_i32 s18, 27
	s_cbranch_scc0 .LBB31_2001
; %bb.2000:
	v_bfe_i32 v3, v2, 0, 8
	global_store_dword v[0:1], v3, off
	s_mov_b64 s[4:5], 0
.LBB31_2001:
	s_andn2_b64 vcc, exec, s[4:5]
	s_cbranch_vccnz .LBB31_2003
; %bb.2002:
	v_bfe_i32 v3, v2, 0, 8
	global_store_short v[0:1], v3, off
.LBB31_2003:
	s_mov_b64 s[4:5], 0
.LBB31_2004:
	s_andn2_b64 vcc, exec, s[4:5]
	s_cbranch_vccnz .LBB31_2012
; %bb.2005:
	v_bfe_i32 v3, v2, 0, 8
	v_cvt_f32_i32_sdwa v3, sext(v3) dst_sel:DWORD dst_unused:UNUSED_PAD src0_sel:WORD_0
	s_mov_b32 s4, 0x43800000
	v_mov_b32_e32 v5, 0x80
	v_and_b32_e32 v4, 0x7fffffff, v3
	v_cmp_gt_u32_e32 vcc, s4, v4
	s_and_saveexec_b64 s[4:5], vcc
	s_cbranch_execz .LBB31_2011
; %bb.2006:
	s_mov_b32 s6, 0x3bffffff
	v_cmp_lt_u32_e32 vcc, s6, v4
	s_mov_b64 s[6:7], 0
                                        ; implicit-def: $vgpr4
	s_and_saveexec_b64 s[8:9], vcc
	s_xor_b64 s[8:9], exec, s[8:9]
	s_cbranch_execz .LBB31_2117
; %bb.2007:
	v_bfe_u32 v4, v3, 20, 1
	s_mov_b32 s10, 0x487ffff
	v_add3_u32 v4, v3, v4, s10
	s_mov_b64 s[6:7], exec
	v_lshrrev_b32_e32 v4, 20, v4
	s_andn2_saveexec_b64 s[8:9], s[8:9]
	s_cbranch_execnz .LBB31_2118
.LBB31_2008:
	s_or_b64 exec, exec, s[8:9]
	v_mov_b32_e32 v5, 0
	s_and_saveexec_b64 s[8:9], s[6:7]
.LBB31_2009:
	v_lshrrev_b32_e32 v3, 24, v3
	s_movk_i32 s6, 0x80
	v_and_or_b32 v5, v3, s6, v4
.LBB31_2010:
	s_or_b64 exec, exec, s[8:9]
.LBB31_2011:
	s_or_b64 exec, exec, s[4:5]
	global_store_byte v[0:1], v5, off
.LBB31_2012:
	s_mov_b64 s[4:5], 0
.LBB31_2013:
	s_and_b64 vcc, exec, s[4:5]
	s_cbranch_vccz .LBB31_2053
; %bb.2014:
	s_cmp_gt_i32 s18, 22
	s_mov_b64 s[2:3], -1
	s_cbranch_scc0 .LBB31_2046
; %bb.2015:
	s_cmp_lt_i32 s18, 24
	s_cbranch_scc1 .LBB31_2035
; %bb.2016:
	s_cmp_gt_i32 s18, 24
	s_cbranch_scc0 .LBB31_2024
; %bb.2017:
	v_bfe_i32 v3, v2, 0, 8
	v_cvt_f32_i32_sdwa v3, sext(v3) dst_sel:DWORD dst_unused:UNUSED_PAD src0_sel:WORD_0
	s_mov_b32 s2, 0x47800000
	v_mov_b32_e32 v5, 0x80
	v_and_b32_e32 v4, 0x7fffffff, v3
	v_cmp_gt_u32_e32 vcc, s2, v4
	s_and_saveexec_b64 s[2:3], vcc
	s_cbranch_execz .LBB31_2023
; %bb.2018:
	s_mov_b32 s4, 0x37ffffff
	v_cmp_lt_u32_e32 vcc, s4, v4
	s_mov_b64 s[4:5], 0
                                        ; implicit-def: $vgpr4
	s_and_saveexec_b64 s[6:7], vcc
	s_xor_b64 s[6:7], exec, s[6:7]
	s_cbranch_execz .LBB31_2120
; %bb.2019:
	v_bfe_u32 v4, v3, 21, 1
	s_mov_b32 s8, 0x88fffff
	v_add3_u32 v4, v3, v4, s8
	s_mov_b64 s[4:5], exec
	v_lshrrev_b32_e32 v4, 21, v4
	s_andn2_saveexec_b64 s[6:7], s[6:7]
	s_cbranch_execnz .LBB31_2121
.LBB31_2020:
	s_or_b64 exec, exec, s[6:7]
	v_mov_b32_e32 v5, 0
	s_and_saveexec_b64 s[6:7], s[4:5]
.LBB31_2021:
	v_lshrrev_b32_e32 v3, 24, v3
	s_movk_i32 s4, 0x80
	v_and_or_b32 v5, v3, s4, v4
.LBB31_2022:
	s_or_b64 exec, exec, s[6:7]
.LBB31_2023:
	s_or_b64 exec, exec, s[2:3]
	s_mov_b64 s[2:3], 0
	global_store_byte v[0:1], v5, off
.LBB31_2024:
	s_and_b64 vcc, exec, s[2:3]
	s_cbranch_vccz .LBB31_2034
; %bb.2025:
	v_bfe_i32 v3, v2, 0, 8
	v_cvt_f32_i32_sdwa v3, sext(v3) dst_sel:DWORD dst_unused:UNUSED_PAD src0_sel:WORD_0
	s_mov_b32 s2, 0x43f00000
                                        ; implicit-def: $vgpr4
	v_and_b32_e32 v5, 0x7fffffff, v3
	v_cmp_gt_u32_e32 vcc, s2, v5
	s_and_saveexec_b64 s[2:3], vcc
	s_xor_b64 s[2:3], exec, s[2:3]
	s_cbranch_execz .LBB31_2031
; %bb.2026:
	s_mov_b32 s4, 0x3c7fffff
	v_cmp_lt_u32_e32 vcc, s4, v5
                                        ; implicit-def: $vgpr4
	s_and_saveexec_b64 s[4:5], vcc
	s_xor_b64 s[4:5], exec, s[4:5]
; %bb.2027:
	v_bfe_u32 v4, v3, 20, 1
	s_mov_b32 s6, 0x407ffff
	v_add3_u32 v4, v3, v4, s6
	v_lshrrev_b32_e32 v5, 20, v4
	v_and_b32_e32 v4, 0xff00000, v4
	s_mov_b32 s6, 0x7f00000
	v_mov_b32_e32 v6, 0x7e
	v_cmp_ne_u32_e32 vcc, s6, v4
	v_cndmask_b32_e32 v4, v6, v5, vcc
; %bb.2028:
	s_andn2_saveexec_b64 s[4:5], s[4:5]
; %bb.2029:
	s_mov_b32 s6, 0x46800000
	v_add_f32_e64 v4, |v3|, s6
; %bb.2030:
	s_or_b64 exec, exec, s[4:5]
                                        ; implicit-def: $vgpr5
.LBB31_2031:
	s_andn2_saveexec_b64 s[2:3], s[2:3]
; %bb.2032:
	s_mov_b32 s4, 0x7f800000
	v_mov_b32_e32 v4, 0x7e
	v_mov_b32_e32 v6, 0x7f
	v_cmp_lt_u32_e32 vcc, s4, v5
	v_cndmask_b32_e32 v4, v4, v6, vcc
; %bb.2033:
	s_or_b64 exec, exec, s[2:3]
	v_lshrrev_b32_e32 v3, 24, v3
	s_movk_i32 s2, 0x80
	v_and_or_b32 v3, v3, s2, v4
	global_store_byte v[0:1], v3, off
.LBB31_2034:
	s_mov_b64 s[2:3], 0
.LBB31_2035:
	s_andn2_b64 vcc, exec, s[2:3]
	s_cbranch_vccnz .LBB31_2045
; %bb.2036:
	v_bfe_i32 v3, v2, 0, 8
	v_cvt_f32_i32_sdwa v3, sext(v3) dst_sel:DWORD dst_unused:UNUSED_PAD src0_sel:WORD_0
	s_mov_b32 s2, 0x47800000
                                        ; implicit-def: $vgpr4
	v_and_b32_e32 v5, 0x7fffffff, v3
	v_cmp_gt_u32_e32 vcc, s2, v5
	s_and_saveexec_b64 s[2:3], vcc
	s_xor_b64 s[2:3], exec, s[2:3]
	s_cbranch_execz .LBB31_2042
; %bb.2037:
	s_mov_b32 s4, 0x387fffff
	v_cmp_lt_u32_e32 vcc, s4, v5
                                        ; implicit-def: $vgpr4
	s_and_saveexec_b64 s[4:5], vcc
	s_xor_b64 s[4:5], exec, s[4:5]
; %bb.2038:
	v_bfe_u32 v4, v3, 21, 1
	s_mov_b32 s6, 0x80fffff
	v_add3_u32 v4, v3, v4, s6
	v_lshrrev_b32_e32 v4, 21, v4
; %bb.2039:
	s_andn2_saveexec_b64 s[4:5], s[4:5]
; %bb.2040:
	s_mov_b32 s6, 0x43000000
	v_add_f32_e64 v4, |v3|, s6
; %bb.2041:
	s_or_b64 exec, exec, s[4:5]
                                        ; implicit-def: $vgpr5
.LBB31_2042:
	s_andn2_saveexec_b64 s[2:3], s[2:3]
; %bb.2043:
	s_mov_b32 s4, 0x7f800000
	v_mov_b32_e32 v4, 0x7c
	v_mov_b32_e32 v6, 0x7f
	v_cmp_lt_u32_e32 vcc, s4, v5
	v_cndmask_b32_e32 v4, v4, v6, vcc
; %bb.2044:
	s_or_b64 exec, exec, s[2:3]
	v_lshrrev_b32_e32 v3, 24, v3
	s_movk_i32 s2, 0x80
	v_and_or_b32 v3, v3, s2, v4
	global_store_byte v[0:1], v3, off
.LBB31_2045:
	s_mov_b64 s[2:3], 0
.LBB31_2046:
	s_andn2_b64 vcc, exec, s[2:3]
	s_mov_b64 s[2:3], 0
	s_cbranch_vccnz .LBB31_2053
; %bb.2047:
	s_cmp_gt_i32 s18, 14
	s_mov_b64 s[4:5], -1
	s_cbranch_scc0 .LBB31_2051
; %bb.2048:
	s_cmp_eq_u32 s18, 15
	s_mov_b64 s[0:1], -1
	s_cbranch_scc0 .LBB31_2050
; %bb.2049:
	v_bfe_i32 v3, v2, 0, 8
	v_cvt_f32_i32_sdwa v3, sext(v3) dst_sel:DWORD dst_unused:UNUSED_PAD src0_sel:WORD_0
	s_movk_i32 s0, 0x7fff
	v_bfe_u32 v4, v3, 16, 1
	v_add3_u32 v3, v3, v4, s0
	global_store_short_d16_hi v[0:1], v3, off
	s_mov_b64 s[0:1], 0
.LBB31_2050:
	s_mov_b64 s[4:5], 0
.LBB31_2051:
	s_and_b64 vcc, exec, s[4:5]
	s_cbranch_vccz .LBB31_2053
; %bb.2052:
	s_cmp_lg_u32 s18, 11
	s_mov_b64 s[2:3], -1
	s_cselect_b64 s[0:1], -1, 0
.LBB31_2053:
	s_and_b64 vcc, exec, s[0:1]
	s_cbranch_vccnz .LBB31_2119
.LBB31_2054:
	s_mov_b64 s[0:1], 0
	s_branch .LBB31_2056
.LBB31_2055:
	s_mov_b64 s[0:1], 0
	s_mov_b64 s[2:3], 0
                                        ; implicit-def: $vgpr0_vgpr1
                                        ; implicit-def: $sgpr16
                                        ; implicit-def: $vgpr2
.LBB31_2056:
	s_and_b64 s[6:7], s[2:3], exec
	s_andn2_b64 s[2:3], s[28:29], exec
	s_and_b64 s[4:5], s[12:13], exec
	s_and_b64 s[0:1], s[0:1], exec
	s_or_b64 s[28:29], s[2:3], s[4:5]
.LBB31_2057:
	s_or_b64 exec, exec, s[30:31]
	s_and_saveexec_b64 s[2:3], s[28:29]
	s_cbranch_execz .LBB31_2060
; %bb.2058:
	; divergent unreachable
	s_or_b64 exec, exec, s[2:3]
	s_and_saveexec_b64 s[2:3], s[6:7]
	s_xor_b64 s[2:3], exec, s[2:3]
	s_cbranch_execnz .LBB31_2061
.LBB31_2059:
	s_or_b64 exec, exec, s[2:3]
	s_and_saveexec_b64 s[2:3], s[0:1]
	s_cbranch_execnz .LBB31_2062
	s_branch .LBB31_2099
.LBB31_2060:
	s_or_b64 exec, exec, s[2:3]
	s_and_saveexec_b64 s[2:3], s[6:7]
	s_xor_b64 s[2:3], exec, s[2:3]
	s_cbranch_execz .LBB31_2059
.LBB31_2061:
	s_waitcnt vmcnt(0)
	v_mov_b32_e32 v3, 0
	v_cmp_ne_u16_sdwa s[4:5], v2, v3 src0_sel:BYTE_0 src1_sel:DWORD
	v_cndmask_b32_e64 v3, 0, 1, s[4:5]
	global_store_byte v[0:1], v3, off
	s_or_b64 exec, exec, s[2:3]
	s_and_saveexec_b64 s[2:3], s[0:1]
	s_cbranch_execz .LBB31_2099
.LBB31_2062:
	s_sext_i32_i16 s2, s16
	s_cmp_lt_i32 s2, 5
	s_mov_b64 s[0:1], -1
	s_cbranch_scc1 .LBB31_2083
; %bb.2063:
	s_cmp_lt_i32 s2, 8
	s_cbranch_scc1 .LBB31_2073
; %bb.2064:
	s_cmp_lt_i32 s2, 9
	s_cbranch_scc1 .LBB31_2070
; %bb.2065:
	s_cmp_gt_i32 s2, 9
	s_cbranch_scc0 .LBB31_2067
; %bb.2066:
	s_waitcnt vmcnt(0)
	v_bfe_i32 v3, v2, 0, 8
	v_bfe_i32 v3, v3, 0, 16
	v_cvt_f64_i32_e32 v[3:4], v3
	v_mov_b32_e32 v5, 0
	v_mov_b32_e32 v6, v5
	s_mov_b64 s[0:1], 0
	global_store_dwordx4 v[0:1], v[3:6], off
.LBB31_2067:
	s_andn2_b64 vcc, exec, s[0:1]
	s_cbranch_vccnz .LBB31_2069
; %bb.2068:
	s_waitcnt vmcnt(0)
	v_bfe_i32 v3, v2, 0, 8
	v_cvt_f32_i32_sdwa v3, sext(v3) dst_sel:DWORD dst_unused:UNUSED_PAD src0_sel:WORD_0
	v_mov_b32_e32 v4, 0
	global_store_dwordx2 v[0:1], v[3:4], off
.LBB31_2069:
	s_mov_b64 s[0:1], 0
.LBB31_2070:
	s_andn2_b64 vcc, exec, s[0:1]
	s_cbranch_vccnz .LBB31_2072
; %bb.2071:
	s_waitcnt vmcnt(0)
	v_cvt_f16_i16_sdwa v3, sext(v2) dst_sel:DWORD dst_unused:UNUSED_PAD src0_sel:BYTE_0
	global_store_dword v[0:1], v3, off
.LBB31_2072:
	s_mov_b64 s[0:1], 0
.LBB31_2073:
	s_andn2_b64 vcc, exec, s[0:1]
	s_cbranch_vccnz .LBB31_2082
; %bb.2074:
	s_sext_i32_i16 s2, s16
	s_cmp_lt_i32 s2, 6
	s_mov_b64 s[0:1], -1
	s_cbranch_scc1 .LBB31_2080
; %bb.2075:
	s_cmp_gt_i32 s2, 6
	s_cbranch_scc0 .LBB31_2077
; %bb.2076:
	s_waitcnt vmcnt(0)
	v_bfe_i32 v3, v2, 0, 8
	v_bfe_i32 v3, v3, 0, 16
	v_cvt_f64_i32_e32 v[3:4], v3
	s_mov_b64 s[0:1], 0
	global_store_dwordx2 v[0:1], v[3:4], off
.LBB31_2077:
	s_andn2_b64 vcc, exec, s[0:1]
	s_cbranch_vccnz .LBB31_2079
; %bb.2078:
	s_waitcnt vmcnt(0)
	v_bfe_i32 v3, v2, 0, 8
	v_cvt_f32_i32_sdwa v3, sext(v3) dst_sel:DWORD dst_unused:UNUSED_PAD src0_sel:WORD_0
	global_store_dword v[0:1], v3, off
.LBB31_2079:
	s_mov_b64 s[0:1], 0
.LBB31_2080:
	s_andn2_b64 vcc, exec, s[0:1]
	s_cbranch_vccnz .LBB31_2082
; %bb.2081:
	s_waitcnt vmcnt(0)
	v_cvt_f16_i16_sdwa v3, sext(v2) dst_sel:DWORD dst_unused:UNUSED_PAD src0_sel:BYTE_0
	global_store_short v[0:1], v3, off
.LBB31_2082:
	s_mov_b64 s[0:1], 0
.LBB31_2083:
	s_andn2_b64 vcc, exec, s[0:1]
	s_cbranch_vccnz .LBB31_2099
; %bb.2084:
	s_sext_i32_i16 s2, s16
	s_cmp_lt_i32 s2, 2
	s_mov_b64 s[0:1], -1
	s_cbranch_scc1 .LBB31_2094
; %bb.2085:
	s_cmp_lt_i32 s2, 3
	s_cbranch_scc1 .LBB31_2091
; %bb.2086:
	s_cmp_gt_i32 s2, 3
	s_cbranch_scc0 .LBB31_2088
; %bb.2087:
	s_waitcnt vmcnt(0)
	v_bfe_i32 v3, v2, 0, 8
	v_ashrrev_i32_e32 v4, 31, v3
	global_store_dwordx2 v[0:1], v[3:4], off
	s_mov_b64 s[0:1], 0
.LBB31_2088:
	s_andn2_b64 vcc, exec, s[0:1]
	s_cbranch_vccnz .LBB31_2090
; %bb.2089:
	s_waitcnt vmcnt(0)
	v_bfe_i32 v3, v2, 0, 8
	global_store_dword v[0:1], v3, off
.LBB31_2090:
	s_mov_b64 s[0:1], 0
.LBB31_2091:
	s_andn2_b64 vcc, exec, s[0:1]
	s_cbranch_vccnz .LBB31_2093
; %bb.2092:
	s_waitcnt vmcnt(0)
	v_bfe_i32 v3, v2, 0, 8
	global_store_short v[0:1], v3, off
.LBB31_2093:
	s_mov_b64 s[0:1], 0
.LBB31_2094:
	s_andn2_b64 vcc, exec, s[0:1]
	s_cbranch_vccnz .LBB31_2099
; %bb.2095:
	s_sext_i32_i16 s0, s16
	s_cmp_gt_i32 s0, 0
	s_mov_b64 s[0:1], -1
	s_cbranch_scc0 .LBB31_2097
; %bb.2096:
	global_store_byte v[0:1], v2, off
	s_mov_b64 s[0:1], 0
.LBB31_2097:
	s_andn2_b64 vcc, exec, s[0:1]
	s_cbranch_vccnz .LBB31_2099
; %bb.2098:
	global_store_byte v[0:1], v2, off
	s_endpgm
.LBB31_2099:
	s_endpgm
.LBB31_2100:
	s_mov_b64 s[2:3], 0
	s_mov_b64 s[0:1], -1
	s_branch .LBB31_2056
.LBB31_2101:
	s_trap 2
	s_or_b64 s[12:13], s[12:13], exec
	s_cbranch_execz .LBB31_1570
	s_branch .LBB31_1571
.LBB31_2102:
	s_andn2_saveexec_b64 s[14:15], s[14:15]
	s_cbranch_execz .LBB31_1650
.LBB31_2103:
	s_mov_b32 s19, 0x46000000
	v_add_f32_e64 v8, |v3|, s19
	v_and_b32_e32 v8, 0xff, v8
	v_cmp_ne_u32_e32 vcc, 0, v8
	s_andn2_b64 s[10:11], s[10:11], exec
	s_and_b64 s[20:21], vcc, exec
	s_or_b64 s[10:11], s[10:11], s[20:21]
	s_or_b64 exec, exec, s[14:15]
	v_mov_b32_e32 v10, 0
	s_and_saveexec_b64 s[14:15], s[10:11]
	s_cbranch_execnz .LBB31_1651
	s_branch .LBB31_1652
.LBB31_2104:
	s_trap 2
	s_or_b64 s[12:13], s[12:13], exec
	s_cbranch_execz .LBB31_1698
	s_branch .LBB31_1699
.LBB31_2105:
	s_andn2_saveexec_b64 s[10:11], s[10:11]
	s_cbranch_execz .LBB31_1663
.LBB31_2106:
	s_mov_b32 s14, 0x42800000
	v_add_f32_e64 v8, |v3|, s14
	v_and_b32_e32 v8, 0xff, v8
	v_cmp_ne_u32_e32 vcc, 0, v8
	s_andn2_b64 s[6:7], s[6:7], exec
	s_and_b64 s[14:15], vcc, exec
	s_or_b64 s[6:7], s[6:7], s[14:15]
	s_or_b64 exec, exec, s[10:11]
	v_mov_b32_e32 v10, 0
	s_and_saveexec_b64 s[10:11], s[6:7]
	s_cbranch_execnz .LBB31_1664
	s_branch .LBB31_1665
.LBB31_2107:
	s_andn2_saveexec_b64 s[14:15], s[14:15]
	s_cbranch_execz .LBB31_1769
.LBB31_2108:
	s_mov_b32 s19, 0x46000000
	v_add_f32_e64 v6, |v5|, s19
	v_and_b32_e32 v6, 0xff, v6
	v_cmp_ne_u32_e32 vcc, 0, v6
	s_andn2_b64 s[10:11], s[10:11], exec
	s_and_b64 s[20:21], vcc, exec
	s_or_b64 s[10:11], s[10:11], s[20:21]
	s_or_b64 exec, exec, s[14:15]
	v_mov_b32_e32 v8, 0
	s_and_saveexec_b64 s[14:15], s[10:11]
	s_cbranch_execnz .LBB31_1770
	s_branch .LBB31_1771
.LBB31_2109:
	s_trap 2
	s_or_b64 s[12:13], s[12:13], exec
	s_cbranch_execz .LBB31_1817
	s_branch .LBB31_1818
.LBB31_2110:
	s_andn2_saveexec_b64 s[10:11], s[10:11]
	s_cbranch_execz .LBB31_1782
.LBB31_2111:
	s_mov_b32 s14, 0x42800000
	v_add_f32_e64 v6, |v5|, s14
	v_and_b32_e32 v6, 0xff, v6
	v_cmp_ne_u32_e32 vcc, 0, v6
	s_andn2_b64 s[6:7], s[6:7], exec
	s_and_b64 s[14:15], vcc, exec
	s_or_b64 s[6:7], s[6:7], s[14:15]
	s_or_b64 exec, exec, s[10:11]
	v_mov_b32_e32 v8, 0
	s_and_saveexec_b64 s[10:11], s[6:7]
	s_cbranch_execnz .LBB31_1783
	s_branch .LBB31_1784
.LBB31_2112:
	s_andn2_saveexec_b64 s[14:15], s[14:15]
	s_cbranch_execz .LBB31_1888
.LBB31_2113:
	s_mov_b32 s19, 0x46000000
	v_add_f32_e64 v5, |v4|, s19
	v_and_b32_e32 v5, 0xff, v5
	v_cmp_ne_u32_e32 vcc, 0, v5
	s_andn2_b64 s[10:11], s[10:11], exec
	s_and_b64 s[20:21], vcc, exec
	s_or_b64 s[10:11], s[10:11], s[20:21]
	s_or_b64 exec, exec, s[14:15]
	v_mov_b32_e32 v6, 0
	s_and_saveexec_b64 s[14:15], s[10:11]
	s_cbranch_execnz .LBB31_1889
	s_branch .LBB31_1890
.LBB31_2114:
	s_trap 2
	s_or_b64 s[12:13], s[12:13], exec
	s_cbranch_execz .LBB31_1936
	s_branch .LBB31_1937
.LBB31_2115:
	s_andn2_saveexec_b64 s[10:11], s[10:11]
	s_cbranch_execz .LBB31_1901
.LBB31_2116:
	s_mov_b32 s14, 0x42800000
	v_add_f32_e64 v5, |v4|, s14
	v_and_b32_e32 v5, 0xff, v5
	v_cmp_ne_u32_e32 vcc, 0, v5
	s_andn2_b64 s[6:7], s[6:7], exec
	s_and_b64 s[14:15], vcc, exec
	s_or_b64 s[6:7], s[6:7], s[14:15]
	s_or_b64 exec, exec, s[10:11]
	v_mov_b32_e32 v6, 0
	s_and_saveexec_b64 s[10:11], s[6:7]
	s_cbranch_execnz .LBB31_1902
	s_branch .LBB31_1903
.LBB31_2117:
	s_andn2_saveexec_b64 s[8:9], s[8:9]
	s_cbranch_execz .LBB31_2008
.LBB31_2118:
	s_mov_b32 s10, 0x46000000
	v_add_f32_e64 v4, |v3|, s10
	v_and_b32_e32 v4, 0xff, v4
	v_cmp_ne_u32_e32 vcc, 0, v4
	s_andn2_b64 s[6:7], s[6:7], exec
	s_and_b64 s[10:11], vcc, exec
	s_or_b64 s[6:7], s[6:7], s[10:11]
	s_or_b64 exec, exec, s[8:9]
	v_mov_b32_e32 v5, 0
	s_and_saveexec_b64 s[8:9], s[6:7]
	s_cbranch_execnz .LBB31_2009
	s_branch .LBB31_2010
.LBB31_2119:
	s_mov_b64 s[2:3], 0
	s_or_b64 s[12:13], s[12:13], exec
	s_trap 2
	s_branch .LBB31_2054
.LBB31_2120:
	s_andn2_saveexec_b64 s[6:7], s[6:7]
	s_cbranch_execz .LBB31_2020
.LBB31_2121:
	s_mov_b32 s8, 0x42800000
	v_add_f32_e64 v4, |v3|, s8
	v_and_b32_e32 v4, 0xff, v4
	v_cmp_ne_u32_e32 vcc, 0, v4
	s_andn2_b64 s[4:5], s[4:5], exec
	s_and_b64 s[8:9], vcc, exec
	s_or_b64 s[4:5], s[4:5], s[8:9]
	s_or_b64 exec, exec, s[6:7]
	v_mov_b32_e32 v5, 0
	s_and_saveexec_b64 s[6:7], s[4:5]
	s_cbranch_execnz .LBB31_2021
	s_branch .LBB31_2022
	.section	.rodata,"a",@progbits
	.p2align	6, 0x0
	.amdhsa_kernel _ZN2at6native32elementwise_kernel_manual_unrollILi128ELi4EZNS0_15gpu_kernel_implINS0_13AUnaryFunctorIaaaZNS0_12_GLOBAL__N_121threshold_kernel_implIaEEvRNS_18TensorIteratorBaseET_S8_EUlaaE_EEEEvS7_RKS8_EUlibE0_EEviT1_
		.amdhsa_group_segment_fixed_size 0
		.amdhsa_private_segment_fixed_size 0
		.amdhsa_kernarg_size 360
		.amdhsa_user_sgpr_count 6
		.amdhsa_user_sgpr_private_segment_buffer 1
		.amdhsa_user_sgpr_dispatch_ptr 0
		.amdhsa_user_sgpr_queue_ptr 0
		.amdhsa_user_sgpr_kernarg_segment_ptr 1
		.amdhsa_user_sgpr_dispatch_id 0
		.amdhsa_user_sgpr_flat_scratch_init 0
		.amdhsa_user_sgpr_private_segment_size 0
		.amdhsa_uses_dynamic_stack 0
		.amdhsa_system_sgpr_private_segment_wavefront_offset 0
		.amdhsa_system_sgpr_workgroup_id_x 1
		.amdhsa_system_sgpr_workgroup_id_y 0
		.amdhsa_system_sgpr_workgroup_id_z 0
		.amdhsa_system_sgpr_workgroup_info 0
		.amdhsa_system_vgpr_workitem_id 0
		.amdhsa_next_free_vgpr 18
		.amdhsa_next_free_sgpr 81
		.amdhsa_reserve_vcc 1
		.amdhsa_reserve_flat_scratch 0
		.amdhsa_float_round_mode_32 0
		.amdhsa_float_round_mode_16_64 0
		.amdhsa_float_denorm_mode_32 3
		.amdhsa_float_denorm_mode_16_64 3
		.amdhsa_dx10_clamp 1
		.amdhsa_ieee_mode 1
		.amdhsa_fp16_overflow 0
		.amdhsa_exception_fp_ieee_invalid_op 0
		.amdhsa_exception_fp_denorm_src 0
		.amdhsa_exception_fp_ieee_div_zero 0
		.amdhsa_exception_fp_ieee_overflow 0
		.amdhsa_exception_fp_ieee_underflow 0
		.amdhsa_exception_fp_ieee_inexact 0
		.amdhsa_exception_int_div_zero 0
	.end_amdhsa_kernel
	.section	.text._ZN2at6native32elementwise_kernel_manual_unrollILi128ELi4EZNS0_15gpu_kernel_implINS0_13AUnaryFunctorIaaaZNS0_12_GLOBAL__N_121threshold_kernel_implIaEEvRNS_18TensorIteratorBaseET_S8_EUlaaE_EEEEvS7_RKS8_EUlibE0_EEviT1_,"axG",@progbits,_ZN2at6native32elementwise_kernel_manual_unrollILi128ELi4EZNS0_15gpu_kernel_implINS0_13AUnaryFunctorIaaaZNS0_12_GLOBAL__N_121threshold_kernel_implIaEEvRNS_18TensorIteratorBaseET_S8_EUlaaE_EEEEvS7_RKS8_EUlibE0_EEviT1_,comdat
.Lfunc_end31:
	.size	_ZN2at6native32elementwise_kernel_manual_unrollILi128ELi4EZNS0_15gpu_kernel_implINS0_13AUnaryFunctorIaaaZNS0_12_GLOBAL__N_121threshold_kernel_implIaEEvRNS_18TensorIteratorBaseET_S8_EUlaaE_EEEEvS7_RKS8_EUlibE0_EEviT1_, .Lfunc_end31-_ZN2at6native32elementwise_kernel_manual_unrollILi128ELi4EZNS0_15gpu_kernel_implINS0_13AUnaryFunctorIaaaZNS0_12_GLOBAL__N_121threshold_kernel_implIaEEvRNS_18TensorIteratorBaseET_S8_EUlaaE_EEEEvS7_RKS8_EUlibE0_EEviT1_
                                        ; -- End function
	.set _ZN2at6native32elementwise_kernel_manual_unrollILi128ELi4EZNS0_15gpu_kernel_implINS0_13AUnaryFunctorIaaaZNS0_12_GLOBAL__N_121threshold_kernel_implIaEEvRNS_18TensorIteratorBaseET_S8_EUlaaE_EEEEvS7_RKS8_EUlibE0_EEviT1_.num_vgpr, 18
	.set _ZN2at6native32elementwise_kernel_manual_unrollILi128ELi4EZNS0_15gpu_kernel_implINS0_13AUnaryFunctorIaaaZNS0_12_GLOBAL__N_121threshold_kernel_implIaEEvRNS_18TensorIteratorBaseET_S8_EUlaaE_EEEEvS7_RKS8_EUlibE0_EEviT1_.num_agpr, 0
	.set _ZN2at6native32elementwise_kernel_manual_unrollILi128ELi4EZNS0_15gpu_kernel_implINS0_13AUnaryFunctorIaaaZNS0_12_GLOBAL__N_121threshold_kernel_implIaEEvRNS_18TensorIteratorBaseET_S8_EUlaaE_EEEEvS7_RKS8_EUlibE0_EEviT1_.numbered_sgpr, 81
	.set _ZN2at6native32elementwise_kernel_manual_unrollILi128ELi4EZNS0_15gpu_kernel_implINS0_13AUnaryFunctorIaaaZNS0_12_GLOBAL__N_121threshold_kernel_implIaEEvRNS_18TensorIteratorBaseET_S8_EUlaaE_EEEEvS7_RKS8_EUlibE0_EEviT1_.num_named_barrier, 0
	.set _ZN2at6native32elementwise_kernel_manual_unrollILi128ELi4EZNS0_15gpu_kernel_implINS0_13AUnaryFunctorIaaaZNS0_12_GLOBAL__N_121threshold_kernel_implIaEEvRNS_18TensorIteratorBaseET_S8_EUlaaE_EEEEvS7_RKS8_EUlibE0_EEviT1_.private_seg_size, 0
	.set _ZN2at6native32elementwise_kernel_manual_unrollILi128ELi4EZNS0_15gpu_kernel_implINS0_13AUnaryFunctorIaaaZNS0_12_GLOBAL__N_121threshold_kernel_implIaEEvRNS_18TensorIteratorBaseET_S8_EUlaaE_EEEEvS7_RKS8_EUlibE0_EEviT1_.uses_vcc, 1
	.set _ZN2at6native32elementwise_kernel_manual_unrollILi128ELi4EZNS0_15gpu_kernel_implINS0_13AUnaryFunctorIaaaZNS0_12_GLOBAL__N_121threshold_kernel_implIaEEvRNS_18TensorIteratorBaseET_S8_EUlaaE_EEEEvS7_RKS8_EUlibE0_EEviT1_.uses_flat_scratch, 0
	.set _ZN2at6native32elementwise_kernel_manual_unrollILi128ELi4EZNS0_15gpu_kernel_implINS0_13AUnaryFunctorIaaaZNS0_12_GLOBAL__N_121threshold_kernel_implIaEEvRNS_18TensorIteratorBaseET_S8_EUlaaE_EEEEvS7_RKS8_EUlibE0_EEviT1_.has_dyn_sized_stack, 0
	.set _ZN2at6native32elementwise_kernel_manual_unrollILi128ELi4EZNS0_15gpu_kernel_implINS0_13AUnaryFunctorIaaaZNS0_12_GLOBAL__N_121threshold_kernel_implIaEEvRNS_18TensorIteratorBaseET_S8_EUlaaE_EEEEvS7_RKS8_EUlibE0_EEviT1_.has_recursion, 0
	.set _ZN2at6native32elementwise_kernel_manual_unrollILi128ELi4EZNS0_15gpu_kernel_implINS0_13AUnaryFunctorIaaaZNS0_12_GLOBAL__N_121threshold_kernel_implIaEEvRNS_18TensorIteratorBaseET_S8_EUlaaE_EEEEvS7_RKS8_EUlibE0_EEviT1_.has_indirect_call, 0
	.section	.AMDGPU.csdata,"",@progbits
; Kernel info:
; codeLenInByte = 36276
; TotalNumSgprs: 85
; NumVgprs: 18
; ScratchSize: 0
; MemoryBound: 1
; FloatMode: 240
; IeeeMode: 1
; LDSByteSize: 0 bytes/workgroup (compile time only)
; SGPRBlocks: 10
; VGPRBlocks: 4
; NumSGPRsForWavesPerEU: 85
; NumVGPRsForWavesPerEU: 18
; Occupancy: 9
; WaveLimiterHint : 1
; COMPUTE_PGM_RSRC2:SCRATCH_EN: 0
; COMPUTE_PGM_RSRC2:USER_SGPR: 6
; COMPUTE_PGM_RSRC2:TRAP_HANDLER: 0
; COMPUTE_PGM_RSRC2:TGID_X_EN: 1
; COMPUTE_PGM_RSRC2:TGID_Y_EN: 0
; COMPUTE_PGM_RSRC2:TGID_Z_EN: 0
; COMPUTE_PGM_RSRC2:TIDIG_COMP_CNT: 0
	.section	.text._ZN2at6native29vectorized_elementwise_kernelILi16ENS0_13BUnaryFunctorIaaaZNS0_12_GLOBAL__N_121threshold_kernel_implIaEEvRNS_18TensorIteratorBaseET_S7_EUlaaE_EESt5arrayIPcLm2EEEEviT0_T1_,"axG",@progbits,_ZN2at6native29vectorized_elementwise_kernelILi16ENS0_13BUnaryFunctorIaaaZNS0_12_GLOBAL__N_121threshold_kernel_implIaEEvRNS_18TensorIteratorBaseET_S7_EUlaaE_EESt5arrayIPcLm2EEEEviT0_T1_,comdat
	.globl	_ZN2at6native29vectorized_elementwise_kernelILi16ENS0_13BUnaryFunctorIaaaZNS0_12_GLOBAL__N_121threshold_kernel_implIaEEvRNS_18TensorIteratorBaseET_S7_EUlaaE_EESt5arrayIPcLm2EEEEviT0_T1_ ; -- Begin function _ZN2at6native29vectorized_elementwise_kernelILi16ENS0_13BUnaryFunctorIaaaZNS0_12_GLOBAL__N_121threshold_kernel_implIaEEvRNS_18TensorIteratorBaseET_S7_EUlaaE_EESt5arrayIPcLm2EEEEviT0_T1_
	.p2align	8
	.type	_ZN2at6native29vectorized_elementwise_kernelILi16ENS0_13BUnaryFunctorIaaaZNS0_12_GLOBAL__N_121threshold_kernel_implIaEEvRNS_18TensorIteratorBaseET_S7_EUlaaE_EESt5arrayIPcLm2EEEEviT0_T1_,@function
_ZN2at6native29vectorized_elementwise_kernelILi16ENS0_13BUnaryFunctorIaaaZNS0_12_GLOBAL__N_121threshold_kernel_implIaEEvRNS_18TensorIteratorBaseET_S7_EUlaaE_EESt5arrayIPcLm2EEEEviT0_T1_: ; @_ZN2at6native29vectorized_elementwise_kernelILi16ENS0_13BUnaryFunctorIaaaZNS0_12_GLOBAL__N_121threshold_kernel_implIaEEvRNS_18TensorIteratorBaseET_S7_EUlaaE_EESt5arrayIPcLm2EEEEviT0_T1_
; %bb.0:
	v_mov_b32_e32 v1, 0
	global_load_ubyte v2, v1, s[4:5] offset:6
	global_load_ushort v3, v1, s[4:5] offset:4
	s_load_dword s0, s[4:5], 0x0
	s_load_dwordx4 s[8:11], s[4:5], 0x8
	s_lshl_b32 s33, s6, 12
	s_waitcnt lgkmcnt(0)
	s_sub_i32 s38, s0, s33
	s_cmpk_gt_i32 s38, 0xfff
	s_mov_b64 s[0:1], -1
	s_waitcnt vmcnt(1)
	v_lshlrev_b32_e32 v1, 16, v2
	s_waitcnt vmcnt(0)
	v_or_b32_e32 v4, v3, v1
	s_cbranch_scc0 .LBB32_2
; %bb.1:
	s_ashr_i32 s2, s33, 31
	s_add_u32 s0, s10, s33
	s_addc_u32 s1, s11, s2
	v_lshlrev_b32_e32 v1, 4, v0
	global_load_dwordx4 v[5:8], v1, s[0:1]
	s_add_u32 s0, s8, s33
	s_addc_u32 s1, s9, s2
	s_mov_b32 s4, 0xc0c0004
	s_waitcnt vmcnt(0)
	v_cmp_le_i16_sdwa s[2:3], sext(v5), sext(v3) src0_sel:BYTE_1 src1_sel:BYTE_0
	v_cndmask_b32_e64 v12, 16, 8, s[2:3]
	v_cmp_le_i16_sdwa s[2:3], sext(v5), sext(v3) src0_sel:BYTE_0 src1_sel:BYTE_0
	v_lshrrev_b32_e32 v2, 16, v5
	v_cndmask_b32_e64 v5, 16, 8, s[2:3]
	v_cmp_le_i16_sdwa s[2:3], sext(v6), sext(v3) src0_sel:BYTE_0 src1_sel:BYTE_0
	v_cndmask_b32_e64 v13, 16, 8, s[2:3]
	v_cmp_le_i16_sdwa s[2:3], sext(v6), sext(v3) src0_sel:BYTE_1 src1_sel:BYTE_0
	v_lshrrev_b32_e32 v9, 16, v6
	v_cndmask_b32_e64 v6, 16, 8, s[2:3]
	v_cmp_le_i16_sdwa s[2:3], sext(v7), sext(v3) src0_sel:BYTE_0 src1_sel:BYTE_0
	v_cndmask_b32_e64 v14, 16, 8, s[2:3]
	v_cmp_le_i16_sdwa s[2:3], sext(v7), sext(v3) src0_sel:BYTE_1 src1_sel:BYTE_0
	;; [unrolled: 5-line block ×3, first 2 shown]
	v_lshrrev_b32_e32 v11, 16, v8
	v_cndmask_b32_e64 v8, 16, 8, s[2:3]
	v_cmp_le_i16_sdwa s[2:3], sext(v2), sext(v3) src0_sel:BYTE_1 src1_sel:BYTE_0
	v_cndmask_b32_e64 v16, 16, 8, s[2:3]
	v_cmp_le_i16_sdwa s[2:3], sext(v2), sext(v3) src0_sel:BYTE_0 src1_sel:BYTE_0
	v_cndmask_b32_e64 v2, 16, 8, s[2:3]
	v_cmp_le_i16_sdwa s[2:3], sext(v9), sext(v3) src0_sel:BYTE_0 src1_sel:BYTE_0
	v_cndmask_b32_e64 v17, 16, 8, s[2:3]
	v_cmp_le_i16_sdwa s[2:3], sext(v9), sext(v3) src0_sel:BYTE_1 src1_sel:BYTE_0
	v_cndmask_b32_e64 v9, 16, 8, s[2:3]
	v_cmp_le_i16_sdwa s[2:3], sext(v10), sext(v3) src0_sel:BYTE_0 src1_sel:BYTE_0
	v_cndmask_b32_e64 v18, 16, 8, s[2:3]
	v_cmp_le_i16_sdwa s[2:3], sext(v10), sext(v3) src0_sel:BYTE_1 src1_sel:BYTE_0
	v_cndmask_b32_e64 v10, 16, 8, s[2:3]
	v_cmp_le_i16_sdwa s[2:3], sext(v11), sext(v3) src0_sel:BYTE_0 src1_sel:BYTE_0
	v_cndmask_b32_e64 v19, 16, 8, s[2:3]
	v_cmp_le_i16_sdwa s[2:3], sext(v11), sext(v3) src0_sel:BYTE_1 src1_sel:BYTE_0
	v_lshrrev_b32_e32 v5, v5, v4
	v_lshrrev_b32_sdwa v12, v12, v4 dst_sel:BYTE_1 dst_unused:UNUSED_PAD src0_sel:DWORD src1_sel:DWORD
	v_lshrrev_b32_e32 v6, v6, v4
	v_lshrrev_b32_e32 v13, v13, v4
	;; [unrolled: 1-line block ×4, first 2 shown]
	v_cndmask_b32_e64 v11, 16, 8, s[2:3]
	v_lshrrev_b32_e32 v8, v8, v4
	v_lshrrev_b32_e32 v15, v15, v4
	;; [unrolled: 1-line block ×3, first 2 shown]
	v_lshrrev_b32_sdwa v16, v16, v4 dst_sel:BYTE_1 dst_unused:UNUSED_PAD src0_sel:DWORD src1_sel:DWORD
	v_or_b32_sdwa v5, v5, v12 dst_sel:DWORD dst_unused:UNUSED_PAD src0_sel:BYTE_0 src1_sel:DWORD
	v_lshrrev_b32_e32 v9, v9, v4
	v_lshrrev_b32_e32 v12, v17, v4
	v_perm_b32 v6, v13, v6, s4
	v_lshrrev_b32_e32 v10, v10, v4
	v_lshrrev_b32_e32 v13, v18, v4
	v_perm_b32 v7, v14, v7, s4
	;; [unrolled: 3-line block ×3, first 2 shown]
	v_or_b32_sdwa v2, v2, v16 dst_sel:WORD_1 dst_unused:UNUSED_PAD src0_sel:BYTE_0 src1_sel:DWORD
	v_perm_b32 v9, v12, v9, s4
	v_perm_b32 v10, v13, v10, s4
	;; [unrolled: 1-line block ×3, first 2 shown]
	v_or_b32_sdwa v5, v5, v2 dst_sel:DWORD dst_unused:UNUSED_PAD src0_sel:WORD_0 src1_sel:DWORD
	v_lshl_or_b32 v6, v9, 16, v6
	v_lshl_or_b32 v7, v10, 16, v7
	;; [unrolled: 1-line block ×3, first 2 shown]
	global_store_dwordx4 v1, v[5:8], s[0:1]
	s_mov_b64 s[0:1], 0
.LBB32_2:
	s_andn2_b64 vcc, exec, s[0:1]
	s_cbranch_vccnz .LBB32_52
; %bb.3:
	v_cmp_gt_i32_e32 vcc, s38, v0
	v_or_b32_e32 v5, 0x100, v0
	v_mov_b32_e32 v22, 0
	v_or_b32_e32 v6, s33, v0
	v_mov_b32_e32 v21, 0
	v_mov_b32_e32 v20, 0
	;; [unrolled: 1-line block ×15, first 2 shown]
	s_and_saveexec_b64 s[2:3], vcc
	s_cbranch_execz .LBB32_35
; %bb.4:
	global_load_ubyte v12, v6, s[10:11]
	v_cmp_gt_u32_e64 s[0:1], s38, v5
	v_mov_b32_e32 v13, 0
	v_mov_b32_e32 v15, 0
	;; [unrolled: 1-line block ×15, first 2 shown]
	s_and_saveexec_b64 s[4:5], s[0:1]
	s_cbranch_execz .LBB32_34
; %bb.5:
	v_add_u32_e32 v1, s33, v0
	global_load_ubyte v13, v1, s[10:11] offset:256
	v_or_b32_e32 v2, 0x200, v0
	v_mov_b32_e32 v15, 0
	v_cmp_gt_u32_e64 s[0:1], s38, v2
	v_mov_b32_e32 v7, 0
	v_mov_b32_e32 v9, 0
	;; [unrolled: 1-line block ×13, first 2 shown]
	s_and_saveexec_b64 s[6:7], s[0:1]
	s_cbranch_execz .LBB32_33
; %bb.6:
	v_mov_b32_e32 v2, s11
	v_add_co_u32_e64 v1, s[0:1], s10, v1
	v_addc_co_u32_e64 v2, s[0:1], 0, v2, s[0:1]
	global_load_ubyte v15, v[1:2], off offset:512
	v_or_b32_e32 v7, 0x300, v0
	v_cmp_gt_u32_e64 s[0:1], s38, v7
	v_mov_b32_e32 v7, 0
	v_mov_b32_e32 v9, 0
	;; [unrolled: 1-line block ×13, first 2 shown]
	s_and_saveexec_b64 s[10:11], s[0:1]
	s_cbranch_execz .LBB32_32
; %bb.7:
	global_load_ubyte v7, v[1:2], off offset:768
	v_or_b32_e32 v8, 0x400, v0
	v_cmp_gt_u32_e64 s[0:1], s38, v8
	v_mov_b32_e32 v9, 0
	v_mov_b32_e32 v8, 0
	;; [unrolled: 1-line block ×12, first 2 shown]
	s_and_saveexec_b64 s[12:13], s[0:1]
	s_cbranch_execz .LBB32_31
; %bb.8:
	global_load_ubyte v9, v[1:2], off offset:1024
	v_or_b32_e32 v8, 0x500, v0
	v_cmp_gt_u32_e64 s[0:1], s38, v8
	v_mov_b32_e32 v8, 0
	v_mov_b32_e32 v11, 0
	;; [unrolled: 1-line block ×11, first 2 shown]
	s_and_saveexec_b64 s[14:15], s[0:1]
	s_cbranch_execz .LBB32_30
; %bb.9:
	global_load_ubyte v8, v[1:2], off offset:1280
	v_or_b32_e32 v10, 0x600, v0
	v_cmp_gt_u32_e64 s[0:1], s38, v10
	v_mov_b32_e32 v11, 0
	v_mov_b32_e32 v10, 0
	;; [unrolled: 1-line block ×10, first 2 shown]
	s_and_saveexec_b64 s[16:17], s[0:1]
	s_cbranch_execz .LBB32_29
; %bb.10:
	global_load_ubyte v11, v[1:2], off offset:1536
	v_or_b32_e32 v10, 0x700, v0
	v_cmp_gt_u32_e64 s[0:1], s38, v10
	v_mov_b32_e32 v10, 0
	v_mov_b32_e32 v14, 0
	v_mov_b32_e32 v16, 0
	v_mov_b32_e32 v17, 0
	v_mov_b32_e32 v18, 0
	v_mov_b32_e32 v19, 0
	v_mov_b32_e32 v20, 0
	v_mov_b32_e32 v21, 0
	v_mov_b32_e32 v22, 0
	s_and_saveexec_b64 s[18:19], s[0:1]
	s_cbranch_execz .LBB32_28
; %bb.11:
	global_load_ubyte v10, v[1:2], off offset:1792
	v_or_b32_e32 v14, 0x800, v0
	v_cmp_gt_u32_e64 s[0:1], s38, v14
	v_mov_b32_e32 v14, 0
	v_mov_b32_e32 v16, 0
	;; [unrolled: 1-line block ×8, first 2 shown]
	s_and_saveexec_b64 s[20:21], s[0:1]
	s_cbranch_execz .LBB32_27
; %bb.12:
	global_load_ubyte v14, v[1:2], off offset:2048
	v_or_b32_e32 v16, 0x900, v0
	v_cmp_gt_u32_e64 s[0:1], s38, v16
	v_mov_b32_e32 v16, 0
	v_mov_b32_e32 v17, 0
	v_mov_b32_e32 v18, 0
	v_mov_b32_e32 v19, 0
	v_mov_b32_e32 v20, 0
	v_mov_b32_e32 v21, 0
	v_mov_b32_e32 v22, 0
	s_and_saveexec_b64 s[22:23], s[0:1]
	s_cbranch_execz .LBB32_26
; %bb.13:
	global_load_ubyte v16, v[1:2], off offset:2304
	v_or_b32_e32 v17, 0xa00, v0
	v_cmp_gt_u32_e64 s[0:1], s38, v17
	v_mov_b32_e32 v17, 0
	v_mov_b32_e32 v18, 0
	;; [unrolled: 1-line block ×6, first 2 shown]
	s_and_saveexec_b64 s[24:25], s[0:1]
	s_cbranch_execz .LBB32_25
; %bb.14:
	global_load_ubyte v17, v[1:2], off offset:2560
	v_or_b32_e32 v18, 0xb00, v0
	v_cmp_gt_u32_e64 s[0:1], s38, v18
	v_mov_b32_e32 v18, 0
	v_mov_b32_e32 v19, 0
	;; [unrolled: 1-line block ×5, first 2 shown]
	s_and_saveexec_b64 s[26:27], s[0:1]
	s_cbranch_execz .LBB32_24
; %bb.15:
	global_load_ubyte v18, v[1:2], off offset:2816
	v_or_b32_e32 v19, 0xc00, v0
	v_cmp_gt_u32_e64 s[0:1], s38, v19
	v_mov_b32_e32 v19, 0
	v_mov_b32_e32 v20, 0
	;; [unrolled: 1-line block ×4, first 2 shown]
	s_and_saveexec_b64 s[28:29], s[0:1]
	s_cbranch_execz .LBB32_23
; %bb.16:
	global_load_ubyte v19, v[1:2], off offset:3072
	v_or_b32_e32 v20, 0xd00, v0
	v_cmp_gt_u32_e64 s[0:1], s38, v20
	v_mov_b32_e32 v20, 0
	v_mov_b32_e32 v21, 0
	;; [unrolled: 1-line block ×3, first 2 shown]
	s_and_saveexec_b64 s[30:31], s[0:1]
	s_cbranch_execz .LBB32_22
; %bb.17:
	global_load_ubyte v20, v[1:2], off offset:3328
	v_or_b32_e32 v21, 0xe00, v0
	v_cmp_gt_u32_e64 s[0:1], s38, v21
	v_mov_b32_e32 v21, 0
	v_mov_b32_e32 v22, 0
	s_and_saveexec_b64 s[34:35], s[0:1]
	s_cbranch_execz .LBB32_21
; %bb.18:
	global_load_ubyte v21, v[1:2], off offset:3584
	v_or_b32_e32 v22, 0xf00, v0
	v_cmp_gt_u32_e64 s[0:1], s38, v22
	v_mov_b32_e32 v22, 0
	s_and_saveexec_b64 s[36:37], s[0:1]
	s_cbranch_execz .LBB32_20
; %bb.19:
	global_load_ubyte v22, v[1:2], off offset:3840
.LBB32_20:
	s_or_b64 exec, exec, s[36:37]
.LBB32_21:
	s_or_b64 exec, exec, s[34:35]
.LBB32_22:
	s_or_b64 exec, exec, s[30:31]
.LBB32_23:
	s_or_b64 exec, exec, s[28:29]
.LBB32_24:
	s_or_b64 exec, exec, s[26:27]
.LBB32_25:
	s_or_b64 exec, exec, s[24:25]
.LBB32_26:
	s_or_b64 exec, exec, s[22:23]
.LBB32_27:
	s_or_b64 exec, exec, s[20:21]
.LBB32_28:
	s_or_b64 exec, exec, s[18:19]
.LBB32_29:
	s_or_b64 exec, exec, s[16:17]
.LBB32_30:
	s_or_b64 exec, exec, s[14:15]
.LBB32_31:
	s_or_b64 exec, exec, s[12:13]
.LBB32_32:
	s_or_b64 exec, exec, s[10:11]
.LBB32_33:
	s_or_b64 exec, exec, s[6:7]
.LBB32_34:
	s_or_b64 exec, exec, s[4:5]
.LBB32_35:
	s_or_b64 exec, exec, s[2:3]
	s_waitcnt vmcnt(0)
	v_cmp_gt_i16_sdwa s[0:1], sext(v12), sext(v3) src0_sel:BYTE_0 src1_sel:BYTE_0
	v_cndmask_b32_e64 v1, 8, 16, s[0:1]
	v_cmp_gt_i16_sdwa s[0:1], sext(v13), sext(v3) src0_sel:BYTE_0 src1_sel:BYTE_0
	v_bfe_u32 v1, v4, v1, 8
	v_cndmask_b32_e64 v2, 8, 16, s[0:1]
	v_cndmask_b32_e32 v1, 0, v1, vcc
	v_lshrrev_b32_sdwa v2, v2, v4 dst_sel:BYTE_1 dst_unused:UNUSED_PAD src0_sel:DWORD src1_sel:DWORD
	v_or_b32_e32 v2, v1, v2
	v_and_b32_e32 v2, 0xffff, v2
	v_cmp_gt_i32_e64 s[0:1], s38, v5
	v_cndmask_b32_e64 v1, v1, v2, s[0:1]
	v_cmp_gt_i16_sdwa s[0:1], sext(v15), sext(v3) src0_sel:BYTE_0 src1_sel:BYTE_0
	s_movk_i32 s3, 0xff00
	v_cndmask_b32_e64 v12, 8, 16, s[0:1]
	v_and_b32_sdwa v2, v1, s3 dst_sel:DWORD dst_unused:UNUSED_PAD src0_sel:WORD_1 src1_sel:DWORD
	v_lshrrev_b32_e32 v12, v12, v4
	v_or_b32_sdwa v2, v12, v2 dst_sel:WORD_1 dst_unused:UNUSED_PAD src0_sel:BYTE_0 src1_sel:DWORD
	v_or_b32_e32 v12, 0x200, v0
	v_or_b32_e32 v2, v1, v2
	v_cmp_gt_i32_e64 s[0:1], s38, v12
	v_cndmask_b32_e64 v1, v1, v2, s[0:1]
	v_cmp_gt_i16_sdwa s[0:1], sext(v7), sext(v3) src0_sel:BYTE_0 src1_sel:BYTE_0
	s_movk_i32 s4, 0xff
	v_cndmask_b32_e64 v7, 8, 16, s[0:1]
	v_and_b32_sdwa v2, v1, s4 dst_sel:DWORD dst_unused:UNUSED_PAD src0_sel:WORD_1 src1_sel:DWORD
	v_lshrrev_b32_sdwa v7, v7, v4 dst_sel:BYTE_1 dst_unused:UNUSED_PAD src0_sel:DWORD src1_sel:DWORD
	s_mov_b32 s2, 0xffff
	v_or_b32_e32 v12, 0x300, v0
	v_or_b32_sdwa v2, v2, v7 dst_sel:WORD_1 dst_unused:UNUSED_PAD src0_sel:DWORD src1_sel:DWORD
	v_and_or_b32 v2, v1, s2, v2
	v_cmp_gt_i32_e64 s[0:1], s38, v12
	v_cndmask_b32_e64 v12, v1, v2, s[0:1]
	v_cmp_gt_i16_sdwa s[0:1], sext(v9), sext(v3) src0_sel:BYTE_0 src1_sel:BYTE_0
	v_cndmask_b32_e64 v1, 8, 16, s[0:1]
	v_lshrrev_b32_e32 v1, v1, v4
	v_or_b32_e32 v2, 0x400, v0
	v_and_b32_sdwa v1, s2, v1 dst_sel:DWORD dst_unused:UNUSED_PAD src0_sel:DWORD src1_sel:BYTE_0
	v_cmp_gt_i32_e64 s[0:1], s38, v2
	v_cndmask_b32_e64 v1, 0, v1, s[0:1]
	v_cmp_gt_i16_sdwa s[0:1], sext(v8), sext(v3) src0_sel:BYTE_0 src1_sel:BYTE_0
	v_cndmask_b32_e64 v7, 8, 16, s[0:1]
	v_lshrrev_b32_sdwa v7, v7, v4 dst_sel:BYTE_1 dst_unused:UNUSED_PAD src0_sel:DWORD src1_sel:DWORD
	v_or_b32_e32 v2, 0x500, v0
	v_or_b32_sdwa v7, v1, v7 dst_sel:DWORD dst_unused:UNUSED_PAD src0_sel:BYTE_0 src1_sel:DWORD
	v_and_b32_e32 v7, 0xffff, v7
	v_cmp_gt_i32_e64 s[0:1], s38, v2
	v_cndmask_b32_e64 v1, v1, v7, s[0:1]
	v_cmp_gt_i16_sdwa s[0:1], sext(v11), sext(v3) src0_sel:BYTE_0 src1_sel:BYTE_0
	v_cndmask_b32_e64 v7, 8, 16, s[0:1]
	v_and_b32_sdwa v2, v1, s3 dst_sel:DWORD dst_unused:UNUSED_PAD src0_sel:WORD_1 src1_sel:DWORD
	v_lshrrev_b32_e32 v7, v7, v4
	v_or_b32_sdwa v2, v7, v2 dst_sel:WORD_1 dst_unused:UNUSED_PAD src0_sel:BYTE_0 src1_sel:DWORD
	v_or_b32_e32 v7, 0x600, v0
	v_and_or_b32 v2, v1, s2, v2
	v_cmp_gt_i32_e64 s[0:1], s38, v7
	v_cndmask_b32_e64 v1, v1, v2, s[0:1]
	v_cmp_gt_i16_sdwa s[0:1], sext(v10), sext(v3) src0_sel:BYTE_0 src1_sel:BYTE_0
	v_cndmask_b32_e64 v8, 8, 16, s[0:1]
	v_and_b32_sdwa v2, v1, s4 dst_sel:DWORD dst_unused:UNUSED_PAD src0_sel:WORD_1 src1_sel:DWORD
	v_lshrrev_b32_sdwa v8, v8, v4 dst_sel:BYTE_1 dst_unused:UNUSED_PAD src0_sel:DWORD src1_sel:DWORD
	v_or_b32_e32 v7, 0x700, v0
	v_or_b32_sdwa v2, v2, v8 dst_sel:WORD_1 dst_unused:UNUSED_PAD src0_sel:DWORD src1_sel:DWORD
	v_and_or_b32 v2, v1, s2, v2
	v_cmp_gt_i32_e64 s[0:1], s38, v7
	v_cndmask_b32_e64 v7, v1, v2, s[0:1]
	v_cmp_gt_i16_sdwa s[0:1], sext(v14), sext(v3) src0_sel:BYTE_0 src1_sel:BYTE_0
	v_or_b32_e32 v1, 0x800, v0
	v_cndmask_b32_e64 v2, 8, 16, s[0:1]
	v_bfe_u32 v2, v4, v2, 8
	v_cmp_gt_i32_e64 s[0:1], s38, v1
	v_cndmask_b32_e64 v1, 0, v2, s[0:1]
	v_cmp_gt_i16_sdwa s[0:1], sext(v16), sext(v3) src0_sel:BYTE_0 src1_sel:BYTE_0
	v_cndmask_b32_e64 v8, 8, 16, s[0:1]
	v_lshrrev_b32_sdwa v8, v8, v4 dst_sel:BYTE_1 dst_unused:UNUSED_PAD src0_sel:DWORD src1_sel:DWORD
	v_or_b32_e32 v2, 0x900, v0
	v_or_b32_e32 v8, v1, v8
	v_and_b32_e32 v8, 0xffff, v8
	v_cmp_gt_i32_e64 s[0:1], s38, v2
	v_cndmask_b32_e64 v1, v1, v8, s[0:1]
	v_cmp_gt_i16_sdwa s[0:1], sext(v17), sext(v3) src0_sel:BYTE_0 src1_sel:BYTE_0
	v_cndmask_b32_e64 v8, 8, 16, s[0:1]
	v_and_b32_sdwa v2, v1, s3 dst_sel:DWORD dst_unused:UNUSED_PAD src0_sel:WORD_1 src1_sel:DWORD
	v_lshrrev_b32_e32 v8, v8, v4
	v_or_b32_sdwa v2, v8, v2 dst_sel:WORD_1 dst_unused:UNUSED_PAD src0_sel:BYTE_0 src1_sel:DWORD
	v_or_b32_e32 v8, 0xa00, v0
	v_or_b32_e32 v2, v1, v2
	v_cmp_gt_i32_e64 s[0:1], s38, v8
	v_cndmask_b32_e64 v1, v1, v2, s[0:1]
	v_cmp_gt_i16_sdwa s[0:1], sext(v18), sext(v3) src0_sel:BYTE_0 src1_sel:BYTE_0
	v_cndmask_b32_e64 v9, 8, 16, s[0:1]
	v_and_b32_sdwa v2, v1, s4 dst_sel:DWORD dst_unused:UNUSED_PAD src0_sel:WORD_1 src1_sel:DWORD
	v_lshrrev_b32_sdwa v9, v9, v4 dst_sel:BYTE_1 dst_unused:UNUSED_PAD src0_sel:DWORD src1_sel:DWORD
	v_or_b32_e32 v8, 0xb00, v0
	v_or_b32_sdwa v2, v2, v9 dst_sel:WORD_1 dst_unused:UNUSED_PAD src0_sel:DWORD src1_sel:DWORD
	v_and_or_b32 v2, v1, s2, v2
	v_cmp_gt_i32_e64 s[0:1], s38, v8
	v_cndmask_b32_e64 v2, v1, v2, s[0:1]
	v_cmp_gt_i16_sdwa s[0:1], sext(v19), sext(v3) src0_sel:BYTE_0 src1_sel:BYTE_0
	v_or_b32_e32 v1, 0xc00, v0
	v_cndmask_b32_e64 v8, 8, 16, s[0:1]
	v_bfe_u32 v8, v4, v8, 8
	v_cmp_gt_i32_e64 s[0:1], s38, v1
	v_cndmask_b32_e64 v1, 0, v8, s[0:1]
	v_cmp_gt_i16_sdwa s[0:1], sext(v20), sext(v3) src0_sel:BYTE_0 src1_sel:BYTE_0
	v_cndmask_b32_e64 v8, 8, 16, s[0:1]
	v_lshrrev_b32_sdwa v8, v8, v4 dst_sel:BYTE_1 dst_unused:UNUSED_PAD src0_sel:DWORD src1_sel:DWORD
	v_or_b32_sdwa v8, v1, v8 dst_sel:DWORD dst_unused:UNUSED_PAD src0_sel:BYTE_0 src1_sel:DWORD
	v_and_b32_e32 v8, 0xffff, v8
	s_mov_b32 s0, 0xffff0000
	v_or_b32_e32 v9, 0xd00, v0
	v_and_or_b32 v8, v1, s0, v8
	v_cmp_gt_i32_e64 s[0:1], s38, v9
	v_cndmask_b32_e64 v1, v1, v8, s[0:1]
	v_cmp_gt_i16_sdwa s[0:1], sext(v21), sext(v3) src0_sel:BYTE_0 src1_sel:BYTE_0
	v_cndmask_b32_e64 v9, 8, 16, s[0:1]
	v_and_b32_sdwa v8, v1, s3 dst_sel:DWORD dst_unused:UNUSED_PAD src0_sel:WORD_1 src1_sel:DWORD
	v_lshrrev_b32_e32 v9, v9, v4
	v_or_b32_sdwa v8, v9, v8 dst_sel:WORD_1 dst_unused:UNUSED_PAD src0_sel:BYTE_0 src1_sel:DWORD
	v_or_b32_e32 v9, 0xe00, v0
	v_and_or_b32 v8, v1, s2, v8
	v_cmp_gt_i32_e64 s[0:1], s38, v9
	v_cndmask_b32_e64 v1, v1, v8, s[0:1]
	v_cmp_gt_i16_sdwa s[0:1], sext(v22), sext(v3) src0_sel:BYTE_0 src1_sel:BYTE_0
	v_cndmask_b32_e64 v3, 8, 16, s[0:1]
	v_and_b32_sdwa v8, v1, s4 dst_sel:DWORD dst_unused:UNUSED_PAD src0_sel:WORD_1 src1_sel:DWORD
	v_lshrrev_b32_sdwa v3, v3, v4 dst_sel:BYTE_1 dst_unused:UNUSED_PAD src0_sel:DWORD src1_sel:DWORD
	v_or_b32_e32 v9, 0xf00, v0
	v_or_b32_sdwa v3, v8, v3 dst_sel:WORD_1 dst_unused:UNUSED_PAD src0_sel:DWORD src1_sel:DWORD
	v_and_or_b32 v3, v1, s2, v3
	v_cmp_gt_i32_e64 s[0:1], s38, v9
	v_cndmask_b32_e64 v1, v1, v3, s[0:1]
	s_and_saveexec_b64 s[0:1], vcc
	s_cbranch_execnz .LBB32_53
; %bb.36:
	s_or_b64 exec, exec, s[0:1]
	v_cmp_gt_i32_e32 vcc, s38, v0
	s_and_saveexec_b64 s[0:1], vcc
	s_cbranch_execnz .LBB32_54
.LBB32_37:
	s_or_b64 exec, exec, s[0:1]
	v_cmp_gt_i32_e32 vcc, s38, v0
	s_and_saveexec_b64 s[0:1], vcc
	s_cbranch_execnz .LBB32_55
.LBB32_38:
	s_or_b64 exec, exec, s[0:1]
	v_cmp_gt_i32_e32 vcc, s38, v0
	s_and_saveexec_b64 s[0:1], vcc
	s_cbranch_execnz .LBB32_56
.LBB32_39:
	s_or_b64 exec, exec, s[0:1]
	v_cmp_gt_i32_e32 vcc, s38, v0
	s_and_saveexec_b64 s[0:1], vcc
	s_cbranch_execnz .LBB32_57
.LBB32_40:
	s_or_b64 exec, exec, s[0:1]
	v_cmp_gt_i32_e32 vcc, s38, v0
	s_and_saveexec_b64 s[0:1], vcc
	s_cbranch_execnz .LBB32_58
.LBB32_41:
	s_or_b64 exec, exec, s[0:1]
	v_cmp_gt_i32_e32 vcc, s38, v0
	s_and_saveexec_b64 s[0:1], vcc
	s_cbranch_execnz .LBB32_59
.LBB32_42:
	s_or_b64 exec, exec, s[0:1]
	v_cmp_gt_i32_e32 vcc, s38, v0
	s_and_saveexec_b64 s[0:1], vcc
	s_cbranch_execnz .LBB32_60
.LBB32_43:
	s_or_b64 exec, exec, s[0:1]
	v_cmp_gt_i32_e32 vcc, s38, v0
	s_and_saveexec_b64 s[0:1], vcc
	s_cbranch_execnz .LBB32_61
.LBB32_44:
	s_or_b64 exec, exec, s[0:1]
	v_cmp_gt_i32_e32 vcc, s38, v0
	s_and_saveexec_b64 s[0:1], vcc
	s_cbranch_execnz .LBB32_62
.LBB32_45:
	s_or_b64 exec, exec, s[0:1]
	v_cmp_gt_i32_e32 vcc, s38, v0
	s_and_saveexec_b64 s[0:1], vcc
	s_cbranch_execnz .LBB32_63
.LBB32_46:
	s_or_b64 exec, exec, s[0:1]
	v_cmp_gt_i32_e32 vcc, s38, v0
	s_and_saveexec_b64 s[0:1], vcc
	s_cbranch_execnz .LBB32_64
.LBB32_47:
	s_or_b64 exec, exec, s[0:1]
	v_cmp_gt_i32_e32 vcc, s38, v0
	s_and_saveexec_b64 s[0:1], vcc
	s_cbranch_execnz .LBB32_65
.LBB32_48:
	s_or_b64 exec, exec, s[0:1]
	v_cmp_gt_i32_e32 vcc, s38, v0
	s_and_saveexec_b64 s[0:1], vcc
	s_cbranch_execnz .LBB32_66
.LBB32_49:
	s_or_b64 exec, exec, s[0:1]
	v_cmp_gt_i32_e32 vcc, s38, v0
	s_and_saveexec_b64 s[0:1], vcc
	s_cbranch_execnz .LBB32_67
.LBB32_50:
	s_or_b64 exec, exec, s[0:1]
	v_cmp_gt_i32_e32 vcc, s38, v0
	s_and_saveexec_b64 s[0:1], vcc
	s_cbranch_execz .LBB32_52
.LBB32_51:
	v_lshrrev_b32_e32 v1, 24, v1
	v_add_u32_e32 v0, s33, v0
	global_store_byte v0, v1, s[8:9]
.LBB32_52:
	s_endpgm
.LBB32_53:
	v_mov_b32_e32 v0, v5
	global_store_byte v6, v12, s[8:9]
	s_or_b64 exec, exec, s[0:1]
	v_cmp_gt_i32_e32 vcc, s38, v0
	s_and_saveexec_b64 s[0:1], vcc
	s_cbranch_execz .LBB32_37
.LBB32_54:
	v_lshrrev_b32_e32 v3, 8, v12
	v_add_u32_e32 v4, s33, v0
	v_add_u32_e32 v0, 0x100, v0
	global_store_byte v4, v3, s[8:9]
	s_or_b64 exec, exec, s[0:1]
	v_cmp_gt_i32_e32 vcc, s38, v0
	s_and_saveexec_b64 s[0:1], vcc
	s_cbranch_execz .LBB32_38
.LBB32_55:
	v_add_u32_e32 v3, s33, v0
	v_add_u32_e32 v0, 0x100, v0
	global_store_byte_d16_hi v3, v12, s[8:9]
	s_or_b64 exec, exec, s[0:1]
	v_cmp_gt_i32_e32 vcc, s38, v0
	s_and_saveexec_b64 s[0:1], vcc
	s_cbranch_execz .LBB32_39
.LBB32_56:
	v_lshrrev_b32_e32 v3, 24, v12
	v_add_u32_e32 v4, s33, v0
	v_add_u32_e32 v0, 0x100, v0
	global_store_byte v4, v3, s[8:9]
	s_or_b64 exec, exec, s[0:1]
	v_cmp_gt_i32_e32 vcc, s38, v0
	s_and_saveexec_b64 s[0:1], vcc
	s_cbranch_execz .LBB32_40
.LBB32_57:
	v_add_u32_e32 v3, s33, v0
	v_add_u32_e32 v0, 0x100, v0
	global_store_byte v3, v7, s[8:9]
	s_or_b64 exec, exec, s[0:1]
	v_cmp_gt_i32_e32 vcc, s38, v0
	s_and_saveexec_b64 s[0:1], vcc
	s_cbranch_execz .LBB32_41
.LBB32_58:
	v_lshrrev_b32_e32 v3, 8, v7
	v_add_u32_e32 v4, s33, v0
	v_add_u32_e32 v0, 0x100, v0
	global_store_byte v4, v3, s[8:9]
	s_or_b64 exec, exec, s[0:1]
	v_cmp_gt_i32_e32 vcc, s38, v0
	s_and_saveexec_b64 s[0:1], vcc
	s_cbranch_execz .LBB32_42
.LBB32_59:
	v_add_u32_e32 v3, s33, v0
	v_add_u32_e32 v0, 0x100, v0
	global_store_byte_d16_hi v3, v7, s[8:9]
	s_or_b64 exec, exec, s[0:1]
	v_cmp_gt_i32_e32 vcc, s38, v0
	s_and_saveexec_b64 s[0:1], vcc
	s_cbranch_execz .LBB32_43
.LBB32_60:
	v_lshrrev_b32_e32 v3, 24, v7
	v_add_u32_e32 v4, s33, v0
	v_add_u32_e32 v0, 0x100, v0
	global_store_byte v4, v3, s[8:9]
	s_or_b64 exec, exec, s[0:1]
	v_cmp_gt_i32_e32 vcc, s38, v0
	s_and_saveexec_b64 s[0:1], vcc
	s_cbranch_execz .LBB32_44
.LBB32_61:
	v_add_u32_e32 v3, s33, v0
	v_add_u32_e32 v0, 0x100, v0
	global_store_byte v3, v2, s[8:9]
	s_or_b64 exec, exec, s[0:1]
	v_cmp_gt_i32_e32 vcc, s38, v0
	s_and_saveexec_b64 s[0:1], vcc
	s_cbranch_execz .LBB32_45
.LBB32_62:
	v_lshrrev_b32_e32 v3, 8, v2
	v_add_u32_e32 v4, s33, v0
	v_add_u32_e32 v0, 0x100, v0
	global_store_byte v4, v3, s[8:9]
	s_or_b64 exec, exec, s[0:1]
	v_cmp_gt_i32_e32 vcc, s38, v0
	s_and_saveexec_b64 s[0:1], vcc
	s_cbranch_execz .LBB32_46
.LBB32_63:
	v_add_u32_e32 v3, s33, v0
	v_add_u32_e32 v0, 0x100, v0
	global_store_byte_d16_hi v3, v2, s[8:9]
	s_or_b64 exec, exec, s[0:1]
	v_cmp_gt_i32_e32 vcc, s38, v0
	s_and_saveexec_b64 s[0:1], vcc
	s_cbranch_execz .LBB32_47
.LBB32_64:
	v_lshrrev_b32_e32 v2, 24, v2
	v_add_u32_e32 v3, s33, v0
	v_add_u32_e32 v0, 0x100, v0
	global_store_byte v3, v2, s[8:9]
	s_or_b64 exec, exec, s[0:1]
	v_cmp_gt_i32_e32 vcc, s38, v0
	s_and_saveexec_b64 s[0:1], vcc
	s_cbranch_execz .LBB32_48
.LBB32_65:
	v_add_u32_e32 v2, s33, v0
	v_add_u32_e32 v0, 0x100, v0
	global_store_byte v2, v1, s[8:9]
	s_or_b64 exec, exec, s[0:1]
	v_cmp_gt_i32_e32 vcc, s38, v0
	s_and_saveexec_b64 s[0:1], vcc
	s_cbranch_execz .LBB32_49
.LBB32_66:
	v_lshrrev_b32_e32 v2, 8, v1
	v_add_u32_e32 v3, s33, v0
	v_add_u32_e32 v0, 0x100, v0
	global_store_byte v3, v2, s[8:9]
	s_or_b64 exec, exec, s[0:1]
	v_cmp_gt_i32_e32 vcc, s38, v0
	s_and_saveexec_b64 s[0:1], vcc
	s_cbranch_execz .LBB32_50
.LBB32_67:
	v_add_u32_e32 v2, s33, v0
	v_add_u32_e32 v0, 0x100, v0
	global_store_byte_d16_hi v2, v1, s[8:9]
	s_or_b64 exec, exec, s[0:1]
	v_cmp_gt_i32_e32 vcc, s38, v0
	s_and_saveexec_b64 s[0:1], vcc
	s_cbranch_execnz .LBB32_51
	s_branch .LBB32_52
	.section	.rodata,"a",@progbits
	.p2align	6, 0x0
	.amdhsa_kernel _ZN2at6native29vectorized_elementwise_kernelILi16ENS0_13BUnaryFunctorIaaaZNS0_12_GLOBAL__N_121threshold_kernel_implIaEEvRNS_18TensorIteratorBaseET_S7_EUlaaE_EESt5arrayIPcLm2EEEEviT0_T1_
		.amdhsa_group_segment_fixed_size 0
		.amdhsa_private_segment_fixed_size 0
		.amdhsa_kernarg_size 24
		.amdhsa_user_sgpr_count 6
		.amdhsa_user_sgpr_private_segment_buffer 1
		.amdhsa_user_sgpr_dispatch_ptr 0
		.amdhsa_user_sgpr_queue_ptr 0
		.amdhsa_user_sgpr_kernarg_segment_ptr 1
		.amdhsa_user_sgpr_dispatch_id 0
		.amdhsa_user_sgpr_flat_scratch_init 0
		.amdhsa_user_sgpr_private_segment_size 0
		.amdhsa_uses_dynamic_stack 0
		.amdhsa_system_sgpr_private_segment_wavefront_offset 0
		.amdhsa_system_sgpr_workgroup_id_x 1
		.amdhsa_system_sgpr_workgroup_id_y 0
		.amdhsa_system_sgpr_workgroup_id_z 0
		.amdhsa_system_sgpr_workgroup_info 0
		.amdhsa_system_vgpr_workitem_id 0
		.amdhsa_next_free_vgpr 23
		.amdhsa_next_free_sgpr 39
		.amdhsa_reserve_vcc 1
		.amdhsa_reserve_flat_scratch 0
		.amdhsa_float_round_mode_32 0
		.amdhsa_float_round_mode_16_64 0
		.amdhsa_float_denorm_mode_32 3
		.amdhsa_float_denorm_mode_16_64 3
		.amdhsa_dx10_clamp 1
		.amdhsa_ieee_mode 1
		.amdhsa_fp16_overflow 0
		.amdhsa_exception_fp_ieee_invalid_op 0
		.amdhsa_exception_fp_denorm_src 0
		.amdhsa_exception_fp_ieee_div_zero 0
		.amdhsa_exception_fp_ieee_overflow 0
		.amdhsa_exception_fp_ieee_underflow 0
		.amdhsa_exception_fp_ieee_inexact 0
		.amdhsa_exception_int_div_zero 0
	.end_amdhsa_kernel
	.section	.text._ZN2at6native29vectorized_elementwise_kernelILi16ENS0_13BUnaryFunctorIaaaZNS0_12_GLOBAL__N_121threshold_kernel_implIaEEvRNS_18TensorIteratorBaseET_S7_EUlaaE_EESt5arrayIPcLm2EEEEviT0_T1_,"axG",@progbits,_ZN2at6native29vectorized_elementwise_kernelILi16ENS0_13BUnaryFunctorIaaaZNS0_12_GLOBAL__N_121threshold_kernel_implIaEEvRNS_18TensorIteratorBaseET_S7_EUlaaE_EESt5arrayIPcLm2EEEEviT0_T1_,comdat
.Lfunc_end32:
	.size	_ZN2at6native29vectorized_elementwise_kernelILi16ENS0_13BUnaryFunctorIaaaZNS0_12_GLOBAL__N_121threshold_kernel_implIaEEvRNS_18TensorIteratorBaseET_S7_EUlaaE_EESt5arrayIPcLm2EEEEviT0_T1_, .Lfunc_end32-_ZN2at6native29vectorized_elementwise_kernelILi16ENS0_13BUnaryFunctorIaaaZNS0_12_GLOBAL__N_121threshold_kernel_implIaEEvRNS_18TensorIteratorBaseET_S7_EUlaaE_EESt5arrayIPcLm2EEEEviT0_T1_
                                        ; -- End function
	.set _ZN2at6native29vectorized_elementwise_kernelILi16ENS0_13BUnaryFunctorIaaaZNS0_12_GLOBAL__N_121threshold_kernel_implIaEEvRNS_18TensorIteratorBaseET_S7_EUlaaE_EESt5arrayIPcLm2EEEEviT0_T1_.num_vgpr, 23
	.set _ZN2at6native29vectorized_elementwise_kernelILi16ENS0_13BUnaryFunctorIaaaZNS0_12_GLOBAL__N_121threshold_kernel_implIaEEvRNS_18TensorIteratorBaseET_S7_EUlaaE_EESt5arrayIPcLm2EEEEviT0_T1_.num_agpr, 0
	.set _ZN2at6native29vectorized_elementwise_kernelILi16ENS0_13BUnaryFunctorIaaaZNS0_12_GLOBAL__N_121threshold_kernel_implIaEEvRNS_18TensorIteratorBaseET_S7_EUlaaE_EESt5arrayIPcLm2EEEEviT0_T1_.numbered_sgpr, 39
	.set _ZN2at6native29vectorized_elementwise_kernelILi16ENS0_13BUnaryFunctorIaaaZNS0_12_GLOBAL__N_121threshold_kernel_implIaEEvRNS_18TensorIteratorBaseET_S7_EUlaaE_EESt5arrayIPcLm2EEEEviT0_T1_.num_named_barrier, 0
	.set _ZN2at6native29vectorized_elementwise_kernelILi16ENS0_13BUnaryFunctorIaaaZNS0_12_GLOBAL__N_121threshold_kernel_implIaEEvRNS_18TensorIteratorBaseET_S7_EUlaaE_EESt5arrayIPcLm2EEEEviT0_T1_.private_seg_size, 0
	.set _ZN2at6native29vectorized_elementwise_kernelILi16ENS0_13BUnaryFunctorIaaaZNS0_12_GLOBAL__N_121threshold_kernel_implIaEEvRNS_18TensorIteratorBaseET_S7_EUlaaE_EESt5arrayIPcLm2EEEEviT0_T1_.uses_vcc, 1
	.set _ZN2at6native29vectorized_elementwise_kernelILi16ENS0_13BUnaryFunctorIaaaZNS0_12_GLOBAL__N_121threshold_kernel_implIaEEvRNS_18TensorIteratorBaseET_S7_EUlaaE_EESt5arrayIPcLm2EEEEviT0_T1_.uses_flat_scratch, 0
	.set _ZN2at6native29vectorized_elementwise_kernelILi16ENS0_13BUnaryFunctorIaaaZNS0_12_GLOBAL__N_121threshold_kernel_implIaEEvRNS_18TensorIteratorBaseET_S7_EUlaaE_EESt5arrayIPcLm2EEEEviT0_T1_.has_dyn_sized_stack, 0
	.set _ZN2at6native29vectorized_elementwise_kernelILi16ENS0_13BUnaryFunctorIaaaZNS0_12_GLOBAL__N_121threshold_kernel_implIaEEvRNS_18TensorIteratorBaseET_S7_EUlaaE_EESt5arrayIPcLm2EEEEviT0_T1_.has_recursion, 0
	.set _ZN2at6native29vectorized_elementwise_kernelILi16ENS0_13BUnaryFunctorIaaaZNS0_12_GLOBAL__N_121threshold_kernel_implIaEEvRNS_18TensorIteratorBaseET_S7_EUlaaE_EESt5arrayIPcLm2EEEEviT0_T1_.has_indirect_call, 0
	.section	.AMDGPU.csdata,"",@progbits
; Kernel info:
; codeLenInByte = 3552
; TotalNumSgprs: 43
; NumVgprs: 23
; ScratchSize: 0
; MemoryBound: 0
; FloatMode: 240
; IeeeMode: 1
; LDSByteSize: 0 bytes/workgroup (compile time only)
; SGPRBlocks: 5
; VGPRBlocks: 5
; NumSGPRsForWavesPerEU: 43
; NumVGPRsForWavesPerEU: 23
; Occupancy: 10
; WaveLimiterHint : 0
; COMPUTE_PGM_RSRC2:SCRATCH_EN: 0
; COMPUTE_PGM_RSRC2:USER_SGPR: 6
; COMPUTE_PGM_RSRC2:TRAP_HANDLER: 0
; COMPUTE_PGM_RSRC2:TGID_X_EN: 1
; COMPUTE_PGM_RSRC2:TGID_Y_EN: 0
; COMPUTE_PGM_RSRC2:TGID_Z_EN: 0
; COMPUTE_PGM_RSRC2:TIDIG_COMP_CNT: 0
	.section	.text._ZN2at6native29vectorized_elementwise_kernelILi8ENS0_13BUnaryFunctorIaaaZNS0_12_GLOBAL__N_121threshold_kernel_implIaEEvRNS_18TensorIteratorBaseET_S7_EUlaaE_EESt5arrayIPcLm2EEEEviT0_T1_,"axG",@progbits,_ZN2at6native29vectorized_elementwise_kernelILi8ENS0_13BUnaryFunctorIaaaZNS0_12_GLOBAL__N_121threshold_kernel_implIaEEvRNS_18TensorIteratorBaseET_S7_EUlaaE_EESt5arrayIPcLm2EEEEviT0_T1_,comdat
	.globl	_ZN2at6native29vectorized_elementwise_kernelILi8ENS0_13BUnaryFunctorIaaaZNS0_12_GLOBAL__N_121threshold_kernel_implIaEEvRNS_18TensorIteratorBaseET_S7_EUlaaE_EESt5arrayIPcLm2EEEEviT0_T1_ ; -- Begin function _ZN2at6native29vectorized_elementwise_kernelILi8ENS0_13BUnaryFunctorIaaaZNS0_12_GLOBAL__N_121threshold_kernel_implIaEEvRNS_18TensorIteratorBaseET_S7_EUlaaE_EESt5arrayIPcLm2EEEEviT0_T1_
	.p2align	8
	.type	_ZN2at6native29vectorized_elementwise_kernelILi8ENS0_13BUnaryFunctorIaaaZNS0_12_GLOBAL__N_121threshold_kernel_implIaEEvRNS_18TensorIteratorBaseET_S7_EUlaaE_EESt5arrayIPcLm2EEEEviT0_T1_,@function
_ZN2at6native29vectorized_elementwise_kernelILi8ENS0_13BUnaryFunctorIaaaZNS0_12_GLOBAL__N_121threshold_kernel_implIaEEvRNS_18TensorIteratorBaseET_S7_EUlaaE_EESt5arrayIPcLm2EEEEviT0_T1_: ; @_ZN2at6native29vectorized_elementwise_kernelILi8ENS0_13BUnaryFunctorIaaaZNS0_12_GLOBAL__N_121threshold_kernel_implIaEEvRNS_18TensorIteratorBaseET_S7_EUlaaE_EESt5arrayIPcLm2EEEEviT0_T1_
; %bb.0:
	v_mov_b32_e32 v1, 0
	global_load_ubyte v2, v1, s[4:5] offset:6
	global_load_ushort v3, v1, s[4:5] offset:4
	s_load_dword s0, s[4:5], 0x0
	s_load_dwordx4 s[8:11], s[4:5], 0x8
	s_lshl_b32 s33, s6, 12
	s_waitcnt lgkmcnt(0)
	s_sub_i32 s38, s0, s33
	s_cmpk_gt_i32 s38, 0xfff
	s_mov_b64 s[0:1], -1
	s_waitcnt vmcnt(1)
	v_lshlrev_b32_e32 v1, 16, v2
	s_waitcnt vmcnt(0)
	v_or_b32_e32 v4, v3, v1
	s_cbranch_scc0 .LBB33_2
; %bb.1:
	s_ashr_i32 s2, s33, 31
	s_add_u32 s0, s10, s33
	s_addc_u32 s1, s11, s2
	v_lshlrev_b32_e32 v7, 3, v0
	global_load_dwordx2 v[1:2], v7, s[0:1]
	global_load_dwordx2 v[5:6], v7, s[0:1] offset:2048
	s_add_u32 s0, s8, s33
	s_addc_u32 s1, s9, s2
	s_waitcnt vmcnt(1)
	v_cmp_gt_i16_sdwa s[2:3], sext(v1), sext(v3) src0_sel:BYTE_0 src1_sel:BYTE_0
	v_cndmask_b32_e64 v8, 8, 16, s[2:3]
	v_cmp_gt_i16_sdwa s[2:3], sext(v2), sext(v3) src0_sel:BYTE_0 src1_sel:BYTE_0
	v_cndmask_b32_e64 v11, 8, 16, s[2:3]
	s_waitcnt vmcnt(0)
	v_cmp_gt_i16_sdwa s[2:3], sext(v5), sext(v3) src0_sel:BYTE_0 src1_sel:BYTE_0
	v_lshrrev_b32_e32 v9, 8, v1
	v_cndmask_b32_e64 v14, 8, 16, s[2:3]
	v_cmp_gt_i16_sdwa s[2:3], sext(v6), sext(v3) src0_sel:BYTE_0 src1_sel:BYTE_0
	v_lshrrev_b32_e32 v10, 16, v1
	v_cndmask_b32_e64 v19, 8, 16, s[2:3]
	;; [unrolled: 3-line block ×12, first 2 shown]
	v_cmp_gt_i16_sdwa s[2:3], sext(v18), sext(v3) src0_sel:BYTE_0 src1_sel:BYTE_0
	v_cndmask_b32_e64 v18, 8, 16, s[2:3]
	v_cmp_gt_i16_sdwa s[2:3], sext(v6), sext(v3) src0_sel:BYTE_0 src1_sel:BYTE_0
	v_cndmask_b32_e64 v6, 8, 16, s[2:3]
	v_lshrrev_b32_e32 v8, v8, v4
	v_lshrrev_b32_e32 v11, v11, v4
	;; [unrolled: 1-line block ×4, first 2 shown]
	v_lshrrev_b32_sdwa v9, v9, v4 dst_sel:BYTE_1 dst_unused:UNUSED_PAD src0_sel:DWORD src1_sel:DWORD
	v_lshrrev_b32_e32 v10, v10, v4
	v_lshrrev_b32_sdwa v1, v1, v4 dst_sel:BYTE_1 dst_unused:UNUSED_PAD src0_sel:DWORD src1_sel:DWORD
	v_lshrrev_b32_sdwa v12, v12, v4 dst_sel:BYTE_1 dst_unused:UNUSED_PAD src0_sel:DWORD src1_sel:DWORD
	v_lshrrev_b32_e32 v13, v13, v4
	v_lshrrev_b32_sdwa v2, v2, v4 dst_sel:BYTE_1 dst_unused:UNUSED_PAD src0_sel:DWORD src1_sel:DWORD
	;; [unrolled: 3-line block ×4, first 2 shown]
	v_or_b32_sdwa v17, v19, v17 dst_sel:DWORD dst_unused:UNUSED_PAD src0_sel:BYTE_0 src1_sel:DWORD
	v_or_b32_sdwa v6, v18, v6 dst_sel:WORD_1 dst_unused:UNUSED_PAD src0_sel:BYTE_0 src1_sel:DWORD
	v_or_b32_sdwa v14, v14, v15 dst_sel:DWORD dst_unused:UNUSED_PAD src0_sel:BYTE_0 src1_sel:DWORD
	v_or_b32_sdwa v5, v16, v5 dst_sel:WORD_1 dst_unused:UNUSED_PAD src0_sel:BYTE_0 src1_sel:DWORD
	;; [unrolled: 2-line block ×4, first 2 shown]
	v_or_b32_sdwa v2, v17, v6 dst_sel:DWORD dst_unused:UNUSED_PAD src0_sel:WORD_0 src1_sel:DWORD
	v_or_b32_sdwa v1, v14, v5 dst_sel:DWORD dst_unused:UNUSED_PAD src0_sel:WORD_0 src1_sel:DWORD
	;; [unrolled: 1-line block ×4, first 2 shown]
	global_store_dwordx2 v7, v[5:6], s[0:1]
	global_store_dwordx2 v7, v[1:2], s[0:1] offset:2048
	s_mov_b64 s[0:1], 0
.LBB33_2:
	s_andn2_b64 vcc, exec, s[0:1]
	s_cbranch_vccnz .LBB33_52
; %bb.3:
	v_cmp_gt_i32_e32 vcc, s38, v0
	v_or_b32_e32 v5, 0x100, v0
	v_mov_b32_e32 v22, 0
	v_or_b32_e32 v6, s33, v0
	v_mov_b32_e32 v21, 0
	v_mov_b32_e32 v20, 0
	;; [unrolled: 1-line block ×15, first 2 shown]
	s_and_saveexec_b64 s[2:3], vcc
	s_cbranch_execz .LBB33_35
; %bb.4:
	global_load_ubyte v12, v6, s[10:11]
	v_cmp_gt_u32_e64 s[0:1], s38, v5
	v_mov_b32_e32 v13, 0
	v_mov_b32_e32 v15, 0
	;; [unrolled: 1-line block ×15, first 2 shown]
	s_and_saveexec_b64 s[4:5], s[0:1]
	s_cbranch_execz .LBB33_34
; %bb.5:
	v_add_u32_e32 v1, s33, v0
	global_load_ubyte v13, v1, s[10:11] offset:256
	v_or_b32_e32 v2, 0x200, v0
	v_mov_b32_e32 v15, 0
	v_cmp_gt_u32_e64 s[0:1], s38, v2
	v_mov_b32_e32 v7, 0
	v_mov_b32_e32 v9, 0
	;; [unrolled: 1-line block ×13, first 2 shown]
	s_and_saveexec_b64 s[6:7], s[0:1]
	s_cbranch_execz .LBB33_33
; %bb.6:
	v_mov_b32_e32 v2, s11
	v_add_co_u32_e64 v1, s[0:1], s10, v1
	v_addc_co_u32_e64 v2, s[0:1], 0, v2, s[0:1]
	global_load_ubyte v15, v[1:2], off offset:512
	v_or_b32_e32 v7, 0x300, v0
	v_cmp_gt_u32_e64 s[0:1], s38, v7
	v_mov_b32_e32 v7, 0
	v_mov_b32_e32 v9, 0
	;; [unrolled: 1-line block ×13, first 2 shown]
	s_and_saveexec_b64 s[10:11], s[0:1]
	s_cbranch_execz .LBB33_32
; %bb.7:
	global_load_ubyte v7, v[1:2], off offset:768
	v_or_b32_e32 v8, 0x400, v0
	v_cmp_gt_u32_e64 s[0:1], s38, v8
	v_mov_b32_e32 v9, 0
	v_mov_b32_e32 v8, 0
	;; [unrolled: 1-line block ×12, first 2 shown]
	s_and_saveexec_b64 s[12:13], s[0:1]
	s_cbranch_execz .LBB33_31
; %bb.8:
	global_load_ubyte v9, v[1:2], off offset:1024
	v_or_b32_e32 v8, 0x500, v0
	v_cmp_gt_u32_e64 s[0:1], s38, v8
	v_mov_b32_e32 v8, 0
	v_mov_b32_e32 v11, 0
	;; [unrolled: 1-line block ×11, first 2 shown]
	s_and_saveexec_b64 s[14:15], s[0:1]
	s_cbranch_execz .LBB33_30
; %bb.9:
	global_load_ubyte v8, v[1:2], off offset:1280
	v_or_b32_e32 v10, 0x600, v0
	v_cmp_gt_u32_e64 s[0:1], s38, v10
	v_mov_b32_e32 v11, 0
	v_mov_b32_e32 v10, 0
	;; [unrolled: 1-line block ×10, first 2 shown]
	s_and_saveexec_b64 s[16:17], s[0:1]
	s_cbranch_execz .LBB33_29
; %bb.10:
	global_load_ubyte v11, v[1:2], off offset:1536
	v_or_b32_e32 v10, 0x700, v0
	v_cmp_gt_u32_e64 s[0:1], s38, v10
	v_mov_b32_e32 v10, 0
	v_mov_b32_e32 v14, 0
	;; [unrolled: 1-line block ×9, first 2 shown]
	s_and_saveexec_b64 s[18:19], s[0:1]
	s_cbranch_execz .LBB33_28
; %bb.11:
	global_load_ubyte v10, v[1:2], off offset:1792
	v_or_b32_e32 v14, 0x800, v0
	v_cmp_gt_u32_e64 s[0:1], s38, v14
	v_mov_b32_e32 v14, 0
	v_mov_b32_e32 v16, 0
	;; [unrolled: 1-line block ×8, first 2 shown]
	s_and_saveexec_b64 s[20:21], s[0:1]
	s_cbranch_execz .LBB33_27
; %bb.12:
	global_load_ubyte v14, v[1:2], off offset:2048
	v_or_b32_e32 v16, 0x900, v0
	v_cmp_gt_u32_e64 s[0:1], s38, v16
	v_mov_b32_e32 v16, 0
	v_mov_b32_e32 v17, 0
	;; [unrolled: 1-line block ×7, first 2 shown]
	s_and_saveexec_b64 s[22:23], s[0:1]
	s_cbranch_execz .LBB33_26
; %bb.13:
	global_load_ubyte v16, v[1:2], off offset:2304
	v_or_b32_e32 v17, 0xa00, v0
	v_cmp_gt_u32_e64 s[0:1], s38, v17
	v_mov_b32_e32 v17, 0
	v_mov_b32_e32 v18, 0
	;; [unrolled: 1-line block ×6, first 2 shown]
	s_and_saveexec_b64 s[24:25], s[0:1]
	s_cbranch_execz .LBB33_25
; %bb.14:
	global_load_ubyte v17, v[1:2], off offset:2560
	v_or_b32_e32 v18, 0xb00, v0
	v_cmp_gt_u32_e64 s[0:1], s38, v18
	v_mov_b32_e32 v18, 0
	v_mov_b32_e32 v19, 0
	;; [unrolled: 1-line block ×5, first 2 shown]
	s_and_saveexec_b64 s[26:27], s[0:1]
	s_cbranch_execz .LBB33_24
; %bb.15:
	global_load_ubyte v18, v[1:2], off offset:2816
	v_or_b32_e32 v19, 0xc00, v0
	v_cmp_gt_u32_e64 s[0:1], s38, v19
	v_mov_b32_e32 v19, 0
	v_mov_b32_e32 v20, 0
	;; [unrolled: 1-line block ×4, first 2 shown]
	s_and_saveexec_b64 s[28:29], s[0:1]
	s_cbranch_execz .LBB33_23
; %bb.16:
	global_load_ubyte v19, v[1:2], off offset:3072
	v_or_b32_e32 v20, 0xd00, v0
	v_cmp_gt_u32_e64 s[0:1], s38, v20
	v_mov_b32_e32 v20, 0
	v_mov_b32_e32 v21, 0
	;; [unrolled: 1-line block ×3, first 2 shown]
	s_and_saveexec_b64 s[30:31], s[0:1]
	s_cbranch_execz .LBB33_22
; %bb.17:
	global_load_ubyte v20, v[1:2], off offset:3328
	v_or_b32_e32 v21, 0xe00, v0
	v_cmp_gt_u32_e64 s[0:1], s38, v21
	v_mov_b32_e32 v21, 0
	v_mov_b32_e32 v22, 0
	s_and_saveexec_b64 s[34:35], s[0:1]
	s_cbranch_execz .LBB33_21
; %bb.18:
	global_load_ubyte v21, v[1:2], off offset:3584
	v_or_b32_e32 v22, 0xf00, v0
	v_cmp_gt_u32_e64 s[0:1], s38, v22
	v_mov_b32_e32 v22, 0
	s_and_saveexec_b64 s[36:37], s[0:1]
	s_cbranch_execz .LBB33_20
; %bb.19:
	global_load_ubyte v22, v[1:2], off offset:3840
.LBB33_20:
	s_or_b64 exec, exec, s[36:37]
.LBB33_21:
	s_or_b64 exec, exec, s[34:35]
.LBB33_22:
	s_or_b64 exec, exec, s[30:31]
.LBB33_23:
	s_or_b64 exec, exec, s[28:29]
.LBB33_24:
	s_or_b64 exec, exec, s[26:27]
.LBB33_25:
	s_or_b64 exec, exec, s[24:25]
.LBB33_26:
	s_or_b64 exec, exec, s[22:23]
.LBB33_27:
	s_or_b64 exec, exec, s[20:21]
.LBB33_28:
	s_or_b64 exec, exec, s[18:19]
.LBB33_29:
	s_or_b64 exec, exec, s[16:17]
.LBB33_30:
	s_or_b64 exec, exec, s[14:15]
.LBB33_31:
	s_or_b64 exec, exec, s[12:13]
.LBB33_32:
	s_or_b64 exec, exec, s[10:11]
.LBB33_33:
	s_or_b64 exec, exec, s[6:7]
.LBB33_34:
	s_or_b64 exec, exec, s[4:5]
.LBB33_35:
	s_or_b64 exec, exec, s[2:3]
	s_waitcnt vmcnt(0)
	v_cmp_gt_i16_sdwa s[0:1], sext(v12), sext(v3) src0_sel:BYTE_0 src1_sel:BYTE_0
	v_cndmask_b32_e64 v1, 8, 16, s[0:1]
	v_cmp_gt_i16_sdwa s[0:1], sext(v13), sext(v3) src0_sel:BYTE_0 src1_sel:BYTE_0
	v_bfe_u32 v1, v4, v1, 8
	v_cndmask_b32_e64 v2, 8, 16, s[0:1]
	v_cndmask_b32_e32 v1, 0, v1, vcc
	v_lshrrev_b32_sdwa v2, v2, v4 dst_sel:BYTE_1 dst_unused:UNUSED_PAD src0_sel:DWORD src1_sel:DWORD
	v_or_b32_e32 v2, v1, v2
	v_and_b32_e32 v2, 0xffff, v2
	v_cmp_gt_i32_e64 s[0:1], s38, v5
	v_cndmask_b32_e64 v1, v1, v2, s[0:1]
	v_cmp_gt_i16_sdwa s[0:1], sext(v15), sext(v3) src0_sel:BYTE_0 src1_sel:BYTE_0
	s_movk_i32 s3, 0xff00
	v_cndmask_b32_e64 v12, 8, 16, s[0:1]
	v_and_b32_sdwa v2, v1, s3 dst_sel:DWORD dst_unused:UNUSED_PAD src0_sel:WORD_1 src1_sel:DWORD
	v_lshrrev_b32_e32 v12, v12, v4
	v_or_b32_sdwa v2, v12, v2 dst_sel:WORD_1 dst_unused:UNUSED_PAD src0_sel:BYTE_0 src1_sel:DWORD
	v_or_b32_e32 v12, 0x200, v0
	v_or_b32_e32 v2, v1, v2
	v_cmp_gt_i32_e64 s[0:1], s38, v12
	v_cndmask_b32_e64 v1, v1, v2, s[0:1]
	v_cmp_gt_i16_sdwa s[0:1], sext(v7), sext(v3) src0_sel:BYTE_0 src1_sel:BYTE_0
	s_movk_i32 s4, 0xff
	v_cndmask_b32_e64 v7, 8, 16, s[0:1]
	v_and_b32_sdwa v2, v1, s4 dst_sel:DWORD dst_unused:UNUSED_PAD src0_sel:WORD_1 src1_sel:DWORD
	v_lshrrev_b32_sdwa v7, v7, v4 dst_sel:BYTE_1 dst_unused:UNUSED_PAD src0_sel:DWORD src1_sel:DWORD
	s_mov_b32 s2, 0xffff
	v_or_b32_e32 v12, 0x300, v0
	v_or_b32_sdwa v2, v2, v7 dst_sel:WORD_1 dst_unused:UNUSED_PAD src0_sel:DWORD src1_sel:DWORD
	v_and_or_b32 v2, v1, s2, v2
	v_cmp_gt_i32_e64 s[0:1], s38, v12
	v_cndmask_b32_e64 v12, v1, v2, s[0:1]
	v_cmp_gt_i16_sdwa s[0:1], sext(v9), sext(v3) src0_sel:BYTE_0 src1_sel:BYTE_0
	v_cndmask_b32_e64 v1, 8, 16, s[0:1]
	v_lshrrev_b32_e32 v1, v1, v4
	v_or_b32_e32 v2, 0x400, v0
	v_and_b32_sdwa v1, s2, v1 dst_sel:DWORD dst_unused:UNUSED_PAD src0_sel:DWORD src1_sel:BYTE_0
	v_cmp_gt_i32_e64 s[0:1], s38, v2
	v_cndmask_b32_e64 v1, 0, v1, s[0:1]
	v_cmp_gt_i16_sdwa s[0:1], sext(v8), sext(v3) src0_sel:BYTE_0 src1_sel:BYTE_0
	v_cndmask_b32_e64 v7, 8, 16, s[0:1]
	v_lshrrev_b32_sdwa v7, v7, v4 dst_sel:BYTE_1 dst_unused:UNUSED_PAD src0_sel:DWORD src1_sel:DWORD
	v_or_b32_e32 v2, 0x500, v0
	v_or_b32_sdwa v7, v1, v7 dst_sel:DWORD dst_unused:UNUSED_PAD src0_sel:BYTE_0 src1_sel:DWORD
	v_and_b32_e32 v7, 0xffff, v7
	v_cmp_gt_i32_e64 s[0:1], s38, v2
	v_cndmask_b32_e64 v1, v1, v7, s[0:1]
	v_cmp_gt_i16_sdwa s[0:1], sext(v11), sext(v3) src0_sel:BYTE_0 src1_sel:BYTE_0
	v_cndmask_b32_e64 v7, 8, 16, s[0:1]
	v_and_b32_sdwa v2, v1, s3 dst_sel:DWORD dst_unused:UNUSED_PAD src0_sel:WORD_1 src1_sel:DWORD
	v_lshrrev_b32_e32 v7, v7, v4
	v_or_b32_sdwa v2, v7, v2 dst_sel:WORD_1 dst_unused:UNUSED_PAD src0_sel:BYTE_0 src1_sel:DWORD
	v_or_b32_e32 v7, 0x600, v0
	v_and_or_b32 v2, v1, s2, v2
	v_cmp_gt_i32_e64 s[0:1], s38, v7
	v_cndmask_b32_e64 v1, v1, v2, s[0:1]
	v_cmp_gt_i16_sdwa s[0:1], sext(v10), sext(v3) src0_sel:BYTE_0 src1_sel:BYTE_0
	v_cndmask_b32_e64 v8, 8, 16, s[0:1]
	v_and_b32_sdwa v2, v1, s4 dst_sel:DWORD dst_unused:UNUSED_PAD src0_sel:WORD_1 src1_sel:DWORD
	v_lshrrev_b32_sdwa v8, v8, v4 dst_sel:BYTE_1 dst_unused:UNUSED_PAD src0_sel:DWORD src1_sel:DWORD
	v_or_b32_e32 v7, 0x700, v0
	v_or_b32_sdwa v2, v2, v8 dst_sel:WORD_1 dst_unused:UNUSED_PAD src0_sel:DWORD src1_sel:DWORD
	v_and_or_b32 v2, v1, s2, v2
	v_cmp_gt_i32_e64 s[0:1], s38, v7
	v_cndmask_b32_e64 v7, v1, v2, s[0:1]
	v_cmp_gt_i16_sdwa s[0:1], sext(v14), sext(v3) src0_sel:BYTE_0 src1_sel:BYTE_0
	v_or_b32_e32 v1, 0x800, v0
	v_cndmask_b32_e64 v2, 8, 16, s[0:1]
	v_bfe_u32 v2, v4, v2, 8
	v_cmp_gt_i32_e64 s[0:1], s38, v1
	v_cndmask_b32_e64 v1, 0, v2, s[0:1]
	v_cmp_gt_i16_sdwa s[0:1], sext(v16), sext(v3) src0_sel:BYTE_0 src1_sel:BYTE_0
	v_cndmask_b32_e64 v8, 8, 16, s[0:1]
	v_lshrrev_b32_sdwa v8, v8, v4 dst_sel:BYTE_1 dst_unused:UNUSED_PAD src0_sel:DWORD src1_sel:DWORD
	v_or_b32_e32 v2, 0x900, v0
	v_or_b32_e32 v8, v1, v8
	v_and_b32_e32 v8, 0xffff, v8
	v_cmp_gt_i32_e64 s[0:1], s38, v2
	v_cndmask_b32_e64 v1, v1, v8, s[0:1]
	v_cmp_gt_i16_sdwa s[0:1], sext(v17), sext(v3) src0_sel:BYTE_0 src1_sel:BYTE_0
	v_cndmask_b32_e64 v8, 8, 16, s[0:1]
	v_and_b32_sdwa v2, v1, s3 dst_sel:DWORD dst_unused:UNUSED_PAD src0_sel:WORD_1 src1_sel:DWORD
	v_lshrrev_b32_e32 v8, v8, v4
	v_or_b32_sdwa v2, v8, v2 dst_sel:WORD_1 dst_unused:UNUSED_PAD src0_sel:BYTE_0 src1_sel:DWORD
	v_or_b32_e32 v8, 0xa00, v0
	v_or_b32_e32 v2, v1, v2
	v_cmp_gt_i32_e64 s[0:1], s38, v8
	v_cndmask_b32_e64 v1, v1, v2, s[0:1]
	v_cmp_gt_i16_sdwa s[0:1], sext(v18), sext(v3) src0_sel:BYTE_0 src1_sel:BYTE_0
	v_cndmask_b32_e64 v9, 8, 16, s[0:1]
	v_and_b32_sdwa v2, v1, s4 dst_sel:DWORD dst_unused:UNUSED_PAD src0_sel:WORD_1 src1_sel:DWORD
	v_lshrrev_b32_sdwa v9, v9, v4 dst_sel:BYTE_1 dst_unused:UNUSED_PAD src0_sel:DWORD src1_sel:DWORD
	v_or_b32_e32 v8, 0xb00, v0
	v_or_b32_sdwa v2, v2, v9 dst_sel:WORD_1 dst_unused:UNUSED_PAD src0_sel:DWORD src1_sel:DWORD
	v_and_or_b32 v2, v1, s2, v2
	v_cmp_gt_i32_e64 s[0:1], s38, v8
	v_cndmask_b32_e64 v2, v1, v2, s[0:1]
	v_cmp_gt_i16_sdwa s[0:1], sext(v19), sext(v3) src0_sel:BYTE_0 src1_sel:BYTE_0
	v_or_b32_e32 v1, 0xc00, v0
	v_cndmask_b32_e64 v8, 8, 16, s[0:1]
	v_bfe_u32 v8, v4, v8, 8
	v_cmp_gt_i32_e64 s[0:1], s38, v1
	v_cndmask_b32_e64 v1, 0, v8, s[0:1]
	v_cmp_gt_i16_sdwa s[0:1], sext(v20), sext(v3) src0_sel:BYTE_0 src1_sel:BYTE_0
	v_cndmask_b32_e64 v8, 8, 16, s[0:1]
	v_lshrrev_b32_sdwa v8, v8, v4 dst_sel:BYTE_1 dst_unused:UNUSED_PAD src0_sel:DWORD src1_sel:DWORD
	v_or_b32_sdwa v8, v1, v8 dst_sel:DWORD dst_unused:UNUSED_PAD src0_sel:BYTE_0 src1_sel:DWORD
	v_and_b32_e32 v8, 0xffff, v8
	s_mov_b32 s0, 0xffff0000
	v_or_b32_e32 v9, 0xd00, v0
	v_and_or_b32 v8, v1, s0, v8
	v_cmp_gt_i32_e64 s[0:1], s38, v9
	v_cndmask_b32_e64 v1, v1, v8, s[0:1]
	v_cmp_gt_i16_sdwa s[0:1], sext(v21), sext(v3) src0_sel:BYTE_0 src1_sel:BYTE_0
	v_cndmask_b32_e64 v9, 8, 16, s[0:1]
	v_and_b32_sdwa v8, v1, s3 dst_sel:DWORD dst_unused:UNUSED_PAD src0_sel:WORD_1 src1_sel:DWORD
	v_lshrrev_b32_e32 v9, v9, v4
	v_or_b32_sdwa v8, v9, v8 dst_sel:WORD_1 dst_unused:UNUSED_PAD src0_sel:BYTE_0 src1_sel:DWORD
	v_or_b32_e32 v9, 0xe00, v0
	v_and_or_b32 v8, v1, s2, v8
	v_cmp_gt_i32_e64 s[0:1], s38, v9
	v_cndmask_b32_e64 v1, v1, v8, s[0:1]
	v_cmp_gt_i16_sdwa s[0:1], sext(v22), sext(v3) src0_sel:BYTE_0 src1_sel:BYTE_0
	v_cndmask_b32_e64 v3, 8, 16, s[0:1]
	v_and_b32_sdwa v8, v1, s4 dst_sel:DWORD dst_unused:UNUSED_PAD src0_sel:WORD_1 src1_sel:DWORD
	v_lshrrev_b32_sdwa v3, v3, v4 dst_sel:BYTE_1 dst_unused:UNUSED_PAD src0_sel:DWORD src1_sel:DWORD
	v_or_b32_e32 v9, 0xf00, v0
	v_or_b32_sdwa v3, v8, v3 dst_sel:WORD_1 dst_unused:UNUSED_PAD src0_sel:DWORD src1_sel:DWORD
	v_and_or_b32 v3, v1, s2, v3
	v_cmp_gt_i32_e64 s[0:1], s38, v9
	v_cndmask_b32_e64 v1, v1, v3, s[0:1]
	s_and_saveexec_b64 s[0:1], vcc
	s_cbranch_execnz .LBB33_53
; %bb.36:
	s_or_b64 exec, exec, s[0:1]
	v_cmp_gt_i32_e32 vcc, s38, v0
	s_and_saveexec_b64 s[0:1], vcc
	s_cbranch_execnz .LBB33_54
.LBB33_37:
	s_or_b64 exec, exec, s[0:1]
	v_cmp_gt_i32_e32 vcc, s38, v0
	s_and_saveexec_b64 s[0:1], vcc
	s_cbranch_execnz .LBB33_55
.LBB33_38:
	s_or_b64 exec, exec, s[0:1]
	v_cmp_gt_i32_e32 vcc, s38, v0
	s_and_saveexec_b64 s[0:1], vcc
	s_cbranch_execnz .LBB33_56
.LBB33_39:
	s_or_b64 exec, exec, s[0:1]
	v_cmp_gt_i32_e32 vcc, s38, v0
	s_and_saveexec_b64 s[0:1], vcc
	s_cbranch_execnz .LBB33_57
.LBB33_40:
	s_or_b64 exec, exec, s[0:1]
	v_cmp_gt_i32_e32 vcc, s38, v0
	s_and_saveexec_b64 s[0:1], vcc
	s_cbranch_execnz .LBB33_58
.LBB33_41:
	s_or_b64 exec, exec, s[0:1]
	v_cmp_gt_i32_e32 vcc, s38, v0
	s_and_saveexec_b64 s[0:1], vcc
	s_cbranch_execnz .LBB33_59
.LBB33_42:
	s_or_b64 exec, exec, s[0:1]
	v_cmp_gt_i32_e32 vcc, s38, v0
	s_and_saveexec_b64 s[0:1], vcc
	s_cbranch_execnz .LBB33_60
.LBB33_43:
	s_or_b64 exec, exec, s[0:1]
	v_cmp_gt_i32_e32 vcc, s38, v0
	s_and_saveexec_b64 s[0:1], vcc
	s_cbranch_execnz .LBB33_61
.LBB33_44:
	s_or_b64 exec, exec, s[0:1]
	v_cmp_gt_i32_e32 vcc, s38, v0
	s_and_saveexec_b64 s[0:1], vcc
	s_cbranch_execnz .LBB33_62
.LBB33_45:
	s_or_b64 exec, exec, s[0:1]
	v_cmp_gt_i32_e32 vcc, s38, v0
	s_and_saveexec_b64 s[0:1], vcc
	s_cbranch_execnz .LBB33_63
.LBB33_46:
	s_or_b64 exec, exec, s[0:1]
	v_cmp_gt_i32_e32 vcc, s38, v0
	s_and_saveexec_b64 s[0:1], vcc
	s_cbranch_execnz .LBB33_64
.LBB33_47:
	s_or_b64 exec, exec, s[0:1]
	v_cmp_gt_i32_e32 vcc, s38, v0
	s_and_saveexec_b64 s[0:1], vcc
	s_cbranch_execnz .LBB33_65
.LBB33_48:
	s_or_b64 exec, exec, s[0:1]
	v_cmp_gt_i32_e32 vcc, s38, v0
	s_and_saveexec_b64 s[0:1], vcc
	s_cbranch_execnz .LBB33_66
.LBB33_49:
	s_or_b64 exec, exec, s[0:1]
	v_cmp_gt_i32_e32 vcc, s38, v0
	s_and_saveexec_b64 s[0:1], vcc
	s_cbranch_execnz .LBB33_67
.LBB33_50:
	s_or_b64 exec, exec, s[0:1]
	v_cmp_gt_i32_e32 vcc, s38, v0
	s_and_saveexec_b64 s[0:1], vcc
	s_cbranch_execz .LBB33_52
.LBB33_51:
	v_lshrrev_b32_e32 v1, 24, v1
	v_add_u32_e32 v0, s33, v0
	global_store_byte v0, v1, s[8:9]
.LBB33_52:
	s_endpgm
.LBB33_53:
	v_mov_b32_e32 v0, v5
	global_store_byte v6, v12, s[8:9]
	s_or_b64 exec, exec, s[0:1]
	v_cmp_gt_i32_e32 vcc, s38, v0
	s_and_saveexec_b64 s[0:1], vcc
	s_cbranch_execz .LBB33_37
.LBB33_54:
	v_lshrrev_b32_e32 v3, 8, v12
	v_add_u32_e32 v4, s33, v0
	v_add_u32_e32 v0, 0x100, v0
	global_store_byte v4, v3, s[8:9]
	s_or_b64 exec, exec, s[0:1]
	v_cmp_gt_i32_e32 vcc, s38, v0
	s_and_saveexec_b64 s[0:1], vcc
	s_cbranch_execz .LBB33_38
.LBB33_55:
	v_add_u32_e32 v3, s33, v0
	v_add_u32_e32 v0, 0x100, v0
	global_store_byte_d16_hi v3, v12, s[8:9]
	s_or_b64 exec, exec, s[0:1]
	v_cmp_gt_i32_e32 vcc, s38, v0
	s_and_saveexec_b64 s[0:1], vcc
	s_cbranch_execz .LBB33_39
.LBB33_56:
	v_lshrrev_b32_e32 v3, 24, v12
	v_add_u32_e32 v4, s33, v0
	v_add_u32_e32 v0, 0x100, v0
	global_store_byte v4, v3, s[8:9]
	s_or_b64 exec, exec, s[0:1]
	v_cmp_gt_i32_e32 vcc, s38, v0
	s_and_saveexec_b64 s[0:1], vcc
	s_cbranch_execz .LBB33_40
.LBB33_57:
	v_add_u32_e32 v3, s33, v0
	v_add_u32_e32 v0, 0x100, v0
	global_store_byte v3, v7, s[8:9]
	s_or_b64 exec, exec, s[0:1]
	v_cmp_gt_i32_e32 vcc, s38, v0
	s_and_saveexec_b64 s[0:1], vcc
	s_cbranch_execz .LBB33_41
.LBB33_58:
	v_lshrrev_b32_e32 v3, 8, v7
	v_add_u32_e32 v4, s33, v0
	v_add_u32_e32 v0, 0x100, v0
	global_store_byte v4, v3, s[8:9]
	s_or_b64 exec, exec, s[0:1]
	v_cmp_gt_i32_e32 vcc, s38, v0
	s_and_saveexec_b64 s[0:1], vcc
	s_cbranch_execz .LBB33_42
.LBB33_59:
	v_add_u32_e32 v3, s33, v0
	v_add_u32_e32 v0, 0x100, v0
	global_store_byte_d16_hi v3, v7, s[8:9]
	s_or_b64 exec, exec, s[0:1]
	v_cmp_gt_i32_e32 vcc, s38, v0
	s_and_saveexec_b64 s[0:1], vcc
	s_cbranch_execz .LBB33_43
.LBB33_60:
	v_lshrrev_b32_e32 v3, 24, v7
	v_add_u32_e32 v4, s33, v0
	v_add_u32_e32 v0, 0x100, v0
	global_store_byte v4, v3, s[8:9]
	s_or_b64 exec, exec, s[0:1]
	v_cmp_gt_i32_e32 vcc, s38, v0
	s_and_saveexec_b64 s[0:1], vcc
	s_cbranch_execz .LBB33_44
.LBB33_61:
	v_add_u32_e32 v3, s33, v0
	v_add_u32_e32 v0, 0x100, v0
	global_store_byte v3, v2, s[8:9]
	s_or_b64 exec, exec, s[0:1]
	v_cmp_gt_i32_e32 vcc, s38, v0
	s_and_saveexec_b64 s[0:1], vcc
	s_cbranch_execz .LBB33_45
.LBB33_62:
	v_lshrrev_b32_e32 v3, 8, v2
	v_add_u32_e32 v4, s33, v0
	v_add_u32_e32 v0, 0x100, v0
	global_store_byte v4, v3, s[8:9]
	s_or_b64 exec, exec, s[0:1]
	v_cmp_gt_i32_e32 vcc, s38, v0
	s_and_saveexec_b64 s[0:1], vcc
	s_cbranch_execz .LBB33_46
.LBB33_63:
	v_add_u32_e32 v3, s33, v0
	v_add_u32_e32 v0, 0x100, v0
	global_store_byte_d16_hi v3, v2, s[8:9]
	s_or_b64 exec, exec, s[0:1]
	v_cmp_gt_i32_e32 vcc, s38, v0
	s_and_saveexec_b64 s[0:1], vcc
	s_cbranch_execz .LBB33_47
.LBB33_64:
	v_lshrrev_b32_e32 v2, 24, v2
	v_add_u32_e32 v3, s33, v0
	v_add_u32_e32 v0, 0x100, v0
	global_store_byte v3, v2, s[8:9]
	s_or_b64 exec, exec, s[0:1]
	v_cmp_gt_i32_e32 vcc, s38, v0
	s_and_saveexec_b64 s[0:1], vcc
	s_cbranch_execz .LBB33_48
.LBB33_65:
	v_add_u32_e32 v2, s33, v0
	v_add_u32_e32 v0, 0x100, v0
	global_store_byte v2, v1, s[8:9]
	s_or_b64 exec, exec, s[0:1]
	v_cmp_gt_i32_e32 vcc, s38, v0
	s_and_saveexec_b64 s[0:1], vcc
	s_cbranch_execz .LBB33_49
.LBB33_66:
	v_lshrrev_b32_e32 v2, 8, v1
	v_add_u32_e32 v3, s33, v0
	v_add_u32_e32 v0, 0x100, v0
	global_store_byte v3, v2, s[8:9]
	s_or_b64 exec, exec, s[0:1]
	v_cmp_gt_i32_e32 vcc, s38, v0
	s_and_saveexec_b64 s[0:1], vcc
	s_cbranch_execz .LBB33_50
.LBB33_67:
	v_add_u32_e32 v2, s33, v0
	v_add_u32_e32 v0, 0x100, v0
	global_store_byte_d16_hi v2, v1, s[8:9]
	s_or_b64 exec, exec, s[0:1]
	v_cmp_gt_i32_e32 vcc, s38, v0
	s_and_saveexec_b64 s[0:1], vcc
	s_cbranch_execnz .LBB33_51
	s_branch .LBB33_52
	.section	.rodata,"a",@progbits
	.p2align	6, 0x0
	.amdhsa_kernel _ZN2at6native29vectorized_elementwise_kernelILi8ENS0_13BUnaryFunctorIaaaZNS0_12_GLOBAL__N_121threshold_kernel_implIaEEvRNS_18TensorIteratorBaseET_S7_EUlaaE_EESt5arrayIPcLm2EEEEviT0_T1_
		.amdhsa_group_segment_fixed_size 0
		.amdhsa_private_segment_fixed_size 0
		.amdhsa_kernarg_size 24
		.amdhsa_user_sgpr_count 6
		.amdhsa_user_sgpr_private_segment_buffer 1
		.amdhsa_user_sgpr_dispatch_ptr 0
		.amdhsa_user_sgpr_queue_ptr 0
		.amdhsa_user_sgpr_kernarg_segment_ptr 1
		.amdhsa_user_sgpr_dispatch_id 0
		.amdhsa_user_sgpr_flat_scratch_init 0
		.amdhsa_user_sgpr_private_segment_size 0
		.amdhsa_uses_dynamic_stack 0
		.amdhsa_system_sgpr_private_segment_wavefront_offset 0
		.amdhsa_system_sgpr_workgroup_id_x 1
		.amdhsa_system_sgpr_workgroup_id_y 0
		.amdhsa_system_sgpr_workgroup_id_z 0
		.amdhsa_system_sgpr_workgroup_info 0
		.amdhsa_system_vgpr_workitem_id 0
		.amdhsa_next_free_vgpr 23
		.amdhsa_next_free_sgpr 39
		.amdhsa_reserve_vcc 1
		.amdhsa_reserve_flat_scratch 0
		.amdhsa_float_round_mode_32 0
		.amdhsa_float_round_mode_16_64 0
		.amdhsa_float_denorm_mode_32 3
		.amdhsa_float_denorm_mode_16_64 3
		.amdhsa_dx10_clamp 1
		.amdhsa_ieee_mode 1
		.amdhsa_fp16_overflow 0
		.amdhsa_exception_fp_ieee_invalid_op 0
		.amdhsa_exception_fp_denorm_src 0
		.amdhsa_exception_fp_ieee_div_zero 0
		.amdhsa_exception_fp_ieee_overflow 0
		.amdhsa_exception_fp_ieee_underflow 0
		.amdhsa_exception_fp_ieee_inexact 0
		.amdhsa_exception_int_div_zero 0
	.end_amdhsa_kernel
	.section	.text._ZN2at6native29vectorized_elementwise_kernelILi8ENS0_13BUnaryFunctorIaaaZNS0_12_GLOBAL__N_121threshold_kernel_implIaEEvRNS_18TensorIteratorBaseET_S7_EUlaaE_EESt5arrayIPcLm2EEEEviT0_T1_,"axG",@progbits,_ZN2at6native29vectorized_elementwise_kernelILi8ENS0_13BUnaryFunctorIaaaZNS0_12_GLOBAL__N_121threshold_kernel_implIaEEvRNS_18TensorIteratorBaseET_S7_EUlaaE_EESt5arrayIPcLm2EEEEviT0_T1_,comdat
.Lfunc_end33:
	.size	_ZN2at6native29vectorized_elementwise_kernelILi8ENS0_13BUnaryFunctorIaaaZNS0_12_GLOBAL__N_121threshold_kernel_implIaEEvRNS_18TensorIteratorBaseET_S7_EUlaaE_EESt5arrayIPcLm2EEEEviT0_T1_, .Lfunc_end33-_ZN2at6native29vectorized_elementwise_kernelILi8ENS0_13BUnaryFunctorIaaaZNS0_12_GLOBAL__N_121threshold_kernel_implIaEEvRNS_18TensorIteratorBaseET_S7_EUlaaE_EESt5arrayIPcLm2EEEEviT0_T1_
                                        ; -- End function
	.set _ZN2at6native29vectorized_elementwise_kernelILi8ENS0_13BUnaryFunctorIaaaZNS0_12_GLOBAL__N_121threshold_kernel_implIaEEvRNS_18TensorIteratorBaseET_S7_EUlaaE_EESt5arrayIPcLm2EEEEviT0_T1_.num_vgpr, 23
	.set _ZN2at6native29vectorized_elementwise_kernelILi8ENS0_13BUnaryFunctorIaaaZNS0_12_GLOBAL__N_121threshold_kernel_implIaEEvRNS_18TensorIteratorBaseET_S7_EUlaaE_EESt5arrayIPcLm2EEEEviT0_T1_.num_agpr, 0
	.set _ZN2at6native29vectorized_elementwise_kernelILi8ENS0_13BUnaryFunctorIaaaZNS0_12_GLOBAL__N_121threshold_kernel_implIaEEvRNS_18TensorIteratorBaseET_S7_EUlaaE_EESt5arrayIPcLm2EEEEviT0_T1_.numbered_sgpr, 39
	.set _ZN2at6native29vectorized_elementwise_kernelILi8ENS0_13BUnaryFunctorIaaaZNS0_12_GLOBAL__N_121threshold_kernel_implIaEEvRNS_18TensorIteratorBaseET_S7_EUlaaE_EESt5arrayIPcLm2EEEEviT0_T1_.num_named_barrier, 0
	.set _ZN2at6native29vectorized_elementwise_kernelILi8ENS0_13BUnaryFunctorIaaaZNS0_12_GLOBAL__N_121threshold_kernel_implIaEEvRNS_18TensorIteratorBaseET_S7_EUlaaE_EESt5arrayIPcLm2EEEEviT0_T1_.private_seg_size, 0
	.set _ZN2at6native29vectorized_elementwise_kernelILi8ENS0_13BUnaryFunctorIaaaZNS0_12_GLOBAL__N_121threshold_kernel_implIaEEvRNS_18TensorIteratorBaseET_S7_EUlaaE_EESt5arrayIPcLm2EEEEviT0_T1_.uses_vcc, 1
	.set _ZN2at6native29vectorized_elementwise_kernelILi8ENS0_13BUnaryFunctorIaaaZNS0_12_GLOBAL__N_121threshold_kernel_implIaEEvRNS_18TensorIteratorBaseET_S7_EUlaaE_EESt5arrayIPcLm2EEEEviT0_T1_.uses_flat_scratch, 0
	.set _ZN2at6native29vectorized_elementwise_kernelILi8ENS0_13BUnaryFunctorIaaaZNS0_12_GLOBAL__N_121threshold_kernel_implIaEEvRNS_18TensorIteratorBaseET_S7_EUlaaE_EESt5arrayIPcLm2EEEEviT0_T1_.has_dyn_sized_stack, 0
	.set _ZN2at6native29vectorized_elementwise_kernelILi8ENS0_13BUnaryFunctorIaaaZNS0_12_GLOBAL__N_121threshold_kernel_implIaEEvRNS_18TensorIteratorBaseET_S7_EUlaaE_EESt5arrayIPcLm2EEEEviT0_T1_.has_recursion, 0
	.set _ZN2at6native29vectorized_elementwise_kernelILi8ENS0_13BUnaryFunctorIaaaZNS0_12_GLOBAL__N_121threshold_kernel_implIaEEvRNS_18TensorIteratorBaseET_S7_EUlaaE_EESt5arrayIPcLm2EEEEviT0_T1_.has_indirect_call, 0
	.section	.AMDGPU.csdata,"",@progbits
; Kernel info:
; codeLenInByte = 3620
; TotalNumSgprs: 43
; NumVgprs: 23
; ScratchSize: 0
; MemoryBound: 0
; FloatMode: 240
; IeeeMode: 1
; LDSByteSize: 0 bytes/workgroup (compile time only)
; SGPRBlocks: 5
; VGPRBlocks: 5
; NumSGPRsForWavesPerEU: 43
; NumVGPRsForWavesPerEU: 23
; Occupancy: 10
; WaveLimiterHint : 1
; COMPUTE_PGM_RSRC2:SCRATCH_EN: 0
; COMPUTE_PGM_RSRC2:USER_SGPR: 6
; COMPUTE_PGM_RSRC2:TRAP_HANDLER: 0
; COMPUTE_PGM_RSRC2:TGID_X_EN: 1
; COMPUTE_PGM_RSRC2:TGID_Y_EN: 0
; COMPUTE_PGM_RSRC2:TGID_Z_EN: 0
; COMPUTE_PGM_RSRC2:TIDIG_COMP_CNT: 0
	.section	.text._ZN2at6native29vectorized_elementwise_kernelILi4ENS0_13BUnaryFunctorIaaaZNS0_12_GLOBAL__N_121threshold_kernel_implIaEEvRNS_18TensorIteratorBaseET_S7_EUlaaE_EESt5arrayIPcLm2EEEEviT0_T1_,"axG",@progbits,_ZN2at6native29vectorized_elementwise_kernelILi4ENS0_13BUnaryFunctorIaaaZNS0_12_GLOBAL__N_121threshold_kernel_implIaEEvRNS_18TensorIteratorBaseET_S7_EUlaaE_EESt5arrayIPcLm2EEEEviT0_T1_,comdat
	.globl	_ZN2at6native29vectorized_elementwise_kernelILi4ENS0_13BUnaryFunctorIaaaZNS0_12_GLOBAL__N_121threshold_kernel_implIaEEvRNS_18TensorIteratorBaseET_S7_EUlaaE_EESt5arrayIPcLm2EEEEviT0_T1_ ; -- Begin function _ZN2at6native29vectorized_elementwise_kernelILi4ENS0_13BUnaryFunctorIaaaZNS0_12_GLOBAL__N_121threshold_kernel_implIaEEvRNS_18TensorIteratorBaseET_S7_EUlaaE_EESt5arrayIPcLm2EEEEviT0_T1_
	.p2align	8
	.type	_ZN2at6native29vectorized_elementwise_kernelILi4ENS0_13BUnaryFunctorIaaaZNS0_12_GLOBAL__N_121threshold_kernel_implIaEEvRNS_18TensorIteratorBaseET_S7_EUlaaE_EESt5arrayIPcLm2EEEEviT0_T1_,@function
_ZN2at6native29vectorized_elementwise_kernelILi4ENS0_13BUnaryFunctorIaaaZNS0_12_GLOBAL__N_121threshold_kernel_implIaEEvRNS_18TensorIteratorBaseET_S7_EUlaaE_EESt5arrayIPcLm2EEEEviT0_T1_: ; @_ZN2at6native29vectorized_elementwise_kernelILi4ENS0_13BUnaryFunctorIaaaZNS0_12_GLOBAL__N_121threshold_kernel_implIaEEvRNS_18TensorIteratorBaseET_S7_EUlaaE_EESt5arrayIPcLm2EEEEviT0_T1_
; %bb.0:
	v_mov_b32_e32 v1, 0
	global_load_ubyte v2, v1, s[4:5] offset:6
	global_load_ushort v3, v1, s[4:5] offset:4
	s_load_dword s0, s[4:5], 0x0
	s_load_dwordx4 s[8:11], s[4:5], 0x8
	s_lshl_b32 s33, s6, 12
	s_waitcnt lgkmcnt(0)
	s_sub_i32 s38, s0, s33
	s_cmpk_gt_i32 s38, 0xfff
	s_mov_b64 s[0:1], -1
	s_waitcnt vmcnt(1)
	v_lshlrev_b32_e32 v1, 16, v2
	s_waitcnt vmcnt(0)
	v_or_b32_e32 v4, v3, v1
	s_cbranch_scc0 .LBB34_2
; %bb.1:
	s_ashr_i32 s2, s33, 31
	s_add_u32 s0, s10, s33
	s_addc_u32 s1, s11, s2
	v_lshlrev_b32_e32 v1, 2, v0
	global_load_dword v2, v1, s[0:1]
	global_load_dword v5, v1, s[0:1] offset:1024
	global_load_dword v6, v1, s[0:1] offset:2048
	;; [unrolled: 1-line block ×3, first 2 shown]
	s_add_u32 s0, s8, s33
	s_addc_u32 s1, s9, s2
	s_waitcnt vmcnt(3)
	v_cmp_gt_i16_sdwa s[2:3], sext(v2), sext(v3) src0_sel:BYTE_0 src1_sel:BYTE_0
	v_cndmask_b32_e64 v8, 8, 16, s[2:3]
	s_waitcnt vmcnt(2)
	v_cmp_gt_i16_sdwa s[2:3], sext(v5), sext(v3) src0_sel:BYTE_0 src1_sel:BYTE_0
	v_cndmask_b32_e64 v11, 8, 16, s[2:3]
	s_waitcnt vmcnt(1)
	v_cmp_gt_i16_sdwa s[2:3], sext(v6), sext(v3) src0_sel:BYTE_0 src1_sel:BYTE_0
	v_lshrrev_b32_e32 v9, 8, v2
	v_cndmask_b32_e64 v14, 8, 16, s[2:3]
	s_waitcnt vmcnt(0)
	v_cmp_gt_i16_sdwa s[2:3], sext(v7), sext(v3) src0_sel:BYTE_0 src1_sel:BYTE_0
	v_lshrrev_b32_e32 v10, 16, v2
	v_cndmask_b32_e64 v17, 8, 16, s[2:3]
	v_cmp_gt_i16_sdwa s[2:3], sext(v9), sext(v3) src0_sel:BYTE_0 src1_sel:BYTE_0
	v_lshrrev_b32_e32 v2, 24, v2
	v_cndmask_b32_e64 v9, 8, 16, s[2:3]
	;; [unrolled: 3-line block ×11, first 2 shown]
	v_cmp_gt_i16_sdwa s[2:3], sext(v19), sext(v3) src0_sel:BYTE_0 src1_sel:BYTE_0
	v_cndmask_b32_e64 v19, 8, 16, s[2:3]
	v_cmp_gt_i16_sdwa s[2:3], sext(v7), sext(v3) src0_sel:BYTE_0 src1_sel:BYTE_0
	v_lshrrev_b32_e32 v8, v8, v4
	v_cndmask_b32_e64 v7, 8, 16, s[2:3]
	v_lshrrev_b32_sdwa v9, v9, v4 dst_sel:BYTE_1 dst_unused:UNUSED_PAD src0_sel:DWORD src1_sel:DWORD
	v_lshrrev_b32_e32 v10, v10, v4
	v_lshrrev_b32_sdwa v2, v2, v4 dst_sel:BYTE_1 dst_unused:UNUSED_PAD src0_sel:DWORD src1_sel:DWORD
	v_lshrrev_b32_e32 v11, v11, v4
	v_lshrrev_b32_e32 v14, v14, v4
	;; [unrolled: 1-line block ×3, first 2 shown]
	v_lshrrev_b32_sdwa v12, v12, v4 dst_sel:BYTE_1 dst_unused:UNUSED_PAD src0_sel:DWORD src1_sel:DWORD
	v_lshrrev_b32_e32 v13, v13, v4
	v_lshrrev_b32_sdwa v5, v5, v4 dst_sel:BYTE_1 dst_unused:UNUSED_PAD src0_sel:DWORD src1_sel:DWORD
	v_lshrrev_b32_sdwa v15, v15, v4 dst_sel:BYTE_1 dst_unused:UNUSED_PAD src0_sel:DWORD src1_sel:DWORD
	v_lshrrev_b32_e32 v16, v16, v4
	v_lshrrev_b32_sdwa v6, v6, v4 dst_sel:BYTE_1 dst_unused:UNUSED_PAD src0_sel:DWORD src1_sel:DWORD
	;; [unrolled: 3-line block ×3, first 2 shown]
	v_or_b32_sdwa v8, v8, v9 dst_sel:DWORD dst_unused:UNUSED_PAD src0_sel:BYTE_0 src1_sel:DWORD
	v_or_b32_sdwa v2, v10, v2 dst_sel:WORD_1 dst_unused:UNUSED_PAD src0_sel:BYTE_0 src1_sel:DWORD
	v_or_b32_sdwa v17, v17, v18 dst_sel:DWORD dst_unused:UNUSED_PAD src0_sel:BYTE_0 src1_sel:DWORD
	v_or_b32_sdwa v7, v19, v7 dst_sel:WORD_1 dst_unused:UNUSED_PAD src0_sel:BYTE_0 src1_sel:DWORD
	;; [unrolled: 2-line block ×4, first 2 shown]
	v_or_b32_sdwa v2, v8, v2 dst_sel:DWORD dst_unused:UNUSED_PAD src0_sel:WORD_0 src1_sel:DWORD
	v_or_b32_sdwa v7, v17, v7 dst_sel:DWORD dst_unused:UNUSED_PAD src0_sel:WORD_0 src1_sel:DWORD
	v_or_b32_sdwa v6, v14, v6 dst_sel:DWORD dst_unused:UNUSED_PAD src0_sel:WORD_0 src1_sel:DWORD
	v_or_b32_sdwa v5, v11, v5 dst_sel:DWORD dst_unused:UNUSED_PAD src0_sel:WORD_0 src1_sel:DWORD
	global_store_dword v1, v2, s[0:1]
	global_store_dword v1, v5, s[0:1] offset:1024
	global_store_dword v1, v6, s[0:1] offset:2048
	;; [unrolled: 1-line block ×3, first 2 shown]
	s_mov_b64 s[0:1], 0
.LBB34_2:
	s_andn2_b64 vcc, exec, s[0:1]
	s_cbranch_vccnz .LBB34_52
; %bb.3:
	v_cmp_gt_i32_e32 vcc, s38, v0
	v_or_b32_e32 v5, 0x100, v0
	v_mov_b32_e32 v22, 0
	v_or_b32_e32 v6, s33, v0
	v_mov_b32_e32 v21, 0
	v_mov_b32_e32 v20, 0
	v_mov_b32_e32 v19, 0
	v_mov_b32_e32 v18, 0
	v_mov_b32_e32 v17, 0
	v_mov_b32_e32 v16, 0
	v_mov_b32_e32 v14, 0
	v_mov_b32_e32 v10, 0
	v_mov_b32_e32 v11, 0
	v_mov_b32_e32 v8, 0
	v_mov_b32_e32 v9, 0
	v_mov_b32_e32 v7, 0
	v_mov_b32_e32 v15, 0
	v_mov_b32_e32 v13, 0
	v_mov_b32_e32 v12, 0
	s_and_saveexec_b64 s[2:3], vcc
	s_cbranch_execz .LBB34_35
; %bb.4:
	global_load_ubyte v12, v6, s[10:11]
	v_cmp_gt_u32_e64 s[0:1], s38, v5
	v_mov_b32_e32 v13, 0
	v_mov_b32_e32 v15, 0
	;; [unrolled: 1-line block ×15, first 2 shown]
	s_and_saveexec_b64 s[4:5], s[0:1]
	s_cbranch_execz .LBB34_34
; %bb.5:
	v_add_u32_e32 v1, s33, v0
	global_load_ubyte v13, v1, s[10:11] offset:256
	v_or_b32_e32 v2, 0x200, v0
	v_mov_b32_e32 v15, 0
	v_cmp_gt_u32_e64 s[0:1], s38, v2
	v_mov_b32_e32 v7, 0
	v_mov_b32_e32 v9, 0
	;; [unrolled: 1-line block ×13, first 2 shown]
	s_and_saveexec_b64 s[6:7], s[0:1]
	s_cbranch_execz .LBB34_33
; %bb.6:
	v_mov_b32_e32 v2, s11
	v_add_co_u32_e64 v1, s[0:1], s10, v1
	v_addc_co_u32_e64 v2, s[0:1], 0, v2, s[0:1]
	global_load_ubyte v15, v[1:2], off offset:512
	v_or_b32_e32 v7, 0x300, v0
	v_cmp_gt_u32_e64 s[0:1], s38, v7
	v_mov_b32_e32 v7, 0
	v_mov_b32_e32 v9, 0
	;; [unrolled: 1-line block ×13, first 2 shown]
	s_and_saveexec_b64 s[10:11], s[0:1]
	s_cbranch_execz .LBB34_32
; %bb.7:
	global_load_ubyte v7, v[1:2], off offset:768
	v_or_b32_e32 v8, 0x400, v0
	v_cmp_gt_u32_e64 s[0:1], s38, v8
	v_mov_b32_e32 v9, 0
	v_mov_b32_e32 v8, 0
	;; [unrolled: 1-line block ×12, first 2 shown]
	s_and_saveexec_b64 s[12:13], s[0:1]
	s_cbranch_execz .LBB34_31
; %bb.8:
	global_load_ubyte v9, v[1:2], off offset:1024
	v_or_b32_e32 v8, 0x500, v0
	v_cmp_gt_u32_e64 s[0:1], s38, v8
	v_mov_b32_e32 v8, 0
	v_mov_b32_e32 v11, 0
	;; [unrolled: 1-line block ×11, first 2 shown]
	s_and_saveexec_b64 s[14:15], s[0:1]
	s_cbranch_execz .LBB34_30
; %bb.9:
	global_load_ubyte v8, v[1:2], off offset:1280
	v_or_b32_e32 v10, 0x600, v0
	v_cmp_gt_u32_e64 s[0:1], s38, v10
	v_mov_b32_e32 v11, 0
	v_mov_b32_e32 v10, 0
	;; [unrolled: 1-line block ×10, first 2 shown]
	s_and_saveexec_b64 s[16:17], s[0:1]
	s_cbranch_execz .LBB34_29
; %bb.10:
	global_load_ubyte v11, v[1:2], off offset:1536
	v_or_b32_e32 v10, 0x700, v0
	v_cmp_gt_u32_e64 s[0:1], s38, v10
	v_mov_b32_e32 v10, 0
	v_mov_b32_e32 v14, 0
	;; [unrolled: 1-line block ×9, first 2 shown]
	s_and_saveexec_b64 s[18:19], s[0:1]
	s_cbranch_execz .LBB34_28
; %bb.11:
	global_load_ubyte v10, v[1:2], off offset:1792
	v_or_b32_e32 v14, 0x800, v0
	v_cmp_gt_u32_e64 s[0:1], s38, v14
	v_mov_b32_e32 v14, 0
	v_mov_b32_e32 v16, 0
	;; [unrolled: 1-line block ×8, first 2 shown]
	s_and_saveexec_b64 s[20:21], s[0:1]
	s_cbranch_execz .LBB34_27
; %bb.12:
	global_load_ubyte v14, v[1:2], off offset:2048
	v_or_b32_e32 v16, 0x900, v0
	v_cmp_gt_u32_e64 s[0:1], s38, v16
	v_mov_b32_e32 v16, 0
	v_mov_b32_e32 v17, 0
	;; [unrolled: 1-line block ×7, first 2 shown]
	s_and_saveexec_b64 s[22:23], s[0:1]
	s_cbranch_execz .LBB34_26
; %bb.13:
	global_load_ubyte v16, v[1:2], off offset:2304
	v_or_b32_e32 v17, 0xa00, v0
	v_cmp_gt_u32_e64 s[0:1], s38, v17
	v_mov_b32_e32 v17, 0
	v_mov_b32_e32 v18, 0
	;; [unrolled: 1-line block ×6, first 2 shown]
	s_and_saveexec_b64 s[24:25], s[0:1]
	s_cbranch_execz .LBB34_25
; %bb.14:
	global_load_ubyte v17, v[1:2], off offset:2560
	v_or_b32_e32 v18, 0xb00, v0
	v_cmp_gt_u32_e64 s[0:1], s38, v18
	v_mov_b32_e32 v18, 0
	v_mov_b32_e32 v19, 0
	;; [unrolled: 1-line block ×5, first 2 shown]
	s_and_saveexec_b64 s[26:27], s[0:1]
	s_cbranch_execz .LBB34_24
; %bb.15:
	global_load_ubyte v18, v[1:2], off offset:2816
	v_or_b32_e32 v19, 0xc00, v0
	v_cmp_gt_u32_e64 s[0:1], s38, v19
	v_mov_b32_e32 v19, 0
	v_mov_b32_e32 v20, 0
	;; [unrolled: 1-line block ×4, first 2 shown]
	s_and_saveexec_b64 s[28:29], s[0:1]
	s_cbranch_execz .LBB34_23
; %bb.16:
	global_load_ubyte v19, v[1:2], off offset:3072
	v_or_b32_e32 v20, 0xd00, v0
	v_cmp_gt_u32_e64 s[0:1], s38, v20
	v_mov_b32_e32 v20, 0
	v_mov_b32_e32 v21, 0
	;; [unrolled: 1-line block ×3, first 2 shown]
	s_and_saveexec_b64 s[30:31], s[0:1]
	s_cbranch_execz .LBB34_22
; %bb.17:
	global_load_ubyte v20, v[1:2], off offset:3328
	v_or_b32_e32 v21, 0xe00, v0
	v_cmp_gt_u32_e64 s[0:1], s38, v21
	v_mov_b32_e32 v21, 0
	v_mov_b32_e32 v22, 0
	s_and_saveexec_b64 s[34:35], s[0:1]
	s_cbranch_execz .LBB34_21
; %bb.18:
	global_load_ubyte v21, v[1:2], off offset:3584
	v_or_b32_e32 v22, 0xf00, v0
	v_cmp_gt_u32_e64 s[0:1], s38, v22
	v_mov_b32_e32 v22, 0
	s_and_saveexec_b64 s[36:37], s[0:1]
	s_cbranch_execz .LBB34_20
; %bb.19:
	global_load_ubyte v22, v[1:2], off offset:3840
.LBB34_20:
	s_or_b64 exec, exec, s[36:37]
.LBB34_21:
	s_or_b64 exec, exec, s[34:35]
.LBB34_22:
	s_or_b64 exec, exec, s[30:31]
.LBB34_23:
	s_or_b64 exec, exec, s[28:29]
.LBB34_24:
	s_or_b64 exec, exec, s[26:27]
.LBB34_25:
	s_or_b64 exec, exec, s[24:25]
.LBB34_26:
	s_or_b64 exec, exec, s[22:23]
.LBB34_27:
	s_or_b64 exec, exec, s[20:21]
.LBB34_28:
	s_or_b64 exec, exec, s[18:19]
.LBB34_29:
	s_or_b64 exec, exec, s[16:17]
.LBB34_30:
	s_or_b64 exec, exec, s[14:15]
.LBB34_31:
	s_or_b64 exec, exec, s[12:13]
.LBB34_32:
	s_or_b64 exec, exec, s[10:11]
.LBB34_33:
	s_or_b64 exec, exec, s[6:7]
.LBB34_34:
	s_or_b64 exec, exec, s[4:5]
.LBB34_35:
	s_or_b64 exec, exec, s[2:3]
	s_waitcnt vmcnt(0)
	v_cmp_gt_i16_sdwa s[0:1], sext(v12), sext(v3) src0_sel:BYTE_0 src1_sel:BYTE_0
	v_cndmask_b32_e64 v1, 8, 16, s[0:1]
	v_cmp_gt_i16_sdwa s[0:1], sext(v13), sext(v3) src0_sel:BYTE_0 src1_sel:BYTE_0
	v_bfe_u32 v1, v4, v1, 8
	v_cndmask_b32_e64 v2, 8, 16, s[0:1]
	v_cndmask_b32_e32 v1, 0, v1, vcc
	v_lshrrev_b32_sdwa v2, v2, v4 dst_sel:BYTE_1 dst_unused:UNUSED_PAD src0_sel:DWORD src1_sel:DWORD
	v_or_b32_e32 v2, v1, v2
	v_and_b32_e32 v2, 0xffff, v2
	v_cmp_gt_i32_e64 s[0:1], s38, v5
	v_cndmask_b32_e64 v1, v1, v2, s[0:1]
	v_cmp_gt_i16_sdwa s[0:1], sext(v15), sext(v3) src0_sel:BYTE_0 src1_sel:BYTE_0
	s_movk_i32 s3, 0xff00
	v_cndmask_b32_e64 v12, 8, 16, s[0:1]
	v_and_b32_sdwa v2, v1, s3 dst_sel:DWORD dst_unused:UNUSED_PAD src0_sel:WORD_1 src1_sel:DWORD
	v_lshrrev_b32_e32 v12, v12, v4
	v_or_b32_sdwa v2, v12, v2 dst_sel:WORD_1 dst_unused:UNUSED_PAD src0_sel:BYTE_0 src1_sel:DWORD
	v_or_b32_e32 v12, 0x200, v0
	v_or_b32_e32 v2, v1, v2
	v_cmp_gt_i32_e64 s[0:1], s38, v12
	v_cndmask_b32_e64 v1, v1, v2, s[0:1]
	v_cmp_gt_i16_sdwa s[0:1], sext(v7), sext(v3) src0_sel:BYTE_0 src1_sel:BYTE_0
	s_movk_i32 s4, 0xff
	v_cndmask_b32_e64 v7, 8, 16, s[0:1]
	v_and_b32_sdwa v2, v1, s4 dst_sel:DWORD dst_unused:UNUSED_PAD src0_sel:WORD_1 src1_sel:DWORD
	v_lshrrev_b32_sdwa v7, v7, v4 dst_sel:BYTE_1 dst_unused:UNUSED_PAD src0_sel:DWORD src1_sel:DWORD
	s_mov_b32 s2, 0xffff
	v_or_b32_e32 v12, 0x300, v0
	v_or_b32_sdwa v2, v2, v7 dst_sel:WORD_1 dst_unused:UNUSED_PAD src0_sel:DWORD src1_sel:DWORD
	v_and_or_b32 v2, v1, s2, v2
	v_cmp_gt_i32_e64 s[0:1], s38, v12
	v_cndmask_b32_e64 v12, v1, v2, s[0:1]
	v_cmp_gt_i16_sdwa s[0:1], sext(v9), sext(v3) src0_sel:BYTE_0 src1_sel:BYTE_0
	v_cndmask_b32_e64 v1, 8, 16, s[0:1]
	v_lshrrev_b32_e32 v1, v1, v4
	v_or_b32_e32 v2, 0x400, v0
	v_and_b32_sdwa v1, s2, v1 dst_sel:DWORD dst_unused:UNUSED_PAD src0_sel:DWORD src1_sel:BYTE_0
	v_cmp_gt_i32_e64 s[0:1], s38, v2
	v_cndmask_b32_e64 v1, 0, v1, s[0:1]
	v_cmp_gt_i16_sdwa s[0:1], sext(v8), sext(v3) src0_sel:BYTE_0 src1_sel:BYTE_0
	v_cndmask_b32_e64 v7, 8, 16, s[0:1]
	v_lshrrev_b32_sdwa v7, v7, v4 dst_sel:BYTE_1 dst_unused:UNUSED_PAD src0_sel:DWORD src1_sel:DWORD
	v_or_b32_e32 v2, 0x500, v0
	v_or_b32_sdwa v7, v1, v7 dst_sel:DWORD dst_unused:UNUSED_PAD src0_sel:BYTE_0 src1_sel:DWORD
	v_and_b32_e32 v7, 0xffff, v7
	v_cmp_gt_i32_e64 s[0:1], s38, v2
	v_cndmask_b32_e64 v1, v1, v7, s[0:1]
	v_cmp_gt_i16_sdwa s[0:1], sext(v11), sext(v3) src0_sel:BYTE_0 src1_sel:BYTE_0
	v_cndmask_b32_e64 v7, 8, 16, s[0:1]
	v_and_b32_sdwa v2, v1, s3 dst_sel:DWORD dst_unused:UNUSED_PAD src0_sel:WORD_1 src1_sel:DWORD
	v_lshrrev_b32_e32 v7, v7, v4
	v_or_b32_sdwa v2, v7, v2 dst_sel:WORD_1 dst_unused:UNUSED_PAD src0_sel:BYTE_0 src1_sel:DWORD
	v_or_b32_e32 v7, 0x600, v0
	v_and_or_b32 v2, v1, s2, v2
	v_cmp_gt_i32_e64 s[0:1], s38, v7
	v_cndmask_b32_e64 v1, v1, v2, s[0:1]
	v_cmp_gt_i16_sdwa s[0:1], sext(v10), sext(v3) src0_sel:BYTE_0 src1_sel:BYTE_0
	v_cndmask_b32_e64 v8, 8, 16, s[0:1]
	v_and_b32_sdwa v2, v1, s4 dst_sel:DWORD dst_unused:UNUSED_PAD src0_sel:WORD_1 src1_sel:DWORD
	v_lshrrev_b32_sdwa v8, v8, v4 dst_sel:BYTE_1 dst_unused:UNUSED_PAD src0_sel:DWORD src1_sel:DWORD
	v_or_b32_e32 v7, 0x700, v0
	v_or_b32_sdwa v2, v2, v8 dst_sel:WORD_1 dst_unused:UNUSED_PAD src0_sel:DWORD src1_sel:DWORD
	v_and_or_b32 v2, v1, s2, v2
	v_cmp_gt_i32_e64 s[0:1], s38, v7
	v_cndmask_b32_e64 v7, v1, v2, s[0:1]
	v_cmp_gt_i16_sdwa s[0:1], sext(v14), sext(v3) src0_sel:BYTE_0 src1_sel:BYTE_0
	v_or_b32_e32 v1, 0x800, v0
	v_cndmask_b32_e64 v2, 8, 16, s[0:1]
	v_bfe_u32 v2, v4, v2, 8
	v_cmp_gt_i32_e64 s[0:1], s38, v1
	v_cndmask_b32_e64 v1, 0, v2, s[0:1]
	v_cmp_gt_i16_sdwa s[0:1], sext(v16), sext(v3) src0_sel:BYTE_0 src1_sel:BYTE_0
	v_cndmask_b32_e64 v8, 8, 16, s[0:1]
	v_lshrrev_b32_sdwa v8, v8, v4 dst_sel:BYTE_1 dst_unused:UNUSED_PAD src0_sel:DWORD src1_sel:DWORD
	v_or_b32_e32 v2, 0x900, v0
	v_or_b32_e32 v8, v1, v8
	v_and_b32_e32 v8, 0xffff, v8
	v_cmp_gt_i32_e64 s[0:1], s38, v2
	v_cndmask_b32_e64 v1, v1, v8, s[0:1]
	v_cmp_gt_i16_sdwa s[0:1], sext(v17), sext(v3) src0_sel:BYTE_0 src1_sel:BYTE_0
	v_cndmask_b32_e64 v8, 8, 16, s[0:1]
	v_and_b32_sdwa v2, v1, s3 dst_sel:DWORD dst_unused:UNUSED_PAD src0_sel:WORD_1 src1_sel:DWORD
	v_lshrrev_b32_e32 v8, v8, v4
	v_or_b32_sdwa v2, v8, v2 dst_sel:WORD_1 dst_unused:UNUSED_PAD src0_sel:BYTE_0 src1_sel:DWORD
	v_or_b32_e32 v8, 0xa00, v0
	v_or_b32_e32 v2, v1, v2
	v_cmp_gt_i32_e64 s[0:1], s38, v8
	v_cndmask_b32_e64 v1, v1, v2, s[0:1]
	v_cmp_gt_i16_sdwa s[0:1], sext(v18), sext(v3) src0_sel:BYTE_0 src1_sel:BYTE_0
	v_cndmask_b32_e64 v9, 8, 16, s[0:1]
	v_and_b32_sdwa v2, v1, s4 dst_sel:DWORD dst_unused:UNUSED_PAD src0_sel:WORD_1 src1_sel:DWORD
	v_lshrrev_b32_sdwa v9, v9, v4 dst_sel:BYTE_1 dst_unused:UNUSED_PAD src0_sel:DWORD src1_sel:DWORD
	v_or_b32_e32 v8, 0xb00, v0
	v_or_b32_sdwa v2, v2, v9 dst_sel:WORD_1 dst_unused:UNUSED_PAD src0_sel:DWORD src1_sel:DWORD
	v_and_or_b32 v2, v1, s2, v2
	v_cmp_gt_i32_e64 s[0:1], s38, v8
	v_cndmask_b32_e64 v2, v1, v2, s[0:1]
	v_cmp_gt_i16_sdwa s[0:1], sext(v19), sext(v3) src0_sel:BYTE_0 src1_sel:BYTE_0
	v_or_b32_e32 v1, 0xc00, v0
	v_cndmask_b32_e64 v8, 8, 16, s[0:1]
	v_bfe_u32 v8, v4, v8, 8
	v_cmp_gt_i32_e64 s[0:1], s38, v1
	v_cndmask_b32_e64 v1, 0, v8, s[0:1]
	v_cmp_gt_i16_sdwa s[0:1], sext(v20), sext(v3) src0_sel:BYTE_0 src1_sel:BYTE_0
	v_cndmask_b32_e64 v8, 8, 16, s[0:1]
	v_lshrrev_b32_sdwa v8, v8, v4 dst_sel:BYTE_1 dst_unused:UNUSED_PAD src0_sel:DWORD src1_sel:DWORD
	v_or_b32_sdwa v8, v1, v8 dst_sel:DWORD dst_unused:UNUSED_PAD src0_sel:BYTE_0 src1_sel:DWORD
	v_and_b32_e32 v8, 0xffff, v8
	s_mov_b32 s0, 0xffff0000
	v_or_b32_e32 v9, 0xd00, v0
	v_and_or_b32 v8, v1, s0, v8
	v_cmp_gt_i32_e64 s[0:1], s38, v9
	v_cndmask_b32_e64 v1, v1, v8, s[0:1]
	v_cmp_gt_i16_sdwa s[0:1], sext(v21), sext(v3) src0_sel:BYTE_0 src1_sel:BYTE_0
	v_cndmask_b32_e64 v9, 8, 16, s[0:1]
	v_and_b32_sdwa v8, v1, s3 dst_sel:DWORD dst_unused:UNUSED_PAD src0_sel:WORD_1 src1_sel:DWORD
	v_lshrrev_b32_e32 v9, v9, v4
	v_or_b32_sdwa v8, v9, v8 dst_sel:WORD_1 dst_unused:UNUSED_PAD src0_sel:BYTE_0 src1_sel:DWORD
	v_or_b32_e32 v9, 0xe00, v0
	v_and_or_b32 v8, v1, s2, v8
	v_cmp_gt_i32_e64 s[0:1], s38, v9
	v_cndmask_b32_e64 v1, v1, v8, s[0:1]
	v_cmp_gt_i16_sdwa s[0:1], sext(v22), sext(v3) src0_sel:BYTE_0 src1_sel:BYTE_0
	v_cndmask_b32_e64 v3, 8, 16, s[0:1]
	v_and_b32_sdwa v8, v1, s4 dst_sel:DWORD dst_unused:UNUSED_PAD src0_sel:WORD_1 src1_sel:DWORD
	v_lshrrev_b32_sdwa v3, v3, v4 dst_sel:BYTE_1 dst_unused:UNUSED_PAD src0_sel:DWORD src1_sel:DWORD
	v_or_b32_e32 v9, 0xf00, v0
	v_or_b32_sdwa v3, v8, v3 dst_sel:WORD_1 dst_unused:UNUSED_PAD src0_sel:DWORD src1_sel:DWORD
	v_and_or_b32 v3, v1, s2, v3
	v_cmp_gt_i32_e64 s[0:1], s38, v9
	v_cndmask_b32_e64 v1, v1, v3, s[0:1]
	s_and_saveexec_b64 s[0:1], vcc
	s_cbranch_execnz .LBB34_53
; %bb.36:
	s_or_b64 exec, exec, s[0:1]
	v_cmp_gt_i32_e32 vcc, s38, v0
	s_and_saveexec_b64 s[0:1], vcc
	s_cbranch_execnz .LBB34_54
.LBB34_37:
	s_or_b64 exec, exec, s[0:1]
	v_cmp_gt_i32_e32 vcc, s38, v0
	s_and_saveexec_b64 s[0:1], vcc
	s_cbranch_execnz .LBB34_55
.LBB34_38:
	s_or_b64 exec, exec, s[0:1]
	v_cmp_gt_i32_e32 vcc, s38, v0
	s_and_saveexec_b64 s[0:1], vcc
	s_cbranch_execnz .LBB34_56
.LBB34_39:
	s_or_b64 exec, exec, s[0:1]
	v_cmp_gt_i32_e32 vcc, s38, v0
	s_and_saveexec_b64 s[0:1], vcc
	s_cbranch_execnz .LBB34_57
.LBB34_40:
	s_or_b64 exec, exec, s[0:1]
	v_cmp_gt_i32_e32 vcc, s38, v0
	s_and_saveexec_b64 s[0:1], vcc
	s_cbranch_execnz .LBB34_58
.LBB34_41:
	s_or_b64 exec, exec, s[0:1]
	v_cmp_gt_i32_e32 vcc, s38, v0
	s_and_saveexec_b64 s[0:1], vcc
	s_cbranch_execnz .LBB34_59
.LBB34_42:
	s_or_b64 exec, exec, s[0:1]
	v_cmp_gt_i32_e32 vcc, s38, v0
	s_and_saveexec_b64 s[0:1], vcc
	s_cbranch_execnz .LBB34_60
.LBB34_43:
	s_or_b64 exec, exec, s[0:1]
	v_cmp_gt_i32_e32 vcc, s38, v0
	s_and_saveexec_b64 s[0:1], vcc
	s_cbranch_execnz .LBB34_61
.LBB34_44:
	s_or_b64 exec, exec, s[0:1]
	v_cmp_gt_i32_e32 vcc, s38, v0
	s_and_saveexec_b64 s[0:1], vcc
	s_cbranch_execnz .LBB34_62
.LBB34_45:
	s_or_b64 exec, exec, s[0:1]
	v_cmp_gt_i32_e32 vcc, s38, v0
	s_and_saveexec_b64 s[0:1], vcc
	s_cbranch_execnz .LBB34_63
.LBB34_46:
	s_or_b64 exec, exec, s[0:1]
	v_cmp_gt_i32_e32 vcc, s38, v0
	s_and_saveexec_b64 s[0:1], vcc
	s_cbranch_execnz .LBB34_64
.LBB34_47:
	s_or_b64 exec, exec, s[0:1]
	v_cmp_gt_i32_e32 vcc, s38, v0
	s_and_saveexec_b64 s[0:1], vcc
	s_cbranch_execnz .LBB34_65
.LBB34_48:
	s_or_b64 exec, exec, s[0:1]
	v_cmp_gt_i32_e32 vcc, s38, v0
	s_and_saveexec_b64 s[0:1], vcc
	s_cbranch_execnz .LBB34_66
.LBB34_49:
	s_or_b64 exec, exec, s[0:1]
	v_cmp_gt_i32_e32 vcc, s38, v0
	s_and_saveexec_b64 s[0:1], vcc
	s_cbranch_execnz .LBB34_67
.LBB34_50:
	s_or_b64 exec, exec, s[0:1]
	v_cmp_gt_i32_e32 vcc, s38, v0
	s_and_saveexec_b64 s[0:1], vcc
	s_cbranch_execz .LBB34_52
.LBB34_51:
	v_lshrrev_b32_e32 v1, 24, v1
	v_add_u32_e32 v0, s33, v0
	global_store_byte v0, v1, s[8:9]
.LBB34_52:
	s_endpgm
.LBB34_53:
	v_mov_b32_e32 v0, v5
	global_store_byte v6, v12, s[8:9]
	s_or_b64 exec, exec, s[0:1]
	v_cmp_gt_i32_e32 vcc, s38, v0
	s_and_saveexec_b64 s[0:1], vcc
	s_cbranch_execz .LBB34_37
.LBB34_54:
	v_lshrrev_b32_e32 v3, 8, v12
	v_add_u32_e32 v4, s33, v0
	v_add_u32_e32 v0, 0x100, v0
	global_store_byte v4, v3, s[8:9]
	s_or_b64 exec, exec, s[0:1]
	v_cmp_gt_i32_e32 vcc, s38, v0
	s_and_saveexec_b64 s[0:1], vcc
	s_cbranch_execz .LBB34_38
.LBB34_55:
	v_add_u32_e32 v3, s33, v0
	v_add_u32_e32 v0, 0x100, v0
	global_store_byte_d16_hi v3, v12, s[8:9]
	s_or_b64 exec, exec, s[0:1]
	v_cmp_gt_i32_e32 vcc, s38, v0
	s_and_saveexec_b64 s[0:1], vcc
	s_cbranch_execz .LBB34_39
.LBB34_56:
	v_lshrrev_b32_e32 v3, 24, v12
	v_add_u32_e32 v4, s33, v0
	v_add_u32_e32 v0, 0x100, v0
	global_store_byte v4, v3, s[8:9]
	s_or_b64 exec, exec, s[0:1]
	v_cmp_gt_i32_e32 vcc, s38, v0
	s_and_saveexec_b64 s[0:1], vcc
	s_cbranch_execz .LBB34_40
.LBB34_57:
	v_add_u32_e32 v3, s33, v0
	v_add_u32_e32 v0, 0x100, v0
	global_store_byte v3, v7, s[8:9]
	s_or_b64 exec, exec, s[0:1]
	v_cmp_gt_i32_e32 vcc, s38, v0
	s_and_saveexec_b64 s[0:1], vcc
	s_cbranch_execz .LBB34_41
.LBB34_58:
	v_lshrrev_b32_e32 v3, 8, v7
	v_add_u32_e32 v4, s33, v0
	v_add_u32_e32 v0, 0x100, v0
	global_store_byte v4, v3, s[8:9]
	s_or_b64 exec, exec, s[0:1]
	v_cmp_gt_i32_e32 vcc, s38, v0
	s_and_saveexec_b64 s[0:1], vcc
	s_cbranch_execz .LBB34_42
.LBB34_59:
	v_add_u32_e32 v3, s33, v0
	v_add_u32_e32 v0, 0x100, v0
	global_store_byte_d16_hi v3, v7, s[8:9]
	s_or_b64 exec, exec, s[0:1]
	v_cmp_gt_i32_e32 vcc, s38, v0
	s_and_saveexec_b64 s[0:1], vcc
	s_cbranch_execz .LBB34_43
.LBB34_60:
	v_lshrrev_b32_e32 v3, 24, v7
	v_add_u32_e32 v4, s33, v0
	v_add_u32_e32 v0, 0x100, v0
	global_store_byte v4, v3, s[8:9]
	s_or_b64 exec, exec, s[0:1]
	v_cmp_gt_i32_e32 vcc, s38, v0
	s_and_saveexec_b64 s[0:1], vcc
	s_cbranch_execz .LBB34_44
.LBB34_61:
	v_add_u32_e32 v3, s33, v0
	v_add_u32_e32 v0, 0x100, v0
	global_store_byte v3, v2, s[8:9]
	s_or_b64 exec, exec, s[0:1]
	v_cmp_gt_i32_e32 vcc, s38, v0
	s_and_saveexec_b64 s[0:1], vcc
	s_cbranch_execz .LBB34_45
.LBB34_62:
	v_lshrrev_b32_e32 v3, 8, v2
	v_add_u32_e32 v4, s33, v0
	v_add_u32_e32 v0, 0x100, v0
	global_store_byte v4, v3, s[8:9]
	s_or_b64 exec, exec, s[0:1]
	v_cmp_gt_i32_e32 vcc, s38, v0
	s_and_saveexec_b64 s[0:1], vcc
	s_cbranch_execz .LBB34_46
.LBB34_63:
	v_add_u32_e32 v3, s33, v0
	v_add_u32_e32 v0, 0x100, v0
	global_store_byte_d16_hi v3, v2, s[8:9]
	s_or_b64 exec, exec, s[0:1]
	v_cmp_gt_i32_e32 vcc, s38, v0
	s_and_saveexec_b64 s[0:1], vcc
	s_cbranch_execz .LBB34_47
.LBB34_64:
	v_lshrrev_b32_e32 v2, 24, v2
	v_add_u32_e32 v3, s33, v0
	v_add_u32_e32 v0, 0x100, v0
	global_store_byte v3, v2, s[8:9]
	s_or_b64 exec, exec, s[0:1]
	v_cmp_gt_i32_e32 vcc, s38, v0
	s_and_saveexec_b64 s[0:1], vcc
	s_cbranch_execz .LBB34_48
.LBB34_65:
	v_add_u32_e32 v2, s33, v0
	v_add_u32_e32 v0, 0x100, v0
	global_store_byte v2, v1, s[8:9]
	s_or_b64 exec, exec, s[0:1]
	v_cmp_gt_i32_e32 vcc, s38, v0
	s_and_saveexec_b64 s[0:1], vcc
	s_cbranch_execz .LBB34_49
.LBB34_66:
	v_lshrrev_b32_e32 v2, 8, v1
	v_add_u32_e32 v3, s33, v0
	v_add_u32_e32 v0, 0x100, v0
	global_store_byte v3, v2, s[8:9]
	s_or_b64 exec, exec, s[0:1]
	v_cmp_gt_i32_e32 vcc, s38, v0
	s_and_saveexec_b64 s[0:1], vcc
	s_cbranch_execz .LBB34_50
.LBB34_67:
	v_add_u32_e32 v2, s33, v0
	v_add_u32_e32 v0, 0x100, v0
	global_store_byte_d16_hi v2, v1, s[8:9]
	s_or_b64 exec, exec, s[0:1]
	v_cmp_gt_i32_e32 vcc, s38, v0
	s_and_saveexec_b64 s[0:1], vcc
	s_cbranch_execnz .LBB34_51
	s_branch .LBB34_52
	.section	.rodata,"a",@progbits
	.p2align	6, 0x0
	.amdhsa_kernel _ZN2at6native29vectorized_elementwise_kernelILi4ENS0_13BUnaryFunctorIaaaZNS0_12_GLOBAL__N_121threshold_kernel_implIaEEvRNS_18TensorIteratorBaseET_S7_EUlaaE_EESt5arrayIPcLm2EEEEviT0_T1_
		.amdhsa_group_segment_fixed_size 0
		.amdhsa_private_segment_fixed_size 0
		.amdhsa_kernarg_size 24
		.amdhsa_user_sgpr_count 6
		.amdhsa_user_sgpr_private_segment_buffer 1
		.amdhsa_user_sgpr_dispatch_ptr 0
		.amdhsa_user_sgpr_queue_ptr 0
		.amdhsa_user_sgpr_kernarg_segment_ptr 1
		.amdhsa_user_sgpr_dispatch_id 0
		.amdhsa_user_sgpr_flat_scratch_init 0
		.amdhsa_user_sgpr_private_segment_size 0
		.amdhsa_uses_dynamic_stack 0
		.amdhsa_system_sgpr_private_segment_wavefront_offset 0
		.amdhsa_system_sgpr_workgroup_id_x 1
		.amdhsa_system_sgpr_workgroup_id_y 0
		.amdhsa_system_sgpr_workgroup_id_z 0
		.amdhsa_system_sgpr_workgroup_info 0
		.amdhsa_system_vgpr_workitem_id 0
		.amdhsa_next_free_vgpr 23
		.amdhsa_next_free_sgpr 39
		.amdhsa_reserve_vcc 1
		.amdhsa_reserve_flat_scratch 0
		.amdhsa_float_round_mode_32 0
		.amdhsa_float_round_mode_16_64 0
		.amdhsa_float_denorm_mode_32 3
		.amdhsa_float_denorm_mode_16_64 3
		.amdhsa_dx10_clamp 1
		.amdhsa_ieee_mode 1
		.amdhsa_fp16_overflow 0
		.amdhsa_exception_fp_ieee_invalid_op 0
		.amdhsa_exception_fp_denorm_src 0
		.amdhsa_exception_fp_ieee_div_zero 0
		.amdhsa_exception_fp_ieee_overflow 0
		.amdhsa_exception_fp_ieee_underflow 0
		.amdhsa_exception_fp_ieee_inexact 0
		.amdhsa_exception_int_div_zero 0
	.end_amdhsa_kernel
	.section	.text._ZN2at6native29vectorized_elementwise_kernelILi4ENS0_13BUnaryFunctorIaaaZNS0_12_GLOBAL__N_121threshold_kernel_implIaEEvRNS_18TensorIteratorBaseET_S7_EUlaaE_EESt5arrayIPcLm2EEEEviT0_T1_,"axG",@progbits,_ZN2at6native29vectorized_elementwise_kernelILi4ENS0_13BUnaryFunctorIaaaZNS0_12_GLOBAL__N_121threshold_kernel_implIaEEvRNS_18TensorIteratorBaseET_S7_EUlaaE_EESt5arrayIPcLm2EEEEviT0_T1_,comdat
.Lfunc_end34:
	.size	_ZN2at6native29vectorized_elementwise_kernelILi4ENS0_13BUnaryFunctorIaaaZNS0_12_GLOBAL__N_121threshold_kernel_implIaEEvRNS_18TensorIteratorBaseET_S7_EUlaaE_EESt5arrayIPcLm2EEEEviT0_T1_, .Lfunc_end34-_ZN2at6native29vectorized_elementwise_kernelILi4ENS0_13BUnaryFunctorIaaaZNS0_12_GLOBAL__N_121threshold_kernel_implIaEEvRNS_18TensorIteratorBaseET_S7_EUlaaE_EESt5arrayIPcLm2EEEEviT0_T1_
                                        ; -- End function
	.set _ZN2at6native29vectorized_elementwise_kernelILi4ENS0_13BUnaryFunctorIaaaZNS0_12_GLOBAL__N_121threshold_kernel_implIaEEvRNS_18TensorIteratorBaseET_S7_EUlaaE_EESt5arrayIPcLm2EEEEviT0_T1_.num_vgpr, 23
	.set _ZN2at6native29vectorized_elementwise_kernelILi4ENS0_13BUnaryFunctorIaaaZNS0_12_GLOBAL__N_121threshold_kernel_implIaEEvRNS_18TensorIteratorBaseET_S7_EUlaaE_EESt5arrayIPcLm2EEEEviT0_T1_.num_agpr, 0
	.set _ZN2at6native29vectorized_elementwise_kernelILi4ENS0_13BUnaryFunctorIaaaZNS0_12_GLOBAL__N_121threshold_kernel_implIaEEvRNS_18TensorIteratorBaseET_S7_EUlaaE_EESt5arrayIPcLm2EEEEviT0_T1_.numbered_sgpr, 39
	.set _ZN2at6native29vectorized_elementwise_kernelILi4ENS0_13BUnaryFunctorIaaaZNS0_12_GLOBAL__N_121threshold_kernel_implIaEEvRNS_18TensorIteratorBaseET_S7_EUlaaE_EESt5arrayIPcLm2EEEEviT0_T1_.num_named_barrier, 0
	.set _ZN2at6native29vectorized_elementwise_kernelILi4ENS0_13BUnaryFunctorIaaaZNS0_12_GLOBAL__N_121threshold_kernel_implIaEEvRNS_18TensorIteratorBaseET_S7_EUlaaE_EESt5arrayIPcLm2EEEEviT0_T1_.private_seg_size, 0
	.set _ZN2at6native29vectorized_elementwise_kernelILi4ENS0_13BUnaryFunctorIaaaZNS0_12_GLOBAL__N_121threshold_kernel_implIaEEvRNS_18TensorIteratorBaseET_S7_EUlaaE_EESt5arrayIPcLm2EEEEviT0_T1_.uses_vcc, 1
	.set _ZN2at6native29vectorized_elementwise_kernelILi4ENS0_13BUnaryFunctorIaaaZNS0_12_GLOBAL__N_121threshold_kernel_implIaEEvRNS_18TensorIteratorBaseET_S7_EUlaaE_EESt5arrayIPcLm2EEEEviT0_T1_.uses_flat_scratch, 0
	.set _ZN2at6native29vectorized_elementwise_kernelILi4ENS0_13BUnaryFunctorIaaaZNS0_12_GLOBAL__N_121threshold_kernel_implIaEEvRNS_18TensorIteratorBaseET_S7_EUlaaE_EESt5arrayIPcLm2EEEEviT0_T1_.has_dyn_sized_stack, 0
	.set _ZN2at6native29vectorized_elementwise_kernelILi4ENS0_13BUnaryFunctorIaaaZNS0_12_GLOBAL__N_121threshold_kernel_implIaEEvRNS_18TensorIteratorBaseET_S7_EUlaaE_EESt5arrayIPcLm2EEEEviT0_T1_.has_recursion, 0
	.set _ZN2at6native29vectorized_elementwise_kernelILi4ENS0_13BUnaryFunctorIaaaZNS0_12_GLOBAL__N_121threshold_kernel_implIaEEvRNS_18TensorIteratorBaseET_S7_EUlaaE_EESt5arrayIPcLm2EEEEviT0_T1_.has_indirect_call, 0
	.section	.AMDGPU.csdata,"",@progbits
; Kernel info:
; codeLenInByte = 3660
; TotalNumSgprs: 43
; NumVgprs: 23
; ScratchSize: 0
; MemoryBound: 0
; FloatMode: 240
; IeeeMode: 1
; LDSByteSize: 0 bytes/workgroup (compile time only)
; SGPRBlocks: 5
; VGPRBlocks: 5
; NumSGPRsForWavesPerEU: 43
; NumVGPRsForWavesPerEU: 23
; Occupancy: 10
; WaveLimiterHint : 1
; COMPUTE_PGM_RSRC2:SCRATCH_EN: 0
; COMPUTE_PGM_RSRC2:USER_SGPR: 6
; COMPUTE_PGM_RSRC2:TRAP_HANDLER: 0
; COMPUTE_PGM_RSRC2:TGID_X_EN: 1
; COMPUTE_PGM_RSRC2:TGID_Y_EN: 0
; COMPUTE_PGM_RSRC2:TGID_Z_EN: 0
; COMPUTE_PGM_RSRC2:TIDIG_COMP_CNT: 0
	.section	.text._ZN2at6native29vectorized_elementwise_kernelILi2ENS0_13BUnaryFunctorIaaaZNS0_12_GLOBAL__N_121threshold_kernel_implIaEEvRNS_18TensorIteratorBaseET_S7_EUlaaE_EESt5arrayIPcLm2EEEEviT0_T1_,"axG",@progbits,_ZN2at6native29vectorized_elementwise_kernelILi2ENS0_13BUnaryFunctorIaaaZNS0_12_GLOBAL__N_121threshold_kernel_implIaEEvRNS_18TensorIteratorBaseET_S7_EUlaaE_EESt5arrayIPcLm2EEEEviT0_T1_,comdat
	.globl	_ZN2at6native29vectorized_elementwise_kernelILi2ENS0_13BUnaryFunctorIaaaZNS0_12_GLOBAL__N_121threshold_kernel_implIaEEvRNS_18TensorIteratorBaseET_S7_EUlaaE_EESt5arrayIPcLm2EEEEviT0_T1_ ; -- Begin function _ZN2at6native29vectorized_elementwise_kernelILi2ENS0_13BUnaryFunctorIaaaZNS0_12_GLOBAL__N_121threshold_kernel_implIaEEvRNS_18TensorIteratorBaseET_S7_EUlaaE_EESt5arrayIPcLm2EEEEviT0_T1_
	.p2align	8
	.type	_ZN2at6native29vectorized_elementwise_kernelILi2ENS0_13BUnaryFunctorIaaaZNS0_12_GLOBAL__N_121threshold_kernel_implIaEEvRNS_18TensorIteratorBaseET_S7_EUlaaE_EESt5arrayIPcLm2EEEEviT0_T1_,@function
_ZN2at6native29vectorized_elementwise_kernelILi2ENS0_13BUnaryFunctorIaaaZNS0_12_GLOBAL__N_121threshold_kernel_implIaEEvRNS_18TensorIteratorBaseET_S7_EUlaaE_EESt5arrayIPcLm2EEEEviT0_T1_: ; @_ZN2at6native29vectorized_elementwise_kernelILi2ENS0_13BUnaryFunctorIaaaZNS0_12_GLOBAL__N_121threshold_kernel_implIaEEvRNS_18TensorIteratorBaseET_S7_EUlaaE_EESt5arrayIPcLm2EEEEviT0_T1_
; %bb.0:
	v_mov_b32_e32 v1, 0
	global_load_ubyte v2, v1, s[4:5] offset:6
	global_load_ushort v3, v1, s[4:5] offset:4
	s_load_dword s0, s[4:5], 0x0
	s_load_dwordx4 s[8:11], s[4:5], 0x8
	s_lshl_b32 s33, s6, 12
	s_waitcnt lgkmcnt(0)
	s_sub_i32 s38, s0, s33
	s_cmpk_gt_i32 s38, 0xfff
	s_mov_b64 s[0:1], -1
	s_waitcnt vmcnt(1)
	v_lshlrev_b32_e32 v1, 16, v2
	s_waitcnt vmcnt(0)
	v_or_b32_e32 v4, v3, v1
	s_cbranch_scc0 .LBB35_2
; %bb.1:
	s_ashr_i32 s2, s33, 31
	s_add_u32 s0, s10, s33
	s_addc_u32 s1, s11, s2
	v_lshlrev_b32_e32 v1, 1, v0
	global_load_ushort v2, v1, s[0:1]
	global_load_ushort v5, v1, s[0:1] offset:512
	global_load_ushort v6, v1, s[0:1] offset:1024
	;; [unrolled: 1-line block ×7, first 2 shown]
	s_add_u32 s0, s8, s33
	s_addc_u32 s1, s9, s2
	s_waitcnt vmcnt(7)
	v_cmp_gt_i16_sdwa s[2:3], sext(v2), sext(v3) src0_sel:BYTE_0 src1_sel:BYTE_0
	v_cndmask_b32_e64 v12, 8, 16, s[2:3]
	v_cmp_gt_i16_sdwa s[2:3], sext(v2), sext(v3) src0_sel:BYTE_1 src1_sel:BYTE_0
	v_cndmask_b32_e64 v2, 8, 16, s[2:3]
	s_waitcnt vmcnt(6)
	v_cmp_gt_i16_sdwa s[2:3], sext(v5), sext(v3) src0_sel:BYTE_0 src1_sel:BYTE_0
	v_cndmask_b32_e64 v13, 8, 16, s[2:3]
	v_cmp_gt_i16_sdwa s[2:3], sext(v5), sext(v3) src0_sel:BYTE_1 src1_sel:BYTE_0
	v_cndmask_b32_e64 v5, 8, 16, s[2:3]
	;; [unrolled: 5-line block ×8, first 2 shown]
	v_lshrrev_b32_e32 v12, v12, v4
	v_lshrrev_b32_sdwa v2, v2, v4 dst_sel:BYTE_1 dst_unused:UNUSED_PAD src0_sel:DWORD src1_sel:DWORD
	v_lshrrev_b32_e32 v13, v13, v4
	v_lshrrev_b32_sdwa v5, v5, v4 dst_sel:BYTE_1 dst_unused:UNUSED_PAD src0_sel:DWORD src1_sel:DWORD
	;; [unrolled: 2-line block ×8, first 2 shown]
	v_or_b32_sdwa v2, v12, v2 dst_sel:DWORD dst_unused:UNUSED_PAD src0_sel:BYTE_0 src1_sel:DWORD
	v_or_b32_sdwa v11, v19, v11 dst_sel:DWORD dst_unused:UNUSED_PAD src0_sel:BYTE_0 src1_sel:DWORD
	;; [unrolled: 1-line block ×8, first 2 shown]
	global_store_short v1, v2, s[0:1]
	global_store_short v1, v5, s[0:1] offset:512
	global_store_short v1, v6, s[0:1] offset:1024
	;; [unrolled: 1-line block ×7, first 2 shown]
	s_mov_b64 s[0:1], 0
.LBB35_2:
	s_andn2_b64 vcc, exec, s[0:1]
	s_cbranch_vccnz .LBB35_52
; %bb.3:
	v_cmp_gt_i32_e32 vcc, s38, v0
	v_or_b32_e32 v5, 0x100, v0
	v_mov_b32_e32 v22, 0
	v_or_b32_e32 v6, s33, v0
	v_mov_b32_e32 v21, 0
	v_mov_b32_e32 v20, 0
	;; [unrolled: 1-line block ×15, first 2 shown]
	s_and_saveexec_b64 s[2:3], vcc
	s_cbranch_execz .LBB35_35
; %bb.4:
	global_load_ubyte v12, v6, s[10:11]
	v_cmp_gt_u32_e64 s[0:1], s38, v5
	v_mov_b32_e32 v13, 0
	v_mov_b32_e32 v15, 0
	v_mov_b32_e32 v7, 0
	v_mov_b32_e32 v9, 0
	v_mov_b32_e32 v8, 0
	v_mov_b32_e32 v11, 0
	v_mov_b32_e32 v10, 0
	v_mov_b32_e32 v14, 0
	v_mov_b32_e32 v16, 0
	v_mov_b32_e32 v17, 0
	v_mov_b32_e32 v18, 0
	v_mov_b32_e32 v19, 0
	v_mov_b32_e32 v20, 0
	v_mov_b32_e32 v21, 0
	v_mov_b32_e32 v22, 0
	s_and_saveexec_b64 s[4:5], s[0:1]
	s_cbranch_execz .LBB35_34
; %bb.5:
	v_add_u32_e32 v1, s33, v0
	global_load_ubyte v13, v1, s[10:11] offset:256
	v_or_b32_e32 v2, 0x200, v0
	v_mov_b32_e32 v15, 0
	v_cmp_gt_u32_e64 s[0:1], s38, v2
	v_mov_b32_e32 v7, 0
	v_mov_b32_e32 v9, 0
	;; [unrolled: 1-line block ×13, first 2 shown]
	s_and_saveexec_b64 s[6:7], s[0:1]
	s_cbranch_execz .LBB35_33
; %bb.6:
	v_mov_b32_e32 v2, s11
	v_add_co_u32_e64 v1, s[0:1], s10, v1
	v_addc_co_u32_e64 v2, s[0:1], 0, v2, s[0:1]
	global_load_ubyte v15, v[1:2], off offset:512
	v_or_b32_e32 v7, 0x300, v0
	v_cmp_gt_u32_e64 s[0:1], s38, v7
	v_mov_b32_e32 v7, 0
	v_mov_b32_e32 v9, 0
	;; [unrolled: 1-line block ×13, first 2 shown]
	s_and_saveexec_b64 s[10:11], s[0:1]
	s_cbranch_execz .LBB35_32
; %bb.7:
	global_load_ubyte v7, v[1:2], off offset:768
	v_or_b32_e32 v8, 0x400, v0
	v_cmp_gt_u32_e64 s[0:1], s38, v8
	v_mov_b32_e32 v9, 0
	v_mov_b32_e32 v8, 0
	v_mov_b32_e32 v11, 0
	v_mov_b32_e32 v10, 0
	v_mov_b32_e32 v14, 0
	v_mov_b32_e32 v16, 0
	v_mov_b32_e32 v17, 0
	v_mov_b32_e32 v18, 0
	v_mov_b32_e32 v19, 0
	v_mov_b32_e32 v20, 0
	v_mov_b32_e32 v21, 0
	v_mov_b32_e32 v22, 0
	s_and_saveexec_b64 s[12:13], s[0:1]
	s_cbranch_execz .LBB35_31
; %bb.8:
	global_load_ubyte v9, v[1:2], off offset:1024
	v_or_b32_e32 v8, 0x500, v0
	v_cmp_gt_u32_e64 s[0:1], s38, v8
	v_mov_b32_e32 v8, 0
	v_mov_b32_e32 v11, 0
	;; [unrolled: 1-line block ×11, first 2 shown]
	s_and_saveexec_b64 s[14:15], s[0:1]
	s_cbranch_execz .LBB35_30
; %bb.9:
	global_load_ubyte v8, v[1:2], off offset:1280
	v_or_b32_e32 v10, 0x600, v0
	v_cmp_gt_u32_e64 s[0:1], s38, v10
	v_mov_b32_e32 v11, 0
	v_mov_b32_e32 v10, 0
	v_mov_b32_e32 v14, 0
	v_mov_b32_e32 v16, 0
	v_mov_b32_e32 v17, 0
	v_mov_b32_e32 v18, 0
	v_mov_b32_e32 v19, 0
	v_mov_b32_e32 v20, 0
	v_mov_b32_e32 v21, 0
	v_mov_b32_e32 v22, 0
	s_and_saveexec_b64 s[16:17], s[0:1]
	s_cbranch_execz .LBB35_29
; %bb.10:
	global_load_ubyte v11, v[1:2], off offset:1536
	v_or_b32_e32 v10, 0x700, v0
	v_cmp_gt_u32_e64 s[0:1], s38, v10
	v_mov_b32_e32 v10, 0
	v_mov_b32_e32 v14, 0
	;; [unrolled: 1-line block ×9, first 2 shown]
	s_and_saveexec_b64 s[18:19], s[0:1]
	s_cbranch_execz .LBB35_28
; %bb.11:
	global_load_ubyte v10, v[1:2], off offset:1792
	v_or_b32_e32 v14, 0x800, v0
	v_cmp_gt_u32_e64 s[0:1], s38, v14
	v_mov_b32_e32 v14, 0
	v_mov_b32_e32 v16, 0
	;; [unrolled: 1-line block ×8, first 2 shown]
	s_and_saveexec_b64 s[20:21], s[0:1]
	s_cbranch_execz .LBB35_27
; %bb.12:
	global_load_ubyte v14, v[1:2], off offset:2048
	v_or_b32_e32 v16, 0x900, v0
	v_cmp_gt_u32_e64 s[0:1], s38, v16
	v_mov_b32_e32 v16, 0
	v_mov_b32_e32 v17, 0
	;; [unrolled: 1-line block ×7, first 2 shown]
	s_and_saveexec_b64 s[22:23], s[0:1]
	s_cbranch_execz .LBB35_26
; %bb.13:
	global_load_ubyte v16, v[1:2], off offset:2304
	v_or_b32_e32 v17, 0xa00, v0
	v_cmp_gt_u32_e64 s[0:1], s38, v17
	v_mov_b32_e32 v17, 0
	v_mov_b32_e32 v18, 0
	;; [unrolled: 1-line block ×6, first 2 shown]
	s_and_saveexec_b64 s[24:25], s[0:1]
	s_cbranch_execz .LBB35_25
; %bb.14:
	global_load_ubyte v17, v[1:2], off offset:2560
	v_or_b32_e32 v18, 0xb00, v0
	v_cmp_gt_u32_e64 s[0:1], s38, v18
	v_mov_b32_e32 v18, 0
	v_mov_b32_e32 v19, 0
	;; [unrolled: 1-line block ×5, first 2 shown]
	s_and_saveexec_b64 s[26:27], s[0:1]
	s_cbranch_execz .LBB35_24
; %bb.15:
	global_load_ubyte v18, v[1:2], off offset:2816
	v_or_b32_e32 v19, 0xc00, v0
	v_cmp_gt_u32_e64 s[0:1], s38, v19
	v_mov_b32_e32 v19, 0
	v_mov_b32_e32 v20, 0
	;; [unrolled: 1-line block ×4, first 2 shown]
	s_and_saveexec_b64 s[28:29], s[0:1]
	s_cbranch_execz .LBB35_23
; %bb.16:
	global_load_ubyte v19, v[1:2], off offset:3072
	v_or_b32_e32 v20, 0xd00, v0
	v_cmp_gt_u32_e64 s[0:1], s38, v20
	v_mov_b32_e32 v20, 0
	v_mov_b32_e32 v21, 0
	;; [unrolled: 1-line block ×3, first 2 shown]
	s_and_saveexec_b64 s[30:31], s[0:1]
	s_cbranch_execz .LBB35_22
; %bb.17:
	global_load_ubyte v20, v[1:2], off offset:3328
	v_or_b32_e32 v21, 0xe00, v0
	v_cmp_gt_u32_e64 s[0:1], s38, v21
	v_mov_b32_e32 v21, 0
	v_mov_b32_e32 v22, 0
	s_and_saveexec_b64 s[34:35], s[0:1]
	s_cbranch_execz .LBB35_21
; %bb.18:
	global_load_ubyte v21, v[1:2], off offset:3584
	v_or_b32_e32 v22, 0xf00, v0
	v_cmp_gt_u32_e64 s[0:1], s38, v22
	v_mov_b32_e32 v22, 0
	s_and_saveexec_b64 s[36:37], s[0:1]
	s_cbranch_execz .LBB35_20
; %bb.19:
	global_load_ubyte v22, v[1:2], off offset:3840
.LBB35_20:
	s_or_b64 exec, exec, s[36:37]
.LBB35_21:
	s_or_b64 exec, exec, s[34:35]
.LBB35_22:
	s_or_b64 exec, exec, s[30:31]
.LBB35_23:
	s_or_b64 exec, exec, s[28:29]
.LBB35_24:
	s_or_b64 exec, exec, s[26:27]
.LBB35_25:
	s_or_b64 exec, exec, s[24:25]
.LBB35_26:
	s_or_b64 exec, exec, s[22:23]
.LBB35_27:
	s_or_b64 exec, exec, s[20:21]
.LBB35_28:
	s_or_b64 exec, exec, s[18:19]
.LBB35_29:
	s_or_b64 exec, exec, s[16:17]
.LBB35_30:
	s_or_b64 exec, exec, s[14:15]
.LBB35_31:
	s_or_b64 exec, exec, s[12:13]
.LBB35_32:
	s_or_b64 exec, exec, s[10:11]
.LBB35_33:
	s_or_b64 exec, exec, s[6:7]
.LBB35_34:
	s_or_b64 exec, exec, s[4:5]
.LBB35_35:
	s_or_b64 exec, exec, s[2:3]
	s_waitcnt vmcnt(0)
	v_cmp_gt_i16_sdwa s[0:1], sext(v12), sext(v3) src0_sel:BYTE_0 src1_sel:BYTE_0
	v_cndmask_b32_e64 v1, 8, 16, s[0:1]
	v_cmp_gt_i16_sdwa s[0:1], sext(v13), sext(v3) src0_sel:BYTE_0 src1_sel:BYTE_0
	v_bfe_u32 v1, v4, v1, 8
	v_cndmask_b32_e64 v2, 8, 16, s[0:1]
	v_cndmask_b32_e32 v1, 0, v1, vcc
	v_lshrrev_b32_sdwa v2, v2, v4 dst_sel:BYTE_1 dst_unused:UNUSED_PAD src0_sel:DWORD src1_sel:DWORD
	v_or_b32_e32 v2, v1, v2
	v_and_b32_e32 v2, 0xffff, v2
	v_cmp_gt_i32_e64 s[0:1], s38, v5
	v_cndmask_b32_e64 v1, v1, v2, s[0:1]
	v_cmp_gt_i16_sdwa s[0:1], sext(v15), sext(v3) src0_sel:BYTE_0 src1_sel:BYTE_0
	s_movk_i32 s3, 0xff00
	v_cndmask_b32_e64 v12, 8, 16, s[0:1]
	v_and_b32_sdwa v2, v1, s3 dst_sel:DWORD dst_unused:UNUSED_PAD src0_sel:WORD_1 src1_sel:DWORD
	v_lshrrev_b32_e32 v12, v12, v4
	v_or_b32_sdwa v2, v12, v2 dst_sel:WORD_1 dst_unused:UNUSED_PAD src0_sel:BYTE_0 src1_sel:DWORD
	v_or_b32_e32 v12, 0x200, v0
	v_or_b32_e32 v2, v1, v2
	v_cmp_gt_i32_e64 s[0:1], s38, v12
	v_cndmask_b32_e64 v1, v1, v2, s[0:1]
	v_cmp_gt_i16_sdwa s[0:1], sext(v7), sext(v3) src0_sel:BYTE_0 src1_sel:BYTE_0
	s_movk_i32 s4, 0xff
	v_cndmask_b32_e64 v7, 8, 16, s[0:1]
	v_and_b32_sdwa v2, v1, s4 dst_sel:DWORD dst_unused:UNUSED_PAD src0_sel:WORD_1 src1_sel:DWORD
	v_lshrrev_b32_sdwa v7, v7, v4 dst_sel:BYTE_1 dst_unused:UNUSED_PAD src0_sel:DWORD src1_sel:DWORD
	s_mov_b32 s2, 0xffff
	v_or_b32_e32 v12, 0x300, v0
	v_or_b32_sdwa v2, v2, v7 dst_sel:WORD_1 dst_unused:UNUSED_PAD src0_sel:DWORD src1_sel:DWORD
	v_and_or_b32 v2, v1, s2, v2
	v_cmp_gt_i32_e64 s[0:1], s38, v12
	v_cndmask_b32_e64 v12, v1, v2, s[0:1]
	v_cmp_gt_i16_sdwa s[0:1], sext(v9), sext(v3) src0_sel:BYTE_0 src1_sel:BYTE_0
	v_cndmask_b32_e64 v1, 8, 16, s[0:1]
	v_lshrrev_b32_e32 v1, v1, v4
	v_or_b32_e32 v2, 0x400, v0
	v_and_b32_sdwa v1, s2, v1 dst_sel:DWORD dst_unused:UNUSED_PAD src0_sel:DWORD src1_sel:BYTE_0
	v_cmp_gt_i32_e64 s[0:1], s38, v2
	v_cndmask_b32_e64 v1, 0, v1, s[0:1]
	v_cmp_gt_i16_sdwa s[0:1], sext(v8), sext(v3) src0_sel:BYTE_0 src1_sel:BYTE_0
	v_cndmask_b32_e64 v7, 8, 16, s[0:1]
	v_lshrrev_b32_sdwa v7, v7, v4 dst_sel:BYTE_1 dst_unused:UNUSED_PAD src0_sel:DWORD src1_sel:DWORD
	v_or_b32_e32 v2, 0x500, v0
	v_or_b32_sdwa v7, v1, v7 dst_sel:DWORD dst_unused:UNUSED_PAD src0_sel:BYTE_0 src1_sel:DWORD
	v_and_b32_e32 v7, 0xffff, v7
	v_cmp_gt_i32_e64 s[0:1], s38, v2
	v_cndmask_b32_e64 v1, v1, v7, s[0:1]
	v_cmp_gt_i16_sdwa s[0:1], sext(v11), sext(v3) src0_sel:BYTE_0 src1_sel:BYTE_0
	v_cndmask_b32_e64 v7, 8, 16, s[0:1]
	v_and_b32_sdwa v2, v1, s3 dst_sel:DWORD dst_unused:UNUSED_PAD src0_sel:WORD_1 src1_sel:DWORD
	v_lshrrev_b32_e32 v7, v7, v4
	v_or_b32_sdwa v2, v7, v2 dst_sel:WORD_1 dst_unused:UNUSED_PAD src0_sel:BYTE_0 src1_sel:DWORD
	v_or_b32_e32 v7, 0x600, v0
	v_and_or_b32 v2, v1, s2, v2
	v_cmp_gt_i32_e64 s[0:1], s38, v7
	v_cndmask_b32_e64 v1, v1, v2, s[0:1]
	v_cmp_gt_i16_sdwa s[0:1], sext(v10), sext(v3) src0_sel:BYTE_0 src1_sel:BYTE_0
	v_cndmask_b32_e64 v8, 8, 16, s[0:1]
	v_and_b32_sdwa v2, v1, s4 dst_sel:DWORD dst_unused:UNUSED_PAD src0_sel:WORD_1 src1_sel:DWORD
	v_lshrrev_b32_sdwa v8, v8, v4 dst_sel:BYTE_1 dst_unused:UNUSED_PAD src0_sel:DWORD src1_sel:DWORD
	v_or_b32_e32 v7, 0x700, v0
	v_or_b32_sdwa v2, v2, v8 dst_sel:WORD_1 dst_unused:UNUSED_PAD src0_sel:DWORD src1_sel:DWORD
	v_and_or_b32 v2, v1, s2, v2
	v_cmp_gt_i32_e64 s[0:1], s38, v7
	v_cndmask_b32_e64 v7, v1, v2, s[0:1]
	v_cmp_gt_i16_sdwa s[0:1], sext(v14), sext(v3) src0_sel:BYTE_0 src1_sel:BYTE_0
	v_or_b32_e32 v1, 0x800, v0
	v_cndmask_b32_e64 v2, 8, 16, s[0:1]
	v_bfe_u32 v2, v4, v2, 8
	v_cmp_gt_i32_e64 s[0:1], s38, v1
	v_cndmask_b32_e64 v1, 0, v2, s[0:1]
	v_cmp_gt_i16_sdwa s[0:1], sext(v16), sext(v3) src0_sel:BYTE_0 src1_sel:BYTE_0
	v_cndmask_b32_e64 v8, 8, 16, s[0:1]
	v_lshrrev_b32_sdwa v8, v8, v4 dst_sel:BYTE_1 dst_unused:UNUSED_PAD src0_sel:DWORD src1_sel:DWORD
	v_or_b32_e32 v2, 0x900, v0
	v_or_b32_e32 v8, v1, v8
	v_and_b32_e32 v8, 0xffff, v8
	v_cmp_gt_i32_e64 s[0:1], s38, v2
	v_cndmask_b32_e64 v1, v1, v8, s[0:1]
	v_cmp_gt_i16_sdwa s[0:1], sext(v17), sext(v3) src0_sel:BYTE_0 src1_sel:BYTE_0
	v_cndmask_b32_e64 v8, 8, 16, s[0:1]
	v_and_b32_sdwa v2, v1, s3 dst_sel:DWORD dst_unused:UNUSED_PAD src0_sel:WORD_1 src1_sel:DWORD
	v_lshrrev_b32_e32 v8, v8, v4
	v_or_b32_sdwa v2, v8, v2 dst_sel:WORD_1 dst_unused:UNUSED_PAD src0_sel:BYTE_0 src1_sel:DWORD
	v_or_b32_e32 v8, 0xa00, v0
	v_or_b32_e32 v2, v1, v2
	v_cmp_gt_i32_e64 s[0:1], s38, v8
	v_cndmask_b32_e64 v1, v1, v2, s[0:1]
	v_cmp_gt_i16_sdwa s[0:1], sext(v18), sext(v3) src0_sel:BYTE_0 src1_sel:BYTE_0
	v_cndmask_b32_e64 v9, 8, 16, s[0:1]
	v_and_b32_sdwa v2, v1, s4 dst_sel:DWORD dst_unused:UNUSED_PAD src0_sel:WORD_1 src1_sel:DWORD
	v_lshrrev_b32_sdwa v9, v9, v4 dst_sel:BYTE_1 dst_unused:UNUSED_PAD src0_sel:DWORD src1_sel:DWORD
	v_or_b32_e32 v8, 0xb00, v0
	v_or_b32_sdwa v2, v2, v9 dst_sel:WORD_1 dst_unused:UNUSED_PAD src0_sel:DWORD src1_sel:DWORD
	v_and_or_b32 v2, v1, s2, v2
	v_cmp_gt_i32_e64 s[0:1], s38, v8
	v_cndmask_b32_e64 v2, v1, v2, s[0:1]
	v_cmp_gt_i16_sdwa s[0:1], sext(v19), sext(v3) src0_sel:BYTE_0 src1_sel:BYTE_0
	v_or_b32_e32 v1, 0xc00, v0
	v_cndmask_b32_e64 v8, 8, 16, s[0:1]
	v_bfe_u32 v8, v4, v8, 8
	v_cmp_gt_i32_e64 s[0:1], s38, v1
	v_cndmask_b32_e64 v1, 0, v8, s[0:1]
	v_cmp_gt_i16_sdwa s[0:1], sext(v20), sext(v3) src0_sel:BYTE_0 src1_sel:BYTE_0
	v_cndmask_b32_e64 v8, 8, 16, s[0:1]
	v_lshrrev_b32_sdwa v8, v8, v4 dst_sel:BYTE_1 dst_unused:UNUSED_PAD src0_sel:DWORD src1_sel:DWORD
	v_or_b32_sdwa v8, v1, v8 dst_sel:DWORD dst_unused:UNUSED_PAD src0_sel:BYTE_0 src1_sel:DWORD
	v_and_b32_e32 v8, 0xffff, v8
	s_mov_b32 s0, 0xffff0000
	v_or_b32_e32 v9, 0xd00, v0
	v_and_or_b32 v8, v1, s0, v8
	v_cmp_gt_i32_e64 s[0:1], s38, v9
	v_cndmask_b32_e64 v1, v1, v8, s[0:1]
	v_cmp_gt_i16_sdwa s[0:1], sext(v21), sext(v3) src0_sel:BYTE_0 src1_sel:BYTE_0
	v_cndmask_b32_e64 v9, 8, 16, s[0:1]
	v_and_b32_sdwa v8, v1, s3 dst_sel:DWORD dst_unused:UNUSED_PAD src0_sel:WORD_1 src1_sel:DWORD
	v_lshrrev_b32_e32 v9, v9, v4
	v_or_b32_sdwa v8, v9, v8 dst_sel:WORD_1 dst_unused:UNUSED_PAD src0_sel:BYTE_0 src1_sel:DWORD
	v_or_b32_e32 v9, 0xe00, v0
	v_and_or_b32 v8, v1, s2, v8
	v_cmp_gt_i32_e64 s[0:1], s38, v9
	v_cndmask_b32_e64 v1, v1, v8, s[0:1]
	v_cmp_gt_i16_sdwa s[0:1], sext(v22), sext(v3) src0_sel:BYTE_0 src1_sel:BYTE_0
	v_cndmask_b32_e64 v3, 8, 16, s[0:1]
	v_and_b32_sdwa v8, v1, s4 dst_sel:DWORD dst_unused:UNUSED_PAD src0_sel:WORD_1 src1_sel:DWORD
	v_lshrrev_b32_sdwa v3, v3, v4 dst_sel:BYTE_1 dst_unused:UNUSED_PAD src0_sel:DWORD src1_sel:DWORD
	v_or_b32_e32 v9, 0xf00, v0
	v_or_b32_sdwa v3, v8, v3 dst_sel:WORD_1 dst_unused:UNUSED_PAD src0_sel:DWORD src1_sel:DWORD
	v_and_or_b32 v3, v1, s2, v3
	v_cmp_gt_i32_e64 s[0:1], s38, v9
	v_cndmask_b32_e64 v1, v1, v3, s[0:1]
	s_and_saveexec_b64 s[0:1], vcc
	s_cbranch_execnz .LBB35_53
; %bb.36:
	s_or_b64 exec, exec, s[0:1]
	v_cmp_gt_i32_e32 vcc, s38, v0
	s_and_saveexec_b64 s[0:1], vcc
	s_cbranch_execnz .LBB35_54
.LBB35_37:
	s_or_b64 exec, exec, s[0:1]
	v_cmp_gt_i32_e32 vcc, s38, v0
	s_and_saveexec_b64 s[0:1], vcc
	s_cbranch_execnz .LBB35_55
.LBB35_38:
	s_or_b64 exec, exec, s[0:1]
	v_cmp_gt_i32_e32 vcc, s38, v0
	s_and_saveexec_b64 s[0:1], vcc
	s_cbranch_execnz .LBB35_56
.LBB35_39:
	s_or_b64 exec, exec, s[0:1]
	v_cmp_gt_i32_e32 vcc, s38, v0
	s_and_saveexec_b64 s[0:1], vcc
	s_cbranch_execnz .LBB35_57
.LBB35_40:
	s_or_b64 exec, exec, s[0:1]
	v_cmp_gt_i32_e32 vcc, s38, v0
	s_and_saveexec_b64 s[0:1], vcc
	s_cbranch_execnz .LBB35_58
.LBB35_41:
	s_or_b64 exec, exec, s[0:1]
	v_cmp_gt_i32_e32 vcc, s38, v0
	s_and_saveexec_b64 s[0:1], vcc
	s_cbranch_execnz .LBB35_59
.LBB35_42:
	s_or_b64 exec, exec, s[0:1]
	v_cmp_gt_i32_e32 vcc, s38, v0
	s_and_saveexec_b64 s[0:1], vcc
	s_cbranch_execnz .LBB35_60
.LBB35_43:
	s_or_b64 exec, exec, s[0:1]
	v_cmp_gt_i32_e32 vcc, s38, v0
	s_and_saveexec_b64 s[0:1], vcc
	s_cbranch_execnz .LBB35_61
.LBB35_44:
	s_or_b64 exec, exec, s[0:1]
	v_cmp_gt_i32_e32 vcc, s38, v0
	s_and_saveexec_b64 s[0:1], vcc
	s_cbranch_execnz .LBB35_62
.LBB35_45:
	s_or_b64 exec, exec, s[0:1]
	v_cmp_gt_i32_e32 vcc, s38, v0
	s_and_saveexec_b64 s[0:1], vcc
	s_cbranch_execnz .LBB35_63
.LBB35_46:
	s_or_b64 exec, exec, s[0:1]
	v_cmp_gt_i32_e32 vcc, s38, v0
	s_and_saveexec_b64 s[0:1], vcc
	s_cbranch_execnz .LBB35_64
.LBB35_47:
	s_or_b64 exec, exec, s[0:1]
	v_cmp_gt_i32_e32 vcc, s38, v0
	s_and_saveexec_b64 s[0:1], vcc
	s_cbranch_execnz .LBB35_65
.LBB35_48:
	s_or_b64 exec, exec, s[0:1]
	v_cmp_gt_i32_e32 vcc, s38, v0
	s_and_saveexec_b64 s[0:1], vcc
	s_cbranch_execnz .LBB35_66
.LBB35_49:
	s_or_b64 exec, exec, s[0:1]
	v_cmp_gt_i32_e32 vcc, s38, v0
	s_and_saveexec_b64 s[0:1], vcc
	s_cbranch_execnz .LBB35_67
.LBB35_50:
	s_or_b64 exec, exec, s[0:1]
	v_cmp_gt_i32_e32 vcc, s38, v0
	s_and_saveexec_b64 s[0:1], vcc
	s_cbranch_execz .LBB35_52
.LBB35_51:
	v_lshrrev_b32_e32 v1, 24, v1
	v_add_u32_e32 v0, s33, v0
	global_store_byte v0, v1, s[8:9]
.LBB35_52:
	s_endpgm
.LBB35_53:
	v_mov_b32_e32 v0, v5
	global_store_byte v6, v12, s[8:9]
	s_or_b64 exec, exec, s[0:1]
	v_cmp_gt_i32_e32 vcc, s38, v0
	s_and_saveexec_b64 s[0:1], vcc
	s_cbranch_execz .LBB35_37
.LBB35_54:
	v_lshrrev_b32_e32 v3, 8, v12
	v_add_u32_e32 v4, s33, v0
	v_add_u32_e32 v0, 0x100, v0
	global_store_byte v4, v3, s[8:9]
	s_or_b64 exec, exec, s[0:1]
	v_cmp_gt_i32_e32 vcc, s38, v0
	s_and_saveexec_b64 s[0:1], vcc
	s_cbranch_execz .LBB35_38
.LBB35_55:
	v_add_u32_e32 v3, s33, v0
	v_add_u32_e32 v0, 0x100, v0
	global_store_byte_d16_hi v3, v12, s[8:9]
	s_or_b64 exec, exec, s[0:1]
	v_cmp_gt_i32_e32 vcc, s38, v0
	s_and_saveexec_b64 s[0:1], vcc
	s_cbranch_execz .LBB35_39
.LBB35_56:
	v_lshrrev_b32_e32 v3, 24, v12
	v_add_u32_e32 v4, s33, v0
	v_add_u32_e32 v0, 0x100, v0
	global_store_byte v4, v3, s[8:9]
	s_or_b64 exec, exec, s[0:1]
	v_cmp_gt_i32_e32 vcc, s38, v0
	s_and_saveexec_b64 s[0:1], vcc
	s_cbranch_execz .LBB35_40
.LBB35_57:
	v_add_u32_e32 v3, s33, v0
	v_add_u32_e32 v0, 0x100, v0
	global_store_byte v3, v7, s[8:9]
	s_or_b64 exec, exec, s[0:1]
	v_cmp_gt_i32_e32 vcc, s38, v0
	s_and_saveexec_b64 s[0:1], vcc
	s_cbranch_execz .LBB35_41
.LBB35_58:
	v_lshrrev_b32_e32 v3, 8, v7
	v_add_u32_e32 v4, s33, v0
	v_add_u32_e32 v0, 0x100, v0
	global_store_byte v4, v3, s[8:9]
	s_or_b64 exec, exec, s[0:1]
	v_cmp_gt_i32_e32 vcc, s38, v0
	s_and_saveexec_b64 s[0:1], vcc
	s_cbranch_execz .LBB35_42
.LBB35_59:
	v_add_u32_e32 v3, s33, v0
	v_add_u32_e32 v0, 0x100, v0
	global_store_byte_d16_hi v3, v7, s[8:9]
	s_or_b64 exec, exec, s[0:1]
	v_cmp_gt_i32_e32 vcc, s38, v0
	s_and_saveexec_b64 s[0:1], vcc
	s_cbranch_execz .LBB35_43
.LBB35_60:
	v_lshrrev_b32_e32 v3, 24, v7
	v_add_u32_e32 v4, s33, v0
	v_add_u32_e32 v0, 0x100, v0
	global_store_byte v4, v3, s[8:9]
	s_or_b64 exec, exec, s[0:1]
	v_cmp_gt_i32_e32 vcc, s38, v0
	s_and_saveexec_b64 s[0:1], vcc
	s_cbranch_execz .LBB35_44
.LBB35_61:
	v_add_u32_e32 v3, s33, v0
	v_add_u32_e32 v0, 0x100, v0
	global_store_byte v3, v2, s[8:9]
	s_or_b64 exec, exec, s[0:1]
	v_cmp_gt_i32_e32 vcc, s38, v0
	s_and_saveexec_b64 s[0:1], vcc
	s_cbranch_execz .LBB35_45
.LBB35_62:
	v_lshrrev_b32_e32 v3, 8, v2
	v_add_u32_e32 v4, s33, v0
	v_add_u32_e32 v0, 0x100, v0
	global_store_byte v4, v3, s[8:9]
	s_or_b64 exec, exec, s[0:1]
	v_cmp_gt_i32_e32 vcc, s38, v0
	s_and_saveexec_b64 s[0:1], vcc
	s_cbranch_execz .LBB35_46
.LBB35_63:
	v_add_u32_e32 v3, s33, v0
	v_add_u32_e32 v0, 0x100, v0
	global_store_byte_d16_hi v3, v2, s[8:9]
	s_or_b64 exec, exec, s[0:1]
	v_cmp_gt_i32_e32 vcc, s38, v0
	s_and_saveexec_b64 s[0:1], vcc
	s_cbranch_execz .LBB35_47
.LBB35_64:
	v_lshrrev_b32_e32 v2, 24, v2
	v_add_u32_e32 v3, s33, v0
	v_add_u32_e32 v0, 0x100, v0
	global_store_byte v3, v2, s[8:9]
	s_or_b64 exec, exec, s[0:1]
	v_cmp_gt_i32_e32 vcc, s38, v0
	s_and_saveexec_b64 s[0:1], vcc
	s_cbranch_execz .LBB35_48
.LBB35_65:
	v_add_u32_e32 v2, s33, v0
	v_add_u32_e32 v0, 0x100, v0
	global_store_byte v2, v1, s[8:9]
	s_or_b64 exec, exec, s[0:1]
	v_cmp_gt_i32_e32 vcc, s38, v0
	s_and_saveexec_b64 s[0:1], vcc
	s_cbranch_execz .LBB35_49
.LBB35_66:
	v_lshrrev_b32_e32 v2, 8, v1
	v_add_u32_e32 v3, s33, v0
	v_add_u32_e32 v0, 0x100, v0
	global_store_byte v3, v2, s[8:9]
	s_or_b64 exec, exec, s[0:1]
	v_cmp_gt_i32_e32 vcc, s38, v0
	s_and_saveexec_b64 s[0:1], vcc
	s_cbranch_execz .LBB35_50
.LBB35_67:
	v_add_u32_e32 v2, s33, v0
	v_add_u32_e32 v0, 0x100, v0
	global_store_byte_d16_hi v2, v1, s[8:9]
	s_or_b64 exec, exec, s[0:1]
	v_cmp_gt_i32_e32 vcc, s38, v0
	s_and_saveexec_b64 s[0:1], vcc
	s_cbranch_execnz .LBB35_51
	s_branch .LBB35_52
	.section	.rodata,"a",@progbits
	.p2align	6, 0x0
	.amdhsa_kernel _ZN2at6native29vectorized_elementwise_kernelILi2ENS0_13BUnaryFunctorIaaaZNS0_12_GLOBAL__N_121threshold_kernel_implIaEEvRNS_18TensorIteratorBaseET_S7_EUlaaE_EESt5arrayIPcLm2EEEEviT0_T1_
		.amdhsa_group_segment_fixed_size 0
		.amdhsa_private_segment_fixed_size 0
		.amdhsa_kernarg_size 24
		.amdhsa_user_sgpr_count 6
		.amdhsa_user_sgpr_private_segment_buffer 1
		.amdhsa_user_sgpr_dispatch_ptr 0
		.amdhsa_user_sgpr_queue_ptr 0
		.amdhsa_user_sgpr_kernarg_segment_ptr 1
		.amdhsa_user_sgpr_dispatch_id 0
		.amdhsa_user_sgpr_flat_scratch_init 0
		.amdhsa_user_sgpr_private_segment_size 0
		.amdhsa_uses_dynamic_stack 0
		.amdhsa_system_sgpr_private_segment_wavefront_offset 0
		.amdhsa_system_sgpr_workgroup_id_x 1
		.amdhsa_system_sgpr_workgroup_id_y 0
		.amdhsa_system_sgpr_workgroup_id_z 0
		.amdhsa_system_sgpr_workgroup_info 0
		.amdhsa_system_vgpr_workitem_id 0
		.amdhsa_next_free_vgpr 23
		.amdhsa_next_free_sgpr 39
		.amdhsa_reserve_vcc 1
		.amdhsa_reserve_flat_scratch 0
		.amdhsa_float_round_mode_32 0
		.amdhsa_float_round_mode_16_64 0
		.amdhsa_float_denorm_mode_32 3
		.amdhsa_float_denorm_mode_16_64 3
		.amdhsa_dx10_clamp 1
		.amdhsa_ieee_mode 1
		.amdhsa_fp16_overflow 0
		.amdhsa_exception_fp_ieee_invalid_op 0
		.amdhsa_exception_fp_denorm_src 0
		.amdhsa_exception_fp_ieee_div_zero 0
		.amdhsa_exception_fp_ieee_overflow 0
		.amdhsa_exception_fp_ieee_underflow 0
		.amdhsa_exception_fp_ieee_inexact 0
		.amdhsa_exception_int_div_zero 0
	.end_amdhsa_kernel
	.section	.text._ZN2at6native29vectorized_elementwise_kernelILi2ENS0_13BUnaryFunctorIaaaZNS0_12_GLOBAL__N_121threshold_kernel_implIaEEvRNS_18TensorIteratorBaseET_S7_EUlaaE_EESt5arrayIPcLm2EEEEviT0_T1_,"axG",@progbits,_ZN2at6native29vectorized_elementwise_kernelILi2ENS0_13BUnaryFunctorIaaaZNS0_12_GLOBAL__N_121threshold_kernel_implIaEEvRNS_18TensorIteratorBaseET_S7_EUlaaE_EESt5arrayIPcLm2EEEEviT0_T1_,comdat
.Lfunc_end35:
	.size	_ZN2at6native29vectorized_elementwise_kernelILi2ENS0_13BUnaryFunctorIaaaZNS0_12_GLOBAL__N_121threshold_kernel_implIaEEvRNS_18TensorIteratorBaseET_S7_EUlaaE_EESt5arrayIPcLm2EEEEviT0_T1_, .Lfunc_end35-_ZN2at6native29vectorized_elementwise_kernelILi2ENS0_13BUnaryFunctorIaaaZNS0_12_GLOBAL__N_121threshold_kernel_implIaEEvRNS_18TensorIteratorBaseET_S7_EUlaaE_EESt5arrayIPcLm2EEEEviT0_T1_
                                        ; -- End function
	.set _ZN2at6native29vectorized_elementwise_kernelILi2ENS0_13BUnaryFunctorIaaaZNS0_12_GLOBAL__N_121threshold_kernel_implIaEEvRNS_18TensorIteratorBaseET_S7_EUlaaE_EESt5arrayIPcLm2EEEEviT0_T1_.num_vgpr, 23
	.set _ZN2at6native29vectorized_elementwise_kernelILi2ENS0_13BUnaryFunctorIaaaZNS0_12_GLOBAL__N_121threshold_kernel_implIaEEvRNS_18TensorIteratorBaseET_S7_EUlaaE_EESt5arrayIPcLm2EEEEviT0_T1_.num_agpr, 0
	.set _ZN2at6native29vectorized_elementwise_kernelILi2ENS0_13BUnaryFunctorIaaaZNS0_12_GLOBAL__N_121threshold_kernel_implIaEEvRNS_18TensorIteratorBaseET_S7_EUlaaE_EESt5arrayIPcLm2EEEEviT0_T1_.numbered_sgpr, 39
	.set _ZN2at6native29vectorized_elementwise_kernelILi2ENS0_13BUnaryFunctorIaaaZNS0_12_GLOBAL__N_121threshold_kernel_implIaEEvRNS_18TensorIteratorBaseET_S7_EUlaaE_EESt5arrayIPcLm2EEEEviT0_T1_.num_named_barrier, 0
	.set _ZN2at6native29vectorized_elementwise_kernelILi2ENS0_13BUnaryFunctorIaaaZNS0_12_GLOBAL__N_121threshold_kernel_implIaEEvRNS_18TensorIteratorBaseET_S7_EUlaaE_EESt5arrayIPcLm2EEEEviT0_T1_.private_seg_size, 0
	.set _ZN2at6native29vectorized_elementwise_kernelILi2ENS0_13BUnaryFunctorIaaaZNS0_12_GLOBAL__N_121threshold_kernel_implIaEEvRNS_18TensorIteratorBaseET_S7_EUlaaE_EESt5arrayIPcLm2EEEEviT0_T1_.uses_vcc, 1
	.set _ZN2at6native29vectorized_elementwise_kernelILi2ENS0_13BUnaryFunctorIaaaZNS0_12_GLOBAL__N_121threshold_kernel_implIaEEvRNS_18TensorIteratorBaseET_S7_EUlaaE_EESt5arrayIPcLm2EEEEviT0_T1_.uses_flat_scratch, 0
	.set _ZN2at6native29vectorized_elementwise_kernelILi2ENS0_13BUnaryFunctorIaaaZNS0_12_GLOBAL__N_121threshold_kernel_implIaEEvRNS_18TensorIteratorBaseET_S7_EUlaaE_EESt5arrayIPcLm2EEEEviT0_T1_.has_dyn_sized_stack, 0
	.set _ZN2at6native29vectorized_elementwise_kernelILi2ENS0_13BUnaryFunctorIaaaZNS0_12_GLOBAL__N_121threshold_kernel_implIaEEvRNS_18TensorIteratorBaseET_S7_EUlaaE_EESt5arrayIPcLm2EEEEviT0_T1_.has_recursion, 0
	.set _ZN2at6native29vectorized_elementwise_kernelILi2ENS0_13BUnaryFunctorIaaaZNS0_12_GLOBAL__N_121threshold_kernel_implIaEEvRNS_18TensorIteratorBaseET_S7_EUlaaE_EESt5arrayIPcLm2EEEEviT0_T1_.has_indirect_call, 0
	.section	.AMDGPU.csdata,"",@progbits
; Kernel info:
; codeLenInByte = 3660
; TotalNumSgprs: 43
; NumVgprs: 23
; ScratchSize: 0
; MemoryBound: 0
; FloatMode: 240
; IeeeMode: 1
; LDSByteSize: 0 bytes/workgroup (compile time only)
; SGPRBlocks: 5
; VGPRBlocks: 5
; NumSGPRsForWavesPerEU: 43
; NumVGPRsForWavesPerEU: 23
; Occupancy: 10
; WaveLimiterHint : 1
; COMPUTE_PGM_RSRC2:SCRATCH_EN: 0
; COMPUTE_PGM_RSRC2:USER_SGPR: 6
; COMPUTE_PGM_RSRC2:TRAP_HANDLER: 0
; COMPUTE_PGM_RSRC2:TGID_X_EN: 1
; COMPUTE_PGM_RSRC2:TGID_Y_EN: 0
; COMPUTE_PGM_RSRC2:TGID_Z_EN: 0
; COMPUTE_PGM_RSRC2:TIDIG_COMP_CNT: 0
	.section	.text._ZN2at6native27unrolled_elementwise_kernelINS0_13BUnaryFunctorIaaaZNS0_12_GLOBAL__N_121threshold_kernel_implIaEEvRNS_18TensorIteratorBaseET_S7_EUlaaE_EESt5arrayIPcLm2EELi4E23TrivialOffsetCalculatorILi1EjESE_NS0_6memory15LoadWithoutCastENSF_16StoreWithoutCastEEEviS7_T0_T2_T3_T4_T5_,"axG",@progbits,_ZN2at6native27unrolled_elementwise_kernelINS0_13BUnaryFunctorIaaaZNS0_12_GLOBAL__N_121threshold_kernel_implIaEEvRNS_18TensorIteratorBaseET_S7_EUlaaE_EESt5arrayIPcLm2EELi4E23TrivialOffsetCalculatorILi1EjESE_NS0_6memory15LoadWithoutCastENSF_16StoreWithoutCastEEEviS7_T0_T2_T3_T4_T5_,comdat
	.globl	_ZN2at6native27unrolled_elementwise_kernelINS0_13BUnaryFunctorIaaaZNS0_12_GLOBAL__N_121threshold_kernel_implIaEEvRNS_18TensorIteratorBaseET_S7_EUlaaE_EESt5arrayIPcLm2EELi4E23TrivialOffsetCalculatorILi1EjESE_NS0_6memory15LoadWithoutCastENSF_16StoreWithoutCastEEEviS7_T0_T2_T3_T4_T5_ ; -- Begin function _ZN2at6native27unrolled_elementwise_kernelINS0_13BUnaryFunctorIaaaZNS0_12_GLOBAL__N_121threshold_kernel_implIaEEvRNS_18TensorIteratorBaseET_S7_EUlaaE_EESt5arrayIPcLm2EELi4E23TrivialOffsetCalculatorILi1EjESE_NS0_6memory15LoadWithoutCastENSF_16StoreWithoutCastEEEviS7_T0_T2_T3_T4_T5_
	.p2align	8
	.type	_ZN2at6native27unrolled_elementwise_kernelINS0_13BUnaryFunctorIaaaZNS0_12_GLOBAL__N_121threshold_kernel_implIaEEvRNS_18TensorIteratorBaseET_S7_EUlaaE_EESt5arrayIPcLm2EELi4E23TrivialOffsetCalculatorILi1EjESE_NS0_6memory15LoadWithoutCastENSF_16StoreWithoutCastEEEviS7_T0_T2_T3_T4_T5_,@function
_ZN2at6native27unrolled_elementwise_kernelINS0_13BUnaryFunctorIaaaZNS0_12_GLOBAL__N_121threshold_kernel_implIaEEvRNS_18TensorIteratorBaseET_S7_EUlaaE_EESt5arrayIPcLm2EELi4E23TrivialOffsetCalculatorILi1EjESE_NS0_6memory15LoadWithoutCastENSF_16StoreWithoutCastEEEviS7_T0_T2_T3_T4_T5_: ; @_ZN2at6native27unrolled_elementwise_kernelINS0_13BUnaryFunctorIaaaZNS0_12_GLOBAL__N_121threshold_kernel_implIaEEvRNS_18TensorIteratorBaseET_S7_EUlaaE_EESt5arrayIPcLm2EELi4E23TrivialOffsetCalculatorILi1EjESE_NS0_6memory15LoadWithoutCastENSF_16StoreWithoutCastEEEviS7_T0_T2_T3_T4_T5_
; %bb.0:
	v_mov_b32_e32 v3, 0
	global_load_ubyte v4, v3, s[4:5] offset:6
	global_load_ushort v7, v3, s[4:5] offset:4
	s_load_dword s0, s[4:5], 0x0
	s_load_dwordx4 s[8:11], s[4:5], 0x8
	s_lshl_b32 s14, s6, 10
	v_mov_b32_e32 v5, 0
	v_mov_b32_e32 v6, 0
	s_waitcnt lgkmcnt(0)
	s_sub_i32 s15, s0, s14
	v_or_b32_e32 v1, 0x100, v0
	v_or_b32_e32 v2, s14, v0
	v_cmp_gt_i32_e32 vcc, s15, v0
	s_waitcnt vmcnt(1)
	v_lshlrev_b32_e32 v4, 16, v4
	s_waitcnt vmcnt(0)
	v_or_b32_e32 v4, v7, v4
	v_mov_b32_e32 v7, 0
	s_and_saveexec_b64 s[2:3], vcc
	s_cbranch_execz .LBB36_8
; %bb.1:
	global_load_ubyte v7, v2, s[10:11]
	v_cmp_gt_u32_e64 s[0:1], s15, v1
	v_mov_b32_e32 v6, 0
	v_mov_b32_e32 v5, 0
	;; [unrolled: 1-line block ×3, first 2 shown]
	s_and_saveexec_b64 s[4:5], s[0:1]
	s_cbranch_execz .LBB36_7
; %bb.2:
	v_add_u32_e32 v3, s14, v1
	global_load_ubyte v6, v3, s[10:11]
	v_or_b32_e32 v8, 0x200, v0
	v_cmp_gt_u32_e64 s[0:1], s15, v8
	v_mov_b32_e32 v5, 0
	v_mov_b32_e32 v3, 0
	s_and_saveexec_b64 s[6:7], s[0:1]
	s_cbranch_execz .LBB36_6
; %bb.3:
	v_add_u32_e32 v3, s14, v8
	global_load_ubyte v5, v3, s[10:11]
	v_or_b32_e32 v8, 0x300, v0
	v_cmp_gt_u32_e64 s[0:1], s15, v8
	v_mov_b32_e32 v3, 0
	s_and_saveexec_b64 s[12:13], s[0:1]
	s_cbranch_execz .LBB36_5
; %bb.4:
	v_add_u32_e32 v3, s14, v8
	global_load_ubyte v3, v3, s[10:11]
.LBB36_5:
	s_or_b64 exec, exec, s[12:13]
.LBB36_6:
	s_or_b64 exec, exec, s[6:7]
.LBB36_7:
	s_or_b64 exec, exec, s[4:5]
.LBB36_8:
	s_or_b64 exec, exec, s[2:3]
	s_waitcnt vmcnt(0)
	v_cmp_gt_i16_sdwa s[0:1], sext(v7), sext(v4) src0_sel:BYTE_0 src1_sel:BYTE_0
	v_and_b32_e32 v8, 0xffffff, v4
	v_cndmask_b32_e64 v7, 8, 16, s[0:1]
	v_cmp_gt_i16_sdwa s[0:1], sext(v6), sext(v4) src0_sel:BYTE_0 src1_sel:BYTE_0
	v_bfe_u32 v7, v8, v7, 8
	v_cndmask_b32_e64 v6, 8, 16, s[0:1]
	v_cndmask_b32_e32 v7, 0, v7, vcc
	v_lshrrev_b32_sdwa v6, v6, v8 dst_sel:BYTE_1 dst_unused:UNUSED_PAD src0_sel:DWORD src1_sel:DWORD
	v_or_b32_e32 v6, v7, v6
	v_and_b32_e32 v6, 0xffff, v6
	v_cmp_gt_i32_e64 s[0:1], s15, v1
	v_cndmask_b32_e64 v6, v7, v6, s[0:1]
	v_cmp_gt_i16_sdwa s[0:1], sext(v5), sext(v4) src0_sel:BYTE_0 src1_sel:BYTE_0
	v_cndmask_b32_e64 v5, 8, 16, s[0:1]
	v_lshrrev_b32_e32 v5, v5, v8
	v_and_b32_e32 v5, 0xff, v5
	v_or_b32_e32 v7, 0x200, v0
	v_lshlrev_b32_e32 v5, 16, v5
	v_or_b32_e32 v5, v6, v5
	v_cmp_gt_i32_e64 s[0:1], s15, v7
	v_cndmask_b32_e64 v5, v6, v5, s[0:1]
	v_cmp_gt_i16_sdwa s[0:1], sext(v3), sext(v4) src0_sel:BYTE_0 src1_sel:BYTE_0
	s_movk_i32 s3, 0xff
	v_cndmask_b32_e64 v3, 8, 16, s[0:1]
	v_and_b32_sdwa v6, v5, s3 dst_sel:DWORD dst_unused:UNUSED_PAD src0_sel:WORD_1 src1_sel:DWORD
	v_lshrrev_b32_sdwa v3, v3, v8 dst_sel:BYTE_1 dst_unused:UNUSED_PAD src0_sel:DWORD src1_sel:DWORD
	s_mov_b32 s2, 0xffff
	v_or_b32_e32 v7, 0x300, v0
	v_or_b32_sdwa v3, v6, v3 dst_sel:WORD_1 dst_unused:UNUSED_PAD src0_sel:DWORD src1_sel:DWORD
	v_and_or_b32 v3, v5, s2, v3
	v_cmp_gt_i32_e64 s[0:1], s15, v7
	v_cndmask_b32_e64 v3, v5, v3, s[0:1]
	s_and_saveexec_b64 s[0:1], vcc
	s_cbranch_execnz .LBB36_13
; %bb.9:
	s_or_b64 exec, exec, s[0:1]
	v_cmp_gt_i32_e32 vcc, s15, v0
	s_and_saveexec_b64 s[0:1], vcc
	s_cbranch_execnz .LBB36_14
.LBB36_10:
	s_or_b64 exec, exec, s[0:1]
	v_cmp_gt_i32_e32 vcc, s15, v0
	s_and_saveexec_b64 s[0:1], vcc
	s_cbranch_execnz .LBB36_15
.LBB36_11:
	s_or_b64 exec, exec, s[0:1]
	v_cmp_gt_i32_e32 vcc, s15, v0
	s_and_saveexec_b64 s[0:1], vcc
	s_cbranch_execnz .LBB36_16
.LBB36_12:
	s_endpgm
.LBB36_13:
	v_mov_b32_e32 v0, v1
	global_store_byte v2, v3, s[8:9]
	s_or_b64 exec, exec, s[0:1]
	v_cmp_gt_i32_e32 vcc, s15, v0
	s_and_saveexec_b64 s[0:1], vcc
	s_cbranch_execz .LBB36_10
.LBB36_14:
	v_add_u32_e32 v1, 0x100, v0
	v_add_u32_e32 v0, s14, v0
	v_lshrrev_b32_e32 v2, 8, v3
	global_store_byte v0, v2, s[8:9]
	v_mov_b32_e32 v0, v1
	s_or_b64 exec, exec, s[0:1]
	v_cmp_gt_i32_e32 vcc, s15, v0
	s_and_saveexec_b64 s[0:1], vcc
	s_cbranch_execz .LBB36_11
.LBB36_15:
	v_add_u32_e32 v1, 0x100, v0
	v_add_u32_e32 v0, s14, v0
	global_store_byte_d16_hi v0, v3, s[8:9]
	v_mov_b32_e32 v0, v1
	s_or_b64 exec, exec, s[0:1]
	v_cmp_gt_i32_e32 vcc, s15, v0
	s_and_saveexec_b64 s[0:1], vcc
	s_cbranch_execz .LBB36_12
.LBB36_16:
	v_add_u32_e32 v0, s14, v0
	v_lshrrev_b32_e32 v1, 24, v3
	global_store_byte v0, v1, s[8:9]
	s_endpgm
	.section	.rodata,"a",@progbits
	.p2align	6, 0x0
	.amdhsa_kernel _ZN2at6native27unrolled_elementwise_kernelINS0_13BUnaryFunctorIaaaZNS0_12_GLOBAL__N_121threshold_kernel_implIaEEvRNS_18TensorIteratorBaseET_S7_EUlaaE_EESt5arrayIPcLm2EELi4E23TrivialOffsetCalculatorILi1EjESE_NS0_6memory15LoadWithoutCastENSF_16StoreWithoutCastEEEviS7_T0_T2_T3_T4_T5_
		.amdhsa_group_segment_fixed_size 0
		.amdhsa_private_segment_fixed_size 0
		.amdhsa_kernarg_size 28
		.amdhsa_user_sgpr_count 6
		.amdhsa_user_sgpr_private_segment_buffer 1
		.amdhsa_user_sgpr_dispatch_ptr 0
		.amdhsa_user_sgpr_queue_ptr 0
		.amdhsa_user_sgpr_kernarg_segment_ptr 1
		.amdhsa_user_sgpr_dispatch_id 0
		.amdhsa_user_sgpr_flat_scratch_init 0
		.amdhsa_user_sgpr_private_segment_size 0
		.amdhsa_uses_dynamic_stack 0
		.amdhsa_system_sgpr_private_segment_wavefront_offset 0
		.amdhsa_system_sgpr_workgroup_id_x 1
		.amdhsa_system_sgpr_workgroup_id_y 0
		.amdhsa_system_sgpr_workgroup_id_z 0
		.amdhsa_system_sgpr_workgroup_info 0
		.amdhsa_system_vgpr_workitem_id 0
		.amdhsa_next_free_vgpr 9
		.amdhsa_next_free_sgpr 16
		.amdhsa_reserve_vcc 1
		.amdhsa_reserve_flat_scratch 0
		.amdhsa_float_round_mode_32 0
		.amdhsa_float_round_mode_16_64 0
		.amdhsa_float_denorm_mode_32 3
		.amdhsa_float_denorm_mode_16_64 3
		.amdhsa_dx10_clamp 1
		.amdhsa_ieee_mode 1
		.amdhsa_fp16_overflow 0
		.amdhsa_exception_fp_ieee_invalid_op 0
		.amdhsa_exception_fp_denorm_src 0
		.amdhsa_exception_fp_ieee_div_zero 0
		.amdhsa_exception_fp_ieee_overflow 0
		.amdhsa_exception_fp_ieee_underflow 0
		.amdhsa_exception_fp_ieee_inexact 0
		.amdhsa_exception_int_div_zero 0
	.end_amdhsa_kernel
	.section	.text._ZN2at6native27unrolled_elementwise_kernelINS0_13BUnaryFunctorIaaaZNS0_12_GLOBAL__N_121threshold_kernel_implIaEEvRNS_18TensorIteratorBaseET_S7_EUlaaE_EESt5arrayIPcLm2EELi4E23TrivialOffsetCalculatorILi1EjESE_NS0_6memory15LoadWithoutCastENSF_16StoreWithoutCastEEEviS7_T0_T2_T3_T4_T5_,"axG",@progbits,_ZN2at6native27unrolled_elementwise_kernelINS0_13BUnaryFunctorIaaaZNS0_12_GLOBAL__N_121threshold_kernel_implIaEEvRNS_18TensorIteratorBaseET_S7_EUlaaE_EESt5arrayIPcLm2EELi4E23TrivialOffsetCalculatorILi1EjESE_NS0_6memory15LoadWithoutCastENSF_16StoreWithoutCastEEEviS7_T0_T2_T3_T4_T5_,comdat
.Lfunc_end36:
	.size	_ZN2at6native27unrolled_elementwise_kernelINS0_13BUnaryFunctorIaaaZNS0_12_GLOBAL__N_121threshold_kernel_implIaEEvRNS_18TensorIteratorBaseET_S7_EUlaaE_EESt5arrayIPcLm2EELi4E23TrivialOffsetCalculatorILi1EjESE_NS0_6memory15LoadWithoutCastENSF_16StoreWithoutCastEEEviS7_T0_T2_T3_T4_T5_, .Lfunc_end36-_ZN2at6native27unrolled_elementwise_kernelINS0_13BUnaryFunctorIaaaZNS0_12_GLOBAL__N_121threshold_kernel_implIaEEvRNS_18TensorIteratorBaseET_S7_EUlaaE_EESt5arrayIPcLm2EELi4E23TrivialOffsetCalculatorILi1EjESE_NS0_6memory15LoadWithoutCastENSF_16StoreWithoutCastEEEviS7_T0_T2_T3_T4_T5_
                                        ; -- End function
	.set _ZN2at6native27unrolled_elementwise_kernelINS0_13BUnaryFunctorIaaaZNS0_12_GLOBAL__N_121threshold_kernel_implIaEEvRNS_18TensorIteratorBaseET_S7_EUlaaE_EESt5arrayIPcLm2EELi4E23TrivialOffsetCalculatorILi1EjESE_NS0_6memory15LoadWithoutCastENSF_16StoreWithoutCastEEEviS7_T0_T2_T3_T4_T5_.num_vgpr, 9
	.set _ZN2at6native27unrolled_elementwise_kernelINS0_13BUnaryFunctorIaaaZNS0_12_GLOBAL__N_121threshold_kernel_implIaEEvRNS_18TensorIteratorBaseET_S7_EUlaaE_EESt5arrayIPcLm2EELi4E23TrivialOffsetCalculatorILi1EjESE_NS0_6memory15LoadWithoutCastENSF_16StoreWithoutCastEEEviS7_T0_T2_T3_T4_T5_.num_agpr, 0
	.set _ZN2at6native27unrolled_elementwise_kernelINS0_13BUnaryFunctorIaaaZNS0_12_GLOBAL__N_121threshold_kernel_implIaEEvRNS_18TensorIteratorBaseET_S7_EUlaaE_EESt5arrayIPcLm2EELi4E23TrivialOffsetCalculatorILi1EjESE_NS0_6memory15LoadWithoutCastENSF_16StoreWithoutCastEEEviS7_T0_T2_T3_T4_T5_.numbered_sgpr, 16
	.set _ZN2at6native27unrolled_elementwise_kernelINS0_13BUnaryFunctorIaaaZNS0_12_GLOBAL__N_121threshold_kernel_implIaEEvRNS_18TensorIteratorBaseET_S7_EUlaaE_EESt5arrayIPcLm2EELi4E23TrivialOffsetCalculatorILi1EjESE_NS0_6memory15LoadWithoutCastENSF_16StoreWithoutCastEEEviS7_T0_T2_T3_T4_T5_.num_named_barrier, 0
	.set _ZN2at6native27unrolled_elementwise_kernelINS0_13BUnaryFunctorIaaaZNS0_12_GLOBAL__N_121threshold_kernel_implIaEEvRNS_18TensorIteratorBaseET_S7_EUlaaE_EESt5arrayIPcLm2EELi4E23TrivialOffsetCalculatorILi1EjESE_NS0_6memory15LoadWithoutCastENSF_16StoreWithoutCastEEEviS7_T0_T2_T3_T4_T5_.private_seg_size, 0
	.set _ZN2at6native27unrolled_elementwise_kernelINS0_13BUnaryFunctorIaaaZNS0_12_GLOBAL__N_121threshold_kernel_implIaEEvRNS_18TensorIteratorBaseET_S7_EUlaaE_EESt5arrayIPcLm2EELi4E23TrivialOffsetCalculatorILi1EjESE_NS0_6memory15LoadWithoutCastENSF_16StoreWithoutCastEEEviS7_T0_T2_T3_T4_T5_.uses_vcc, 1
	.set _ZN2at6native27unrolled_elementwise_kernelINS0_13BUnaryFunctorIaaaZNS0_12_GLOBAL__N_121threshold_kernel_implIaEEvRNS_18TensorIteratorBaseET_S7_EUlaaE_EESt5arrayIPcLm2EELi4E23TrivialOffsetCalculatorILi1EjESE_NS0_6memory15LoadWithoutCastENSF_16StoreWithoutCastEEEviS7_T0_T2_T3_T4_T5_.uses_flat_scratch, 0
	.set _ZN2at6native27unrolled_elementwise_kernelINS0_13BUnaryFunctorIaaaZNS0_12_GLOBAL__N_121threshold_kernel_implIaEEvRNS_18TensorIteratorBaseET_S7_EUlaaE_EESt5arrayIPcLm2EELi4E23TrivialOffsetCalculatorILi1EjESE_NS0_6memory15LoadWithoutCastENSF_16StoreWithoutCastEEEviS7_T0_T2_T3_T4_T5_.has_dyn_sized_stack, 0
	.set _ZN2at6native27unrolled_elementwise_kernelINS0_13BUnaryFunctorIaaaZNS0_12_GLOBAL__N_121threshold_kernel_implIaEEvRNS_18TensorIteratorBaseET_S7_EUlaaE_EESt5arrayIPcLm2EELi4E23TrivialOffsetCalculatorILi1EjESE_NS0_6memory15LoadWithoutCastENSF_16StoreWithoutCastEEEviS7_T0_T2_T3_T4_T5_.has_recursion, 0
	.set _ZN2at6native27unrolled_elementwise_kernelINS0_13BUnaryFunctorIaaaZNS0_12_GLOBAL__N_121threshold_kernel_implIaEEvRNS_18TensorIteratorBaseET_S7_EUlaaE_EESt5arrayIPcLm2EELi4E23TrivialOffsetCalculatorILi1EjESE_NS0_6memory15LoadWithoutCastENSF_16StoreWithoutCastEEEviS7_T0_T2_T3_T4_T5_.has_indirect_call, 0
	.section	.AMDGPU.csdata,"",@progbits
; Kernel info:
; codeLenInByte = 676
; TotalNumSgprs: 20
; NumVgprs: 9
; ScratchSize: 0
; MemoryBound: 0
; FloatMode: 240
; IeeeMode: 1
; LDSByteSize: 0 bytes/workgroup (compile time only)
; SGPRBlocks: 2
; VGPRBlocks: 2
; NumSGPRsForWavesPerEU: 20
; NumVGPRsForWavesPerEU: 9
; Occupancy: 10
; WaveLimiterHint : 0
; COMPUTE_PGM_RSRC2:SCRATCH_EN: 0
; COMPUTE_PGM_RSRC2:USER_SGPR: 6
; COMPUTE_PGM_RSRC2:TRAP_HANDLER: 0
; COMPUTE_PGM_RSRC2:TGID_X_EN: 1
; COMPUTE_PGM_RSRC2:TGID_Y_EN: 0
; COMPUTE_PGM_RSRC2:TGID_Z_EN: 0
; COMPUTE_PGM_RSRC2:TIDIG_COMP_CNT: 0
	.section	.text._ZN2at6native32elementwise_kernel_manual_unrollILi128ELi8EZNS0_22gpu_kernel_impl_nocastINS0_13BUnaryFunctorIaaaZNS0_12_GLOBAL__N_121threshold_kernel_implIaEEvRNS_18TensorIteratorBaseET_S8_EUlaaE_EEEEvS7_RKS8_EUlibE_EEviT1_,"axG",@progbits,_ZN2at6native32elementwise_kernel_manual_unrollILi128ELi8EZNS0_22gpu_kernel_impl_nocastINS0_13BUnaryFunctorIaaaZNS0_12_GLOBAL__N_121threshold_kernel_implIaEEvRNS_18TensorIteratorBaseET_S8_EUlaaE_EEEEvS7_RKS8_EUlibE_EEviT1_,comdat
	.globl	_ZN2at6native32elementwise_kernel_manual_unrollILi128ELi8EZNS0_22gpu_kernel_impl_nocastINS0_13BUnaryFunctorIaaaZNS0_12_GLOBAL__N_121threshold_kernel_implIaEEvRNS_18TensorIteratorBaseET_S8_EUlaaE_EEEEvS7_RKS8_EUlibE_EEviT1_ ; -- Begin function _ZN2at6native32elementwise_kernel_manual_unrollILi128ELi8EZNS0_22gpu_kernel_impl_nocastINS0_13BUnaryFunctorIaaaZNS0_12_GLOBAL__N_121threshold_kernel_implIaEEvRNS_18TensorIteratorBaseET_S8_EUlaaE_EEEEvS7_RKS8_EUlibE_EEviT1_
	.p2align	8
	.type	_ZN2at6native32elementwise_kernel_manual_unrollILi128ELi8EZNS0_22gpu_kernel_impl_nocastINS0_13BUnaryFunctorIaaaZNS0_12_GLOBAL__N_121threshold_kernel_implIaEEvRNS_18TensorIteratorBaseET_S8_EUlaaE_EEEEvS7_RKS8_EUlibE_EEviT1_,@function
_ZN2at6native32elementwise_kernel_manual_unrollILi128ELi8EZNS0_22gpu_kernel_impl_nocastINS0_13BUnaryFunctorIaaaZNS0_12_GLOBAL__N_121threshold_kernel_implIaEEvRNS_18TensorIteratorBaseET_S8_EUlaaE_EEEEvS7_RKS8_EUlibE_EEviT1_: ; @_ZN2at6native32elementwise_kernel_manual_unrollILi128ELi8EZNS0_22gpu_kernel_impl_nocastINS0_13BUnaryFunctorIaaaZNS0_12_GLOBAL__N_121threshold_kernel_implIaEEvRNS_18TensorIteratorBaseET_S8_EUlaaE_EEEEvS7_RKS8_EUlibE_EEviT1_
; %bb.0:
	s_load_dword s58, s[4:5], 0x0
	s_load_dword s33, s[4:5], 0x8
	s_add_u32 s34, s4, 8
	s_addc_u32 s35, s5, 0
	v_lshl_or_b32 v19, s6, 10, v0
	v_or_b32_e32 v25, 0x380, v19
	s_waitcnt lgkmcnt(0)
	s_add_i32 s54, s33, -1
	s_cmp_gt_u32 s54, 1
	v_cmp_le_i32_e32 vcc, s58, v25
	s_cselect_b64 s[36:37], -1, 0
	s_and_saveexec_b64 s[0:1], vcc
	s_xor_b64 s[38:39], exec, s[0:1]
	s_cbranch_execz .LBB37_7
; %bb.1:
	s_load_dwordx4 s[20:23], s[34:35], 0x4
	s_load_dwordx2 s[40:41], s[34:35], 0x14
	s_load_dword s0, s[34:35], 0x158
	s_cmp_lg_u32 s33, 0
	s_load_dwordx4 s[24:27], s[34:35], 0xc4
	s_load_dwordx4 s[16:19], s[34:35], 0x148
	s_cselect_b64 s[46:47], -1, 0
	s_add_u32 s44, s34, 0xc4
	s_addc_u32 s45, s35, 0
	s_min_u32 s59, s54, 15
	s_cmp_gt_u32 s33, 1
	s_cselect_b64 s[42:43], -1, 0
	s_waitcnt lgkmcnt(0)
	s_bfe_i32 s55, s0, 0x80000
	s_lshr_b32 s56, s0, 8
	s_lshr_b32 s57, s0, 16
	v_cmp_gt_i32_e32 vcc, s58, v19
	s_and_saveexec_b64 s[48:49], vcc
	s_cbranch_execz .LBB37_14
; %bb.2:
	s_andn2_b64 vcc, exec, s[36:37]
	s_cbranch_vccnz .LBB37_21
; %bb.3:
	s_andn2_b64 vcc, exec, s[46:47]
	s_cbranch_vccnz .LBB37_129
; %bb.4:
	s_add_i32 s61, s59, 1
	s_cmp_eq_u32 s54, 2
	s_cbranch_scc1 .LBB37_131
; %bb.5:
	s_and_b32 s60, s61, 28
	v_mov_b32_e32 v2, 0
	s_mov_b32 s62, 0
	s_mov_b64 s[50:51], s[34:35]
	s_mov_b64 s[52:53], s[44:45]
	v_mov_b32_e32 v0, 0
	v_mov_b32_e32 v1, v19
.LBB37_6:                               ; =>This Inner Loop Header: Depth=1
	s_load_dwordx8 s[8:15], s[50:51], 0x4
	s_load_dwordx4 s[28:31], s[50:51], 0x24
	s_load_dwordx8 s[0:7], s[52:53], 0x0
	s_add_u32 s50, s50, 48
	s_addc_u32 s51, s51, 0
	s_waitcnt lgkmcnt(0)
	v_mul_hi_u32 v3, s9, v1
	s_add_i32 s62, s62, 4
	s_add_u32 s52, s52, 32
	s_addc_u32 s53, s53, 0
	v_add_u32_e32 v3, v1, v3
	v_lshrrev_b32_e32 v3, s10, v3
	v_mul_lo_u32 v4, v3, s8
	v_mul_hi_u32 v5, s12, v3
	s_cmp_lg_u32 s60, s62
	v_sub_u32_e32 v1, v1, v4
	v_add_u32_e32 v4, v3, v5
	v_mul_lo_u32 v5, v1, s0
	v_mul_lo_u32 v6, v1, s1
	v_lshrrev_b32_e32 v1, s13, v4
	v_mul_lo_u32 v4, v1, s11
	v_mul_hi_u32 v7, s15, v1
	v_sub_u32_e32 v3, v3, v4
	v_add_u32_e32 v4, v1, v7
	v_lshrrev_b32_e32 v4, s28, v4
	v_mul_hi_u32 v8, s30, v4
	v_mul_lo_u32 v9, v4, s14
	v_mul_lo_u32 v7, v3, s2
	;; [unrolled: 1-line block ×3, first 2 shown]
	v_sub_u32_e32 v9, v1, v9
	v_add_u32_e32 v1, v4, v8
	v_lshrrev_b32_e32 v1, s31, v1
	v_mul_lo_u32 v8, v1, s29
	v_mul_lo_u32 v10, v9, s4
	;; [unrolled: 1-line block ×3, first 2 shown]
	v_add3_u32 v0, v5, v0, v7
	v_sub_u32_e32 v4, v4, v8
	v_mul_lo_u32 v8, v4, s6
	v_mul_lo_u32 v4, v4, s7
	v_add3_u32 v2, v6, v2, v3
	v_add3_u32 v0, v10, v0, v8
	;; [unrolled: 1-line block ×3, first 2 shown]
	s_cbranch_scc1 .LBB37_6
	s_branch .LBB37_132
.LBB37_7:
	s_andn2_saveexec_b64 s[0:1], s[38:39]
	s_cbranch_execz .LBB37_221
.LBB37_8:
	v_cndmask_b32_e64 v0, 0, 1, s[36:37]
	v_cmp_ne_u32_e64 s[0:1], 1, v0
	s_andn2_b64 vcc, exec, s[36:37]
	s_cbranch_vccnz .LBB37_20
; %bb.9:
	s_cmp_lg_u32 s33, 0
	s_mov_b32 s26, 0
	s_cbranch_scc0 .LBB37_23
; %bb.10:
	s_min_u32 s27, s54, 15
	s_add_i32 s27, s27, 1
	s_cmp_eq_u32 s54, 2
	s_cbranch_scc1 .LBB37_24
; %bb.11:
	s_and_b32 s26, s27, 28
	s_add_u32 s2, s34, 0xc4
	s_addc_u32 s3, s35, 0
	v_mov_b32_e32 v2, 0
	s_mov_b32 s28, 0
	s_mov_b64 s[24:25], s[34:35]
	v_mov_b32_e32 v0, 0
	v_mov_b32_e32 v1, v19
.LBB37_12:                              ; =>This Inner Loop Header: Depth=1
	s_load_dwordx8 s[12:19], s[24:25], 0x4
	s_load_dwordx4 s[20:23], s[24:25], 0x24
	s_load_dwordx8 s[4:11], s[2:3], 0x0
	s_add_u32 s24, s24, 48
	s_addc_u32 s25, s25, 0
	s_waitcnt lgkmcnt(0)
	v_mul_hi_u32 v3, s13, v1
	s_add_i32 s28, s28, 4
	s_add_u32 s2, s2, 32
	s_addc_u32 s3, s3, 0
	v_add_u32_e32 v3, v1, v3
	v_lshrrev_b32_e32 v3, s14, v3
	v_mul_lo_u32 v4, v3, s12
	v_mul_hi_u32 v5, s16, v3
	s_cmp_lg_u32 s26, s28
	v_sub_u32_e32 v1, v1, v4
	v_add_u32_e32 v4, v3, v5
	v_mul_lo_u32 v5, v1, s4
	v_mul_lo_u32 v6, v1, s5
	v_lshrrev_b32_e32 v1, s17, v4
	v_mul_lo_u32 v4, v1, s15
	v_mul_hi_u32 v7, s19, v1
	v_sub_u32_e32 v3, v3, v4
	v_add_u32_e32 v4, v1, v7
	v_lshrrev_b32_e32 v4, s20, v4
	v_mul_hi_u32 v8, s22, v4
	v_mul_lo_u32 v9, v4, s18
	v_mul_lo_u32 v7, v3, s6
	v_mul_lo_u32 v3, v3, s7
	v_sub_u32_e32 v9, v1, v9
	v_add_u32_e32 v1, v4, v8
	v_lshrrev_b32_e32 v1, s23, v1
	v_mul_lo_u32 v8, v1, s21
	v_mul_lo_u32 v10, v9, s8
	;; [unrolled: 1-line block ×3, first 2 shown]
	v_add3_u32 v0, v5, v0, v7
	v_sub_u32_e32 v4, v4, v8
	v_mul_lo_u32 v8, v4, s10
	v_mul_lo_u32 v4, v4, s11
	v_add3_u32 v2, v6, v2, v3
	v_add3_u32 v0, v10, v0, v8
	;; [unrolled: 1-line block ×3, first 2 shown]
	s_cbranch_scc1 .LBB37_12
; %bb.13:
	s_and_b32 s6, s27, 3
	s_cmp_eq_u32 s6, 0
	s_cbranch_scc0 .LBB37_25
	s_branch .LBB37_27
.LBB37_14:
	s_or_b64 exec, exec, s[48:49]
	v_cmp_gt_i32_e32 vcc, s58, v19
	s_and_saveexec_b64 s[48:49], vcc
	s_cbranch_execz .LBB37_139
.LBB37_15:
	s_andn2_b64 vcc, exec, s[36:37]
	s_cbranch_vccnz .LBB37_22
; %bb.16:
	s_andn2_b64 vcc, exec, s[46:47]
	s_cbranch_vccnz .LBB37_130
; %bb.17:
	s_add_i32 s61, s59, 1
	s_cmp_eq_u32 s54, 2
	s_cbranch_scc1 .LBB37_147
; %bb.18:
	s_and_b32 s60, s61, 28
	v_mov_b32_e32 v2, 0
	s_mov_b32 s62, 0
	s_mov_b64 s[50:51], s[34:35]
	s_mov_b64 s[52:53], s[44:45]
	v_mov_b32_e32 v0, 0
	v_mov_b32_e32 v1, v19
.LBB37_19:                              ; =>This Inner Loop Header: Depth=1
	s_load_dwordx8 s[8:15], s[50:51], 0x4
	s_load_dwordx4 s[28:31], s[50:51], 0x24
	s_load_dwordx8 s[0:7], s[52:53], 0x0
	s_add_u32 s50, s50, 48
	s_addc_u32 s51, s51, 0
	s_waitcnt lgkmcnt(0)
	v_mul_hi_u32 v3, s9, v1
	s_add_i32 s62, s62, 4
	s_add_u32 s52, s52, 32
	s_addc_u32 s53, s53, 0
	v_add_u32_e32 v3, v1, v3
	v_lshrrev_b32_e32 v3, s10, v3
	v_mul_lo_u32 v4, v3, s8
	v_mul_hi_u32 v5, s12, v3
	s_cmp_eq_u32 s60, s62
	v_sub_u32_e32 v1, v1, v4
	v_add_u32_e32 v4, v3, v5
	v_mul_lo_u32 v5, v1, s0
	v_mul_lo_u32 v6, v1, s1
	v_lshrrev_b32_e32 v1, s13, v4
	v_mul_lo_u32 v4, v1, s11
	v_mul_hi_u32 v7, s15, v1
	v_sub_u32_e32 v3, v3, v4
	v_add_u32_e32 v4, v1, v7
	v_lshrrev_b32_e32 v4, s28, v4
	v_mul_hi_u32 v8, s30, v4
	v_mul_lo_u32 v9, v4, s14
	v_mul_lo_u32 v7, v3, s2
	v_mul_lo_u32 v3, v3, s3
	v_sub_u32_e32 v9, v1, v9
	v_add_u32_e32 v1, v4, v8
	v_lshrrev_b32_e32 v1, s31, v1
	v_mul_lo_u32 v8, v1, s29
	v_mul_lo_u32 v10, v9, s4
	;; [unrolled: 1-line block ×3, first 2 shown]
	v_add3_u32 v0, v5, v0, v7
	v_sub_u32_e32 v4, v4, v8
	v_mul_lo_u32 v8, v4, s6
	v_mul_lo_u32 v4, v4, s7
	v_add3_u32 v2, v6, v2, v3
	v_add3_u32 v0, v10, v0, v8
	;; [unrolled: 1-line block ×3, first 2 shown]
	s_cbranch_scc0 .LBB37_19
	s_branch .LBB37_148
.LBB37_20:
                                        ; implicit-def: $vgpr0
                                        ; implicit-def: $vgpr2
	s_branch .LBB37_28
.LBB37_21:
                                        ; implicit-def: $vgpr0
                                        ; implicit-def: $vgpr2
	s_branch .LBB37_136
.LBB37_22:
                                        ; implicit-def: $vgpr0
                                        ; implicit-def: $vgpr2
	s_branch .LBB37_152
.LBB37_23:
	v_mov_b32_e32 v0, 0
	v_mov_b32_e32 v2, 0
	s_branch .LBB37_27
.LBB37_24:
	v_mov_b32_e32 v0, 0
	v_mov_b32_e32 v2, 0
	;; [unrolled: 1-line block ×3, first 2 shown]
	s_and_b32 s6, s27, 3
	s_cmp_eq_u32 s6, 0
	s_cbranch_scc1 .LBB37_27
.LBB37_25:
	s_lshl_b32 s2, s26, 3
	s_add_u32 s2, s34, s2
	s_addc_u32 s3, s35, 0
	s_add_u32 s2, s2, 0xc4
	s_addc_u32 s3, s3, 0
	s_mul_i32 s4, s26, 12
	s_add_u32 s4, s34, s4
	s_addc_u32 s5, s35, 0
.LBB37_26:                              ; =>This Inner Loop Header: Depth=1
	s_load_dwordx2 s[8:9], s[4:5], 0x4
	s_load_dword s7, s[4:5], 0xc
	s_load_dwordx2 s[10:11], s[2:3], 0x0
	s_add_u32 s4, s4, 12
	s_addc_u32 s5, s5, 0
	s_waitcnt lgkmcnt(0)
	v_mul_hi_u32 v4, s9, v1
	s_add_u32 s2, s2, 8
	s_addc_u32 s3, s3, 0
	s_add_i32 s6, s6, -1
	v_add_u32_e32 v4, v1, v4
	v_lshrrev_b32_e32 v4, s7, v4
	v_mul_lo_u32 v5, v4, s8
	s_cmp_lg_u32 s6, 0
	v_sub_u32_e32 v5, v1, v5
	v_mad_u64_u32 v[0:1], s[8:9], v5, s10, v[0:1]
	v_mad_u64_u32 v[2:3], s[8:9], v5, s11, v[2:3]
	v_mov_b32_e32 v1, v4
	s_cbranch_scc1 .LBB37_26
.LBB37_27:
	s_cbranch_execnz .LBB37_30
.LBB37_28:
	s_load_dwordx4 s[4:7], s[34:35], 0x4
	s_load_dwordx2 s[2:3], s[34:35], 0xc4
	s_cmp_lt_u32 s33, 2
	s_waitcnt lgkmcnt(0)
	v_mul_hi_u32 v0, s5, v19
	v_add_u32_e32 v0, v19, v0
	v_lshrrev_b32_e32 v1, s6, v0
	v_mul_lo_u32 v0, v1, s4
	v_sub_u32_e32 v2, v19, v0
	v_mul_lo_u32 v0, v2, s2
	v_mul_lo_u32 v2, v2, s3
	s_cbranch_scc1 .LBB37_30
; %bb.29:
	s_load_dwordx4 s[4:7], s[34:35], 0x10
	s_load_dwordx2 s[2:3], s[34:35], 0xcc
	s_waitcnt lgkmcnt(0)
	v_mul_hi_u32 v3, s5, v1
	v_add_u32_e32 v3, v1, v3
	v_lshrrev_b32_e32 v3, s6, v3
	v_mul_lo_u32 v3, v3, s4
	v_sub_u32_e32 v3, v1, v3
	v_mad_u64_u32 v[0:1], s[4:5], v3, s2, v[0:1]
	v_mad_u64_u32 v[2:3], s[2:3], v3, s3, v[2:3]
.LBB37_30:
	s_and_b64 vcc, exec, s[0:1]
	v_add_u32_e32 v1, 0x80, v19
	s_cbranch_vccnz .LBB37_36
; %bb.31:
	s_cmp_lg_u32 s33, 0
	s_mov_b32 s26, 0
	s_cbranch_scc0 .LBB37_37
; %bb.32:
	s_min_u32 s27, s54, 15
	s_add_i32 s27, s27, 1
	s_cmp_eq_u32 s54, 2
	s_cbranch_scc1 .LBB37_38
; %bb.33:
	s_and_b32 s26, s27, 28
	s_add_u32 s2, s34, 0xc4
	s_addc_u32 s3, s35, 0
	v_mov_b32_e32 v5, 0
	s_mov_b32 s28, 0
	s_mov_b64 s[24:25], s[34:35]
	v_mov_b32_e32 v3, 0
	v_mov_b32_e32 v4, v1
.LBB37_34:                              ; =>This Inner Loop Header: Depth=1
	s_load_dwordx8 s[12:19], s[24:25], 0x4
	s_load_dwordx4 s[20:23], s[24:25], 0x24
	s_load_dwordx8 s[4:11], s[2:3], 0x0
	s_add_u32 s24, s24, 48
	s_addc_u32 s25, s25, 0
	s_waitcnt lgkmcnt(0)
	v_mul_hi_u32 v6, s13, v4
	s_add_i32 s28, s28, 4
	s_add_u32 s2, s2, 32
	s_addc_u32 s3, s3, 0
	v_add_u32_e32 v6, v4, v6
	v_lshrrev_b32_e32 v6, s14, v6
	v_mul_lo_u32 v7, v6, s12
	v_mul_hi_u32 v8, s16, v6
	s_cmp_lg_u32 s26, s28
	v_sub_u32_e32 v4, v4, v7
	v_add_u32_e32 v7, v6, v8
	v_mul_lo_u32 v8, v4, s4
	v_mul_lo_u32 v9, v4, s5
	v_lshrrev_b32_e32 v4, s17, v7
	v_mul_lo_u32 v7, v4, s15
	v_mul_hi_u32 v10, s19, v4
	v_sub_u32_e32 v6, v6, v7
	v_add_u32_e32 v7, v4, v10
	v_lshrrev_b32_e32 v7, s20, v7
	v_mul_hi_u32 v11, s22, v7
	v_mul_lo_u32 v12, v7, s18
	v_mul_lo_u32 v10, v6, s6
	;; [unrolled: 1-line block ×3, first 2 shown]
	v_sub_u32_e32 v12, v4, v12
	v_add_u32_e32 v4, v7, v11
	v_lshrrev_b32_e32 v4, s23, v4
	v_mul_lo_u32 v11, v4, s21
	v_mul_lo_u32 v13, v12, s8
	;; [unrolled: 1-line block ×3, first 2 shown]
	v_add3_u32 v3, v8, v3, v10
	v_sub_u32_e32 v7, v7, v11
	v_mul_lo_u32 v11, v7, s10
	v_mul_lo_u32 v7, v7, s11
	v_add3_u32 v5, v9, v5, v6
	v_add3_u32 v3, v13, v3, v11
	;; [unrolled: 1-line block ×3, first 2 shown]
	s_cbranch_scc1 .LBB37_34
; %bb.35:
	s_and_b32 s6, s27, 3
	s_cmp_eq_u32 s6, 0
	s_cbranch_scc0 .LBB37_39
	s_branch .LBB37_41
.LBB37_36:
                                        ; implicit-def: $vgpr3
                                        ; implicit-def: $vgpr5
	s_branch .LBB37_42
.LBB37_37:
	v_mov_b32_e32 v3, 0
	v_mov_b32_e32 v5, 0
	s_branch .LBB37_41
.LBB37_38:
	v_mov_b32_e32 v3, 0
	v_mov_b32_e32 v5, 0
	;; [unrolled: 1-line block ×3, first 2 shown]
	s_and_b32 s6, s27, 3
	s_cmp_eq_u32 s6, 0
	s_cbranch_scc1 .LBB37_41
.LBB37_39:
	s_lshl_b32 s2, s26, 3
	s_add_u32 s2, s34, s2
	s_addc_u32 s3, s35, 0
	s_add_u32 s2, s2, 0xc4
	s_addc_u32 s3, s3, 0
	s_mul_i32 s4, s26, 12
	s_add_u32 s4, s34, s4
	s_addc_u32 s5, s35, 0
.LBB37_40:                              ; =>This Inner Loop Header: Depth=1
	s_load_dwordx2 s[8:9], s[4:5], 0x4
	s_load_dword s7, s[4:5], 0xc
	s_load_dwordx2 s[10:11], s[2:3], 0x0
	s_add_u32 s4, s4, 12
	s_addc_u32 s5, s5, 0
	s_waitcnt lgkmcnt(0)
	v_mul_hi_u32 v7, s9, v4
	s_add_u32 s2, s2, 8
	s_addc_u32 s3, s3, 0
	s_add_i32 s6, s6, -1
	v_add_u32_e32 v7, v4, v7
	v_lshrrev_b32_e32 v7, s7, v7
	v_mul_lo_u32 v8, v7, s8
	s_cmp_lg_u32 s6, 0
	v_sub_u32_e32 v8, v4, v8
	v_mad_u64_u32 v[3:4], s[8:9], v8, s10, v[3:4]
	v_mad_u64_u32 v[5:6], s[8:9], v8, s11, v[5:6]
	v_mov_b32_e32 v4, v7
	s_cbranch_scc1 .LBB37_40
.LBB37_41:
	s_cbranch_execnz .LBB37_44
.LBB37_42:
	s_load_dwordx4 s[4:7], s[34:35], 0x4
	s_load_dwordx2 s[2:3], s[34:35], 0xc4
	s_cmp_lt_u32 s33, 2
	s_waitcnt lgkmcnt(0)
	v_mul_hi_u32 v3, s5, v1
	v_add_u32_e32 v3, v1, v3
	v_lshrrev_b32_e32 v4, s6, v3
	v_mul_lo_u32 v3, v4, s4
	v_sub_u32_e32 v1, v1, v3
	v_mul_lo_u32 v3, v1, s2
	v_mul_lo_u32 v5, v1, s3
	s_cbranch_scc1 .LBB37_44
; %bb.43:
	s_load_dwordx4 s[4:7], s[34:35], 0x10
	s_load_dwordx2 s[2:3], s[34:35], 0xcc
	s_waitcnt lgkmcnt(0)
	v_mul_hi_u32 v1, s5, v4
	v_add_u32_e32 v1, v4, v1
	v_lshrrev_b32_e32 v1, s6, v1
	v_mul_lo_u32 v1, v1, s4
	v_sub_u32_e32 v1, v4, v1
	v_mad_u64_u32 v[3:4], s[4:5], v1, s2, v[3:4]
	v_mad_u64_u32 v[5:6], s[2:3], v1, s3, v[5:6]
.LBB37_44:
	s_and_b64 vcc, exec, s[0:1]
	v_add_u32_e32 v1, 0x100, v19
	s_cbranch_vccnz .LBB37_50
; %bb.45:
	s_cmp_lg_u32 s33, 0
	s_mov_b32 s26, 0
	s_cbranch_scc0 .LBB37_51
; %bb.46:
	s_min_u32 s27, s54, 15
	s_add_i32 s27, s27, 1
	s_cmp_eq_u32 s54, 2
	s_cbranch_scc1 .LBB37_52
; %bb.47:
	s_and_b32 s26, s27, 28
	s_add_u32 s2, s34, 0xc4
	s_addc_u32 s3, s35, 0
	v_mov_b32_e32 v8, 0
	s_mov_b32 s28, 0
	s_mov_b64 s[24:25], s[34:35]
	v_mov_b32_e32 v6, 0
	v_mov_b32_e32 v4, v1
.LBB37_48:                              ; =>This Inner Loop Header: Depth=1
	s_load_dwordx8 s[12:19], s[24:25], 0x4
	s_load_dwordx4 s[20:23], s[24:25], 0x24
	s_load_dwordx8 s[4:11], s[2:3], 0x0
	s_add_u32 s24, s24, 48
	s_addc_u32 s25, s25, 0
	s_waitcnt lgkmcnt(0)
	v_mul_hi_u32 v7, s13, v4
	s_add_i32 s28, s28, 4
	s_add_u32 s2, s2, 32
	s_addc_u32 s3, s3, 0
	v_add_u32_e32 v7, v4, v7
	v_lshrrev_b32_e32 v7, s14, v7
	v_mul_lo_u32 v9, v7, s12
	v_mul_hi_u32 v10, s16, v7
	s_cmp_lg_u32 s26, s28
	v_sub_u32_e32 v4, v4, v9
	v_add_u32_e32 v9, v7, v10
	v_mul_lo_u32 v10, v4, s4
	v_mul_lo_u32 v11, v4, s5
	v_lshrrev_b32_e32 v4, s17, v9
	v_mul_lo_u32 v9, v4, s15
	v_mul_hi_u32 v12, s19, v4
	v_sub_u32_e32 v7, v7, v9
	v_add_u32_e32 v9, v4, v12
	v_lshrrev_b32_e32 v9, s20, v9
	v_mul_hi_u32 v13, s22, v9
	v_mul_lo_u32 v14, v9, s18
	v_mul_lo_u32 v12, v7, s6
	v_mul_lo_u32 v7, v7, s7
	v_sub_u32_e32 v14, v4, v14
	v_add_u32_e32 v4, v9, v13
	v_lshrrev_b32_e32 v4, s23, v4
	v_mul_lo_u32 v13, v4, s21
	v_mul_lo_u32 v15, v14, s8
	;; [unrolled: 1-line block ×3, first 2 shown]
	v_add3_u32 v6, v10, v6, v12
	v_sub_u32_e32 v9, v9, v13
	v_mul_lo_u32 v13, v9, s10
	v_mul_lo_u32 v9, v9, s11
	v_add3_u32 v7, v11, v8, v7
	v_add3_u32 v6, v15, v6, v13
	;; [unrolled: 1-line block ×3, first 2 shown]
	s_cbranch_scc1 .LBB37_48
; %bb.49:
	s_and_b32 s6, s27, 3
	s_cmp_eq_u32 s6, 0
	s_cbranch_scc0 .LBB37_53
	s_branch .LBB37_55
.LBB37_50:
                                        ; implicit-def: $vgpr6
                                        ; implicit-def: $vgpr8
	s_branch .LBB37_56
.LBB37_51:
	v_mov_b32_e32 v6, 0
	v_mov_b32_e32 v8, 0
	s_branch .LBB37_55
.LBB37_52:
	v_mov_b32_e32 v6, 0
	v_mov_b32_e32 v8, 0
	v_mov_b32_e32 v4, v1
	s_and_b32 s6, s27, 3
	s_cmp_eq_u32 s6, 0
	s_cbranch_scc1 .LBB37_55
.LBB37_53:
	s_lshl_b32 s2, s26, 3
	s_add_u32 s2, s34, s2
	s_addc_u32 s3, s35, 0
	s_add_u32 s2, s2, 0xc4
	s_addc_u32 s3, s3, 0
	s_mul_i32 s4, s26, 12
	s_add_u32 s4, s34, s4
	s_addc_u32 s5, s35, 0
.LBB37_54:                              ; =>This Inner Loop Header: Depth=1
	s_load_dwordx2 s[8:9], s[4:5], 0x4
	s_load_dword s7, s[4:5], 0xc
	s_load_dwordx2 s[10:11], s[2:3], 0x0
	s_add_u32 s4, s4, 12
	s_addc_u32 s5, s5, 0
	s_waitcnt lgkmcnt(0)
	v_mul_hi_u32 v7, s9, v4
	s_add_u32 s2, s2, 8
	s_addc_u32 s3, s3, 0
	s_add_i32 s6, s6, -1
	v_add_u32_e32 v7, v4, v7
	v_lshrrev_b32_e32 v10, s7, v7
	v_mul_lo_u32 v7, v10, s8
	s_cmp_lg_u32 s6, 0
	v_sub_u32_e32 v4, v4, v7
	v_mad_u64_u32 v[6:7], s[8:9], v4, s10, v[6:7]
	v_mad_u64_u32 v[8:9], s[8:9], v4, s11, v[8:9]
	v_mov_b32_e32 v4, v10
	s_cbranch_scc1 .LBB37_54
.LBB37_55:
	s_cbranch_execnz .LBB37_58
.LBB37_56:
	s_load_dwordx4 s[4:7], s[34:35], 0x4
	s_load_dwordx2 s[2:3], s[34:35], 0xc4
	s_cmp_lt_u32 s33, 2
	s_waitcnt lgkmcnt(0)
	v_mul_hi_u32 v4, s5, v1
	v_add_u32_e32 v4, v1, v4
	v_lshrrev_b32_e32 v4, s6, v4
	v_mul_lo_u32 v6, v4, s4
	v_sub_u32_e32 v1, v1, v6
	v_mul_lo_u32 v6, v1, s2
	v_mul_lo_u32 v8, v1, s3
	s_cbranch_scc1 .LBB37_58
; %bb.57:
	s_load_dwordx4 s[4:7], s[34:35], 0x10
	s_load_dwordx2 s[2:3], s[34:35], 0xcc
	s_waitcnt lgkmcnt(0)
	v_mul_hi_u32 v1, s5, v4
	v_add_u32_e32 v1, v4, v1
	v_lshrrev_b32_e32 v1, s6, v1
	v_mul_lo_u32 v1, v1, s4
	v_sub_u32_e32 v1, v4, v1
	v_mad_u64_u32 v[6:7], s[4:5], v1, s2, v[6:7]
	v_mad_u64_u32 v[8:9], s[2:3], v1, s3, v[8:9]
.LBB37_58:
	s_and_b64 vcc, exec, s[0:1]
	v_add_u32_e32 v1, 0x180, v19
	s_cbranch_vccnz .LBB37_64
; %bb.59:
	s_cmp_lg_u32 s33, 0
	s_mov_b32 s26, 0
	s_cbranch_scc0 .LBB37_65
; %bb.60:
	s_min_u32 s27, s54, 15
	s_add_i32 s27, s27, 1
	s_cmp_eq_u32 s54, 2
	s_cbranch_scc1 .LBB37_66
; %bb.61:
	s_and_b32 s26, s27, 28
	s_add_u32 s2, s34, 0xc4
	s_addc_u32 s3, s35, 0
	v_mov_b32_e32 v11, 0
	s_mov_b32 s28, 0
	s_mov_b64 s[24:25], s[34:35]
	v_mov_b32_e32 v9, 0
	v_mov_b32_e32 v4, v1
.LBB37_62:                              ; =>This Inner Loop Header: Depth=1
	s_load_dwordx8 s[12:19], s[24:25], 0x4
	s_load_dwordx4 s[20:23], s[24:25], 0x24
	s_load_dwordx8 s[4:11], s[2:3], 0x0
	s_add_u32 s24, s24, 48
	s_addc_u32 s25, s25, 0
	s_waitcnt lgkmcnt(0)
	v_mul_hi_u32 v7, s13, v4
	s_add_i32 s28, s28, 4
	s_add_u32 s2, s2, 32
	s_addc_u32 s3, s3, 0
	v_add_u32_e32 v7, v4, v7
	v_lshrrev_b32_e32 v7, s14, v7
	v_mul_lo_u32 v10, v7, s12
	v_mul_hi_u32 v12, s16, v7
	s_cmp_lg_u32 s26, s28
	v_sub_u32_e32 v4, v4, v10
	v_add_u32_e32 v10, v7, v12
	v_mul_lo_u32 v12, v4, s4
	v_mul_lo_u32 v13, v4, s5
	v_lshrrev_b32_e32 v4, s17, v10
	v_mul_lo_u32 v10, v4, s15
	v_mul_hi_u32 v14, s19, v4
	v_sub_u32_e32 v7, v7, v10
	v_add_u32_e32 v10, v4, v14
	v_lshrrev_b32_e32 v10, s20, v10
	v_mul_hi_u32 v15, s22, v10
	v_mul_lo_u32 v16, v10, s18
	v_mul_lo_u32 v14, v7, s6
	;; [unrolled: 1-line block ×3, first 2 shown]
	v_sub_u32_e32 v16, v4, v16
	v_add_u32_e32 v4, v10, v15
	v_lshrrev_b32_e32 v4, s23, v4
	v_mul_lo_u32 v15, v4, s21
	v_mul_lo_u32 v17, v16, s8
	;; [unrolled: 1-line block ×3, first 2 shown]
	v_add3_u32 v9, v12, v9, v14
	v_sub_u32_e32 v10, v10, v15
	v_mul_lo_u32 v15, v10, s10
	v_mul_lo_u32 v10, v10, s11
	v_add3_u32 v7, v13, v11, v7
	v_add3_u32 v9, v17, v9, v15
	;; [unrolled: 1-line block ×3, first 2 shown]
	s_cbranch_scc1 .LBB37_62
; %bb.63:
	s_and_b32 s6, s27, 3
	s_cmp_eq_u32 s6, 0
	s_cbranch_scc0 .LBB37_67
	s_branch .LBB37_69
.LBB37_64:
                                        ; implicit-def: $vgpr9
                                        ; implicit-def: $vgpr11
	s_branch .LBB37_70
.LBB37_65:
	v_mov_b32_e32 v9, 0
	v_mov_b32_e32 v11, 0
	s_branch .LBB37_69
.LBB37_66:
	v_mov_b32_e32 v9, 0
	v_mov_b32_e32 v11, 0
	;; [unrolled: 1-line block ×3, first 2 shown]
	s_and_b32 s6, s27, 3
	s_cmp_eq_u32 s6, 0
	s_cbranch_scc1 .LBB37_69
.LBB37_67:
	s_lshl_b32 s2, s26, 3
	s_add_u32 s2, s34, s2
	s_addc_u32 s3, s35, 0
	s_add_u32 s2, s2, 0xc4
	s_addc_u32 s3, s3, 0
	s_mul_i32 s4, s26, 12
	s_add_u32 s4, s34, s4
	s_addc_u32 s5, s35, 0
.LBB37_68:                              ; =>This Inner Loop Header: Depth=1
	s_load_dwordx2 s[8:9], s[4:5], 0x4
	s_load_dword s7, s[4:5], 0xc
	s_load_dwordx2 s[10:11], s[2:3], 0x0
	s_add_u32 s4, s4, 12
	s_addc_u32 s5, s5, 0
	s_waitcnt lgkmcnt(0)
	v_mul_hi_u32 v7, s9, v4
	s_add_u32 s2, s2, 8
	s_addc_u32 s3, s3, 0
	s_add_i32 s6, s6, -1
	v_add_u32_e32 v7, v4, v7
	v_lshrrev_b32_e32 v7, s7, v7
	v_mul_lo_u32 v10, v7, s8
	s_cmp_lg_u32 s6, 0
	v_sub_u32_e32 v4, v4, v10
	v_mad_u64_u32 v[9:10], s[8:9], v4, s10, v[9:10]
	v_mad_u64_u32 v[11:12], s[8:9], v4, s11, v[11:12]
	v_mov_b32_e32 v4, v7
	s_cbranch_scc1 .LBB37_68
.LBB37_69:
	s_cbranch_execnz .LBB37_72
.LBB37_70:
	s_load_dwordx4 s[4:7], s[34:35], 0x4
	s_load_dwordx2 s[2:3], s[34:35], 0xc4
	s_cmp_lt_u32 s33, 2
	s_waitcnt lgkmcnt(0)
	v_mul_hi_u32 v4, s5, v1
	v_add_u32_e32 v4, v1, v4
	v_lshrrev_b32_e32 v4, s6, v4
	v_mul_lo_u32 v7, v4, s4
	v_sub_u32_e32 v1, v1, v7
	v_mul_lo_u32 v9, v1, s2
	v_mul_lo_u32 v11, v1, s3
	s_cbranch_scc1 .LBB37_72
; %bb.71:
	s_load_dwordx4 s[4:7], s[34:35], 0x10
	s_load_dwordx2 s[2:3], s[34:35], 0xcc
	s_waitcnt lgkmcnt(0)
	v_mul_hi_u32 v1, s5, v4
	v_add_u32_e32 v1, v4, v1
	v_lshrrev_b32_e32 v1, s6, v1
	v_mul_lo_u32 v1, v1, s4
	v_sub_u32_e32 v1, v4, v1
	v_mad_u64_u32 v[9:10], s[4:5], v1, s2, v[9:10]
	v_mad_u64_u32 v[11:12], s[2:3], v1, s3, v[11:12]
.LBB37_72:
	s_and_b64 vcc, exec, s[0:1]
	v_add_u32_e32 v1, 0x200, v19
	s_cbranch_vccnz .LBB37_78
; %bb.73:
	s_cmp_lg_u32 s33, 0
	s_mov_b32 s26, 0
	s_cbranch_scc0 .LBB37_79
; %bb.74:
	s_min_u32 s27, s54, 15
	s_add_i32 s27, s27, 1
	s_cmp_eq_u32 s54, 2
	s_cbranch_scc1 .LBB37_80
; %bb.75:
	s_and_b32 s26, s27, 28
	s_add_u32 s2, s34, 0xc4
	s_addc_u32 s3, s35, 0
	v_mov_b32_e32 v14, 0
	s_mov_b32 s28, 0
	s_mov_b64 s[24:25], s[34:35]
	v_mov_b32_e32 v12, 0
	v_mov_b32_e32 v4, v1
.LBB37_76:                              ; =>This Inner Loop Header: Depth=1
	s_load_dwordx8 s[12:19], s[24:25], 0x4
	s_load_dwordx4 s[20:23], s[24:25], 0x24
	s_load_dwordx8 s[4:11], s[2:3], 0x0
	s_add_u32 s24, s24, 48
	s_addc_u32 s25, s25, 0
	s_waitcnt lgkmcnt(0)
	v_mul_hi_u32 v7, s13, v4
	s_add_i32 s28, s28, 4
	s_add_u32 s2, s2, 32
	s_addc_u32 s3, s3, 0
	v_add_u32_e32 v7, v4, v7
	v_lshrrev_b32_e32 v7, s14, v7
	v_mul_lo_u32 v10, v7, s12
	v_mul_hi_u32 v13, s16, v7
	s_cmp_lg_u32 s26, s28
	v_sub_u32_e32 v4, v4, v10
	v_add_u32_e32 v10, v7, v13
	v_mul_lo_u32 v13, v4, s4
	v_mul_lo_u32 v15, v4, s5
	v_lshrrev_b32_e32 v4, s17, v10
	v_mul_lo_u32 v10, v4, s15
	v_mul_hi_u32 v16, s19, v4
	v_sub_u32_e32 v7, v7, v10
	v_add_u32_e32 v10, v4, v16
	v_lshrrev_b32_e32 v10, s20, v10
	v_mul_hi_u32 v17, s22, v10
	v_mul_lo_u32 v18, v10, s18
	v_mul_lo_u32 v16, v7, s6
	;; [unrolled: 1-line block ×3, first 2 shown]
	v_sub_u32_e32 v18, v4, v18
	v_add_u32_e32 v4, v10, v17
	v_lshrrev_b32_e32 v4, s23, v4
	v_mul_lo_u32 v17, v4, s21
	v_mul_lo_u32 v20, v18, s8
	v_mul_lo_u32 v18, v18, s9
	v_add3_u32 v12, v13, v12, v16
	v_sub_u32_e32 v10, v10, v17
	v_mul_lo_u32 v17, v10, s10
	v_mul_lo_u32 v10, v10, s11
	v_add3_u32 v7, v15, v14, v7
	v_add3_u32 v12, v20, v12, v17
	;; [unrolled: 1-line block ×3, first 2 shown]
	s_cbranch_scc1 .LBB37_76
; %bb.77:
	s_and_b32 s6, s27, 3
	s_cmp_eq_u32 s6, 0
	s_cbranch_scc0 .LBB37_81
	s_branch .LBB37_83
.LBB37_78:
                                        ; implicit-def: $vgpr12
                                        ; implicit-def: $vgpr14
	s_branch .LBB37_84
.LBB37_79:
	v_mov_b32_e32 v12, 0
	v_mov_b32_e32 v14, 0
	s_branch .LBB37_83
.LBB37_80:
	v_mov_b32_e32 v12, 0
	v_mov_b32_e32 v14, 0
	;; [unrolled: 1-line block ×3, first 2 shown]
	s_and_b32 s6, s27, 3
	s_cmp_eq_u32 s6, 0
	s_cbranch_scc1 .LBB37_83
.LBB37_81:
	s_lshl_b32 s2, s26, 3
	s_add_u32 s2, s34, s2
	s_addc_u32 s3, s35, 0
	s_add_u32 s2, s2, 0xc4
	s_addc_u32 s3, s3, 0
	s_mul_i32 s4, s26, 12
	s_add_u32 s4, s34, s4
	s_addc_u32 s5, s35, 0
.LBB37_82:                              ; =>This Inner Loop Header: Depth=1
	s_load_dwordx2 s[8:9], s[4:5], 0x4
	s_load_dword s7, s[4:5], 0xc
	s_load_dwordx2 s[10:11], s[2:3], 0x0
	s_add_u32 s4, s4, 12
	s_addc_u32 s5, s5, 0
	s_waitcnt lgkmcnt(0)
	v_mul_hi_u32 v7, s9, v4
	s_add_u32 s2, s2, 8
	s_addc_u32 s3, s3, 0
	s_add_i32 s6, s6, -1
	v_add_u32_e32 v7, v4, v7
	v_lshrrev_b32_e32 v7, s7, v7
	v_mul_lo_u32 v10, v7, s8
	s_cmp_lg_u32 s6, 0
	v_sub_u32_e32 v4, v4, v10
	v_mad_u64_u32 v[12:13], s[8:9], v4, s10, v[12:13]
	v_mad_u64_u32 v[14:15], s[8:9], v4, s11, v[14:15]
	v_mov_b32_e32 v4, v7
	s_cbranch_scc1 .LBB37_82
.LBB37_83:
	s_cbranch_execnz .LBB37_86
.LBB37_84:
	s_load_dwordx4 s[4:7], s[34:35], 0x4
	s_load_dwordx2 s[2:3], s[34:35], 0xc4
	s_cmp_lt_u32 s33, 2
	s_waitcnt lgkmcnt(0)
	v_mul_hi_u32 v4, s5, v1
	v_add_u32_e32 v4, v1, v4
	v_lshrrev_b32_e32 v4, s6, v4
	v_mul_lo_u32 v7, v4, s4
	v_sub_u32_e32 v1, v1, v7
	v_mul_lo_u32 v12, v1, s2
	v_mul_lo_u32 v14, v1, s3
	s_cbranch_scc1 .LBB37_86
; %bb.85:
	s_load_dwordx4 s[4:7], s[34:35], 0x10
	s_load_dwordx2 s[2:3], s[34:35], 0xcc
	s_waitcnt lgkmcnt(0)
	v_mul_hi_u32 v1, s5, v4
	v_add_u32_e32 v1, v4, v1
	v_lshrrev_b32_e32 v1, s6, v1
	v_mul_lo_u32 v1, v1, s4
	v_sub_u32_e32 v1, v4, v1
	v_mad_u64_u32 v[12:13], s[4:5], v1, s2, v[12:13]
	v_mad_u64_u32 v[14:15], s[2:3], v1, s3, v[14:15]
.LBB37_86:
	s_and_b64 vcc, exec, s[0:1]
	v_add_u32_e32 v1, 0x280, v19
	s_cbranch_vccnz .LBB37_92
; %bb.87:
	s_cmp_lg_u32 s33, 0
	s_mov_b32 s26, 0
	s_cbranch_scc0 .LBB37_93
; %bb.88:
	s_min_u32 s27, s54, 15
	s_add_i32 s27, s27, 1
	s_cmp_eq_u32 s54, 2
	s_cbranch_scc1 .LBB37_94
; %bb.89:
	s_and_b32 s26, s27, 28
	s_add_u32 s2, s34, 0xc4
	s_addc_u32 s3, s35, 0
	v_mov_b32_e32 v17, 0
	s_mov_b32 s28, 0
	s_mov_b64 s[24:25], s[34:35]
	v_mov_b32_e32 v15, 0
	v_mov_b32_e32 v4, v1
.LBB37_90:                              ; =>This Inner Loop Header: Depth=1
	s_load_dwordx8 s[12:19], s[24:25], 0x4
	s_load_dwordx4 s[20:23], s[24:25], 0x24
	s_load_dwordx8 s[4:11], s[2:3], 0x0
	s_add_u32 s24, s24, 48
	s_addc_u32 s25, s25, 0
	s_waitcnt lgkmcnt(0)
	v_mul_hi_u32 v7, s13, v4
	s_add_i32 s28, s28, 4
	s_add_u32 s2, s2, 32
	s_addc_u32 s3, s3, 0
	v_add_u32_e32 v7, v4, v7
	v_lshrrev_b32_e32 v7, s14, v7
	v_mul_lo_u32 v10, v7, s12
	v_mul_hi_u32 v13, s16, v7
	s_cmp_lg_u32 s26, s28
	v_sub_u32_e32 v4, v4, v10
	v_add_u32_e32 v10, v7, v13
	v_mul_lo_u32 v13, v4, s4
	v_mul_lo_u32 v16, v4, s5
	v_lshrrev_b32_e32 v4, s17, v10
	v_mul_lo_u32 v10, v4, s15
	v_mul_hi_u32 v18, s19, v4
	v_sub_u32_e32 v7, v7, v10
	v_add_u32_e32 v10, v4, v18
	v_lshrrev_b32_e32 v10, s20, v10
	v_mul_hi_u32 v20, s22, v10
	v_mul_lo_u32 v21, v10, s18
	v_mul_lo_u32 v18, v7, s6
	;; [unrolled: 1-line block ×3, first 2 shown]
	v_sub_u32_e32 v21, v4, v21
	v_add_u32_e32 v4, v10, v20
	v_lshrrev_b32_e32 v4, s23, v4
	v_mul_lo_u32 v20, v4, s21
	v_mul_lo_u32 v22, v21, s8
	;; [unrolled: 1-line block ×3, first 2 shown]
	v_add3_u32 v13, v13, v15, v18
	v_sub_u32_e32 v10, v10, v20
	v_mul_lo_u32 v20, v10, s10
	v_mul_lo_u32 v10, v10, s11
	v_add3_u32 v7, v16, v17, v7
	v_add3_u32 v15, v22, v13, v20
	;; [unrolled: 1-line block ×3, first 2 shown]
	s_cbranch_scc1 .LBB37_90
; %bb.91:
	s_and_b32 s6, s27, 3
	s_cmp_eq_u32 s6, 0
	s_cbranch_scc0 .LBB37_95
	s_branch .LBB37_97
.LBB37_92:
                                        ; implicit-def: $vgpr15
                                        ; implicit-def: $vgpr17
	s_branch .LBB37_98
.LBB37_93:
	v_mov_b32_e32 v15, 0
	v_mov_b32_e32 v17, 0
	s_branch .LBB37_97
.LBB37_94:
	v_mov_b32_e32 v15, 0
	v_mov_b32_e32 v17, 0
	v_mov_b32_e32 v4, v1
	s_and_b32 s6, s27, 3
	s_cmp_eq_u32 s6, 0
	s_cbranch_scc1 .LBB37_97
.LBB37_95:
	s_lshl_b32 s2, s26, 3
	s_add_u32 s2, s34, s2
	s_addc_u32 s3, s35, 0
	s_add_u32 s2, s2, 0xc4
	s_addc_u32 s3, s3, 0
	s_mul_i32 s4, s26, 12
	s_add_u32 s4, s34, s4
	s_addc_u32 s5, s35, 0
.LBB37_96:                              ; =>This Inner Loop Header: Depth=1
	s_load_dwordx2 s[8:9], s[4:5], 0x4
	s_load_dword s7, s[4:5], 0xc
	s_load_dwordx2 s[10:11], s[2:3], 0x0
	s_add_u32 s4, s4, 12
	s_addc_u32 s5, s5, 0
	s_waitcnt lgkmcnt(0)
	v_mul_hi_u32 v7, s9, v4
	s_add_u32 s2, s2, 8
	s_addc_u32 s3, s3, 0
	s_add_i32 s6, s6, -1
	v_add_u32_e32 v7, v4, v7
	v_lshrrev_b32_e32 v7, s7, v7
	v_mul_lo_u32 v10, v7, s8
	s_cmp_lg_u32 s6, 0
	v_sub_u32_e32 v4, v4, v10
	v_mad_u64_u32 v[15:16], s[8:9], v4, s10, v[15:16]
	v_mad_u64_u32 v[17:18], s[8:9], v4, s11, v[17:18]
	v_mov_b32_e32 v4, v7
	s_cbranch_scc1 .LBB37_96
.LBB37_97:
	s_cbranch_execnz .LBB37_100
.LBB37_98:
	s_load_dwordx4 s[4:7], s[34:35], 0x4
	s_load_dwordx2 s[2:3], s[34:35], 0xc4
	s_cmp_lt_u32 s33, 2
	s_waitcnt lgkmcnt(0)
	v_mul_hi_u32 v4, s5, v1
	v_add_u32_e32 v4, v1, v4
	v_lshrrev_b32_e32 v4, s6, v4
	v_mul_lo_u32 v7, v4, s4
	v_sub_u32_e32 v1, v1, v7
	v_mul_lo_u32 v15, v1, s2
	v_mul_lo_u32 v17, v1, s3
	s_cbranch_scc1 .LBB37_100
; %bb.99:
	s_load_dwordx4 s[4:7], s[34:35], 0x10
	s_load_dwordx2 s[2:3], s[34:35], 0xcc
	s_waitcnt lgkmcnt(0)
	v_mul_hi_u32 v1, s5, v4
	v_add_u32_e32 v1, v4, v1
	v_lshrrev_b32_e32 v1, s6, v1
	v_mul_lo_u32 v1, v1, s4
	v_sub_u32_e32 v1, v4, v1
	v_mad_u64_u32 v[15:16], s[4:5], v1, s2, v[15:16]
	v_mad_u64_u32 v[17:18], s[2:3], v1, s3, v[17:18]
.LBB37_100:
	s_and_b64 vcc, exec, s[0:1]
	v_add_u32_e32 v1, 0x300, v19
	s_cbranch_vccnz .LBB37_106
; %bb.101:
	s_cmp_lg_u32 s33, 0
	s_mov_b32 s26, 0
	s_cbranch_scc0 .LBB37_107
; %bb.102:
	s_min_u32 s27, s54, 15
	s_add_i32 s27, s27, 1
	s_cmp_eq_u32 s54, 2
	s_cbranch_scc1 .LBB37_108
; %bb.103:
	s_and_b32 s26, s27, 28
	s_add_u32 s2, s34, 0xc4
	s_addc_u32 s3, s35, 0
	v_mov_b32_e32 v20, 0
	s_mov_b32 s28, 0
	s_mov_b64 s[24:25], s[34:35]
	v_mov_b32_e32 v18, 0
	v_mov_b32_e32 v4, v1
.LBB37_104:                             ; =>This Inner Loop Header: Depth=1
	s_load_dwordx8 s[12:19], s[24:25], 0x4
	s_load_dwordx4 s[20:23], s[24:25], 0x24
	s_load_dwordx8 s[4:11], s[2:3], 0x0
	s_add_u32 s24, s24, 48
	s_addc_u32 s25, s25, 0
	s_waitcnt lgkmcnt(0)
	v_mul_hi_u32 v7, s13, v4
	s_add_i32 s28, s28, 4
	s_add_u32 s2, s2, 32
	s_addc_u32 s3, s3, 0
	v_add_u32_e32 v7, v4, v7
	v_lshrrev_b32_e32 v7, s14, v7
	v_mul_lo_u32 v10, v7, s12
	v_mul_hi_u32 v13, s16, v7
	s_cmp_lg_u32 s26, s28
	v_sub_u32_e32 v4, v4, v10
	v_add_u32_e32 v10, v7, v13
	v_mul_lo_u32 v13, v4, s4
	v_mul_lo_u32 v16, v4, s5
	v_lshrrev_b32_e32 v4, s17, v10
	v_mul_lo_u32 v10, v4, s15
	v_mul_hi_u32 v19, s19, v4
	v_sub_u32_e32 v7, v7, v10
	v_add_u32_e32 v10, v4, v19
	v_lshrrev_b32_e32 v10, s20, v10
	v_mul_hi_u32 v21, s22, v10
	v_mul_lo_u32 v22, v10, s18
	v_mul_lo_u32 v19, v7, s6
	;; [unrolled: 1-line block ×3, first 2 shown]
	v_sub_u32_e32 v22, v4, v22
	v_add_u32_e32 v4, v10, v21
	v_lshrrev_b32_e32 v4, s23, v4
	v_mul_lo_u32 v21, v4, s21
	v_mul_lo_u32 v23, v22, s8
	v_mul_lo_u32 v22, v22, s9
	v_add3_u32 v13, v13, v18, v19
	v_sub_u32_e32 v10, v10, v21
	v_mul_lo_u32 v21, v10, s10
	v_mul_lo_u32 v10, v10, s11
	v_add3_u32 v7, v16, v20, v7
	v_add3_u32 v18, v23, v13, v21
	;; [unrolled: 1-line block ×3, first 2 shown]
	s_cbranch_scc1 .LBB37_104
; %bb.105:
	s_and_b32 s6, s27, 3
	s_cmp_eq_u32 s6, 0
	s_cbranch_scc0 .LBB37_109
	s_branch .LBB37_111
.LBB37_106:
                                        ; implicit-def: $vgpr18
                                        ; implicit-def: $vgpr20
	s_branch .LBB37_112
.LBB37_107:
	v_mov_b32_e32 v18, 0
	v_mov_b32_e32 v20, 0
	s_branch .LBB37_111
.LBB37_108:
	v_mov_b32_e32 v18, 0
	v_mov_b32_e32 v20, 0
	v_mov_b32_e32 v4, v1
	s_and_b32 s6, s27, 3
	s_cmp_eq_u32 s6, 0
	s_cbranch_scc1 .LBB37_111
.LBB37_109:
	s_lshl_b32 s2, s26, 3
	s_add_u32 s2, s34, s2
	s_addc_u32 s3, s35, 0
	s_add_u32 s2, s2, 0xc4
	s_addc_u32 s3, s3, 0
	s_mul_i32 s4, s26, 12
	s_add_u32 s4, s34, s4
	s_addc_u32 s5, s35, 0
.LBB37_110:                             ; =>This Inner Loop Header: Depth=1
	s_load_dwordx2 s[8:9], s[4:5], 0x4
	s_load_dword s7, s[4:5], 0xc
	s_load_dwordx2 s[10:11], s[2:3], 0x0
	s_add_u32 s4, s4, 12
	s_addc_u32 s5, s5, 0
	s_waitcnt lgkmcnt(0)
	v_mul_hi_u32 v7, s9, v4
	s_add_u32 s2, s2, 8
	s_addc_u32 s3, s3, 0
	s_add_i32 s6, s6, -1
	v_add_u32_e32 v7, v4, v7
	v_lshrrev_b32_e32 v7, s7, v7
	v_mul_lo_u32 v10, v7, s8
	s_cmp_lg_u32 s6, 0
	v_sub_u32_e32 v4, v4, v10
	v_mad_u64_u32 v[18:19], s[8:9], v4, s10, v[18:19]
	v_mad_u64_u32 v[20:21], s[8:9], v4, s11, v[20:21]
	v_mov_b32_e32 v4, v7
	s_cbranch_scc1 .LBB37_110
.LBB37_111:
	s_cbranch_execnz .LBB37_114
.LBB37_112:
	s_load_dwordx4 s[4:7], s[34:35], 0x4
	s_load_dwordx2 s[2:3], s[34:35], 0xc4
	s_cmp_lt_u32 s33, 2
	s_waitcnt lgkmcnt(0)
	v_mul_hi_u32 v4, s5, v1
	v_add_u32_e32 v4, v1, v4
	v_lshrrev_b32_e32 v4, s6, v4
	v_mul_lo_u32 v7, v4, s4
	v_sub_u32_e32 v1, v1, v7
	v_mul_lo_u32 v18, v1, s2
	v_mul_lo_u32 v20, v1, s3
	s_cbranch_scc1 .LBB37_114
; %bb.113:
	s_load_dwordx4 s[4:7], s[34:35], 0x10
	s_load_dwordx2 s[2:3], s[34:35], 0xcc
	s_waitcnt lgkmcnt(0)
	v_mul_hi_u32 v1, s5, v4
	v_add_u32_e32 v1, v4, v1
	v_lshrrev_b32_e32 v1, s6, v1
	v_mul_lo_u32 v1, v1, s4
	v_sub_u32_e32 v1, v4, v1
	v_mad_u64_u32 v[18:19], s[4:5], v1, s2, v[18:19]
	v_mad_u64_u32 v[20:21], s[2:3], v1, s3, v[20:21]
.LBB37_114:
	s_and_b64 vcc, exec, s[0:1]
	s_cbranch_vccnz .LBB37_120
; %bb.115:
	s_cmp_lg_u32 s33, 0
	s_mov_b32 s24, 0
	s_cbranch_scc0 .LBB37_121
; %bb.116:
	s_min_u32 s25, s54, 15
	s_add_i32 s25, s25, 1
	s_cmp_eq_u32 s54, 2
	s_cbranch_scc1 .LBB37_122
; %bb.117:
	s_and_b32 s24, s25, 28
	s_add_u32 s20, s34, 0xc4
	s_addc_u32 s21, s35, 0
	v_mov_b32_e32 v23, 0
	s_mov_b32 s26, 0
	s_mov_b64 s[22:23], s[34:35]
	v_mov_b32_e32 v21, 0
	v_mov_b32_e32 v1, v25
.LBB37_118:                             ; =>This Inner Loop Header: Depth=1
	s_load_dwordx8 s[8:15], s[22:23], 0x4
	s_load_dwordx4 s[16:19], s[22:23], 0x24
	s_load_dwordx8 s[0:7], s[20:21], 0x0
	s_add_u32 s22, s22, 48
	s_addc_u32 s23, s23, 0
	s_waitcnt lgkmcnt(0)
	v_mul_hi_u32 v4, s9, v1
	s_add_i32 s26, s26, 4
	s_add_u32 s20, s20, 32
	s_addc_u32 s21, s21, 0
	v_add_u32_e32 v4, v1, v4
	v_lshrrev_b32_e32 v4, s10, v4
	v_mul_lo_u32 v7, v4, s8
	v_mul_hi_u32 v10, s12, v4
	s_cmp_lg_u32 s24, s26
	v_sub_u32_e32 v1, v1, v7
	v_add_u32_e32 v7, v4, v10
	v_mul_lo_u32 v10, v1, s0
	v_mul_lo_u32 v13, v1, s1
	v_lshrrev_b32_e32 v1, s13, v7
	v_mul_lo_u32 v7, v1, s11
	v_mul_hi_u32 v16, s15, v1
	v_sub_u32_e32 v4, v4, v7
	v_add_u32_e32 v7, v1, v16
	v_lshrrev_b32_e32 v7, s16, v7
	v_mul_hi_u32 v19, s18, v7
	v_mul_lo_u32 v22, v7, s14
	v_mul_lo_u32 v16, v4, s2
	;; [unrolled: 1-line block ×3, first 2 shown]
	v_sub_u32_e32 v22, v1, v22
	v_add_u32_e32 v1, v7, v19
	v_lshrrev_b32_e32 v1, s19, v1
	v_mul_lo_u32 v19, v1, s17
	v_mul_lo_u32 v24, v22, s4
	;; [unrolled: 1-line block ×3, first 2 shown]
	v_add3_u32 v10, v10, v21, v16
	v_sub_u32_e32 v7, v7, v19
	v_mul_lo_u32 v19, v7, s6
	v_mul_lo_u32 v7, v7, s7
	v_add3_u32 v4, v13, v23, v4
	v_add3_u32 v21, v24, v10, v19
	;; [unrolled: 1-line block ×3, first 2 shown]
	s_cbranch_scc1 .LBB37_118
; %bb.119:
	s_and_b32 s4, s25, 3
	s_cmp_eq_u32 s4, 0
	s_cbranch_scc0 .LBB37_123
	s_branch .LBB37_125
.LBB37_120:
                                        ; implicit-def: $vgpr21
                                        ; implicit-def: $vgpr23
	s_branch .LBB37_126
.LBB37_121:
	v_mov_b32_e32 v21, 0
	v_mov_b32_e32 v23, 0
	s_branch .LBB37_125
.LBB37_122:
	v_mov_b32_e32 v21, 0
	v_mov_b32_e32 v23, 0
	;; [unrolled: 1-line block ×3, first 2 shown]
	s_and_b32 s4, s25, 3
	s_cmp_eq_u32 s4, 0
	s_cbranch_scc1 .LBB37_125
.LBB37_123:
	s_lshl_b32 s0, s24, 3
	s_add_u32 s0, s34, s0
	s_addc_u32 s1, s35, 0
	s_add_u32 s0, s0, 0xc4
	s_addc_u32 s1, s1, 0
	s_mul_i32 s2, s24, 12
	s_add_u32 s2, s34, s2
	s_addc_u32 s3, s35, 0
.LBB37_124:                             ; =>This Inner Loop Header: Depth=1
	s_load_dwordx2 s[6:7], s[2:3], 0x4
	s_load_dword s5, s[2:3], 0xc
	s_load_dwordx2 s[8:9], s[0:1], 0x0
	s_add_u32 s2, s2, 12
	s_addc_u32 s3, s3, 0
	s_waitcnt lgkmcnt(0)
	v_mul_hi_u32 v4, s7, v1
	s_add_u32 s0, s0, 8
	s_addc_u32 s1, s1, 0
	s_add_i32 s4, s4, -1
	v_add_u32_e32 v4, v1, v4
	v_lshrrev_b32_e32 v4, s5, v4
	v_mul_lo_u32 v7, v4, s6
	s_cmp_lg_u32 s4, 0
	v_sub_u32_e32 v1, v1, v7
	v_mad_u64_u32 v[21:22], s[6:7], v1, s8, v[21:22]
	v_mad_u64_u32 v[23:24], s[6:7], v1, s9, v[23:24]
	v_mov_b32_e32 v1, v4
	s_cbranch_scc1 .LBB37_124
.LBB37_125:
	s_cbranch_execnz .LBB37_128
.LBB37_126:
	s_load_dwordx4 s[0:3], s[34:35], 0x4
	s_load_dwordx2 s[4:5], s[34:35], 0xc4
	s_cmp_lt_u32 s33, 2
	s_waitcnt lgkmcnt(0)
	v_mul_hi_u32 v1, s1, v25
	v_add_u32_e32 v1, v25, v1
	v_lshrrev_b32_e32 v1, s2, v1
	v_mul_lo_u32 v4, v1, s0
	v_sub_u32_e32 v4, v25, v4
	v_mul_lo_u32 v21, v4, s4
	v_mul_lo_u32 v23, v4, s5
	s_cbranch_scc1 .LBB37_128
; %bb.127:
	s_load_dwordx4 s[0:3], s[34:35], 0x10
	s_load_dwordx2 s[4:5], s[34:35], 0xcc
	s_waitcnt lgkmcnt(0)
	v_mul_hi_u32 v4, s1, v1
	v_add_u32_e32 v4, v1, v4
	v_lshrrev_b32_e32 v4, s2, v4
	v_mul_lo_u32 v4, v4, s0
	v_sub_u32_e32 v1, v1, v4
	v_mad_u64_u32 v[21:22], s[0:1], v1, s4, v[21:22]
	v_mad_u64_u32 v[23:24], s[0:1], v1, s5, v[23:24]
.LBB37_128:
	s_load_dwordx4 s[4:7], s[34:35], 0x148
	s_load_dword s0, s[34:35], 0x158
	s_waitcnt lgkmcnt(0)
	global_load_sbyte v1, v20, s[6:7]
	global_load_sbyte v4, v17, s[6:7]
	global_load_sbyte v7, v23, s[6:7]
	global_load_sbyte v10, v2, s[6:7]
	global_load_sbyte v13, v5, s[6:7]
	global_load_sbyte v16, v8, s[6:7]
	global_load_sbyte v19, v11, s[6:7]
	global_load_sbyte v22, v14, s[6:7]
	s_bfe_i32 s6, s0, 0x80000
	s_lshr_b32 s1, s0, 8
	s_lshr_b32 s0, s0, 16
	v_mov_b32_e32 v2, s1
	v_mov_b32_e32 v5, s0
	s_waitcnt vmcnt(7)
	v_cmp_lt_i16_e32 vcc, s6, v1
	s_waitcnt vmcnt(5)
	v_cmp_lt_i16_e64 s[0:1], s6, v7
	s_waitcnt vmcnt(4)
	v_cmp_lt_i16_e64 s[2:3], s6, v10
	v_cndmask_b32_e64 v1, v2, v5, s[2:3]
	s_waitcnt vmcnt(3)
	v_cmp_lt_i16_e64 s[2:3], s6, v13
	v_cndmask_b32_e64 v7, v2, v5, s[2:3]
	;; [unrolled: 3-line block ×5, first 2 shown]
	v_cmp_lt_i16_e64 s[2:3], s6, v4
	v_cndmask_b32_e64 v4, v2, v5, s[2:3]
	v_cndmask_b32_e32 v13, v2, v5, vcc
	v_cndmask_b32_e64 v2, v2, v5, s[0:1]
	global_store_byte v0, v1, s[4:5]
	global_store_byte v3, v7, s[4:5]
	global_store_byte v6, v8, s[4:5]
	global_store_byte v9, v10, s[4:5]
	global_store_byte v12, v11, s[4:5]
	global_store_byte v15, v4, s[4:5]
	global_store_byte v18, v13, s[4:5]
	global_store_byte v21, v2, s[4:5]
	s_endpgm
.LBB37_129:
	v_mov_b32_e32 v0, 0
	v_mov_b32_e32 v2, 0
	s_branch .LBB37_135
.LBB37_130:
	v_mov_b32_e32 v0, 0
	v_mov_b32_e32 v2, 0
	s_branch .LBB37_151
.LBB37_131:
	s_mov_b32 s60, 0
	v_mov_b32_e32 v0, 0
	v_mov_b32_e32 v2, 0
	v_mov_b32_e32 v1, v19
.LBB37_132:
	s_and_b32 s4, s61, 3
	s_cmp_eq_u32 s4, 0
	s_cbranch_scc1 .LBB37_135
; %bb.133:
	s_lshl_b32 s0, s60, 3
	s_add_u32 s0, s34, s0
	s_addc_u32 s1, s35, 0
	s_add_u32 s0, s0, 0xc4
	s_addc_u32 s1, s1, 0
	s_mul_i32 s2, s60, 12
	s_add_u32 s2, s34, s2
	s_addc_u32 s3, s35, 0
.LBB37_134:                             ; =>This Inner Loop Header: Depth=1
	s_load_dwordx2 s[6:7], s[2:3], 0x4
	s_load_dword s5, s[2:3], 0xc
	s_load_dwordx2 s[8:9], s[0:1], 0x0
	s_add_u32 s2, s2, 12
	s_addc_u32 s3, s3, 0
	s_waitcnt lgkmcnt(0)
	v_mul_hi_u32 v3, s7, v1
	s_add_u32 s0, s0, 8
	s_addc_u32 s1, s1, 0
	s_add_i32 s4, s4, -1
	v_add_u32_e32 v3, v1, v3
	v_lshrrev_b32_e32 v4, s5, v3
	v_mul_lo_u32 v3, v4, s6
	s_cmp_lg_u32 s4, 0
	v_sub_u32_e32 v3, v1, v3
	v_mad_u64_u32 v[0:1], s[6:7], v3, s8, v[0:1]
	v_mad_u64_u32 v[2:3], s[6:7], v3, s9, v[2:3]
	v_mov_b32_e32 v1, v4
	s_cbranch_scc1 .LBB37_134
.LBB37_135:
	s_cbranch_execnz .LBB37_138
.LBB37_136:
	v_mul_hi_u32 v0, s21, v19
	s_andn2_b64 vcc, exec, s[42:43]
	v_add_u32_e32 v0, v19, v0
	v_lshrrev_b32_e32 v1, s22, v0
	v_mul_lo_u32 v0, v1, s20
	v_sub_u32_e32 v2, v19, v0
	v_mul_lo_u32 v0, v2, s24
	v_mul_lo_u32 v2, v2, s25
	s_cbranch_vccnz .LBB37_138
; %bb.137:
	v_mul_hi_u32 v3, s40, v1
	v_add_u32_e32 v3, v1, v3
	v_lshrrev_b32_e32 v3, s41, v3
	v_mul_lo_u32 v3, v3, s23
	v_sub_u32_e32 v3, v1, v3
	v_mad_u64_u32 v[0:1], s[0:1], v3, s26, v[0:1]
	v_mad_u64_u32 v[2:3], s[0:1], v3, s27, v[2:3]
.LBB37_138:
	global_load_sbyte v1, v2, s[18:19]
	v_mov_b32_e32 v2, s56
	v_mov_b32_e32 v3, s57
	v_add_u32_e32 v19, 0x80, v19
	s_waitcnt vmcnt(0)
	v_cmp_lt_i16_e32 vcc, s55, v1
	v_cndmask_b32_e32 v1, v2, v3, vcc
	global_store_byte v0, v1, s[16:17]
	s_or_b64 exec, exec, s[48:49]
	v_cmp_gt_i32_e32 vcc, s58, v19
	s_and_saveexec_b64 s[48:49], vcc
	s_cbranch_execnz .LBB37_15
.LBB37_139:
	s_or_b64 exec, exec, s[48:49]
	v_cmp_gt_i32_e32 vcc, s58, v19
	s_and_saveexec_b64 s[48:49], vcc
	s_cbranch_execz .LBB37_155
.LBB37_140:
	s_andn2_b64 vcc, exec, s[36:37]
	s_cbranch_vccnz .LBB37_145
; %bb.141:
	s_andn2_b64 vcc, exec, s[46:47]
	s_cbranch_vccnz .LBB37_146
; %bb.142:
	s_add_i32 s61, s59, 1
	s_cmp_eq_u32 s54, 2
	s_cbranch_scc1 .LBB37_163
; %bb.143:
	s_and_b32 s60, s61, 28
	v_mov_b32_e32 v2, 0
	s_mov_b32 s62, 0
	s_mov_b64 s[50:51], s[34:35]
	s_mov_b64 s[52:53], s[44:45]
	v_mov_b32_e32 v0, 0
	v_mov_b32_e32 v1, v19
.LBB37_144:                             ; =>This Inner Loop Header: Depth=1
	s_load_dwordx8 s[8:15], s[50:51], 0x4
	s_load_dwordx4 s[28:31], s[50:51], 0x24
	s_load_dwordx8 s[0:7], s[52:53], 0x0
	s_add_u32 s50, s50, 48
	s_addc_u32 s51, s51, 0
	s_waitcnt lgkmcnt(0)
	v_mul_hi_u32 v3, s9, v1
	s_add_i32 s62, s62, 4
	s_add_u32 s52, s52, 32
	s_addc_u32 s53, s53, 0
	v_add_u32_e32 v3, v1, v3
	v_lshrrev_b32_e32 v3, s10, v3
	v_mul_lo_u32 v4, v3, s8
	v_mul_hi_u32 v5, s12, v3
	s_cmp_eq_u32 s60, s62
	v_sub_u32_e32 v1, v1, v4
	v_add_u32_e32 v4, v3, v5
	v_mul_lo_u32 v5, v1, s0
	v_mul_lo_u32 v6, v1, s1
	v_lshrrev_b32_e32 v1, s13, v4
	v_mul_lo_u32 v4, v1, s11
	v_mul_hi_u32 v7, s15, v1
	v_sub_u32_e32 v3, v3, v4
	v_add_u32_e32 v4, v1, v7
	v_lshrrev_b32_e32 v4, s28, v4
	v_mul_hi_u32 v8, s30, v4
	v_mul_lo_u32 v9, v4, s14
	v_mul_lo_u32 v7, v3, s2
	;; [unrolled: 1-line block ×3, first 2 shown]
	v_sub_u32_e32 v9, v1, v9
	v_add_u32_e32 v1, v4, v8
	v_lshrrev_b32_e32 v1, s31, v1
	v_mul_lo_u32 v8, v1, s29
	v_mul_lo_u32 v10, v9, s4
	;; [unrolled: 1-line block ×3, first 2 shown]
	v_add3_u32 v0, v5, v0, v7
	v_sub_u32_e32 v4, v4, v8
	v_mul_lo_u32 v8, v4, s6
	v_mul_lo_u32 v4, v4, s7
	v_add3_u32 v2, v6, v2, v3
	v_add3_u32 v0, v10, v0, v8
	;; [unrolled: 1-line block ×3, first 2 shown]
	s_cbranch_scc0 .LBB37_144
	s_branch .LBB37_164
.LBB37_145:
                                        ; implicit-def: $vgpr0
                                        ; implicit-def: $vgpr2
	s_branch .LBB37_168
.LBB37_146:
	v_mov_b32_e32 v0, 0
	v_mov_b32_e32 v2, 0
	s_branch .LBB37_167
.LBB37_147:
	s_mov_b32 s60, 0
	v_mov_b32_e32 v0, 0
	v_mov_b32_e32 v2, 0
	;; [unrolled: 1-line block ×3, first 2 shown]
.LBB37_148:
	s_and_b32 s4, s61, 3
	s_cmp_eq_u32 s4, 0
	s_cbranch_scc1 .LBB37_151
; %bb.149:
	s_lshl_b32 s0, s60, 3
	s_add_u32 s0, s34, s0
	s_addc_u32 s1, s35, 0
	s_add_u32 s0, s0, 0xc4
	s_addc_u32 s1, s1, 0
	s_mul_i32 s2, s60, 12
	s_add_u32 s2, s34, s2
	s_addc_u32 s3, s35, 0
.LBB37_150:                             ; =>This Inner Loop Header: Depth=1
	s_load_dwordx2 s[6:7], s[2:3], 0x4
	s_load_dword s5, s[2:3], 0xc
	s_load_dwordx2 s[8:9], s[0:1], 0x0
	s_add_u32 s2, s2, 12
	s_addc_u32 s3, s3, 0
	s_waitcnt lgkmcnt(0)
	v_mul_hi_u32 v3, s7, v1
	s_add_u32 s0, s0, 8
	s_addc_u32 s1, s1, 0
	s_add_i32 s4, s4, -1
	v_add_u32_e32 v3, v1, v3
	v_lshrrev_b32_e32 v4, s5, v3
	v_mul_lo_u32 v3, v4, s6
	s_cmp_lg_u32 s4, 0
	v_sub_u32_e32 v3, v1, v3
	v_mad_u64_u32 v[0:1], s[6:7], v3, s8, v[0:1]
	v_mad_u64_u32 v[2:3], s[6:7], v3, s9, v[2:3]
	v_mov_b32_e32 v1, v4
	s_cbranch_scc1 .LBB37_150
.LBB37_151:
	s_cbranch_execnz .LBB37_154
.LBB37_152:
	v_mul_hi_u32 v0, s21, v19
	s_andn2_b64 vcc, exec, s[42:43]
	v_add_u32_e32 v0, v19, v0
	v_lshrrev_b32_e32 v1, s22, v0
	v_mul_lo_u32 v0, v1, s20
	v_sub_u32_e32 v2, v19, v0
	v_mul_lo_u32 v0, v2, s24
	v_mul_lo_u32 v2, v2, s25
	s_cbranch_vccnz .LBB37_154
; %bb.153:
	v_mul_hi_u32 v3, s40, v1
	v_add_u32_e32 v3, v1, v3
	v_lshrrev_b32_e32 v3, s41, v3
	v_mul_lo_u32 v3, v3, s23
	v_sub_u32_e32 v3, v1, v3
	v_mad_u64_u32 v[0:1], s[0:1], v3, s26, v[0:1]
	v_mad_u64_u32 v[2:3], s[0:1], v3, s27, v[2:3]
.LBB37_154:
	global_load_sbyte v1, v2, s[18:19]
	v_mov_b32_e32 v2, s56
	v_mov_b32_e32 v3, s57
	v_add_u32_e32 v19, 0x80, v19
	s_waitcnt vmcnt(0)
	v_cmp_lt_i16_e32 vcc, s55, v1
	v_cndmask_b32_e32 v1, v2, v3, vcc
	global_store_byte v0, v1, s[16:17]
	s_or_b64 exec, exec, s[48:49]
	v_cmp_gt_i32_e32 vcc, s58, v19
	s_and_saveexec_b64 s[48:49], vcc
	s_cbranch_execnz .LBB37_140
.LBB37_155:
	s_or_b64 exec, exec, s[48:49]
	v_cmp_gt_i32_e32 vcc, s58, v19
	s_and_saveexec_b64 s[48:49], vcc
	s_cbranch_execz .LBB37_171
.LBB37_156:
	s_andn2_b64 vcc, exec, s[36:37]
	s_cbranch_vccnz .LBB37_161
; %bb.157:
	s_andn2_b64 vcc, exec, s[46:47]
	s_cbranch_vccnz .LBB37_162
; %bb.158:
	s_add_i32 s61, s59, 1
	s_cmp_eq_u32 s54, 2
	s_cbranch_scc1 .LBB37_179
; %bb.159:
	s_and_b32 s60, s61, 28
	v_mov_b32_e32 v2, 0
	s_mov_b32 s62, 0
	s_mov_b64 s[50:51], s[34:35]
	s_mov_b64 s[52:53], s[44:45]
	v_mov_b32_e32 v0, 0
	v_mov_b32_e32 v1, v19
.LBB37_160:                             ; =>This Inner Loop Header: Depth=1
	s_load_dwordx8 s[8:15], s[50:51], 0x4
	s_load_dwordx4 s[28:31], s[50:51], 0x24
	s_load_dwordx8 s[0:7], s[52:53], 0x0
	s_add_u32 s50, s50, 48
	s_addc_u32 s51, s51, 0
	s_waitcnt lgkmcnt(0)
	v_mul_hi_u32 v3, s9, v1
	s_add_i32 s62, s62, 4
	s_add_u32 s52, s52, 32
	s_addc_u32 s53, s53, 0
	v_add_u32_e32 v3, v1, v3
	v_lshrrev_b32_e32 v3, s10, v3
	v_mul_lo_u32 v4, v3, s8
	v_mul_hi_u32 v5, s12, v3
	s_cmp_eq_u32 s60, s62
	v_sub_u32_e32 v1, v1, v4
	v_add_u32_e32 v4, v3, v5
	v_mul_lo_u32 v5, v1, s0
	v_mul_lo_u32 v6, v1, s1
	v_lshrrev_b32_e32 v1, s13, v4
	v_mul_lo_u32 v4, v1, s11
	v_mul_hi_u32 v7, s15, v1
	v_sub_u32_e32 v3, v3, v4
	v_add_u32_e32 v4, v1, v7
	v_lshrrev_b32_e32 v4, s28, v4
	v_mul_hi_u32 v8, s30, v4
	v_mul_lo_u32 v9, v4, s14
	v_mul_lo_u32 v7, v3, s2
	;; [unrolled: 1-line block ×3, first 2 shown]
	v_sub_u32_e32 v9, v1, v9
	v_add_u32_e32 v1, v4, v8
	v_lshrrev_b32_e32 v1, s31, v1
	v_mul_lo_u32 v8, v1, s29
	v_mul_lo_u32 v10, v9, s4
	v_mul_lo_u32 v9, v9, s5
	v_add3_u32 v0, v5, v0, v7
	v_sub_u32_e32 v4, v4, v8
	v_mul_lo_u32 v8, v4, s6
	v_mul_lo_u32 v4, v4, s7
	v_add3_u32 v2, v6, v2, v3
	v_add3_u32 v0, v10, v0, v8
	;; [unrolled: 1-line block ×3, first 2 shown]
	s_cbranch_scc0 .LBB37_160
	s_branch .LBB37_180
.LBB37_161:
                                        ; implicit-def: $vgpr0
                                        ; implicit-def: $vgpr2
	s_branch .LBB37_184
.LBB37_162:
	v_mov_b32_e32 v0, 0
	v_mov_b32_e32 v2, 0
	s_branch .LBB37_183
.LBB37_163:
	s_mov_b32 s60, 0
	v_mov_b32_e32 v0, 0
	v_mov_b32_e32 v2, 0
	;; [unrolled: 1-line block ×3, first 2 shown]
.LBB37_164:
	s_and_b32 s4, s61, 3
	s_cmp_eq_u32 s4, 0
	s_cbranch_scc1 .LBB37_167
; %bb.165:
	s_lshl_b32 s0, s60, 3
	s_add_u32 s0, s34, s0
	s_addc_u32 s1, s35, 0
	s_add_u32 s0, s0, 0xc4
	s_addc_u32 s1, s1, 0
	s_mul_i32 s2, s60, 12
	s_add_u32 s2, s34, s2
	s_addc_u32 s3, s35, 0
.LBB37_166:                             ; =>This Inner Loop Header: Depth=1
	s_load_dwordx2 s[6:7], s[2:3], 0x4
	s_load_dword s5, s[2:3], 0xc
	s_load_dwordx2 s[8:9], s[0:1], 0x0
	s_add_u32 s2, s2, 12
	s_addc_u32 s3, s3, 0
	s_waitcnt lgkmcnt(0)
	v_mul_hi_u32 v3, s7, v1
	s_add_u32 s0, s0, 8
	s_addc_u32 s1, s1, 0
	s_add_i32 s4, s4, -1
	v_add_u32_e32 v3, v1, v3
	v_lshrrev_b32_e32 v4, s5, v3
	v_mul_lo_u32 v3, v4, s6
	s_cmp_lg_u32 s4, 0
	v_sub_u32_e32 v3, v1, v3
	v_mad_u64_u32 v[0:1], s[6:7], v3, s8, v[0:1]
	v_mad_u64_u32 v[2:3], s[6:7], v3, s9, v[2:3]
	v_mov_b32_e32 v1, v4
	s_cbranch_scc1 .LBB37_166
.LBB37_167:
	s_cbranch_execnz .LBB37_170
.LBB37_168:
	v_mul_hi_u32 v0, s21, v19
	s_andn2_b64 vcc, exec, s[42:43]
	v_add_u32_e32 v0, v19, v0
	v_lshrrev_b32_e32 v1, s22, v0
	v_mul_lo_u32 v0, v1, s20
	v_sub_u32_e32 v2, v19, v0
	v_mul_lo_u32 v0, v2, s24
	v_mul_lo_u32 v2, v2, s25
	s_cbranch_vccnz .LBB37_170
; %bb.169:
	v_mul_hi_u32 v3, s40, v1
	v_add_u32_e32 v3, v1, v3
	v_lshrrev_b32_e32 v3, s41, v3
	v_mul_lo_u32 v3, v3, s23
	v_sub_u32_e32 v3, v1, v3
	v_mad_u64_u32 v[0:1], s[0:1], v3, s26, v[0:1]
	v_mad_u64_u32 v[2:3], s[0:1], v3, s27, v[2:3]
.LBB37_170:
	global_load_sbyte v1, v2, s[18:19]
	v_mov_b32_e32 v2, s56
	v_mov_b32_e32 v3, s57
	v_add_u32_e32 v19, 0x80, v19
	s_waitcnt vmcnt(0)
	v_cmp_lt_i16_e32 vcc, s55, v1
	v_cndmask_b32_e32 v1, v2, v3, vcc
	global_store_byte v0, v1, s[16:17]
	s_or_b64 exec, exec, s[48:49]
	v_cmp_gt_i32_e32 vcc, s58, v19
	s_and_saveexec_b64 s[48:49], vcc
	s_cbranch_execnz .LBB37_156
.LBB37_171:
	s_or_b64 exec, exec, s[48:49]
	v_cmp_gt_i32_e32 vcc, s58, v19
	s_and_saveexec_b64 s[48:49], vcc
	s_cbranch_execz .LBB37_187
.LBB37_172:
	s_andn2_b64 vcc, exec, s[36:37]
	s_cbranch_vccnz .LBB37_177
; %bb.173:
	s_andn2_b64 vcc, exec, s[46:47]
	s_cbranch_vccnz .LBB37_178
; %bb.174:
	s_add_i32 s61, s59, 1
	s_cmp_eq_u32 s54, 2
	s_cbranch_scc1 .LBB37_195
; %bb.175:
	s_and_b32 s60, s61, 28
	v_mov_b32_e32 v2, 0
	s_mov_b32 s62, 0
	s_mov_b64 s[50:51], s[34:35]
	s_mov_b64 s[52:53], s[44:45]
	v_mov_b32_e32 v0, 0
	v_mov_b32_e32 v1, v19
.LBB37_176:                             ; =>This Inner Loop Header: Depth=1
	s_load_dwordx8 s[8:15], s[50:51], 0x4
	s_load_dwordx4 s[28:31], s[50:51], 0x24
	s_load_dwordx8 s[0:7], s[52:53], 0x0
	s_add_u32 s50, s50, 48
	s_addc_u32 s51, s51, 0
	s_waitcnt lgkmcnt(0)
	v_mul_hi_u32 v3, s9, v1
	s_add_i32 s62, s62, 4
	s_add_u32 s52, s52, 32
	s_addc_u32 s53, s53, 0
	v_add_u32_e32 v3, v1, v3
	v_lshrrev_b32_e32 v3, s10, v3
	v_mul_lo_u32 v4, v3, s8
	v_mul_hi_u32 v5, s12, v3
	s_cmp_eq_u32 s60, s62
	v_sub_u32_e32 v1, v1, v4
	v_add_u32_e32 v4, v3, v5
	v_mul_lo_u32 v5, v1, s0
	v_mul_lo_u32 v6, v1, s1
	v_lshrrev_b32_e32 v1, s13, v4
	v_mul_lo_u32 v4, v1, s11
	v_mul_hi_u32 v7, s15, v1
	v_sub_u32_e32 v3, v3, v4
	v_add_u32_e32 v4, v1, v7
	v_lshrrev_b32_e32 v4, s28, v4
	v_mul_hi_u32 v8, s30, v4
	v_mul_lo_u32 v9, v4, s14
	v_mul_lo_u32 v7, v3, s2
	;; [unrolled: 1-line block ×3, first 2 shown]
	v_sub_u32_e32 v9, v1, v9
	v_add_u32_e32 v1, v4, v8
	v_lshrrev_b32_e32 v1, s31, v1
	v_mul_lo_u32 v8, v1, s29
	v_mul_lo_u32 v10, v9, s4
	;; [unrolled: 1-line block ×3, first 2 shown]
	v_add3_u32 v0, v5, v0, v7
	v_sub_u32_e32 v4, v4, v8
	v_mul_lo_u32 v8, v4, s6
	v_mul_lo_u32 v4, v4, s7
	v_add3_u32 v2, v6, v2, v3
	v_add3_u32 v0, v10, v0, v8
	;; [unrolled: 1-line block ×3, first 2 shown]
	s_cbranch_scc0 .LBB37_176
	s_branch .LBB37_196
.LBB37_177:
                                        ; implicit-def: $vgpr0
                                        ; implicit-def: $vgpr2
	s_branch .LBB37_200
.LBB37_178:
	v_mov_b32_e32 v0, 0
	v_mov_b32_e32 v2, 0
	s_branch .LBB37_199
.LBB37_179:
	s_mov_b32 s60, 0
	v_mov_b32_e32 v0, 0
	v_mov_b32_e32 v2, 0
	;; [unrolled: 1-line block ×3, first 2 shown]
.LBB37_180:
	s_and_b32 s4, s61, 3
	s_cmp_eq_u32 s4, 0
	s_cbranch_scc1 .LBB37_183
; %bb.181:
	s_lshl_b32 s0, s60, 3
	s_add_u32 s0, s34, s0
	s_addc_u32 s1, s35, 0
	s_add_u32 s0, s0, 0xc4
	s_addc_u32 s1, s1, 0
	s_mul_i32 s2, s60, 12
	s_add_u32 s2, s34, s2
	s_addc_u32 s3, s35, 0
.LBB37_182:                             ; =>This Inner Loop Header: Depth=1
	s_load_dwordx2 s[6:7], s[2:3], 0x4
	s_load_dword s5, s[2:3], 0xc
	s_load_dwordx2 s[8:9], s[0:1], 0x0
	s_add_u32 s2, s2, 12
	s_addc_u32 s3, s3, 0
	s_waitcnt lgkmcnt(0)
	v_mul_hi_u32 v3, s7, v1
	s_add_u32 s0, s0, 8
	s_addc_u32 s1, s1, 0
	s_add_i32 s4, s4, -1
	v_add_u32_e32 v3, v1, v3
	v_lshrrev_b32_e32 v4, s5, v3
	v_mul_lo_u32 v3, v4, s6
	s_cmp_lg_u32 s4, 0
	v_sub_u32_e32 v3, v1, v3
	v_mad_u64_u32 v[0:1], s[6:7], v3, s8, v[0:1]
	v_mad_u64_u32 v[2:3], s[6:7], v3, s9, v[2:3]
	v_mov_b32_e32 v1, v4
	s_cbranch_scc1 .LBB37_182
.LBB37_183:
	s_cbranch_execnz .LBB37_186
.LBB37_184:
	v_mul_hi_u32 v0, s21, v19
	s_andn2_b64 vcc, exec, s[42:43]
	v_add_u32_e32 v0, v19, v0
	v_lshrrev_b32_e32 v1, s22, v0
	v_mul_lo_u32 v0, v1, s20
	v_sub_u32_e32 v2, v19, v0
	v_mul_lo_u32 v0, v2, s24
	v_mul_lo_u32 v2, v2, s25
	s_cbranch_vccnz .LBB37_186
; %bb.185:
	v_mul_hi_u32 v3, s40, v1
	v_add_u32_e32 v3, v1, v3
	v_lshrrev_b32_e32 v3, s41, v3
	v_mul_lo_u32 v3, v3, s23
	v_sub_u32_e32 v3, v1, v3
	v_mad_u64_u32 v[0:1], s[0:1], v3, s26, v[0:1]
	v_mad_u64_u32 v[2:3], s[0:1], v3, s27, v[2:3]
.LBB37_186:
	global_load_sbyte v1, v2, s[18:19]
	v_mov_b32_e32 v2, s56
	v_mov_b32_e32 v3, s57
	v_add_u32_e32 v19, 0x80, v19
	s_waitcnt vmcnt(0)
	v_cmp_lt_i16_e32 vcc, s55, v1
	v_cndmask_b32_e32 v1, v2, v3, vcc
	global_store_byte v0, v1, s[16:17]
	s_or_b64 exec, exec, s[48:49]
	v_cmp_gt_i32_e32 vcc, s58, v19
	s_and_saveexec_b64 s[48:49], vcc
	s_cbranch_execnz .LBB37_172
.LBB37_187:
	s_or_b64 exec, exec, s[48:49]
	v_cmp_gt_i32_e32 vcc, s58, v19
	s_and_saveexec_b64 s[48:49], vcc
	s_cbranch_execz .LBB37_203
.LBB37_188:
	s_andn2_b64 vcc, exec, s[36:37]
	s_cbranch_vccnz .LBB37_193
; %bb.189:
	s_andn2_b64 vcc, exec, s[46:47]
	s_cbranch_vccnz .LBB37_194
; %bb.190:
	s_add_i32 s61, s59, 1
	s_cmp_eq_u32 s54, 2
	s_cbranch_scc1 .LBB37_211
; %bb.191:
	s_and_b32 s60, s61, 28
	v_mov_b32_e32 v2, 0
	s_mov_b32 s62, 0
	s_mov_b64 s[50:51], s[34:35]
	s_mov_b64 s[52:53], s[44:45]
	v_mov_b32_e32 v0, 0
	v_mov_b32_e32 v1, v19
.LBB37_192:                             ; =>This Inner Loop Header: Depth=1
	s_load_dwordx8 s[8:15], s[50:51], 0x4
	s_load_dwordx4 s[28:31], s[50:51], 0x24
	s_load_dwordx8 s[0:7], s[52:53], 0x0
	s_add_u32 s50, s50, 48
	s_addc_u32 s51, s51, 0
	s_waitcnt lgkmcnt(0)
	v_mul_hi_u32 v3, s9, v1
	s_add_i32 s62, s62, 4
	s_add_u32 s52, s52, 32
	s_addc_u32 s53, s53, 0
	v_add_u32_e32 v3, v1, v3
	v_lshrrev_b32_e32 v3, s10, v3
	v_mul_lo_u32 v4, v3, s8
	v_mul_hi_u32 v5, s12, v3
	s_cmp_eq_u32 s60, s62
	v_sub_u32_e32 v1, v1, v4
	v_add_u32_e32 v4, v3, v5
	v_mul_lo_u32 v5, v1, s0
	v_mul_lo_u32 v6, v1, s1
	v_lshrrev_b32_e32 v1, s13, v4
	v_mul_lo_u32 v4, v1, s11
	v_mul_hi_u32 v7, s15, v1
	v_sub_u32_e32 v3, v3, v4
	v_add_u32_e32 v4, v1, v7
	v_lshrrev_b32_e32 v4, s28, v4
	v_mul_hi_u32 v8, s30, v4
	v_mul_lo_u32 v9, v4, s14
	v_mul_lo_u32 v7, v3, s2
	;; [unrolled: 1-line block ×3, first 2 shown]
	v_sub_u32_e32 v9, v1, v9
	v_add_u32_e32 v1, v4, v8
	v_lshrrev_b32_e32 v1, s31, v1
	v_mul_lo_u32 v8, v1, s29
	v_mul_lo_u32 v10, v9, s4
	;; [unrolled: 1-line block ×3, first 2 shown]
	v_add3_u32 v0, v5, v0, v7
	v_sub_u32_e32 v4, v4, v8
	v_mul_lo_u32 v8, v4, s6
	v_mul_lo_u32 v4, v4, s7
	v_add3_u32 v2, v6, v2, v3
	v_add3_u32 v0, v10, v0, v8
	;; [unrolled: 1-line block ×3, first 2 shown]
	s_cbranch_scc0 .LBB37_192
	s_branch .LBB37_212
.LBB37_193:
                                        ; implicit-def: $vgpr0
                                        ; implicit-def: $vgpr2
	s_branch .LBB37_216
.LBB37_194:
	v_mov_b32_e32 v0, 0
	v_mov_b32_e32 v2, 0
	s_branch .LBB37_215
.LBB37_195:
	s_mov_b32 s60, 0
	v_mov_b32_e32 v0, 0
	v_mov_b32_e32 v2, 0
	;; [unrolled: 1-line block ×3, first 2 shown]
.LBB37_196:
	s_and_b32 s4, s61, 3
	s_cmp_eq_u32 s4, 0
	s_cbranch_scc1 .LBB37_199
; %bb.197:
	s_lshl_b32 s0, s60, 3
	s_add_u32 s0, s34, s0
	s_addc_u32 s1, s35, 0
	s_add_u32 s0, s0, 0xc4
	s_addc_u32 s1, s1, 0
	s_mul_i32 s2, s60, 12
	s_add_u32 s2, s34, s2
	s_addc_u32 s3, s35, 0
.LBB37_198:                             ; =>This Inner Loop Header: Depth=1
	s_load_dwordx2 s[6:7], s[2:3], 0x4
	s_load_dword s5, s[2:3], 0xc
	s_load_dwordx2 s[8:9], s[0:1], 0x0
	s_add_u32 s2, s2, 12
	s_addc_u32 s3, s3, 0
	s_waitcnt lgkmcnt(0)
	v_mul_hi_u32 v3, s7, v1
	s_add_u32 s0, s0, 8
	s_addc_u32 s1, s1, 0
	s_add_i32 s4, s4, -1
	v_add_u32_e32 v3, v1, v3
	v_lshrrev_b32_e32 v4, s5, v3
	v_mul_lo_u32 v3, v4, s6
	s_cmp_lg_u32 s4, 0
	v_sub_u32_e32 v3, v1, v3
	v_mad_u64_u32 v[0:1], s[6:7], v3, s8, v[0:1]
	v_mad_u64_u32 v[2:3], s[6:7], v3, s9, v[2:3]
	v_mov_b32_e32 v1, v4
	s_cbranch_scc1 .LBB37_198
.LBB37_199:
	s_cbranch_execnz .LBB37_202
.LBB37_200:
	v_mul_hi_u32 v0, s21, v19
	s_andn2_b64 vcc, exec, s[42:43]
	v_add_u32_e32 v0, v19, v0
	v_lshrrev_b32_e32 v1, s22, v0
	v_mul_lo_u32 v0, v1, s20
	v_sub_u32_e32 v2, v19, v0
	v_mul_lo_u32 v0, v2, s24
	v_mul_lo_u32 v2, v2, s25
	s_cbranch_vccnz .LBB37_202
; %bb.201:
	v_mul_hi_u32 v3, s40, v1
	v_add_u32_e32 v3, v1, v3
	v_lshrrev_b32_e32 v3, s41, v3
	v_mul_lo_u32 v3, v3, s23
	v_sub_u32_e32 v3, v1, v3
	v_mad_u64_u32 v[0:1], s[0:1], v3, s26, v[0:1]
	v_mad_u64_u32 v[2:3], s[0:1], v3, s27, v[2:3]
.LBB37_202:
	global_load_sbyte v1, v2, s[18:19]
	v_mov_b32_e32 v2, s56
	v_mov_b32_e32 v3, s57
	v_add_u32_e32 v19, 0x80, v19
	s_waitcnt vmcnt(0)
	v_cmp_lt_i16_e32 vcc, s55, v1
	v_cndmask_b32_e32 v1, v2, v3, vcc
	global_store_byte v0, v1, s[16:17]
	s_or_b64 exec, exec, s[48:49]
	v_cmp_gt_i32_e32 vcc, s58, v19
	s_and_saveexec_b64 s[48:49], vcc
	s_cbranch_execnz .LBB37_188
.LBB37_203:
	s_or_b64 exec, exec, s[48:49]
	v_cmp_gt_i32_e32 vcc, s58, v19
	s_and_saveexec_b64 s[48:49], vcc
	s_cbranch_execz .LBB37_219
.LBB37_204:
	s_andn2_b64 vcc, exec, s[36:37]
	s_cbranch_vccnz .LBB37_209
; %bb.205:
	s_andn2_b64 vcc, exec, s[46:47]
	s_cbranch_vccnz .LBB37_210
; %bb.206:
	s_add_i32 s61, s59, 1
	s_cmp_eq_u32 s54, 2
	s_cbranch_scc1 .LBB37_222
; %bb.207:
	s_and_b32 s60, s61, 28
	v_mov_b32_e32 v2, 0
	s_mov_b32 s62, 0
	s_mov_b64 s[50:51], s[34:35]
	s_mov_b64 s[52:53], s[44:45]
	v_mov_b32_e32 v0, 0
	v_mov_b32_e32 v1, v19
.LBB37_208:                             ; =>This Inner Loop Header: Depth=1
	s_load_dwordx8 s[8:15], s[50:51], 0x4
	s_load_dwordx4 s[28:31], s[50:51], 0x24
	s_load_dwordx8 s[0:7], s[52:53], 0x0
	s_add_u32 s50, s50, 48
	s_addc_u32 s51, s51, 0
	s_waitcnt lgkmcnt(0)
	v_mul_hi_u32 v3, s9, v1
	s_add_i32 s62, s62, 4
	s_add_u32 s52, s52, 32
	s_addc_u32 s53, s53, 0
	v_add_u32_e32 v3, v1, v3
	v_lshrrev_b32_e32 v3, s10, v3
	v_mul_lo_u32 v4, v3, s8
	v_mul_hi_u32 v5, s12, v3
	s_cmp_eq_u32 s60, s62
	v_sub_u32_e32 v1, v1, v4
	v_add_u32_e32 v4, v3, v5
	v_mul_lo_u32 v5, v1, s0
	v_mul_lo_u32 v6, v1, s1
	v_lshrrev_b32_e32 v1, s13, v4
	v_mul_lo_u32 v4, v1, s11
	v_mul_hi_u32 v7, s15, v1
	v_sub_u32_e32 v3, v3, v4
	v_add_u32_e32 v4, v1, v7
	v_lshrrev_b32_e32 v4, s28, v4
	v_mul_hi_u32 v8, s30, v4
	v_mul_lo_u32 v9, v4, s14
	v_mul_lo_u32 v7, v3, s2
	;; [unrolled: 1-line block ×3, first 2 shown]
	v_sub_u32_e32 v9, v1, v9
	v_add_u32_e32 v1, v4, v8
	v_lshrrev_b32_e32 v1, s31, v1
	v_mul_lo_u32 v8, v1, s29
	v_mul_lo_u32 v10, v9, s4
	v_mul_lo_u32 v9, v9, s5
	v_add3_u32 v0, v5, v0, v7
	v_sub_u32_e32 v4, v4, v8
	v_mul_lo_u32 v8, v4, s6
	v_mul_lo_u32 v4, v4, s7
	v_add3_u32 v2, v6, v2, v3
	v_add3_u32 v0, v10, v0, v8
	v_add3_u32 v2, v9, v2, v4
	s_cbranch_scc0 .LBB37_208
	s_branch .LBB37_223
.LBB37_209:
                                        ; implicit-def: $vgpr0
                                        ; implicit-def: $vgpr2
	s_branch .LBB37_227
.LBB37_210:
	v_mov_b32_e32 v0, 0
	v_mov_b32_e32 v2, 0
	s_branch .LBB37_226
.LBB37_211:
	s_mov_b32 s60, 0
	v_mov_b32_e32 v0, 0
	v_mov_b32_e32 v2, 0
	v_mov_b32_e32 v1, v19
.LBB37_212:
	s_and_b32 s4, s61, 3
	s_cmp_eq_u32 s4, 0
	s_cbranch_scc1 .LBB37_215
; %bb.213:
	s_lshl_b32 s0, s60, 3
	s_add_u32 s0, s34, s0
	s_addc_u32 s1, s35, 0
	s_add_u32 s0, s0, 0xc4
	s_addc_u32 s1, s1, 0
	s_mul_i32 s2, s60, 12
	s_add_u32 s2, s34, s2
	s_addc_u32 s3, s35, 0
.LBB37_214:                             ; =>This Inner Loop Header: Depth=1
	s_load_dwordx2 s[6:7], s[2:3], 0x4
	s_load_dword s5, s[2:3], 0xc
	s_load_dwordx2 s[8:9], s[0:1], 0x0
	s_add_u32 s2, s2, 12
	s_addc_u32 s3, s3, 0
	s_waitcnt lgkmcnt(0)
	v_mul_hi_u32 v3, s7, v1
	s_add_u32 s0, s0, 8
	s_addc_u32 s1, s1, 0
	s_add_i32 s4, s4, -1
	v_add_u32_e32 v3, v1, v3
	v_lshrrev_b32_e32 v4, s5, v3
	v_mul_lo_u32 v3, v4, s6
	s_cmp_lg_u32 s4, 0
	v_sub_u32_e32 v3, v1, v3
	v_mad_u64_u32 v[0:1], s[6:7], v3, s8, v[0:1]
	v_mad_u64_u32 v[2:3], s[6:7], v3, s9, v[2:3]
	v_mov_b32_e32 v1, v4
	s_cbranch_scc1 .LBB37_214
.LBB37_215:
	s_cbranch_execnz .LBB37_218
.LBB37_216:
	v_mul_hi_u32 v0, s21, v19
	s_andn2_b64 vcc, exec, s[42:43]
	v_add_u32_e32 v0, v19, v0
	v_lshrrev_b32_e32 v1, s22, v0
	v_mul_lo_u32 v0, v1, s20
	v_sub_u32_e32 v2, v19, v0
	v_mul_lo_u32 v0, v2, s24
	v_mul_lo_u32 v2, v2, s25
	s_cbranch_vccnz .LBB37_218
; %bb.217:
	v_mul_hi_u32 v3, s40, v1
	v_add_u32_e32 v3, v1, v3
	v_lshrrev_b32_e32 v3, s41, v3
	v_mul_lo_u32 v3, v3, s23
	v_sub_u32_e32 v3, v1, v3
	v_mad_u64_u32 v[0:1], s[0:1], v3, s26, v[0:1]
	v_mad_u64_u32 v[2:3], s[0:1], v3, s27, v[2:3]
.LBB37_218:
	global_load_sbyte v1, v2, s[18:19]
	v_mov_b32_e32 v2, s56
	v_mov_b32_e32 v3, s57
	v_add_u32_e32 v19, 0x80, v19
	s_waitcnt vmcnt(0)
	v_cmp_lt_i16_e32 vcc, s55, v1
	v_cndmask_b32_e32 v1, v2, v3, vcc
	global_store_byte v0, v1, s[16:17]
	s_or_b64 exec, exec, s[48:49]
	v_cmp_gt_i32_e32 vcc, s58, v19
	s_and_saveexec_b64 s[48:49], vcc
	s_cbranch_execnz .LBB37_204
.LBB37_219:
	s_or_b64 exec, exec, s[48:49]
	v_cmp_gt_i32_e32 vcc, s58, v19
	s_and_saveexec_b64 s[48:49], vcc
	s_cbranch_execnz .LBB37_230
.LBB37_220:
	s_or_b64 exec, exec, s[48:49]
                                        ; implicit-def: $vgpr25
                                        ; implicit-def: $vgpr19
	s_andn2_saveexec_b64 s[0:1], s[38:39]
	s_cbranch_execnz .LBB37_8
.LBB37_221:
	s_endpgm
.LBB37_222:
	s_mov_b32 s60, 0
	v_mov_b32_e32 v0, 0
	v_mov_b32_e32 v2, 0
	v_mov_b32_e32 v1, v19
.LBB37_223:
	s_and_b32 s4, s61, 3
	s_cmp_eq_u32 s4, 0
	s_cbranch_scc1 .LBB37_226
; %bb.224:
	s_lshl_b32 s0, s60, 3
	s_add_u32 s0, s34, s0
	s_addc_u32 s1, s35, 0
	s_add_u32 s0, s0, 0xc4
	s_addc_u32 s1, s1, 0
	s_mul_i32 s2, s60, 12
	s_add_u32 s2, s34, s2
	s_addc_u32 s3, s35, 0
.LBB37_225:                             ; =>This Inner Loop Header: Depth=1
	s_load_dwordx2 s[6:7], s[2:3], 0x4
	s_load_dword s5, s[2:3], 0xc
	s_load_dwordx2 s[8:9], s[0:1], 0x0
	s_add_u32 s2, s2, 12
	s_addc_u32 s3, s3, 0
	s_waitcnt lgkmcnt(0)
	v_mul_hi_u32 v3, s7, v1
	s_add_u32 s0, s0, 8
	s_addc_u32 s1, s1, 0
	s_add_i32 s4, s4, -1
	v_add_u32_e32 v3, v1, v3
	v_lshrrev_b32_e32 v4, s5, v3
	v_mul_lo_u32 v3, v4, s6
	s_cmp_lg_u32 s4, 0
	v_sub_u32_e32 v3, v1, v3
	v_mad_u64_u32 v[0:1], s[6:7], v3, s8, v[0:1]
	v_mad_u64_u32 v[2:3], s[6:7], v3, s9, v[2:3]
	v_mov_b32_e32 v1, v4
	s_cbranch_scc1 .LBB37_225
.LBB37_226:
	s_cbranch_execnz .LBB37_229
.LBB37_227:
	v_mul_hi_u32 v0, s21, v19
	s_andn2_b64 vcc, exec, s[42:43]
	v_add_u32_e32 v0, v19, v0
	v_lshrrev_b32_e32 v1, s22, v0
	v_mul_lo_u32 v0, v1, s20
	v_sub_u32_e32 v2, v19, v0
	v_mul_lo_u32 v0, v2, s24
	v_mul_lo_u32 v2, v2, s25
	s_cbranch_vccnz .LBB37_229
; %bb.228:
	v_mul_hi_u32 v3, s40, v1
	v_add_u32_e32 v3, v1, v3
	v_lshrrev_b32_e32 v3, s41, v3
	v_mul_lo_u32 v3, v3, s23
	v_sub_u32_e32 v3, v1, v3
	v_mad_u64_u32 v[0:1], s[0:1], v3, s26, v[0:1]
	v_mad_u64_u32 v[2:3], s[0:1], v3, s27, v[2:3]
.LBB37_229:
	global_load_sbyte v1, v2, s[18:19]
	v_mov_b32_e32 v2, s56
	v_mov_b32_e32 v3, s57
	v_add_u32_e32 v19, 0x80, v19
	s_waitcnt vmcnt(0)
	v_cmp_lt_i16_e32 vcc, s55, v1
	v_cndmask_b32_e32 v1, v2, v3, vcc
	global_store_byte v0, v1, s[16:17]
	s_or_b64 exec, exec, s[48:49]
	v_cmp_gt_i32_e32 vcc, s58, v19
	s_and_saveexec_b64 s[48:49], vcc
	s_cbranch_execz .LBB37_220
.LBB37_230:
	s_andn2_b64 vcc, exec, s[36:37]
	s_cbranch_vccnz .LBB37_235
; %bb.231:
	s_andn2_b64 vcc, exec, s[46:47]
	s_cbranch_vccnz .LBB37_236
; %bb.232:
	s_add_i32 s59, s59, 1
	s_cmp_eq_u32 s54, 2
	s_cbranch_scc1 .LBB37_237
; %bb.233:
	s_and_b32 s50, s59, 28
	v_mov_b32_e32 v2, 0
	s_mov_b32 s51, 0
	s_mov_b64 s[46:47], s[34:35]
	v_mov_b32_e32 v0, 0
	v_mov_b32_e32 v1, v19
.LBB37_234:                             ; =>This Inner Loop Header: Depth=1
	s_load_dwordx8 s[8:15], s[46:47], 0x4
	s_load_dwordx4 s[28:31], s[46:47], 0x24
	s_load_dwordx8 s[0:7], s[44:45], 0x0
	s_add_u32 s46, s46, 48
	s_addc_u32 s47, s47, 0
	s_waitcnt lgkmcnt(0)
	v_mul_hi_u32 v3, s9, v1
	s_add_i32 s51, s51, 4
	s_add_u32 s44, s44, 32
	s_addc_u32 s45, s45, 0
	v_add_u32_e32 v3, v1, v3
	v_lshrrev_b32_e32 v3, s10, v3
	v_mul_lo_u32 v4, v3, s8
	v_mul_hi_u32 v5, s12, v3
	s_cmp_eq_u32 s50, s51
	v_sub_u32_e32 v1, v1, v4
	v_add_u32_e32 v4, v3, v5
	v_mul_lo_u32 v5, v1, s0
	v_mul_lo_u32 v6, v1, s1
	v_lshrrev_b32_e32 v1, s13, v4
	v_mul_lo_u32 v4, v1, s11
	v_mul_hi_u32 v7, s15, v1
	v_sub_u32_e32 v3, v3, v4
	v_add_u32_e32 v4, v1, v7
	v_lshrrev_b32_e32 v4, s28, v4
	v_mul_hi_u32 v8, s30, v4
	v_mul_lo_u32 v9, v4, s14
	v_mul_lo_u32 v7, v3, s2
	v_mul_lo_u32 v3, v3, s3
	v_sub_u32_e32 v9, v1, v9
	v_add_u32_e32 v1, v4, v8
	v_lshrrev_b32_e32 v1, s31, v1
	v_mul_lo_u32 v8, v1, s29
	v_mul_lo_u32 v10, v9, s4
	;; [unrolled: 1-line block ×3, first 2 shown]
	v_add3_u32 v0, v5, v0, v7
	v_sub_u32_e32 v4, v4, v8
	v_mul_lo_u32 v8, v4, s6
	v_mul_lo_u32 v4, v4, s7
	v_add3_u32 v2, v6, v2, v3
	v_add3_u32 v0, v10, v0, v8
	;; [unrolled: 1-line block ×3, first 2 shown]
	s_cbranch_scc0 .LBB37_234
	s_branch .LBB37_238
.LBB37_235:
                                        ; implicit-def: $vgpr0
                                        ; implicit-def: $vgpr2
	s_branch .LBB37_242
.LBB37_236:
	v_mov_b32_e32 v0, 0
	v_mov_b32_e32 v2, 0
	s_branch .LBB37_241
.LBB37_237:
	s_mov_b32 s50, 0
	v_mov_b32_e32 v0, 0
	v_mov_b32_e32 v2, 0
	;; [unrolled: 1-line block ×3, first 2 shown]
.LBB37_238:
	s_and_b32 s4, s59, 3
	s_cmp_eq_u32 s4, 0
	s_cbranch_scc1 .LBB37_241
; %bb.239:
	s_lshl_b32 s0, s50, 3
	s_add_u32 s0, s34, s0
	s_addc_u32 s1, s35, 0
	s_add_u32 s0, s0, 0xc4
	s_addc_u32 s1, s1, 0
	s_mul_i32 s2, s50, 12
	s_add_u32 s2, s34, s2
	s_addc_u32 s3, s35, 0
.LBB37_240:                             ; =>This Inner Loop Header: Depth=1
	s_load_dwordx2 s[6:7], s[2:3], 0x4
	s_load_dword s5, s[2:3], 0xc
	s_load_dwordx2 s[8:9], s[0:1], 0x0
	s_add_u32 s2, s2, 12
	s_addc_u32 s3, s3, 0
	s_waitcnt lgkmcnt(0)
	v_mul_hi_u32 v3, s7, v1
	s_add_u32 s0, s0, 8
	s_addc_u32 s1, s1, 0
	s_add_i32 s4, s4, -1
	v_add_u32_e32 v3, v1, v3
	v_lshrrev_b32_e32 v4, s5, v3
	v_mul_lo_u32 v3, v4, s6
	s_cmp_lg_u32 s4, 0
	v_sub_u32_e32 v3, v1, v3
	v_mad_u64_u32 v[0:1], s[6:7], v3, s8, v[0:1]
	v_mad_u64_u32 v[2:3], s[6:7], v3, s9, v[2:3]
	v_mov_b32_e32 v1, v4
	s_cbranch_scc1 .LBB37_240
.LBB37_241:
	s_cbranch_execnz .LBB37_244
.LBB37_242:
	v_mul_hi_u32 v0, s21, v19
	s_andn2_b64 vcc, exec, s[42:43]
	v_add_u32_e32 v0, v19, v0
	v_lshrrev_b32_e32 v1, s22, v0
	v_mul_lo_u32 v0, v1, s20
	v_sub_u32_e32 v2, v19, v0
	v_mul_lo_u32 v0, v2, s24
	v_mul_lo_u32 v2, v2, s25
	s_cbranch_vccnz .LBB37_244
; %bb.243:
	v_mul_hi_u32 v3, s40, v1
	v_add_u32_e32 v3, v1, v3
	v_lshrrev_b32_e32 v3, s41, v3
	v_mul_lo_u32 v3, v3, s23
	v_sub_u32_e32 v3, v1, v3
	v_mad_u64_u32 v[0:1], s[0:1], v3, s26, v[0:1]
	v_mad_u64_u32 v[2:3], s[0:1], v3, s27, v[2:3]
.LBB37_244:
	global_load_sbyte v1, v2, s[18:19]
	v_mov_b32_e32 v2, s56
	v_mov_b32_e32 v3, s57
	s_waitcnt vmcnt(0)
	v_cmp_lt_i16_e32 vcc, s55, v1
	v_cndmask_b32_e32 v1, v2, v3, vcc
	global_store_byte v0, v1, s[16:17]
	s_or_b64 exec, exec, s[48:49]
                                        ; implicit-def: $vgpr25
                                        ; implicit-def: $vgpr19
	s_andn2_saveexec_b64 s[0:1], s[38:39]
	s_cbranch_execz .LBB37_221
	s_branch .LBB37_8
	.section	.rodata,"a",@progbits
	.p2align	6, 0x0
	.amdhsa_kernel _ZN2at6native32elementwise_kernel_manual_unrollILi128ELi8EZNS0_22gpu_kernel_impl_nocastINS0_13BUnaryFunctorIaaaZNS0_12_GLOBAL__N_121threshold_kernel_implIaEEvRNS_18TensorIteratorBaseET_S8_EUlaaE_EEEEvS7_RKS8_EUlibE_EEviT1_
		.amdhsa_group_segment_fixed_size 0
		.amdhsa_private_segment_fixed_size 0
		.amdhsa_kernarg_size 360
		.amdhsa_user_sgpr_count 6
		.amdhsa_user_sgpr_private_segment_buffer 1
		.amdhsa_user_sgpr_dispatch_ptr 0
		.amdhsa_user_sgpr_queue_ptr 0
		.amdhsa_user_sgpr_kernarg_segment_ptr 1
		.amdhsa_user_sgpr_dispatch_id 0
		.amdhsa_user_sgpr_flat_scratch_init 0
		.amdhsa_user_sgpr_private_segment_size 0
		.amdhsa_uses_dynamic_stack 0
		.amdhsa_system_sgpr_private_segment_wavefront_offset 0
		.amdhsa_system_sgpr_workgroup_id_x 1
		.amdhsa_system_sgpr_workgroup_id_y 0
		.amdhsa_system_sgpr_workgroup_id_z 0
		.amdhsa_system_sgpr_workgroup_info 0
		.amdhsa_system_vgpr_workitem_id 0
		.amdhsa_next_free_vgpr 26
		.amdhsa_next_free_sgpr 63
		.amdhsa_reserve_vcc 1
		.amdhsa_reserve_flat_scratch 0
		.amdhsa_float_round_mode_32 0
		.amdhsa_float_round_mode_16_64 0
		.amdhsa_float_denorm_mode_32 3
		.amdhsa_float_denorm_mode_16_64 3
		.amdhsa_dx10_clamp 1
		.amdhsa_ieee_mode 1
		.amdhsa_fp16_overflow 0
		.amdhsa_exception_fp_ieee_invalid_op 0
		.amdhsa_exception_fp_denorm_src 0
		.amdhsa_exception_fp_ieee_div_zero 0
		.amdhsa_exception_fp_ieee_overflow 0
		.amdhsa_exception_fp_ieee_underflow 0
		.amdhsa_exception_fp_ieee_inexact 0
		.amdhsa_exception_int_div_zero 0
	.end_amdhsa_kernel
	.section	.text._ZN2at6native32elementwise_kernel_manual_unrollILi128ELi8EZNS0_22gpu_kernel_impl_nocastINS0_13BUnaryFunctorIaaaZNS0_12_GLOBAL__N_121threshold_kernel_implIaEEvRNS_18TensorIteratorBaseET_S8_EUlaaE_EEEEvS7_RKS8_EUlibE_EEviT1_,"axG",@progbits,_ZN2at6native32elementwise_kernel_manual_unrollILi128ELi8EZNS0_22gpu_kernel_impl_nocastINS0_13BUnaryFunctorIaaaZNS0_12_GLOBAL__N_121threshold_kernel_implIaEEvRNS_18TensorIteratorBaseET_S8_EUlaaE_EEEEvS7_RKS8_EUlibE_EEviT1_,comdat
.Lfunc_end37:
	.size	_ZN2at6native32elementwise_kernel_manual_unrollILi128ELi8EZNS0_22gpu_kernel_impl_nocastINS0_13BUnaryFunctorIaaaZNS0_12_GLOBAL__N_121threshold_kernel_implIaEEvRNS_18TensorIteratorBaseET_S8_EUlaaE_EEEEvS7_RKS8_EUlibE_EEviT1_, .Lfunc_end37-_ZN2at6native32elementwise_kernel_manual_unrollILi128ELi8EZNS0_22gpu_kernel_impl_nocastINS0_13BUnaryFunctorIaaaZNS0_12_GLOBAL__N_121threshold_kernel_implIaEEvRNS_18TensorIteratorBaseET_S8_EUlaaE_EEEEvS7_RKS8_EUlibE_EEviT1_
                                        ; -- End function
	.set _ZN2at6native32elementwise_kernel_manual_unrollILi128ELi8EZNS0_22gpu_kernel_impl_nocastINS0_13BUnaryFunctorIaaaZNS0_12_GLOBAL__N_121threshold_kernel_implIaEEvRNS_18TensorIteratorBaseET_S8_EUlaaE_EEEEvS7_RKS8_EUlibE_EEviT1_.num_vgpr, 26
	.set _ZN2at6native32elementwise_kernel_manual_unrollILi128ELi8EZNS0_22gpu_kernel_impl_nocastINS0_13BUnaryFunctorIaaaZNS0_12_GLOBAL__N_121threshold_kernel_implIaEEvRNS_18TensorIteratorBaseET_S8_EUlaaE_EEEEvS7_RKS8_EUlibE_EEviT1_.num_agpr, 0
	.set _ZN2at6native32elementwise_kernel_manual_unrollILi128ELi8EZNS0_22gpu_kernel_impl_nocastINS0_13BUnaryFunctorIaaaZNS0_12_GLOBAL__N_121threshold_kernel_implIaEEvRNS_18TensorIteratorBaseET_S8_EUlaaE_EEEEvS7_RKS8_EUlibE_EEviT1_.numbered_sgpr, 63
	.set _ZN2at6native32elementwise_kernel_manual_unrollILi128ELi8EZNS0_22gpu_kernel_impl_nocastINS0_13BUnaryFunctorIaaaZNS0_12_GLOBAL__N_121threshold_kernel_implIaEEvRNS_18TensorIteratorBaseET_S8_EUlaaE_EEEEvS7_RKS8_EUlibE_EEviT1_.num_named_barrier, 0
	.set _ZN2at6native32elementwise_kernel_manual_unrollILi128ELi8EZNS0_22gpu_kernel_impl_nocastINS0_13BUnaryFunctorIaaaZNS0_12_GLOBAL__N_121threshold_kernel_implIaEEvRNS_18TensorIteratorBaseET_S8_EUlaaE_EEEEvS7_RKS8_EUlibE_EEviT1_.private_seg_size, 0
	.set _ZN2at6native32elementwise_kernel_manual_unrollILi128ELi8EZNS0_22gpu_kernel_impl_nocastINS0_13BUnaryFunctorIaaaZNS0_12_GLOBAL__N_121threshold_kernel_implIaEEvRNS_18TensorIteratorBaseET_S8_EUlaaE_EEEEvS7_RKS8_EUlibE_EEviT1_.uses_vcc, 1
	.set _ZN2at6native32elementwise_kernel_manual_unrollILi128ELi8EZNS0_22gpu_kernel_impl_nocastINS0_13BUnaryFunctorIaaaZNS0_12_GLOBAL__N_121threshold_kernel_implIaEEvRNS_18TensorIteratorBaseET_S8_EUlaaE_EEEEvS7_RKS8_EUlibE_EEviT1_.uses_flat_scratch, 0
	.set _ZN2at6native32elementwise_kernel_manual_unrollILi128ELi8EZNS0_22gpu_kernel_impl_nocastINS0_13BUnaryFunctorIaaaZNS0_12_GLOBAL__N_121threshold_kernel_implIaEEvRNS_18TensorIteratorBaseET_S8_EUlaaE_EEEEvS7_RKS8_EUlibE_EEviT1_.has_dyn_sized_stack, 0
	.set _ZN2at6native32elementwise_kernel_manual_unrollILi128ELi8EZNS0_22gpu_kernel_impl_nocastINS0_13BUnaryFunctorIaaaZNS0_12_GLOBAL__N_121threshold_kernel_implIaEEvRNS_18TensorIteratorBaseET_S8_EUlaaE_EEEEvS7_RKS8_EUlibE_EEviT1_.has_recursion, 0
	.set _ZN2at6native32elementwise_kernel_manual_unrollILi128ELi8EZNS0_22gpu_kernel_impl_nocastINS0_13BUnaryFunctorIaaaZNS0_12_GLOBAL__N_121threshold_kernel_implIaEEvRNS_18TensorIteratorBaseET_S8_EUlaaE_EEEEvS7_RKS8_EUlibE_EEviT1_.has_indirect_call, 0
	.section	.AMDGPU.csdata,"",@progbits
; Kernel info:
; codeLenInByte = 11408
; TotalNumSgprs: 67
; NumVgprs: 26
; ScratchSize: 0
; MemoryBound: 0
; FloatMode: 240
; IeeeMode: 1
; LDSByteSize: 0 bytes/workgroup (compile time only)
; SGPRBlocks: 8
; VGPRBlocks: 6
; NumSGPRsForWavesPerEU: 67
; NumVGPRsForWavesPerEU: 26
; Occupancy: 9
; WaveLimiterHint : 1
; COMPUTE_PGM_RSRC2:SCRATCH_EN: 0
; COMPUTE_PGM_RSRC2:USER_SGPR: 6
; COMPUTE_PGM_RSRC2:TRAP_HANDLER: 0
; COMPUTE_PGM_RSRC2:TGID_X_EN: 1
; COMPUTE_PGM_RSRC2:TGID_Y_EN: 0
; COMPUTE_PGM_RSRC2:TGID_Z_EN: 0
; COMPUTE_PGM_RSRC2:TIDIG_COMP_CNT: 0
	.section	.text._ZN2at6native32elementwise_kernel_manual_unrollILi128ELi4EZNS0_15gpu_kernel_implINS0_13BUnaryFunctorIaaaZNS0_12_GLOBAL__N_121threshold_kernel_implIaEEvRNS_18TensorIteratorBaseET_S8_EUlaaE_EEEEvS7_RKS8_EUlibE_EEviT1_,"axG",@progbits,_ZN2at6native32elementwise_kernel_manual_unrollILi128ELi4EZNS0_15gpu_kernel_implINS0_13BUnaryFunctorIaaaZNS0_12_GLOBAL__N_121threshold_kernel_implIaEEvRNS_18TensorIteratorBaseET_S8_EUlaaE_EEEEvS7_RKS8_EUlibE_EEviT1_,comdat
	.globl	_ZN2at6native32elementwise_kernel_manual_unrollILi128ELi4EZNS0_15gpu_kernel_implINS0_13BUnaryFunctorIaaaZNS0_12_GLOBAL__N_121threshold_kernel_implIaEEvRNS_18TensorIteratorBaseET_S8_EUlaaE_EEEEvS7_RKS8_EUlibE_EEviT1_ ; -- Begin function _ZN2at6native32elementwise_kernel_manual_unrollILi128ELi4EZNS0_15gpu_kernel_implINS0_13BUnaryFunctorIaaaZNS0_12_GLOBAL__N_121threshold_kernel_implIaEEvRNS_18TensorIteratorBaseET_S8_EUlaaE_EEEEvS7_RKS8_EUlibE_EEviT1_
	.p2align	8
	.type	_ZN2at6native32elementwise_kernel_manual_unrollILi128ELi4EZNS0_15gpu_kernel_implINS0_13BUnaryFunctorIaaaZNS0_12_GLOBAL__N_121threshold_kernel_implIaEEvRNS_18TensorIteratorBaseET_S8_EUlaaE_EEEEvS7_RKS8_EUlibE_EEviT1_,@function
_ZN2at6native32elementwise_kernel_manual_unrollILi128ELi4EZNS0_15gpu_kernel_implINS0_13BUnaryFunctorIaaaZNS0_12_GLOBAL__N_121threshold_kernel_implIaEEvRNS_18TensorIteratorBaseET_S8_EUlaaE_EEEEvS7_RKS8_EUlibE_EEviT1_: ; @_ZN2at6native32elementwise_kernel_manual_unrollILi128ELi4EZNS0_15gpu_kernel_implINS0_13BUnaryFunctorIaaaZNS0_12_GLOBAL__N_121threshold_kernel_implIaEEvRNS_18TensorIteratorBaseET_S8_EUlaaE_EEEEvS7_RKS8_EUlibE_EEviT1_
; %bb.0:
	s_load_dwordx8 s[8:15], s[4:5], 0x8
	s_load_dword s42, s[4:5], 0x0
	v_lshl_or_b32 v9, s6, 9, v0
	v_or_b32_e32 v0, 0x180, v9
	s_mov_b64 s[4:5], 0
	s_waitcnt lgkmcnt(0)
	s_bfe_i32 s33, s14, 0x80000
	s_lshr_b32 s46, s14, 8
	s_lshr_b32 s47, s14, 16
	s_lshr_b64 s[2:3], s[14:15], 24
	v_cmp_le_i32_e32 vcc, s42, v0
	s_mov_b64 s[16:17], 0
	s_and_saveexec_b64 s[0:1], vcc
	s_xor_b64 s[6:7], exec, s[0:1]
	s_cbranch_execz .LBB38_1011
; %bb.1:
	v_cmp_gt_i32_e32 vcc, s42, v9
	s_mov_b64 s[22:23], -1
	s_mov_b64 s[24:25], 0
	s_mov_b64 s[18:19], 0
	s_and_saveexec_b64 s[20:21], vcc
	s_cbranch_execz .LBB38_248
; %bb.2:
	v_mul_lo_u32 v0, v9, s13
	v_mov_b32_e32 v1, s11
	s_and_b32 s3, s15, 0xff
	s_cmp_lt_i32 s3, 11
	v_ashrrev_i32_e32 v2, 31, v0
	v_add_co_u32_e32 v0, vcc, s10, v0
	v_addc_co_u32_e32 v1, vcc, v1, v2, vcc
	s_cbranch_scc1 .LBB38_9
; %bb.3:
	s_and_b32 s14, 0xffff, s3
	s_cmp_gt_i32 s14, 25
	s_cbranch_scc0 .LBB38_18
; %bb.4:
	s_cmp_gt_i32 s14, 28
	s_cbranch_scc0 .LBB38_22
; %bb.5:
	;; [unrolled: 3-line block ×4, first 2 shown]
	s_cmp_eq_u32 s14, 46
	s_cbranch_scc0 .LBB38_28
; %bb.8:
	global_load_dword v2, v[0:1], off
	s_mov_b64 s[0:1], -1
	s_waitcnt vmcnt(0)
	v_lshlrev_b32_e32 v2, 16, v2
	v_cvt_i32_f32_e32 v2, v2
	s_branch .LBB38_30
.LBB38_9:
                                        ; implicit-def: $vgpr2
	s_mov_b64 s[0:1], 0
	s_cbranch_execnz .LBB38_199
.LBB38_10:
	s_andn2_b64 vcc, exec, s[0:1]
	s_cbranch_vccnz .LBB38_246
.LBB38_11:
	v_mul_lo_u32 v1, v9, s12
	v_mov_b32_e32 v0, s46
	s_waitcnt vmcnt(0)
	v_mov_b32_e32 v3, s47
	v_cmp_gt_i16_sdwa vcc, sext(v2), s33 src0_sel:BYTE_0 src1_sel:DWORD
	v_cndmask_b32_e32 v2, v0, v3, vcc
	v_ashrrev_i32_e32 v3, 31, v1
	v_mov_b32_e32 v4, s9
	s_and_b32 s3, s2, 0xff
	v_add_co_u32_e32 v0, vcc, s8, v1
	s_cmp_lt_i32 s3, 11
	v_addc_co_u32_e32 v1, vcc, v4, v3, vcc
	s_cbranch_scc1 .LBB38_19
; %bb.12:
	s_and_b32 s14, 0xffff, s3
	s_cmp_gt_i32 s14, 25
	s_cbranch_scc0 .LBB38_23
; %bb.13:
	s_cmp_gt_i32 s14, 28
	s_cbranch_scc0 .LBB38_25
; %bb.14:
	;; [unrolled: 3-line block ×4, first 2 shown]
	s_mov_b64 s[22:23], 0
	s_mov_b64 s[0:1], -1
	s_cmp_eq_u32 s14, 46
	s_mov_b64 s[16:17], 0
	s_cbranch_scc0 .LBB38_34
; %bb.17:
	v_bfe_i32 v3, v2, 0, 8
	v_cvt_f32_i32_sdwa v3, sext(v3) dst_sel:DWORD dst_unused:UNUSED_PAD src0_sel:WORD_0
	s_movk_i32 s0, 0x7fff
	s_mov_b64 s[16:17], -1
	v_bfe_u32 v4, v3, 16, 1
	v_add3_u32 v3, v3, v4, s0
	v_lshrrev_b32_e32 v3, 16, v3
	global_store_dword v[0:1], v3, off
	s_mov_b64 s[0:1], 0
	s_branch .LBB38_34
.LBB38_18:
	s_mov_b64 s[0:1], 0
                                        ; implicit-def: $vgpr2
	s_cbranch_execnz .LBB38_166
	s_branch .LBB38_198
.LBB38_19:
	s_mov_b64 s[0:1], 0
	s_mov_b64 s[16:17], 0
	s_cbranch_execnz .LBB38_103
.LBB38_20:
	s_andn2_b64 vcc, exec, s[16:17]
	s_cbranch_vccnz .LBB38_141
.LBB38_21:
	v_add_u32_e32 v9, 0x80, v9
	s_mov_b64 s[22:23], -1
	s_branch .LBB38_247
.LBB38_22:
	s_mov_b64 s[16:17], -1
	s_mov_b64 s[0:1], 0
                                        ; implicit-def: $vgpr2
	s_branch .LBB38_149
.LBB38_23:
	s_mov_b64 s[22:23], -1
	s_mov_b64 s[0:1], 0
	s_mov_b64 s[16:17], 0
	s_branch .LBB38_61
.LBB38_24:
	s_mov_b64 s[16:17], -1
	s_mov_b64 s[0:1], 0
                                        ; implicit-def: $vgpr2
	s_branch .LBB38_144
.LBB38_25:
	s_mov_b64 s[22:23], -1
	s_mov_b64 s[0:1], 0
	s_mov_b64 s[16:17], 0
	s_branch .LBB38_44
.LBB38_26:
	s_mov_b64 s[16:17], -1
	s_branch .LBB38_29
.LBB38_27:
	s_mov_b64 s[22:23], -1
	s_mov_b64 s[0:1], 0
	s_mov_b64 s[16:17], 0
	s_branch .LBB38_40
.LBB38_28:
	s_mov_b64 s[18:19], -1
.LBB38_29:
	s_mov_b64 s[0:1], 0
                                        ; implicit-def: $vgpr2
.LBB38_30:
	s_and_b64 vcc, exec, s[16:17]
	s_cbranch_vccz .LBB38_143
; %bb.31:
	s_cmp_eq_u32 s14, 44
	s_cbranch_scc0 .LBB38_142
; %bb.32:
	global_load_ubyte v2, v[0:1], off
	s_mov_b64 s[0:1], -1
	s_mov_b64 s[18:19], 0
	s_waitcnt vmcnt(0)
	v_lshlrev_b32_e32 v3, 23, v2
	v_cvt_i32_f32_e32 v3, v3
	v_cmp_ne_u32_e32 vcc, 0, v2
	v_cndmask_b32_e32 v2, 0, v3, vcc
	s_branch .LBB38_143
.LBB38_33:
	s_mov_b64 s[22:23], -1
	s_mov_b64 s[0:1], 0
	s_mov_b64 s[16:17], 0
.LBB38_34:
	s_and_b64 vcc, exec, s[22:23]
	s_cbranch_vccz .LBB38_39
; %bb.35:
	s_cmp_eq_u32 s14, 44
	s_mov_b64 s[0:1], -1
	s_cbranch_scc0 .LBB38_39
; %bb.36:
	v_bfe_i32 v3, v2, 0, 8
	v_cvt_f32_i32_sdwa v3, sext(v3) dst_sel:DWORD dst_unused:UNUSED_PAD src0_sel:WORD_0
	s_movk_i32 s0, 0xff
	v_mov_b32_e32 v5, 0xff
	v_bfe_u32 v4, v3, 23, 8
	v_cmp_ne_u32_e32 vcc, s0, v4
	s_and_saveexec_b64 s[16:17], vcc
; %bb.37:
	s_mov_b32 s0, 0x3fffff
	v_lshrrev_b32_e32 v5, 23, v3
	v_and_b32_e32 v6, 0x400000, v3
	v_and_or_b32 v3, v3, s0, v4
	v_cmp_ne_u32_e32 vcc, 0, v6
	v_cmp_ne_u32_e64 s[0:1], 0, v3
	s_and_b64 s[0:1], vcc, s[0:1]
	v_cndmask_b32_e64 v3, 0, 1, s[0:1]
	v_add_u32_e32 v5, v5, v3
; %bb.38:
	s_or_b64 exec, exec, s[16:17]
	s_mov_b64 s[16:17], -1
	s_mov_b64 s[0:1], 0
	global_store_byte v[0:1], v5, off
.LBB38_39:
	s_mov_b64 s[22:23], 0
.LBB38_40:
	s_and_b64 vcc, exec, s[22:23]
	s_cbranch_vccz .LBB38_43
; %bb.41:
	s_cmp_eq_u32 s14, 29
	s_mov_b64 s[0:1], -1
	s_cbranch_scc0 .LBB38_43
; %bb.42:
	v_bfe_i32 v3, v2, 0, 8
	v_ashrrev_i32_e32 v4, 31, v3
	global_store_dwordx2 v[0:1], v[3:4], off
	s_mov_b64 s[16:17], -1
	s_mov_b64 s[0:1], 0
.LBB38_43:
	s_mov_b64 s[22:23], 0
.LBB38_44:
	s_and_b64 vcc, exec, s[22:23]
	s_cbranch_vccz .LBB38_60
; %bb.45:
	s_cmp_lt_i32 s14, 27
	s_mov_b64 s[16:17], -1
	s_cbranch_scc1 .LBB38_51
; %bb.46:
	s_cmp_gt_i32 s14, 27
	s_cbranch_scc0 .LBB38_48
; %bb.47:
	v_bfe_i32 v3, v2, 0, 8
	s_mov_b64 s[16:17], 0
	global_store_dword v[0:1], v3, off
.LBB38_48:
	s_andn2_b64 vcc, exec, s[16:17]
	s_cbranch_vccnz .LBB38_50
; %bb.49:
	v_bfe_i32 v3, v2, 0, 8
	global_store_short v[0:1], v3, off
.LBB38_50:
	s_mov_b64 s[16:17], 0
.LBB38_51:
	s_andn2_b64 vcc, exec, s[16:17]
	s_cbranch_vccnz .LBB38_59
; %bb.52:
	v_bfe_i32 v3, v2, 0, 8
	v_cvt_f32_i32_sdwa v3, sext(v3) dst_sel:DWORD dst_unused:UNUSED_PAD src0_sel:WORD_0
	s_mov_b32 s16, 0x43800000
	v_mov_b32_e32 v5, 0x80
	v_and_b32_e32 v4, 0x7fffffff, v3
	v_cmp_gt_u32_e32 vcc, s16, v4
	s_and_saveexec_b64 s[16:17], vcc
	s_cbranch_execz .LBB38_58
; %bb.53:
	s_mov_b32 s22, 0x3bffffff
	v_cmp_lt_u32_e32 vcc, s22, v4
	s_mov_b64 s[22:23], 0
                                        ; implicit-def: $vgpr4
	s_and_saveexec_b64 s[26:27], vcc
	s_xor_b64 s[26:27], exec, s[26:27]
	s_cbranch_execz .LBB38_275
; %bb.54:
	v_bfe_u32 v4, v3, 20, 1
	s_mov_b32 s28, 0x487ffff
	v_add3_u32 v4, v3, v4, s28
	s_mov_b64 s[22:23], exec
	v_lshrrev_b32_e32 v4, 20, v4
	s_andn2_saveexec_b64 s[26:27], s[26:27]
	s_cbranch_execnz .LBB38_276
.LBB38_55:
	s_or_b64 exec, exec, s[26:27]
	v_mov_b32_e32 v5, 0
	s_and_saveexec_b64 s[26:27], s[22:23]
.LBB38_56:
	v_lshrrev_b32_e32 v3, 24, v3
	s_movk_i32 s22, 0x80
	v_and_or_b32 v5, v3, s22, v4
.LBB38_57:
	s_or_b64 exec, exec, s[26:27]
.LBB38_58:
	s_or_b64 exec, exec, s[16:17]
	global_store_byte v[0:1], v5, off
.LBB38_59:
	s_mov_b64 s[16:17], -1
.LBB38_60:
	s_mov_b64 s[22:23], 0
.LBB38_61:
	s_and_b64 vcc, exec, s[22:23]
	s_cbranch_vccz .LBB38_102
; %bb.62:
	s_cmp_gt_i32 s14, 22
	s_mov_b64 s[22:23], -1
	s_cbranch_scc0 .LBB38_94
; %bb.63:
	s_cmp_lt_i32 s14, 24
	s_mov_b64 s[16:17], -1
	s_cbranch_scc1 .LBB38_83
; %bb.64:
	s_cmp_gt_i32 s14, 24
	s_cbranch_scc0 .LBB38_72
; %bb.65:
	v_bfe_i32 v3, v2, 0, 8
	v_cvt_f32_i32_sdwa v3, sext(v3) dst_sel:DWORD dst_unused:UNUSED_PAD src0_sel:WORD_0
	s_mov_b32 s16, 0x47800000
	v_mov_b32_e32 v5, 0x80
	v_and_b32_e32 v4, 0x7fffffff, v3
	v_cmp_gt_u32_e32 vcc, s16, v4
	s_and_saveexec_b64 s[16:17], vcc
	s_cbranch_execz .LBB38_71
; %bb.66:
	s_mov_b32 s22, 0x37ffffff
	v_cmp_lt_u32_e32 vcc, s22, v4
	s_mov_b64 s[22:23], 0
                                        ; implicit-def: $vgpr4
	s_and_saveexec_b64 s[26:27], vcc
	s_xor_b64 s[26:27], exec, s[26:27]
	s_cbranch_execz .LBB38_279
; %bb.67:
	v_bfe_u32 v4, v3, 21, 1
	s_mov_b32 s28, 0x88fffff
	v_add3_u32 v4, v3, v4, s28
	s_mov_b64 s[22:23], exec
	v_lshrrev_b32_e32 v4, 21, v4
	s_andn2_saveexec_b64 s[26:27], s[26:27]
	s_cbranch_execnz .LBB38_280
.LBB38_68:
	s_or_b64 exec, exec, s[26:27]
	v_mov_b32_e32 v5, 0
	s_and_saveexec_b64 s[26:27], s[22:23]
.LBB38_69:
	v_lshrrev_b32_e32 v3, 24, v3
	s_movk_i32 s22, 0x80
	v_and_or_b32 v5, v3, s22, v4
.LBB38_70:
	s_or_b64 exec, exec, s[26:27]
.LBB38_71:
	s_or_b64 exec, exec, s[16:17]
	s_mov_b64 s[16:17], 0
	global_store_byte v[0:1], v5, off
.LBB38_72:
	s_and_b64 vcc, exec, s[16:17]
	s_cbranch_vccz .LBB38_82
; %bb.73:
	v_bfe_i32 v3, v2, 0, 8
	v_cvt_f32_i32_sdwa v3, sext(v3) dst_sel:DWORD dst_unused:UNUSED_PAD src0_sel:WORD_0
	s_mov_b32 s16, 0x43f00000
                                        ; implicit-def: $vgpr4
	v_and_b32_e32 v5, 0x7fffffff, v3
	v_cmp_gt_u32_e32 vcc, s16, v5
	s_and_saveexec_b64 s[16:17], vcc
	s_xor_b64 s[16:17], exec, s[16:17]
	s_cbranch_execz .LBB38_79
; %bb.74:
	s_mov_b32 s22, 0x3c7fffff
	v_cmp_lt_u32_e32 vcc, s22, v5
                                        ; implicit-def: $vgpr4
	s_and_saveexec_b64 s[22:23], vcc
	s_xor_b64 s[22:23], exec, s[22:23]
; %bb.75:
	v_bfe_u32 v4, v3, 20, 1
	s_mov_b32 s26, 0x407ffff
	v_add3_u32 v4, v3, v4, s26
	v_lshrrev_b32_e32 v5, 20, v4
	v_and_b32_e32 v4, 0xff00000, v4
	s_mov_b32 s26, 0x7f00000
	v_mov_b32_e32 v6, 0x7e
	v_cmp_ne_u32_e32 vcc, s26, v4
	v_cndmask_b32_e32 v4, v6, v5, vcc
; %bb.76:
	s_andn2_saveexec_b64 s[22:23], s[22:23]
; %bb.77:
	s_mov_b32 s26, 0x46800000
	v_add_f32_e64 v4, |v3|, s26
; %bb.78:
	s_or_b64 exec, exec, s[22:23]
                                        ; implicit-def: $vgpr5
.LBB38_79:
	s_andn2_saveexec_b64 s[16:17], s[16:17]
; %bb.80:
	s_mov_b32 s22, 0x7f800000
	v_mov_b32_e32 v4, 0x7e
	v_mov_b32_e32 v6, 0x7f
	v_cmp_lt_u32_e32 vcc, s22, v5
	v_cndmask_b32_e32 v4, v4, v6, vcc
; %bb.81:
	s_or_b64 exec, exec, s[16:17]
	v_lshrrev_b32_e32 v3, 24, v3
	s_movk_i32 s16, 0x80
	v_and_or_b32 v3, v3, s16, v4
	global_store_byte v[0:1], v3, off
.LBB38_82:
	s_mov_b64 s[16:17], 0
.LBB38_83:
	s_andn2_b64 vcc, exec, s[16:17]
	s_cbranch_vccnz .LBB38_93
; %bb.84:
	v_bfe_i32 v3, v2, 0, 8
	v_cvt_f32_i32_sdwa v3, sext(v3) dst_sel:DWORD dst_unused:UNUSED_PAD src0_sel:WORD_0
	s_mov_b32 s16, 0x47800000
                                        ; implicit-def: $vgpr4
	v_and_b32_e32 v5, 0x7fffffff, v3
	v_cmp_gt_u32_e32 vcc, s16, v5
	s_and_saveexec_b64 s[16:17], vcc
	s_xor_b64 s[16:17], exec, s[16:17]
	s_cbranch_execz .LBB38_90
; %bb.85:
	s_mov_b32 s22, 0x387fffff
	v_cmp_lt_u32_e32 vcc, s22, v5
                                        ; implicit-def: $vgpr4
	s_and_saveexec_b64 s[22:23], vcc
	s_xor_b64 s[22:23], exec, s[22:23]
; %bb.86:
	v_bfe_u32 v4, v3, 21, 1
	s_mov_b32 s26, 0x80fffff
	v_add3_u32 v4, v3, v4, s26
	v_lshrrev_b32_e32 v4, 21, v4
; %bb.87:
	s_andn2_saveexec_b64 s[22:23], s[22:23]
; %bb.88:
	s_mov_b32 s26, 0x43000000
	v_add_f32_e64 v4, |v3|, s26
; %bb.89:
	s_or_b64 exec, exec, s[22:23]
                                        ; implicit-def: $vgpr5
.LBB38_90:
	s_andn2_saveexec_b64 s[16:17], s[16:17]
; %bb.91:
	s_mov_b32 s22, 0x7f800000
	v_mov_b32_e32 v4, 0x7c
	v_mov_b32_e32 v6, 0x7f
	v_cmp_lt_u32_e32 vcc, s22, v5
	v_cndmask_b32_e32 v4, v4, v6, vcc
; %bb.92:
	s_or_b64 exec, exec, s[16:17]
	v_lshrrev_b32_e32 v3, 24, v3
	s_movk_i32 s16, 0x80
	v_and_or_b32 v3, v3, s16, v4
	global_store_byte v[0:1], v3, off
.LBB38_93:
	s_mov_b64 s[22:23], 0
	s_mov_b64 s[16:17], -1
.LBB38_94:
	s_andn2_b64 vcc, exec, s[22:23]
	s_cbranch_vccnz .LBB38_102
; %bb.95:
	s_cmp_gt_i32 s14, 14
	s_mov_b64 s[22:23], -1
	s_cbranch_scc0 .LBB38_99
; %bb.96:
	s_cmp_eq_u32 s14, 15
	s_mov_b64 s[0:1], -1
	s_cbranch_scc0 .LBB38_98
; %bb.97:
	v_bfe_i32 v3, v2, 0, 8
	v_cvt_f32_i32_sdwa v3, sext(v3) dst_sel:DWORD dst_unused:UNUSED_PAD src0_sel:WORD_0
	s_movk_i32 s0, 0x7fff
	s_mov_b64 s[16:17], -1
	v_bfe_u32 v4, v3, 16, 1
	v_add3_u32 v3, v3, v4, s0
	global_store_short_d16_hi v[0:1], v3, off
	s_mov_b64 s[0:1], 0
.LBB38_98:
	s_mov_b64 s[22:23], 0
.LBB38_99:
	s_and_b64 vcc, exec, s[22:23]
	s_cbranch_vccz .LBB38_102
; %bb.100:
	s_cmp_eq_u32 s14, 11
	s_mov_b64 s[0:1], -1
	s_cbranch_scc0 .LBB38_102
; %bb.101:
	v_mov_b32_e32 v3, 0
	v_cmp_ne_u16_sdwa s[0:1], v2, v3 src0_sel:BYTE_0 src1_sel:DWORD
	v_cndmask_b32_e64 v3, 0, 1, s[0:1]
	s_mov_b64 s[16:17], -1
	s_mov_b64 s[0:1], 0
	global_store_byte v[0:1], v3, off
.LBB38_102:
	s_branch .LBB38_20
.LBB38_103:
	s_and_b32 s3, 0xffff, s3
	s_cmp_lt_i32 s3, 5
	s_mov_b64 s[16:17], -1
	s_cbranch_scc1 .LBB38_124
; %bb.104:
	s_cmp_lt_i32 s3, 8
	s_cbranch_scc1 .LBB38_114
; %bb.105:
	s_cmp_lt_i32 s3, 9
	s_cbranch_scc1 .LBB38_111
; %bb.106:
	s_cmp_gt_i32 s3, 9
	s_cbranch_scc0 .LBB38_108
; %bb.107:
	v_bfe_i32 v3, v2, 0, 8
	v_bfe_i32 v3, v3, 0, 16
	v_cvt_f64_i32_e32 v[3:4], v3
	v_mov_b32_e32 v5, 0
	v_mov_b32_e32 v6, v5
	s_mov_b64 s[16:17], 0
	global_store_dwordx4 v[0:1], v[3:6], off
.LBB38_108:
	s_andn2_b64 vcc, exec, s[16:17]
	s_cbranch_vccnz .LBB38_110
; %bb.109:
	v_bfe_i32 v3, v2, 0, 8
	v_cvt_f32_i32_sdwa v3, sext(v3) dst_sel:DWORD dst_unused:UNUSED_PAD src0_sel:WORD_0
	v_mov_b32_e32 v4, 0
	global_store_dwordx2 v[0:1], v[3:4], off
.LBB38_110:
	s_mov_b64 s[16:17], 0
.LBB38_111:
	s_andn2_b64 vcc, exec, s[16:17]
	s_cbranch_vccnz .LBB38_113
; %bb.112:
	v_cvt_f16_i16_sdwa v3, sext(v2) dst_sel:DWORD dst_unused:UNUSED_PAD src0_sel:BYTE_0
	global_store_dword v[0:1], v3, off
.LBB38_113:
	s_mov_b64 s[16:17], 0
.LBB38_114:
	s_andn2_b64 vcc, exec, s[16:17]
	s_cbranch_vccnz .LBB38_123
; %bb.115:
	s_cmp_lt_i32 s3, 6
	s_mov_b64 s[16:17], -1
	s_cbranch_scc1 .LBB38_121
; %bb.116:
	s_cmp_gt_i32 s3, 6
	s_cbranch_scc0 .LBB38_118
; %bb.117:
	v_bfe_i32 v3, v2, 0, 8
	v_bfe_i32 v3, v3, 0, 16
	v_cvt_f64_i32_e32 v[3:4], v3
	s_mov_b64 s[16:17], 0
	global_store_dwordx2 v[0:1], v[3:4], off
.LBB38_118:
	s_andn2_b64 vcc, exec, s[16:17]
	s_cbranch_vccnz .LBB38_120
; %bb.119:
	v_bfe_i32 v3, v2, 0, 8
	v_cvt_f32_i32_sdwa v3, sext(v3) dst_sel:DWORD dst_unused:UNUSED_PAD src0_sel:WORD_0
	global_store_dword v[0:1], v3, off
.LBB38_120:
	s_mov_b64 s[16:17], 0
.LBB38_121:
	s_andn2_b64 vcc, exec, s[16:17]
	s_cbranch_vccnz .LBB38_123
; %bb.122:
	v_cvt_f16_i16_sdwa v3, sext(v2) dst_sel:DWORD dst_unused:UNUSED_PAD src0_sel:BYTE_0
	global_store_short v[0:1], v3, off
.LBB38_123:
	s_mov_b64 s[16:17], 0
.LBB38_124:
	s_andn2_b64 vcc, exec, s[16:17]
	s_cbranch_vccnz .LBB38_140
; %bb.125:
	s_cmp_lt_i32 s3, 2
	s_mov_b64 s[16:17], -1
	s_cbranch_scc1 .LBB38_135
; %bb.126:
	s_cmp_lt_i32 s3, 3
	s_cbranch_scc1 .LBB38_132
; %bb.127:
	s_cmp_gt_i32 s3, 3
	s_cbranch_scc0 .LBB38_129
; %bb.128:
	v_bfe_i32 v3, v2, 0, 8
	v_ashrrev_i32_e32 v4, 31, v3
	global_store_dwordx2 v[0:1], v[3:4], off
	s_mov_b64 s[16:17], 0
.LBB38_129:
	s_andn2_b64 vcc, exec, s[16:17]
	s_cbranch_vccnz .LBB38_131
; %bb.130:
	v_bfe_i32 v3, v2, 0, 8
	global_store_dword v[0:1], v3, off
.LBB38_131:
	s_mov_b64 s[16:17], 0
.LBB38_132:
	s_andn2_b64 vcc, exec, s[16:17]
	s_cbranch_vccnz .LBB38_134
; %bb.133:
	v_bfe_i32 v3, v2, 0, 8
	global_store_short v[0:1], v3, off
.LBB38_134:
	s_mov_b64 s[16:17], 0
.LBB38_135:
	s_andn2_b64 vcc, exec, s[16:17]
	s_cbranch_vccnz .LBB38_140
; %bb.136:
	s_cmp_gt_i32 s3, 0
	s_mov_b64 s[16:17], -1
	s_cbranch_scc0 .LBB38_138
; %bb.137:
	global_store_byte v[0:1], v2, off
	s_mov_b64 s[16:17], 0
.LBB38_138:
	s_andn2_b64 vcc, exec, s[16:17]
	s_cbranch_vccnz .LBB38_140
; %bb.139:
	global_store_byte v[0:1], v2, off
.LBB38_140:
	s_branch .LBB38_21
.LBB38_141:
	s_mov_b64 s[22:23], 0
                                        ; implicit-def: $vgpr9
	s_branch .LBB38_247
.LBB38_142:
	s_mov_b64 s[18:19], -1
                                        ; implicit-def: $vgpr2
.LBB38_143:
	s_mov_b64 s[16:17], 0
.LBB38_144:
	s_and_b64 vcc, exec, s[16:17]
	s_cbranch_vccz .LBB38_148
; %bb.145:
	s_cmp_eq_u32 s14, 29
	s_cbranch_scc0 .LBB38_147
; %bb.146:
	global_load_dwordx2 v[2:3], v[0:1], off
	s_mov_b64 s[0:1], -1
	s_mov_b64 s[18:19], 0
	s_branch .LBB38_148
.LBB38_147:
	s_mov_b64 s[18:19], -1
                                        ; implicit-def: $vgpr2
.LBB38_148:
	s_mov_b64 s[16:17], 0
.LBB38_149:
	s_and_b64 vcc, exec, s[16:17]
	s_cbranch_vccz .LBB38_165
; %bb.150:
	s_cmp_lt_i32 s14, 27
	s_cbranch_scc1 .LBB38_153
; %bb.151:
	s_cmp_gt_i32 s14, 27
	s_cbranch_scc0 .LBB38_154
; %bb.152:
	global_load_dword v2, v[0:1], off
	s_mov_b64 s[0:1], 0
	s_branch .LBB38_155
.LBB38_153:
	s_mov_b64 s[0:1], -1
                                        ; implicit-def: $vgpr2
	s_branch .LBB38_158
.LBB38_154:
	s_mov_b64 s[0:1], -1
                                        ; implicit-def: $vgpr2
.LBB38_155:
	s_andn2_b64 vcc, exec, s[0:1]
	s_cbranch_vccnz .LBB38_157
; %bb.156:
	global_load_ushort v2, v[0:1], off
.LBB38_157:
	s_mov_b64 s[0:1], 0
.LBB38_158:
	s_andn2_b64 vcc, exec, s[0:1]
	s_cbranch_vccnz .LBB38_164
; %bb.159:
	global_load_ubyte v3, v[0:1], off
	s_movk_i32 s0, 0x7f
	s_mov_b64 s[16:17], 0
	s_waitcnt vmcnt(0)
	v_cmp_lt_i16_e32 vcc, s0, v3
	s_and_saveexec_b64 s[0:1], vcc
	s_xor_b64 s[0:1], exec, s[0:1]
	s_cbranch_execz .LBB38_175
; %bb.160:
	s_movk_i32 s16, 0x80
	v_cmp_ne_u16_e32 vcc, s16, v3
	s_and_b64 s[16:17], vcc, exec
	s_andn2_saveexec_b64 s[0:1], s[0:1]
	s_cbranch_execnz .LBB38_176
.LBB38_161:
	s_or_b64 exec, exec, s[0:1]
	v_mov_b32_e32 v2, 0
	s_and_saveexec_b64 s[0:1], s[16:17]
	s_cbranch_execz .LBB38_163
.LBB38_162:
	v_lshlrev_b32_e32 v2, 24, v3
	v_and_b32_e32 v3, 0xffff, v3
	v_and_b32_e32 v4, 7, v3
	v_ffbh_u32_e32 v6, v4
	v_min_u32_e32 v6, 32, v6
	v_subrev_u32_e32 v7, 28, v6
	v_bfe_u32 v5, v3, 3, 4
	v_lshlrev_b32_e32 v3, v7, v3
	v_sub_u32_e32 v6, 29, v6
	v_and_b32_e32 v3, 7, v3
	v_cmp_eq_u32_e32 vcc, 0, v5
	v_cndmask_b32_e32 v5, v5, v6, vcc
	v_cndmask_b32_e32 v3, v4, v3, vcc
	v_mov_b32_e32 v4, 0x3b800000
	v_lshlrev_b32_e32 v3, 20, v3
	v_and_b32_e32 v2, 0x80000000, v2
	v_lshl_add_u32 v4, v5, 23, v4
	v_or3_b32 v2, v2, v4, v3
	v_cvt_i32_f32_e32 v2, v2
.LBB38_163:
	s_or_b64 exec, exec, s[0:1]
.LBB38_164:
	s_mov_b64 s[0:1], -1
.LBB38_165:
	s_branch .LBB38_198
.LBB38_166:
	s_cmp_gt_i32 s14, 22
	s_cbranch_scc0 .LBB38_174
; %bb.167:
	s_cmp_lt_i32 s14, 24
	s_cbranch_scc1 .LBB38_177
; %bb.168:
	s_cmp_gt_i32 s14, 24
	s_cbranch_scc0 .LBB38_178
; %bb.169:
	global_load_ubyte v3, v[0:1], off
	s_movk_i32 s0, 0x7f
	s_mov_b64 s[16:17], 0
	s_waitcnt vmcnt(0)
	v_cmp_lt_i16_e32 vcc, s0, v3
	s_and_saveexec_b64 s[0:1], vcc
	s_xor_b64 s[0:1], exec, s[0:1]
	s_cbranch_execz .LBB38_190
; %bb.170:
	s_movk_i32 s16, 0x80
	v_cmp_ne_u16_e32 vcc, s16, v3
	s_and_b64 s[16:17], vcc, exec
	s_andn2_saveexec_b64 s[0:1], s[0:1]
	s_cbranch_execnz .LBB38_191
.LBB38_171:
	s_or_b64 exec, exec, s[0:1]
	v_mov_b32_e32 v2, 0
	s_and_saveexec_b64 s[0:1], s[16:17]
	s_cbranch_execz .LBB38_173
.LBB38_172:
	v_lshlrev_b32_e32 v2, 24, v3
	v_and_b32_e32 v3, 0xffff, v3
	v_and_b32_e32 v4, 3, v3
	v_ffbh_u32_e32 v6, v4
	v_min_u32_e32 v6, 32, v6
	v_subrev_u32_e32 v7, 29, v6
	v_bfe_u32 v5, v3, 2, 5
	v_lshlrev_b32_e32 v3, v7, v3
	v_sub_u32_e32 v6, 30, v6
	v_and_b32_e32 v3, 3, v3
	v_cmp_eq_u32_e32 vcc, 0, v5
	v_cndmask_b32_e32 v5, v5, v6, vcc
	v_cndmask_b32_e32 v3, v4, v3, vcc
	v_mov_b32_e32 v4, 0x37800000
	v_lshlrev_b32_e32 v3, 21, v3
	v_and_b32_e32 v2, 0x80000000, v2
	v_lshl_add_u32 v4, v5, 23, v4
	v_or3_b32 v2, v2, v4, v3
	v_cvt_i32_f32_e32 v2, v2
.LBB38_173:
	s_or_b64 exec, exec, s[0:1]
	s_mov_b64 s[0:1], 0
	s_branch .LBB38_179
.LBB38_174:
	s_mov_b64 s[16:17], -1
                                        ; implicit-def: $vgpr2
	s_branch .LBB38_185
.LBB38_175:
	s_andn2_saveexec_b64 s[0:1], s[0:1]
	s_cbranch_execz .LBB38_161
.LBB38_176:
	v_cmp_ne_u16_e32 vcc, 0, v3
	s_andn2_b64 s[16:17], s[16:17], exec
	s_and_b64 s[22:23], vcc, exec
	s_or_b64 s[16:17], s[16:17], s[22:23]
	s_or_b64 exec, exec, s[0:1]
	v_mov_b32_e32 v2, 0
	s_and_saveexec_b64 s[0:1], s[16:17]
	s_cbranch_execnz .LBB38_162
	s_branch .LBB38_163
.LBB38_177:
	s_mov_b64 s[0:1], -1
                                        ; implicit-def: $vgpr2
	s_branch .LBB38_182
.LBB38_178:
	s_mov_b64 s[0:1], -1
                                        ; implicit-def: $vgpr2
.LBB38_179:
	s_and_b64 vcc, exec, s[0:1]
	s_cbranch_vccz .LBB38_181
; %bb.180:
	global_load_ubyte v2, v[0:1], off
	s_mov_b32 s0, 0x7f800000
	s_waitcnt vmcnt(0)
	v_lshlrev_b32_e32 v2, 24, v2
	v_and_b32_e32 v3, 0x7f000000, v2
	v_ffbh_u32_e32 v4, v3
	v_min_u32_e32 v4, 32, v4
	v_sub_u32_e64 v4, v4, 4 clamp
	v_lshlrev_b32_e32 v6, v4, v3
	v_lshlrev_b32_e32 v4, 23, v4
	v_lshrrev_b32_e32 v6, 4, v6
	v_add_u32_e32 v5, 0x1000000, v3
	v_sub_u32_e32 v4, v6, v4
	v_ashrrev_i32_e32 v5, 8, v5
	v_add_u32_e32 v4, 0x3c000000, v4
	v_and_or_b32 v4, v5, s0, v4
	v_cmp_ne_u32_e32 vcc, 0, v3
	v_cndmask_b32_e32 v3, 0, v4, vcc
	s_brev_b32 s0, 1
	v_and_or_b32 v2, v2, s0, v3
	v_cvt_i32_f32_e32 v2, v2
.LBB38_181:
	s_mov_b64 s[0:1], 0
.LBB38_182:
	s_andn2_b64 vcc, exec, s[0:1]
	s_cbranch_vccnz .LBB38_184
; %bb.183:
	global_load_ubyte v2, v[0:1], off
	s_movk_i32 s0, 0x7f00
	s_brev_b32 s1, 16
	s_waitcnt vmcnt(0)
	v_lshlrev_b16_e32 v3, 8, v2
	v_lshlrev_b32_e32 v2, 25, v2
	v_lshrrev_b32_e32 v4, 4, v2
	v_and_or_b32 v5, v3, s0, 0.5
	v_or_b32_e32 v4, 0x70000000, v4
	v_add_f32_e32 v5, -0.5, v5
	v_mul_f32_e32 v4, 0x7800000, v4
	v_cmp_gt_u32_e32 vcc, s1, v2
	v_bfe_i32 v3, v3, 0, 16
	v_cndmask_b32_e32 v2, v4, v5, vcc
	s_brev_b32 s0, 1
	v_and_or_b32 v2, v3, s0, v2
	v_cvt_i32_f32_e32 v2, v2
.LBB38_184:
	s_mov_b64 s[16:17], 0
	s_mov_b64 s[0:1], -1
.LBB38_185:
	s_andn2_b64 vcc, exec, s[16:17]
	s_cbranch_vccnz .LBB38_198
; %bb.186:
	s_cmp_gt_i32 s14, 14
	s_cbranch_scc0 .LBB38_189
; %bb.187:
	s_cmp_eq_u32 s14, 15
	s_cbranch_scc0 .LBB38_192
; %bb.188:
	global_load_ushort v2, v[0:1], off
	s_mov_b64 s[0:1], -1
	s_mov_b64 s[18:19], 0
	s_waitcnt vmcnt(0)
	v_lshlrev_b32_e32 v2, 16, v2
	v_cvt_i32_f32_e32 v2, v2
	s_branch .LBB38_193
.LBB38_189:
	s_mov_b64 s[16:17], -1
                                        ; implicit-def: $vgpr2
	s_branch .LBB38_194
.LBB38_190:
	s_andn2_saveexec_b64 s[0:1], s[0:1]
	s_cbranch_execz .LBB38_171
.LBB38_191:
	v_cmp_ne_u16_e32 vcc, 0, v3
	s_andn2_b64 s[16:17], s[16:17], exec
	s_and_b64 s[22:23], vcc, exec
	s_or_b64 s[16:17], s[16:17], s[22:23]
	s_or_b64 exec, exec, s[0:1]
	v_mov_b32_e32 v2, 0
	s_and_saveexec_b64 s[0:1], s[16:17]
	s_cbranch_execnz .LBB38_172
	s_branch .LBB38_173
.LBB38_192:
	s_mov_b64 s[18:19], -1
                                        ; implicit-def: $vgpr2
.LBB38_193:
	s_mov_b64 s[16:17], 0
.LBB38_194:
	s_and_b64 vcc, exec, s[16:17]
	s_cbranch_vccz .LBB38_198
; %bb.195:
	s_cmp_eq_u32 s14, 11
	s_cbranch_scc0 .LBB38_197
; %bb.196:
	global_load_ubyte v2, v[0:1], off
	s_mov_b64 s[0:1], -1
	s_mov_b64 s[18:19], 0
	s_waitcnt vmcnt(0)
	v_cmp_ne_u16_e32 vcc, 0, v2
	v_cndmask_b32_e64 v2, 0, 1, vcc
	s_branch .LBB38_198
.LBB38_197:
	s_mov_b64 s[18:19], -1
                                        ; implicit-def: $vgpr2
.LBB38_198:
	s_branch .LBB38_10
.LBB38_199:
	s_and_b32 s3, 0xffff, s3
	s_cmp_lt_i32 s3, 5
	s_cbranch_scc1 .LBB38_204
; %bb.200:
	s_cmp_lt_i32 s3, 8
	s_cbranch_scc1 .LBB38_205
; %bb.201:
	;; [unrolled: 3-line block ×3, first 2 shown]
	s_cmp_gt_i32 s3, 9
	s_cbranch_scc0 .LBB38_207
; %bb.203:
	global_load_dwordx2 v[2:3], v[0:1], off
	s_mov_b64 s[0:1], 0
	s_waitcnt vmcnt(0)
	v_cvt_i32_f64_e32 v2, v[2:3]
	s_branch .LBB38_208
.LBB38_204:
                                        ; implicit-def: $vgpr2
	s_branch .LBB38_226
.LBB38_205:
	s_mov_b64 s[0:1], -1
                                        ; implicit-def: $vgpr2
	s_branch .LBB38_214
.LBB38_206:
	s_mov_b64 s[0:1], -1
                                        ; implicit-def: $vgpr2
	s_branch .LBB38_211
.LBB38_207:
	s_mov_b64 s[0:1], -1
                                        ; implicit-def: $vgpr2
.LBB38_208:
	s_andn2_b64 vcc, exec, s[0:1]
	s_cbranch_vccnz .LBB38_210
; %bb.209:
	global_load_dword v2, v[0:1], off
	s_waitcnt vmcnt(0)
	v_cvt_i32_f32_e32 v2, v2
.LBB38_210:
	s_mov_b64 s[0:1], 0
.LBB38_211:
	s_andn2_b64 vcc, exec, s[0:1]
	s_cbranch_vccnz .LBB38_213
; %bb.212:
	global_load_dword v2, v[0:1], off
	s_waitcnt vmcnt(0)
	v_cvt_i16_f16_e32 v2, v2
.LBB38_213:
	s_mov_b64 s[0:1], 0
.LBB38_214:
	s_andn2_b64 vcc, exec, s[0:1]
	s_cbranch_vccnz .LBB38_225
; %bb.215:
	s_cmp_lt_i32 s3, 6
	s_cbranch_scc1 .LBB38_218
; %bb.216:
	s_cmp_gt_i32 s3, 6
	s_cbranch_scc0 .LBB38_219
; %bb.217:
	global_load_dwordx2 v[2:3], v[0:1], off
	s_mov_b64 s[0:1], 0
	s_waitcnt vmcnt(0)
	v_cvt_i32_f64_e32 v2, v[2:3]
	s_branch .LBB38_220
.LBB38_218:
	s_mov_b64 s[0:1], -1
                                        ; implicit-def: $vgpr2
	s_branch .LBB38_223
.LBB38_219:
	s_mov_b64 s[0:1], -1
                                        ; implicit-def: $vgpr2
.LBB38_220:
	s_andn2_b64 vcc, exec, s[0:1]
	s_cbranch_vccnz .LBB38_222
; %bb.221:
	global_load_dword v2, v[0:1], off
	s_waitcnt vmcnt(0)
	v_cvt_i32_f32_e32 v2, v2
.LBB38_222:
	s_mov_b64 s[0:1], 0
.LBB38_223:
	s_andn2_b64 vcc, exec, s[0:1]
	s_cbranch_vccnz .LBB38_225
; %bb.224:
	global_load_ushort v2, v[0:1], off
	s_waitcnt vmcnt(0)
	v_cvt_i16_f16_e32 v2, v2
.LBB38_225:
	s_cbranch_execnz .LBB38_245
.LBB38_226:
	s_cmp_lt_i32 s3, 2
	s_cbranch_scc1 .LBB38_230
; %bb.227:
	s_cmp_lt_i32 s3, 3
	s_cbranch_scc1 .LBB38_231
; %bb.228:
	s_cmp_gt_i32 s3, 3
	s_cbranch_scc0 .LBB38_232
; %bb.229:
	global_load_dwordx2 v[2:3], v[0:1], off
	s_mov_b64 s[0:1], 0
	s_branch .LBB38_233
.LBB38_230:
	s_mov_b64 s[0:1], -1
                                        ; implicit-def: $vgpr2
	s_branch .LBB38_239
.LBB38_231:
	s_mov_b64 s[0:1], -1
                                        ; implicit-def: $vgpr2
	s_branch .LBB38_236
.LBB38_232:
	s_mov_b64 s[0:1], -1
                                        ; implicit-def: $vgpr2
.LBB38_233:
	s_andn2_b64 vcc, exec, s[0:1]
	s_cbranch_vccnz .LBB38_235
; %bb.234:
	global_load_dword v2, v[0:1], off
.LBB38_235:
	s_mov_b64 s[0:1], 0
.LBB38_236:
	s_andn2_b64 vcc, exec, s[0:1]
	s_cbranch_vccnz .LBB38_238
; %bb.237:
	global_load_ushort v2, v[0:1], off
.LBB38_238:
	s_mov_b64 s[0:1], 0
.LBB38_239:
	s_andn2_b64 vcc, exec, s[0:1]
	s_cbranch_vccnz .LBB38_245
; %bb.240:
	s_cmp_gt_i32 s3, 0
	s_cbranch_scc0 .LBB38_242
; %bb.241:
	global_load_ubyte v2, v[0:1], off
	s_mov_b64 s[0:1], 0
	s_branch .LBB38_243
.LBB38_242:
	s_mov_b64 s[0:1], -1
                                        ; implicit-def: $vgpr2
.LBB38_243:
	s_andn2_b64 vcc, exec, s[0:1]
	s_cbranch_vccnz .LBB38_245
; %bb.244:
	global_load_ubyte v2, v[0:1], off
.LBB38_245:
	s_branch .LBB38_11
.LBB38_246:
	s_mov_b64 s[0:1], 0
                                        ; implicit-def: $vgpr9
	s_mov_b64 s[22:23], 0
.LBB38_247:
	s_and_b64 s[16:17], s[0:1], exec
	s_and_b64 s[18:19], s[18:19], exec
	s_orn2_b64 s[22:23], s[22:23], exec
.LBB38_248:
	s_or_b64 exec, exec, s[20:21]
	s_mov_b64 s[26:27], 0
	s_mov_b64 s[0:1], 0
                                        ; implicit-def: $sgpr3
                                        ; implicit-def: $vgpr0_vgpr1
                                        ; implicit-def: $vgpr2
	s_and_saveexec_b64 s[20:21], s[22:23]
	s_cbranch_execz .LBB38_257
; %bb.249:
	v_cmp_gt_i32_e32 vcc, s42, v9
	s_mov_b64 s[0:1], -1
	s_mov_b64 s[22:23], s[18:19]
	s_mov_b64 s[24:25], s[16:17]
	s_and_saveexec_b64 s[26:27], vcc
	s_cbranch_execz .LBB38_505
; %bb.250:
	v_mul_lo_u32 v0, v9, s13
	v_mov_b32_e32 v1, s11
	s_and_b32 s3, s15, 0xff
	s_cmp_lt_i32 s3, 11
	s_waitcnt vmcnt(0)
	v_ashrrev_i32_e32 v2, 31, v0
	v_add_co_u32_e32 v0, vcc, s10, v0
	v_addc_co_u32_e32 v1, vcc, v1, v2, vcc
	s_cbranch_scc1 .LBB38_260
; %bb.251:
	s_and_b32 s14, 0xffff, s3
	s_cmp_gt_i32 s14, 25
	s_cbranch_scc0 .LBB38_269
; %bb.252:
	s_cmp_gt_i32 s14, 28
	s_cbranch_scc0 .LBB38_271
; %bb.253:
	;; [unrolled: 3-line block ×4, first 2 shown]
	s_cmp_eq_u32 s14, 46
	s_mov_b64 s[24:25], 0
	s_cbranch_scc0 .LBB38_281
; %bb.256:
	global_load_dword v2, v[0:1], off
	s_mov_b64 s[22:23], 0
	s_waitcnt vmcnt(0)
	v_lshlrev_b32_e32 v2, 16, v2
	v_cvt_i32_f32_e32 v2, v2
	s_branch .LBB38_282
.LBB38_257:
	s_or_b64 exec, exec, s[20:21]
	s_mov_b64 s[20:21], 0
	s_and_saveexec_b64 s[22:23], s[18:19]
	s_cbranch_execnz .LBB38_843
.LBB38_258:
	s_or_b64 exec, exec, s[22:23]
	s_and_saveexec_b64 s[18:19], s[24:25]
	s_xor_b64 s[18:19], exec, s[18:19]
	s_cbranch_execz .LBB38_844
.LBB38_259:
	global_load_ubyte v2, v[0:1], off
	s_or_b64 s[0:1], s[0:1], exec
	s_waitcnt vmcnt(0)
	v_cmp_ne_u16_e32 vcc, 0, v2
	v_cndmask_b32_e64 v2, 0, 1, vcc
	s_or_b64 exec, exec, s[18:19]
	s_and_saveexec_b64 s[18:19], s[26:27]
	s_cbranch_execz .LBB38_890
	s_branch .LBB38_845
.LBB38_260:
	s_mov_b64 s[0:1], 0
                                        ; implicit-def: $vgpr2
	s_mov_b64 s[22:23], s[18:19]
	s_cbranch_execnz .LBB38_455
.LBB38_261:
	s_andn2_b64 vcc, exec, s[0:1]
	s_cbranch_vccnz .LBB38_503
.LBB38_262:
	v_mul_lo_u32 v1, v9, s12
	v_mov_b32_e32 v0, s46
	s_waitcnt vmcnt(0)
	v_mov_b32_e32 v3, s47
	v_cmp_gt_i16_sdwa vcc, sext(v2), s33 src0_sel:BYTE_0 src1_sel:DWORD
	v_cndmask_b32_e32 v2, v0, v3, vcc
	v_ashrrev_i32_e32 v3, 31, v1
	v_mov_b32_e32 v4, s9
	s_and_b32 s3, s2, 0xff
	v_add_co_u32_e32 v0, vcc, s8, v1
	s_cmp_lt_i32 s3, 11
	v_addc_co_u32_e32 v1, vcc, v4, v3, vcc
	s_cbranch_scc1 .LBB38_270
; %bb.263:
	s_and_b32 s14, 0xffff, s3
	s_cmp_gt_i32 s14, 25
	s_cbranch_scc0 .LBB38_272
; %bb.264:
	s_cmp_gt_i32 s14, 28
	s_cbranch_scc0 .LBB38_274
; %bb.265:
	;; [unrolled: 3-line block ×4, first 2 shown]
	s_mov_b64 s[28:29], 0
	s_mov_b64 s[0:1], -1
	s_cmp_eq_u32 s14, 46
	s_mov_b64 s[24:25], 0
	s_cbranch_scc0 .LBB38_286
; %bb.268:
	v_bfe_i32 v3, v2, 0, 8
	v_cvt_f32_i32_sdwa v3, sext(v3) dst_sel:DWORD dst_unused:UNUSED_PAD src0_sel:WORD_0
	s_movk_i32 s0, 0x7fff
	s_mov_b64 s[24:25], -1
	v_bfe_u32 v4, v3, 16, 1
	v_add3_u32 v3, v3, v4, s0
	v_lshrrev_b32_e32 v3, 16, v3
	global_store_dword v[0:1], v3, off
	s_mov_b64 s[0:1], 0
	s_branch .LBB38_286
.LBB38_269:
	s_mov_b64 s[24:25], -1
	s_mov_b64 s[0:1], 0
	s_mov_b64 s[22:23], s[18:19]
                                        ; implicit-def: $vgpr2
	s_branch .LBB38_421
.LBB38_270:
	s_mov_b64 s[28:29], -1
	s_mov_b64 s[24:25], 0
	s_mov_b64 s[0:1], s[16:17]
	s_branch .LBB38_355
.LBB38_271:
	s_mov_b64 s[24:25], -1
	s_mov_b64 s[0:1], 0
	s_mov_b64 s[22:23], s[18:19]
                                        ; implicit-def: $vgpr2
	s_branch .LBB38_404
.LBB38_272:
	s_mov_b64 s[28:29], -1
	s_mov_b64 s[24:25], 0
	s_mov_b64 s[0:1], s[16:17]
	s_branch .LBB38_313
.LBB38_273:
	s_mov_b64 s[24:25], -1
	s_mov_b64 s[0:1], 0
	s_mov_b64 s[22:23], s[18:19]
                                        ; implicit-def: $vgpr2
	s_branch .LBB38_399
.LBB38_274:
	s_mov_b64 s[28:29], -1
	s_mov_b64 s[24:25], 0
	s_mov_b64 s[0:1], s[16:17]
	s_branch .LBB38_296
.LBB38_275:
	s_andn2_saveexec_b64 s[26:27], s[26:27]
	s_cbranch_execz .LBB38_55
.LBB38_276:
	s_mov_b32 s28, 0x46000000
	v_add_f32_e64 v4, |v3|, s28
	v_and_b32_e32 v4, 0xff, v4
	v_cmp_ne_u32_e32 vcc, 0, v4
	s_andn2_b64 s[22:23], s[22:23], exec
	s_and_b64 s[28:29], vcc, exec
	s_or_b64 s[22:23], s[22:23], s[28:29]
	s_or_b64 exec, exec, s[26:27]
	v_mov_b32_e32 v5, 0
	s_and_saveexec_b64 s[26:27], s[22:23]
	s_cbranch_execnz .LBB38_56
	s_branch .LBB38_57
.LBB38_277:
	s_mov_b64 s[24:25], -1
	s_mov_b64 s[0:1], 0
	s_mov_b64 s[22:23], s[18:19]
                                        ; implicit-def: $vgpr2
	s_branch .LBB38_282
.LBB38_278:
	s_mov_b64 s[28:29], -1
	s_mov_b64 s[24:25], 0
	s_mov_b64 s[0:1], s[16:17]
	s_branch .LBB38_292
.LBB38_279:
	s_andn2_saveexec_b64 s[26:27], s[26:27]
	s_cbranch_execz .LBB38_68
.LBB38_280:
	s_mov_b32 s28, 0x42800000
	v_add_f32_e64 v4, |v3|, s28
	v_and_b32_e32 v4, 0xff, v4
	v_cmp_ne_u32_e32 vcc, 0, v4
	s_andn2_b64 s[22:23], s[22:23], exec
	s_and_b64 s[28:29], vcc, exec
	s_or_b64 s[22:23], s[22:23], s[28:29]
	s_or_b64 exec, exec, s[26:27]
	v_mov_b32_e32 v5, 0
	s_and_saveexec_b64 s[26:27], s[22:23]
	s_cbranch_execnz .LBB38_69
	s_branch .LBB38_70
.LBB38_281:
	s_mov_b64 s[22:23], -1
                                        ; implicit-def: $vgpr2
	s_mov_b64 s[0:1], 0
.LBB38_282:
	s_and_b64 vcc, exec, s[24:25]
	s_cbranch_vccz .LBB38_398
; %bb.283:
	s_cmp_eq_u32 s14, 44
	s_cbranch_scc0 .LBB38_397
; %bb.284:
	global_load_ubyte v2, v[0:1], off
	s_mov_b64 s[0:1], -1
	s_mov_b64 s[22:23], 0
	s_waitcnt vmcnt(0)
	v_lshlrev_b32_e32 v3, 23, v2
	v_cvt_i32_f32_e32 v3, v3
	v_cmp_ne_u32_e32 vcc, 0, v2
	v_cndmask_b32_e32 v2, 0, v3, vcc
	s_branch .LBB38_398
.LBB38_285:
	s_mov_b64 s[28:29], -1
	s_mov_b64 s[24:25], 0
	s_mov_b64 s[0:1], s[16:17]
.LBB38_286:
	s_and_b64 vcc, exec, s[28:29]
	s_cbranch_vccz .LBB38_291
; %bb.287:
	s_cmp_eq_u32 s14, 44
	s_mov_b64 s[0:1], -1
	s_cbranch_scc0 .LBB38_291
; %bb.288:
	v_bfe_i32 v3, v2, 0, 8
	v_cvt_f32_i32_sdwa v3, sext(v3) dst_sel:DWORD dst_unused:UNUSED_PAD src0_sel:WORD_0
	s_movk_i32 s0, 0xff
	v_mov_b32_e32 v5, 0xff
	v_bfe_u32 v4, v3, 23, 8
	v_cmp_ne_u32_e32 vcc, s0, v4
	s_and_saveexec_b64 s[24:25], vcc
; %bb.289:
	s_mov_b32 s0, 0x3fffff
	v_lshrrev_b32_e32 v5, 23, v3
	v_and_b32_e32 v6, 0x400000, v3
	v_and_or_b32 v3, v3, s0, v4
	v_cmp_ne_u32_e32 vcc, 0, v6
	v_cmp_ne_u32_e64 s[0:1], 0, v3
	s_and_b64 s[0:1], vcc, s[0:1]
	v_cndmask_b32_e64 v3, 0, 1, s[0:1]
	v_add_u32_e32 v5, v5, v3
; %bb.290:
	s_or_b64 exec, exec, s[24:25]
	s_mov_b64 s[24:25], -1
	s_mov_b64 s[0:1], 0
	global_store_byte v[0:1], v5, off
.LBB38_291:
	s_mov_b64 s[28:29], 0
.LBB38_292:
	s_and_b64 vcc, exec, s[28:29]
	s_cbranch_vccz .LBB38_295
; %bb.293:
	s_cmp_eq_u32 s14, 29
	s_mov_b64 s[0:1], -1
	s_cbranch_scc0 .LBB38_295
; %bb.294:
	v_bfe_i32 v3, v2, 0, 8
	v_ashrrev_i32_e32 v4, 31, v3
	global_store_dwordx2 v[0:1], v[3:4], off
	s_mov_b64 s[24:25], -1
	s_mov_b64 s[0:1], 0
.LBB38_295:
	s_mov_b64 s[28:29], 0
.LBB38_296:
	s_and_b64 vcc, exec, s[28:29]
	s_cbranch_vccz .LBB38_312
; %bb.297:
	s_cmp_lt_i32 s14, 27
	s_mov_b64 s[24:25], -1
	s_cbranch_scc1 .LBB38_303
; %bb.298:
	s_cmp_gt_i32 s14, 27
	s_cbranch_scc0 .LBB38_300
; %bb.299:
	v_bfe_i32 v3, v2, 0, 8
	s_mov_b64 s[24:25], 0
	global_store_dword v[0:1], v3, off
.LBB38_300:
	s_andn2_b64 vcc, exec, s[24:25]
	s_cbranch_vccnz .LBB38_302
; %bb.301:
	v_bfe_i32 v3, v2, 0, 8
	global_store_short v[0:1], v3, off
.LBB38_302:
	s_mov_b64 s[24:25], 0
.LBB38_303:
	s_andn2_b64 vcc, exec, s[24:25]
	s_cbranch_vccnz .LBB38_311
; %bb.304:
	v_bfe_i32 v3, v2, 0, 8
	v_cvt_f32_i32_sdwa v3, sext(v3) dst_sel:DWORD dst_unused:UNUSED_PAD src0_sel:WORD_0
	s_mov_b32 s24, 0x43800000
	v_mov_b32_e32 v5, 0x80
	v_and_b32_e32 v4, 0x7fffffff, v3
	v_cmp_gt_u32_e32 vcc, s24, v4
	s_and_saveexec_b64 s[24:25], vcc
	s_cbranch_execz .LBB38_310
; %bb.305:
	s_mov_b32 s28, 0x3bffffff
	v_cmp_lt_u32_e32 vcc, s28, v4
	s_mov_b64 s[28:29], 0
                                        ; implicit-def: $vgpr4
	s_and_saveexec_b64 s[30:31], vcc
	s_xor_b64 s[30:31], exec, s[30:31]
	s_cbranch_execz .LBB38_518
; %bb.306:
	v_bfe_u32 v4, v3, 20, 1
	s_mov_b32 s34, 0x487ffff
	v_add3_u32 v4, v3, v4, s34
	s_mov_b64 s[28:29], exec
	v_lshrrev_b32_e32 v4, 20, v4
	s_andn2_saveexec_b64 s[30:31], s[30:31]
	s_cbranch_execnz .LBB38_519
.LBB38_307:
	s_or_b64 exec, exec, s[30:31]
	v_mov_b32_e32 v5, 0
	s_and_saveexec_b64 s[30:31], s[28:29]
.LBB38_308:
	v_lshrrev_b32_e32 v3, 24, v3
	s_movk_i32 s28, 0x80
	v_and_or_b32 v5, v3, s28, v4
.LBB38_309:
	s_or_b64 exec, exec, s[30:31]
.LBB38_310:
	s_or_b64 exec, exec, s[24:25]
	global_store_byte v[0:1], v5, off
.LBB38_311:
	s_mov_b64 s[24:25], -1
.LBB38_312:
	s_mov_b64 s[28:29], 0
.LBB38_313:
	s_and_b64 vcc, exec, s[28:29]
	s_cbranch_vccz .LBB38_354
; %bb.314:
	s_cmp_gt_i32 s14, 22
	s_mov_b64 s[28:29], -1
	s_cbranch_scc0 .LBB38_346
; %bb.315:
	s_cmp_lt_i32 s14, 24
	s_mov_b64 s[24:25], -1
	s_cbranch_scc1 .LBB38_335
; %bb.316:
	s_cmp_gt_i32 s14, 24
	s_cbranch_scc0 .LBB38_324
; %bb.317:
	v_bfe_i32 v3, v2, 0, 8
	v_cvt_f32_i32_sdwa v3, sext(v3) dst_sel:DWORD dst_unused:UNUSED_PAD src0_sel:WORD_0
	s_mov_b32 s24, 0x47800000
	v_mov_b32_e32 v5, 0x80
	v_and_b32_e32 v4, 0x7fffffff, v3
	v_cmp_gt_u32_e32 vcc, s24, v4
	s_and_saveexec_b64 s[24:25], vcc
	s_cbranch_execz .LBB38_323
; %bb.318:
	s_mov_b32 s28, 0x37ffffff
	v_cmp_lt_u32_e32 vcc, s28, v4
	s_mov_b64 s[28:29], 0
                                        ; implicit-def: $vgpr4
	s_and_saveexec_b64 s[30:31], vcc
	s_xor_b64 s[30:31], exec, s[30:31]
	s_cbranch_execz .LBB38_521
; %bb.319:
	v_bfe_u32 v4, v3, 21, 1
	s_mov_b32 s34, 0x88fffff
	v_add3_u32 v4, v3, v4, s34
	s_mov_b64 s[28:29], exec
	v_lshrrev_b32_e32 v4, 21, v4
	s_andn2_saveexec_b64 s[30:31], s[30:31]
	s_cbranch_execnz .LBB38_522
.LBB38_320:
	s_or_b64 exec, exec, s[30:31]
	v_mov_b32_e32 v5, 0
	s_and_saveexec_b64 s[30:31], s[28:29]
.LBB38_321:
	v_lshrrev_b32_e32 v3, 24, v3
	s_movk_i32 s28, 0x80
	v_and_or_b32 v5, v3, s28, v4
.LBB38_322:
	s_or_b64 exec, exec, s[30:31]
.LBB38_323:
	s_or_b64 exec, exec, s[24:25]
	s_mov_b64 s[24:25], 0
	global_store_byte v[0:1], v5, off
.LBB38_324:
	s_and_b64 vcc, exec, s[24:25]
	s_cbranch_vccz .LBB38_334
; %bb.325:
	v_bfe_i32 v3, v2, 0, 8
	v_cvt_f32_i32_sdwa v3, sext(v3) dst_sel:DWORD dst_unused:UNUSED_PAD src0_sel:WORD_0
	s_mov_b32 s24, 0x43f00000
                                        ; implicit-def: $vgpr4
	v_and_b32_e32 v5, 0x7fffffff, v3
	v_cmp_gt_u32_e32 vcc, s24, v5
	s_and_saveexec_b64 s[24:25], vcc
	s_xor_b64 s[24:25], exec, s[24:25]
	s_cbranch_execz .LBB38_331
; %bb.326:
	s_mov_b32 s28, 0x3c7fffff
	v_cmp_lt_u32_e32 vcc, s28, v5
                                        ; implicit-def: $vgpr4
	s_and_saveexec_b64 s[28:29], vcc
	s_xor_b64 s[28:29], exec, s[28:29]
; %bb.327:
	v_bfe_u32 v4, v3, 20, 1
	s_mov_b32 s30, 0x407ffff
	v_add3_u32 v4, v3, v4, s30
	v_lshrrev_b32_e32 v5, 20, v4
	v_and_b32_e32 v4, 0xff00000, v4
	s_mov_b32 s30, 0x7f00000
	v_mov_b32_e32 v6, 0x7e
	v_cmp_ne_u32_e32 vcc, s30, v4
	v_cndmask_b32_e32 v4, v6, v5, vcc
; %bb.328:
	s_andn2_saveexec_b64 s[28:29], s[28:29]
; %bb.329:
	s_mov_b32 s30, 0x46800000
	v_add_f32_e64 v4, |v3|, s30
; %bb.330:
	s_or_b64 exec, exec, s[28:29]
                                        ; implicit-def: $vgpr5
.LBB38_331:
	s_andn2_saveexec_b64 s[24:25], s[24:25]
; %bb.332:
	s_mov_b32 s28, 0x7f800000
	v_mov_b32_e32 v4, 0x7e
	v_mov_b32_e32 v6, 0x7f
	v_cmp_lt_u32_e32 vcc, s28, v5
	v_cndmask_b32_e32 v4, v4, v6, vcc
; %bb.333:
	s_or_b64 exec, exec, s[24:25]
	v_lshrrev_b32_e32 v3, 24, v3
	s_movk_i32 s24, 0x80
	v_and_or_b32 v3, v3, s24, v4
	global_store_byte v[0:1], v3, off
.LBB38_334:
	s_mov_b64 s[24:25], 0
.LBB38_335:
	s_andn2_b64 vcc, exec, s[24:25]
	s_cbranch_vccnz .LBB38_345
; %bb.336:
	v_bfe_i32 v3, v2, 0, 8
	v_cvt_f32_i32_sdwa v3, sext(v3) dst_sel:DWORD dst_unused:UNUSED_PAD src0_sel:WORD_0
	s_mov_b32 s24, 0x47800000
                                        ; implicit-def: $vgpr4
	v_and_b32_e32 v5, 0x7fffffff, v3
	v_cmp_gt_u32_e32 vcc, s24, v5
	s_and_saveexec_b64 s[24:25], vcc
	s_xor_b64 s[24:25], exec, s[24:25]
	s_cbranch_execz .LBB38_342
; %bb.337:
	s_mov_b32 s28, 0x387fffff
	v_cmp_lt_u32_e32 vcc, s28, v5
                                        ; implicit-def: $vgpr4
	s_and_saveexec_b64 s[28:29], vcc
	s_xor_b64 s[28:29], exec, s[28:29]
; %bb.338:
	v_bfe_u32 v4, v3, 21, 1
	s_mov_b32 s30, 0x80fffff
	v_add3_u32 v4, v3, v4, s30
	v_lshrrev_b32_e32 v4, 21, v4
; %bb.339:
	s_andn2_saveexec_b64 s[28:29], s[28:29]
; %bb.340:
	s_mov_b32 s30, 0x43000000
	v_add_f32_e64 v4, |v3|, s30
; %bb.341:
	s_or_b64 exec, exec, s[28:29]
                                        ; implicit-def: $vgpr5
.LBB38_342:
	s_andn2_saveexec_b64 s[24:25], s[24:25]
; %bb.343:
	s_mov_b32 s28, 0x7f800000
	v_mov_b32_e32 v4, 0x7c
	v_mov_b32_e32 v6, 0x7f
	v_cmp_lt_u32_e32 vcc, s28, v5
	v_cndmask_b32_e32 v4, v4, v6, vcc
; %bb.344:
	s_or_b64 exec, exec, s[24:25]
	v_lshrrev_b32_e32 v3, 24, v3
	s_movk_i32 s24, 0x80
	v_and_or_b32 v3, v3, s24, v4
	global_store_byte v[0:1], v3, off
.LBB38_345:
	s_mov_b64 s[28:29], 0
	s_mov_b64 s[24:25], -1
.LBB38_346:
	s_andn2_b64 vcc, exec, s[28:29]
	s_cbranch_vccnz .LBB38_354
; %bb.347:
	s_cmp_gt_i32 s14, 14
	s_mov_b64 s[28:29], -1
	s_cbranch_scc0 .LBB38_351
; %bb.348:
	s_cmp_eq_u32 s14, 15
	s_mov_b64 s[0:1], -1
	s_cbranch_scc0 .LBB38_350
; %bb.349:
	v_bfe_i32 v3, v2, 0, 8
	v_cvt_f32_i32_sdwa v3, sext(v3) dst_sel:DWORD dst_unused:UNUSED_PAD src0_sel:WORD_0
	s_movk_i32 s0, 0x7fff
	s_mov_b64 s[24:25], -1
	v_bfe_u32 v4, v3, 16, 1
	v_add3_u32 v3, v3, v4, s0
	global_store_short_d16_hi v[0:1], v3, off
	s_mov_b64 s[0:1], 0
.LBB38_350:
	s_mov_b64 s[28:29], 0
.LBB38_351:
	s_and_b64 vcc, exec, s[28:29]
	s_cbranch_vccz .LBB38_354
; %bb.352:
	s_cmp_eq_u32 s14, 11
	s_mov_b64 s[0:1], -1
	s_cbranch_scc0 .LBB38_354
; %bb.353:
	v_mov_b32_e32 v3, 0
	v_cmp_ne_u16_sdwa s[0:1], v2, v3 src0_sel:BYTE_0 src1_sel:DWORD
	v_cndmask_b32_e64 v3, 0, 1, s[0:1]
	s_mov_b64 s[24:25], -1
	s_mov_b64 s[0:1], 0
	global_store_byte v[0:1], v3, off
.LBB38_354:
	s_mov_b64 s[28:29], 0
.LBB38_355:
	s_and_b64 vcc, exec, s[28:29]
	s_cbranch_vccz .LBB38_394
; %bb.356:
	s_and_b32 s3, 0xffff, s3
	s_cmp_lt_i32 s3, 5
	s_mov_b64 s[24:25], -1
	s_cbranch_scc1 .LBB38_377
; %bb.357:
	s_cmp_lt_i32 s3, 8
	s_cbranch_scc1 .LBB38_367
; %bb.358:
	s_cmp_lt_i32 s3, 9
	s_cbranch_scc1 .LBB38_364
; %bb.359:
	s_cmp_gt_i32 s3, 9
	s_cbranch_scc0 .LBB38_361
; %bb.360:
	v_bfe_i32 v3, v2, 0, 8
	v_bfe_i32 v3, v3, 0, 16
	v_cvt_f64_i32_e32 v[3:4], v3
	v_mov_b32_e32 v5, 0
	v_mov_b32_e32 v6, v5
	s_mov_b64 s[24:25], 0
	global_store_dwordx4 v[0:1], v[3:6], off
.LBB38_361:
	s_andn2_b64 vcc, exec, s[24:25]
	s_cbranch_vccnz .LBB38_363
; %bb.362:
	v_bfe_i32 v3, v2, 0, 8
	v_cvt_f32_i32_sdwa v3, sext(v3) dst_sel:DWORD dst_unused:UNUSED_PAD src0_sel:WORD_0
	v_mov_b32_e32 v4, 0
	global_store_dwordx2 v[0:1], v[3:4], off
.LBB38_363:
	s_mov_b64 s[24:25], 0
.LBB38_364:
	s_andn2_b64 vcc, exec, s[24:25]
	s_cbranch_vccnz .LBB38_366
; %bb.365:
	v_cvt_f16_i16_sdwa v3, sext(v2) dst_sel:DWORD dst_unused:UNUSED_PAD src0_sel:BYTE_0
	global_store_dword v[0:1], v3, off
.LBB38_366:
	s_mov_b64 s[24:25], 0
.LBB38_367:
	s_andn2_b64 vcc, exec, s[24:25]
	s_cbranch_vccnz .LBB38_376
; %bb.368:
	s_cmp_lt_i32 s3, 6
	s_mov_b64 s[24:25], -1
	s_cbranch_scc1 .LBB38_374
; %bb.369:
	s_cmp_gt_i32 s3, 6
	s_cbranch_scc0 .LBB38_371
; %bb.370:
	v_bfe_i32 v3, v2, 0, 8
	v_bfe_i32 v3, v3, 0, 16
	v_cvt_f64_i32_e32 v[3:4], v3
	s_mov_b64 s[24:25], 0
	global_store_dwordx2 v[0:1], v[3:4], off
.LBB38_371:
	s_andn2_b64 vcc, exec, s[24:25]
	s_cbranch_vccnz .LBB38_373
; %bb.372:
	v_bfe_i32 v3, v2, 0, 8
	v_cvt_f32_i32_sdwa v3, sext(v3) dst_sel:DWORD dst_unused:UNUSED_PAD src0_sel:WORD_0
	global_store_dword v[0:1], v3, off
.LBB38_373:
	s_mov_b64 s[24:25], 0
.LBB38_374:
	s_andn2_b64 vcc, exec, s[24:25]
	s_cbranch_vccnz .LBB38_376
; %bb.375:
	v_cvt_f16_i16_sdwa v3, sext(v2) dst_sel:DWORD dst_unused:UNUSED_PAD src0_sel:BYTE_0
	global_store_short v[0:1], v3, off
.LBB38_376:
	s_mov_b64 s[24:25], 0
.LBB38_377:
	s_andn2_b64 vcc, exec, s[24:25]
	s_cbranch_vccnz .LBB38_393
; %bb.378:
	s_cmp_lt_i32 s3, 2
	s_mov_b64 s[24:25], -1
	s_cbranch_scc1 .LBB38_388
; %bb.379:
	s_cmp_lt_i32 s3, 3
	s_cbranch_scc1 .LBB38_385
; %bb.380:
	s_cmp_gt_i32 s3, 3
	s_cbranch_scc0 .LBB38_382
; %bb.381:
	v_bfe_i32 v3, v2, 0, 8
	v_ashrrev_i32_e32 v4, 31, v3
	s_mov_b64 s[24:25], 0
	global_store_dwordx2 v[0:1], v[3:4], off
.LBB38_382:
	s_andn2_b64 vcc, exec, s[24:25]
	s_cbranch_vccnz .LBB38_384
; %bb.383:
	v_bfe_i32 v3, v2, 0, 8
	global_store_dword v[0:1], v3, off
.LBB38_384:
	s_mov_b64 s[24:25], 0
.LBB38_385:
	s_andn2_b64 vcc, exec, s[24:25]
	s_cbranch_vccnz .LBB38_387
; %bb.386:
	v_bfe_i32 v3, v2, 0, 8
	global_store_short v[0:1], v3, off
.LBB38_387:
	s_mov_b64 s[24:25], 0
.LBB38_388:
	s_andn2_b64 vcc, exec, s[24:25]
	s_cbranch_vccnz .LBB38_393
; %bb.389:
	s_cmp_gt_i32 s3, 0
	s_mov_b64 s[24:25], -1
	s_cbranch_scc0 .LBB38_391
; %bb.390:
	s_mov_b64 s[24:25], 0
	global_store_byte v[0:1], v2, off
.LBB38_391:
	s_andn2_b64 vcc, exec, s[24:25]
	s_cbranch_vccnz .LBB38_393
; %bb.392:
	global_store_byte v[0:1], v2, off
.LBB38_393:
	s_mov_b64 s[24:25], -1
.LBB38_394:
	s_andn2_b64 vcc, exec, s[24:25]
	s_cbranch_vccnz .LBB38_396
; %bb.395:
	v_add_u32_e32 v9, 0x80, v9
	s_mov_b64 s[28:29], -1
	s_branch .LBB38_504
.LBB38_396:
	s_mov_b64 s[28:29], 0
                                        ; implicit-def: $vgpr9
	s_branch .LBB38_504
.LBB38_397:
	s_mov_b64 s[22:23], -1
                                        ; implicit-def: $vgpr2
.LBB38_398:
	s_mov_b64 s[24:25], 0
.LBB38_399:
	s_and_b64 vcc, exec, s[24:25]
	s_cbranch_vccz .LBB38_403
; %bb.400:
	s_cmp_eq_u32 s14, 29
	s_cbranch_scc0 .LBB38_402
; %bb.401:
	global_load_dwordx2 v[2:3], v[0:1], off
	s_mov_b64 s[0:1], -1
	s_mov_b64 s[22:23], 0
	s_branch .LBB38_403
.LBB38_402:
	s_mov_b64 s[22:23], -1
                                        ; implicit-def: $vgpr2
.LBB38_403:
	s_mov_b64 s[24:25], 0
.LBB38_404:
	s_and_b64 vcc, exec, s[24:25]
	s_cbranch_vccz .LBB38_420
; %bb.405:
	s_cmp_lt_i32 s14, 27
	s_cbranch_scc1 .LBB38_408
; %bb.406:
	s_cmp_gt_i32 s14, 27
	s_cbranch_scc0 .LBB38_409
; %bb.407:
	global_load_dword v2, v[0:1], off
	s_mov_b64 s[0:1], 0
	s_branch .LBB38_410
.LBB38_408:
	s_mov_b64 s[0:1], -1
                                        ; implicit-def: $vgpr2
	s_branch .LBB38_413
.LBB38_409:
	s_mov_b64 s[0:1], -1
                                        ; implicit-def: $vgpr2
.LBB38_410:
	s_andn2_b64 vcc, exec, s[0:1]
	s_cbranch_vccnz .LBB38_412
; %bb.411:
	global_load_ushort v2, v[0:1], off
.LBB38_412:
	s_mov_b64 s[0:1], 0
.LBB38_413:
	s_andn2_b64 vcc, exec, s[0:1]
	s_cbranch_vccnz .LBB38_419
; %bb.414:
	global_load_ubyte v3, v[0:1], off
	s_movk_i32 s0, 0x7f
	s_mov_b64 s[24:25], 0
	s_waitcnt vmcnt(0)
	v_cmp_lt_i16_e32 vcc, s0, v3
	s_and_saveexec_b64 s[0:1], vcc
	s_xor_b64 s[0:1], exec, s[0:1]
	s_cbranch_execz .LBB38_431
; %bb.415:
	s_movk_i32 s24, 0x80
	v_cmp_ne_u16_e32 vcc, s24, v3
	s_and_b64 s[24:25], vcc, exec
	s_andn2_saveexec_b64 s[0:1], s[0:1]
	s_cbranch_execnz .LBB38_432
.LBB38_416:
	s_or_b64 exec, exec, s[0:1]
	v_mov_b32_e32 v2, 0
	s_and_saveexec_b64 s[0:1], s[24:25]
	s_cbranch_execz .LBB38_418
.LBB38_417:
	v_lshlrev_b32_e32 v2, 24, v3
	v_and_b32_e32 v3, 0xffff, v3
	v_and_b32_e32 v4, 7, v3
	v_ffbh_u32_e32 v6, v4
	v_min_u32_e32 v6, 32, v6
	v_subrev_u32_e32 v7, 28, v6
	v_bfe_u32 v5, v3, 3, 4
	v_lshlrev_b32_e32 v3, v7, v3
	v_sub_u32_e32 v6, 29, v6
	v_and_b32_e32 v3, 7, v3
	v_cmp_eq_u32_e32 vcc, 0, v5
	v_cndmask_b32_e32 v5, v5, v6, vcc
	v_cndmask_b32_e32 v3, v4, v3, vcc
	v_mov_b32_e32 v4, 0x3b800000
	v_lshlrev_b32_e32 v3, 20, v3
	v_and_b32_e32 v2, 0x80000000, v2
	v_lshl_add_u32 v4, v5, 23, v4
	v_or3_b32 v2, v2, v4, v3
	v_cvt_i32_f32_e32 v2, v2
.LBB38_418:
	s_or_b64 exec, exec, s[0:1]
.LBB38_419:
	s_mov_b64 s[0:1], -1
.LBB38_420:
	s_mov_b64 s[24:25], 0
.LBB38_421:
	s_and_b64 vcc, exec, s[24:25]
	s_cbranch_vccz .LBB38_454
; %bb.422:
	s_cmp_gt_i32 s14, 22
	s_cbranch_scc0 .LBB38_430
; %bb.423:
	s_cmp_lt_i32 s14, 24
	s_cbranch_scc1 .LBB38_433
; %bb.424:
	s_cmp_gt_i32 s14, 24
	s_cbranch_scc0 .LBB38_434
; %bb.425:
	global_load_ubyte v3, v[0:1], off
	s_movk_i32 s0, 0x7f
	s_mov_b64 s[24:25], 0
	s_waitcnt vmcnt(0)
	v_cmp_lt_i16_e32 vcc, s0, v3
	s_and_saveexec_b64 s[0:1], vcc
	s_xor_b64 s[0:1], exec, s[0:1]
	s_cbranch_execz .LBB38_446
; %bb.426:
	s_movk_i32 s24, 0x80
	v_cmp_ne_u16_e32 vcc, s24, v3
	s_and_b64 s[24:25], vcc, exec
	s_andn2_saveexec_b64 s[0:1], s[0:1]
	s_cbranch_execnz .LBB38_447
.LBB38_427:
	s_or_b64 exec, exec, s[0:1]
	v_mov_b32_e32 v2, 0
	s_and_saveexec_b64 s[0:1], s[24:25]
	s_cbranch_execz .LBB38_429
.LBB38_428:
	v_lshlrev_b32_e32 v2, 24, v3
	v_and_b32_e32 v3, 0xffff, v3
	v_and_b32_e32 v4, 3, v3
	v_ffbh_u32_e32 v6, v4
	v_min_u32_e32 v6, 32, v6
	v_subrev_u32_e32 v7, 29, v6
	v_bfe_u32 v5, v3, 2, 5
	v_lshlrev_b32_e32 v3, v7, v3
	v_sub_u32_e32 v6, 30, v6
	v_and_b32_e32 v3, 3, v3
	v_cmp_eq_u32_e32 vcc, 0, v5
	v_cndmask_b32_e32 v5, v5, v6, vcc
	v_cndmask_b32_e32 v3, v4, v3, vcc
	v_mov_b32_e32 v4, 0x37800000
	v_lshlrev_b32_e32 v3, 21, v3
	v_and_b32_e32 v2, 0x80000000, v2
	v_lshl_add_u32 v4, v5, 23, v4
	v_or3_b32 v2, v2, v4, v3
	v_cvt_i32_f32_e32 v2, v2
.LBB38_429:
	s_or_b64 exec, exec, s[0:1]
	s_mov_b64 s[0:1], 0
	s_branch .LBB38_435
.LBB38_430:
	s_mov_b64 s[24:25], -1
                                        ; implicit-def: $vgpr2
	s_branch .LBB38_441
.LBB38_431:
	s_andn2_saveexec_b64 s[0:1], s[0:1]
	s_cbranch_execz .LBB38_416
.LBB38_432:
	v_cmp_ne_u16_e32 vcc, 0, v3
	s_andn2_b64 s[24:25], s[24:25], exec
	s_and_b64 s[28:29], vcc, exec
	s_or_b64 s[24:25], s[24:25], s[28:29]
	s_or_b64 exec, exec, s[0:1]
	v_mov_b32_e32 v2, 0
	s_and_saveexec_b64 s[0:1], s[24:25]
	s_cbranch_execnz .LBB38_417
	s_branch .LBB38_418
.LBB38_433:
	s_mov_b64 s[0:1], -1
                                        ; implicit-def: $vgpr2
	s_branch .LBB38_438
.LBB38_434:
	s_mov_b64 s[0:1], -1
                                        ; implicit-def: $vgpr2
.LBB38_435:
	s_and_b64 vcc, exec, s[0:1]
	s_cbranch_vccz .LBB38_437
; %bb.436:
	global_load_ubyte v2, v[0:1], off
	s_mov_b32 s0, 0x7f800000
	s_waitcnt vmcnt(0)
	v_lshlrev_b32_e32 v2, 24, v2
	v_and_b32_e32 v3, 0x7f000000, v2
	v_ffbh_u32_e32 v4, v3
	v_min_u32_e32 v4, 32, v4
	v_sub_u32_e64 v4, v4, 4 clamp
	v_lshlrev_b32_e32 v6, v4, v3
	v_lshlrev_b32_e32 v4, 23, v4
	v_lshrrev_b32_e32 v6, 4, v6
	v_add_u32_e32 v5, 0x1000000, v3
	v_sub_u32_e32 v4, v6, v4
	v_ashrrev_i32_e32 v5, 8, v5
	v_add_u32_e32 v4, 0x3c000000, v4
	v_and_or_b32 v4, v5, s0, v4
	v_cmp_ne_u32_e32 vcc, 0, v3
	v_cndmask_b32_e32 v3, 0, v4, vcc
	s_brev_b32 s0, 1
	v_and_or_b32 v2, v2, s0, v3
	v_cvt_i32_f32_e32 v2, v2
.LBB38_437:
	s_mov_b64 s[0:1], 0
.LBB38_438:
	s_andn2_b64 vcc, exec, s[0:1]
	s_cbranch_vccnz .LBB38_440
; %bb.439:
	global_load_ubyte v2, v[0:1], off
	s_movk_i32 s0, 0x7f00
	s_brev_b32 s1, 16
	s_waitcnt vmcnt(0)
	v_lshlrev_b16_e32 v3, 8, v2
	v_lshlrev_b32_e32 v2, 25, v2
	v_lshrrev_b32_e32 v4, 4, v2
	v_and_or_b32 v5, v3, s0, 0.5
	v_or_b32_e32 v4, 0x70000000, v4
	v_add_f32_e32 v5, -0.5, v5
	v_mul_f32_e32 v4, 0x7800000, v4
	v_cmp_gt_u32_e32 vcc, s1, v2
	v_bfe_i32 v3, v3, 0, 16
	v_cndmask_b32_e32 v2, v4, v5, vcc
	s_brev_b32 s0, 1
	v_and_or_b32 v2, v3, s0, v2
	v_cvt_i32_f32_e32 v2, v2
.LBB38_440:
	s_mov_b64 s[24:25], 0
	s_mov_b64 s[0:1], -1
.LBB38_441:
	s_andn2_b64 vcc, exec, s[24:25]
	s_cbranch_vccnz .LBB38_454
; %bb.442:
	s_cmp_gt_i32 s14, 14
	s_cbranch_scc0 .LBB38_445
; %bb.443:
	s_cmp_eq_u32 s14, 15
	s_cbranch_scc0 .LBB38_448
; %bb.444:
	global_load_ushort v2, v[0:1], off
	s_mov_b64 s[0:1], -1
	s_mov_b64 s[22:23], 0
	s_waitcnt vmcnt(0)
	v_lshlrev_b32_e32 v2, 16, v2
	v_cvt_i32_f32_e32 v2, v2
	s_branch .LBB38_449
.LBB38_445:
	s_mov_b64 s[24:25], -1
                                        ; implicit-def: $vgpr2
	s_branch .LBB38_450
.LBB38_446:
	s_andn2_saveexec_b64 s[0:1], s[0:1]
	s_cbranch_execz .LBB38_427
.LBB38_447:
	v_cmp_ne_u16_e32 vcc, 0, v3
	s_andn2_b64 s[24:25], s[24:25], exec
	s_and_b64 s[28:29], vcc, exec
	s_or_b64 s[24:25], s[24:25], s[28:29]
	s_or_b64 exec, exec, s[0:1]
	v_mov_b32_e32 v2, 0
	s_and_saveexec_b64 s[0:1], s[24:25]
	s_cbranch_execnz .LBB38_428
	s_branch .LBB38_429
.LBB38_448:
	s_mov_b64 s[22:23], -1
                                        ; implicit-def: $vgpr2
.LBB38_449:
	s_mov_b64 s[24:25], 0
.LBB38_450:
	s_and_b64 vcc, exec, s[24:25]
	s_cbranch_vccz .LBB38_454
; %bb.451:
	s_cmp_eq_u32 s14, 11
	s_cbranch_scc0 .LBB38_453
; %bb.452:
	global_load_ubyte v2, v[0:1], off
	s_mov_b64 s[0:1], -1
	s_mov_b64 s[22:23], 0
	s_waitcnt vmcnt(0)
	v_cmp_ne_u16_e32 vcc, 0, v2
	v_cndmask_b32_e64 v2, 0, 1, vcc
	s_branch .LBB38_454
.LBB38_453:
	s_mov_b64 s[22:23], -1
                                        ; implicit-def: $vgpr2
.LBB38_454:
	s_branch .LBB38_261
.LBB38_455:
	s_and_b32 s3, 0xffff, s3
	s_cmp_lt_i32 s3, 5
	s_cbranch_scc1 .LBB38_460
; %bb.456:
	s_cmp_lt_i32 s3, 8
	s_cbranch_scc1 .LBB38_461
; %bb.457:
	;; [unrolled: 3-line block ×3, first 2 shown]
	s_cmp_gt_i32 s3, 9
	s_cbranch_scc0 .LBB38_463
; %bb.459:
	global_load_dwordx2 v[2:3], v[0:1], off
	s_mov_b64 s[0:1], 0
	s_waitcnt vmcnt(0)
	v_cvt_i32_f64_e32 v2, v[2:3]
	s_branch .LBB38_464
.LBB38_460:
	s_mov_b64 s[0:1], -1
                                        ; implicit-def: $vgpr2
	s_branch .LBB38_482
.LBB38_461:
	s_mov_b64 s[0:1], -1
                                        ; implicit-def: $vgpr2
	s_branch .LBB38_470
.LBB38_462:
	s_mov_b64 s[0:1], -1
                                        ; implicit-def: $vgpr2
	s_branch .LBB38_467
.LBB38_463:
	s_mov_b64 s[0:1], -1
                                        ; implicit-def: $vgpr2
.LBB38_464:
	s_andn2_b64 vcc, exec, s[0:1]
	s_cbranch_vccnz .LBB38_466
; %bb.465:
	global_load_dword v2, v[0:1], off
	s_waitcnt vmcnt(0)
	v_cvt_i32_f32_e32 v2, v2
.LBB38_466:
	s_mov_b64 s[0:1], 0
.LBB38_467:
	s_andn2_b64 vcc, exec, s[0:1]
	s_cbranch_vccnz .LBB38_469
; %bb.468:
	global_load_dword v2, v[0:1], off
	s_waitcnt vmcnt(0)
	v_cvt_i16_f16_e32 v2, v2
.LBB38_469:
	s_mov_b64 s[0:1], 0
.LBB38_470:
	s_andn2_b64 vcc, exec, s[0:1]
	s_cbranch_vccnz .LBB38_481
; %bb.471:
	s_cmp_lt_i32 s3, 6
	s_cbranch_scc1 .LBB38_474
; %bb.472:
	s_cmp_gt_i32 s3, 6
	s_cbranch_scc0 .LBB38_475
; %bb.473:
	global_load_dwordx2 v[2:3], v[0:1], off
	s_mov_b64 s[0:1], 0
	s_waitcnt vmcnt(0)
	v_cvt_i32_f64_e32 v2, v[2:3]
	s_branch .LBB38_476
.LBB38_474:
	s_mov_b64 s[0:1], -1
                                        ; implicit-def: $vgpr2
	s_branch .LBB38_479
.LBB38_475:
	s_mov_b64 s[0:1], -1
                                        ; implicit-def: $vgpr2
.LBB38_476:
	s_andn2_b64 vcc, exec, s[0:1]
	s_cbranch_vccnz .LBB38_478
; %bb.477:
	global_load_dword v2, v[0:1], off
	s_waitcnt vmcnt(0)
	v_cvt_i32_f32_e32 v2, v2
.LBB38_478:
	s_mov_b64 s[0:1], 0
.LBB38_479:
	s_andn2_b64 vcc, exec, s[0:1]
	s_cbranch_vccnz .LBB38_481
; %bb.480:
	global_load_ushort v2, v[0:1], off
	s_waitcnt vmcnt(0)
	v_cvt_i16_f16_e32 v2, v2
.LBB38_481:
	s_mov_b64 s[0:1], 0
.LBB38_482:
	s_andn2_b64 vcc, exec, s[0:1]
	s_cbranch_vccnz .LBB38_502
; %bb.483:
	s_cmp_lt_i32 s3, 2
	s_cbranch_scc1 .LBB38_487
; %bb.484:
	s_cmp_lt_i32 s3, 3
	s_cbranch_scc1 .LBB38_488
; %bb.485:
	s_cmp_gt_i32 s3, 3
	s_cbranch_scc0 .LBB38_489
; %bb.486:
	global_load_dwordx2 v[2:3], v[0:1], off
	s_mov_b64 s[0:1], 0
	s_branch .LBB38_490
.LBB38_487:
	s_mov_b64 s[0:1], -1
                                        ; implicit-def: $vgpr2
	s_branch .LBB38_496
.LBB38_488:
	s_mov_b64 s[0:1], -1
                                        ; implicit-def: $vgpr2
	s_branch .LBB38_493
.LBB38_489:
	s_mov_b64 s[0:1], -1
                                        ; implicit-def: $vgpr2
.LBB38_490:
	s_andn2_b64 vcc, exec, s[0:1]
	s_cbranch_vccnz .LBB38_492
; %bb.491:
	global_load_dword v2, v[0:1], off
.LBB38_492:
	s_mov_b64 s[0:1], 0
.LBB38_493:
	s_andn2_b64 vcc, exec, s[0:1]
	s_cbranch_vccnz .LBB38_495
; %bb.494:
	global_load_ushort v2, v[0:1], off
.LBB38_495:
	s_mov_b64 s[0:1], 0
.LBB38_496:
	s_andn2_b64 vcc, exec, s[0:1]
	s_cbranch_vccnz .LBB38_502
; %bb.497:
	s_cmp_gt_i32 s3, 0
	s_cbranch_scc0 .LBB38_499
; %bb.498:
	global_load_ubyte v2, v[0:1], off
	s_mov_b64 s[0:1], 0
	s_branch .LBB38_500
.LBB38_499:
	s_mov_b64 s[0:1], -1
                                        ; implicit-def: $vgpr2
.LBB38_500:
	s_andn2_b64 vcc, exec, s[0:1]
	s_cbranch_vccnz .LBB38_502
; %bb.501:
	global_load_ubyte v2, v[0:1], off
.LBB38_502:
	s_branch .LBB38_262
.LBB38_503:
	s_mov_b64 s[28:29], 0
                                        ; implicit-def: $vgpr9
	s_mov_b64 s[0:1], s[16:17]
.LBB38_504:
	s_andn2_b64 s[24:25], s[16:17], exec
	s_and_b64 s[0:1], s[0:1], exec
	s_or_b64 s[24:25], s[24:25], s[0:1]
	s_andn2_b64 s[0:1], s[18:19], exec
	s_and_b64 s[22:23], s[22:23], exec
	s_or_b64 s[22:23], s[0:1], s[22:23]
	s_orn2_b64 s[0:1], s[28:29], exec
.LBB38_505:
	s_or_b64 exec, exec, s[26:27]
	s_mov_b64 s[28:29], 0
	s_mov_b64 s[30:31], 0
	;; [unrolled: 1-line block ×3, first 2 shown]
                                        ; implicit-def: $sgpr3
                                        ; implicit-def: $vgpr0_vgpr1
                                        ; implicit-def: $vgpr2
	s_and_saveexec_b64 s[26:27], s[0:1]
	s_cbranch_execz .LBB38_842
; %bb.506:
	v_cmp_gt_i32_e32 vcc, s42, v9
	s_mov_b64 s[38:39], -1
	s_mov_b64 s[0:1], s[22:23]
	s_mov_b64 s[34:35], s[24:25]
	s_and_saveexec_b64 s[28:29], vcc
	s_cbranch_execz .LBB38_760
; %bb.507:
	v_mul_lo_u32 v0, v9, s13
	v_mov_b32_e32 v1, s11
	s_and_b32 s3, s15, 0xff
	s_cmp_lt_i32 s3, 11
	s_waitcnt vmcnt(0)
	v_ashrrev_i32_e32 v2, 31, v0
	v_add_co_u32_e32 v0, vcc, s10, v0
	v_addc_co_u32_e32 v1, vcc, v1, v2, vcc
	s_cbranch_scc1 .LBB38_514
; %bb.508:
	s_and_b32 s14, 0xffff, s3
	s_cmp_gt_i32 s14, 25
	s_cbranch_scc0 .LBB38_515
; %bb.509:
	s_cmp_gt_i32 s14, 28
	s_cbranch_scc0 .LBB38_516
; %bb.510:
	s_cmp_gt_i32 s14, 43
	s_cbranch_scc0 .LBB38_517
; %bb.511:
	s_cmp_gt_i32 s14, 45
	s_cbranch_scc0 .LBB38_520
; %bb.512:
	s_cmp_eq_u32 s14, 46
	s_mov_b64 s[34:35], 0
	s_cbranch_scc0 .LBB38_523
; %bb.513:
	global_load_dword v2, v[0:1], off
	s_mov_b64 s[0:1], -1
	s_waitcnt vmcnt(0)
	v_lshlrev_b32_e32 v2, 16, v2
	v_cvt_i32_f32_e32 v2, v2
	s_branch .LBB38_524
.LBB38_514:
	s_mov_b64 s[34:35], -1
	s_mov_b64 s[0:1], 0
                                        ; implicit-def: $vgpr2
	s_mov_b64 s[30:31], s[22:23]
	s_branch .LBB38_585
.LBB38_515:
	s_mov_b64 s[34:35], -1
	s_mov_b64 s[0:1], 0
	s_mov_b64 s[30:31], s[22:23]
                                        ; implicit-def: $vgpr2
	s_branch .LBB38_551
.LBB38_516:
	s_mov_b64 s[34:35], -1
	s_mov_b64 s[0:1], 0
	s_mov_b64 s[30:31], s[22:23]
                                        ; implicit-def: $vgpr2
	s_branch .LBB38_534
.LBB38_517:
	s_mov_b64 s[34:35], -1
	s_mov_b64 s[0:1], 0
	s_mov_b64 s[30:31], s[22:23]
                                        ; implicit-def: $vgpr2
	s_branch .LBB38_529
.LBB38_518:
	s_andn2_saveexec_b64 s[30:31], s[30:31]
	s_cbranch_execz .LBB38_307
.LBB38_519:
	s_mov_b32 s34, 0x46000000
	v_add_f32_e64 v4, |v3|, s34
	v_and_b32_e32 v4, 0xff, v4
	v_cmp_ne_u32_e32 vcc, 0, v4
	s_andn2_b64 s[28:29], s[28:29], exec
	s_and_b64 s[34:35], vcc, exec
	s_or_b64 s[28:29], s[28:29], s[34:35]
	s_or_b64 exec, exec, s[30:31]
	v_mov_b32_e32 v5, 0
	s_and_saveexec_b64 s[30:31], s[28:29]
	s_cbranch_execnz .LBB38_308
	s_branch .LBB38_309
.LBB38_520:
	s_mov_b64 s[34:35], -1
	s_mov_b64 s[0:1], 0
	s_mov_b64 s[30:31], s[22:23]
                                        ; implicit-def: $vgpr2
	s_branch .LBB38_524
.LBB38_521:
	s_andn2_saveexec_b64 s[30:31], s[30:31]
	s_cbranch_execz .LBB38_320
.LBB38_522:
	s_mov_b32 s34, 0x42800000
	v_add_f32_e64 v4, |v3|, s34
	v_and_b32_e32 v4, 0xff, v4
	v_cmp_ne_u32_e32 vcc, 0, v4
	s_andn2_b64 s[28:29], s[28:29], exec
	s_and_b64 s[34:35], vcc, exec
	s_or_b64 s[28:29], s[28:29], s[34:35]
	s_or_b64 exec, exec, s[30:31]
	v_mov_b32_e32 v5, 0
	s_and_saveexec_b64 s[30:31], s[28:29]
	s_cbranch_execnz .LBB38_321
	s_branch .LBB38_322
.LBB38_523:
	s_mov_b64 s[30:31], -1
                                        ; implicit-def: $vgpr2
	s_mov_b64 s[0:1], 0
.LBB38_524:
	s_and_b64 vcc, exec, s[34:35]
	s_cbranch_vccz .LBB38_528
; %bb.525:
	s_cmp_eq_u32 s14, 44
	s_cbranch_scc0 .LBB38_527
; %bb.526:
	global_load_ubyte v2, v[0:1], off
	s_mov_b64 s[0:1], -1
	s_mov_b64 s[30:31], 0
	s_waitcnt vmcnt(0)
	v_lshlrev_b32_e32 v3, 23, v2
	v_cvt_i32_f32_e32 v3, v3
	v_cmp_ne_u32_e32 vcc, 0, v2
	v_cndmask_b32_e32 v2, 0, v3, vcc
	s_branch .LBB38_528
.LBB38_527:
	s_mov_b64 s[30:31], -1
                                        ; implicit-def: $vgpr2
.LBB38_528:
	s_mov_b64 s[34:35], 0
.LBB38_529:
	s_and_b64 vcc, exec, s[34:35]
	s_cbranch_vccz .LBB38_533
; %bb.530:
	s_cmp_eq_u32 s14, 29
	s_cbranch_scc0 .LBB38_532
; %bb.531:
	global_load_dwordx2 v[2:3], v[0:1], off
	s_mov_b64 s[0:1], -1
	s_mov_b64 s[30:31], 0
	s_branch .LBB38_533
.LBB38_532:
	s_mov_b64 s[30:31], -1
                                        ; implicit-def: $vgpr2
.LBB38_533:
	s_mov_b64 s[34:35], 0
.LBB38_534:
	s_and_b64 vcc, exec, s[34:35]
	s_cbranch_vccz .LBB38_550
; %bb.535:
	s_cmp_lt_i32 s14, 27
	s_cbranch_scc1 .LBB38_538
; %bb.536:
	s_cmp_gt_i32 s14, 27
	s_cbranch_scc0 .LBB38_539
; %bb.537:
	global_load_dword v2, v[0:1], off
	s_mov_b64 s[0:1], 0
	s_branch .LBB38_540
.LBB38_538:
	s_mov_b64 s[0:1], -1
                                        ; implicit-def: $vgpr2
	s_branch .LBB38_543
.LBB38_539:
	s_mov_b64 s[0:1], -1
                                        ; implicit-def: $vgpr2
.LBB38_540:
	s_andn2_b64 vcc, exec, s[0:1]
	s_cbranch_vccnz .LBB38_542
; %bb.541:
	global_load_ushort v2, v[0:1], off
.LBB38_542:
	s_mov_b64 s[0:1], 0
.LBB38_543:
	s_andn2_b64 vcc, exec, s[0:1]
	s_cbranch_vccnz .LBB38_549
; %bb.544:
	global_load_ubyte v3, v[0:1], off
	s_movk_i32 s0, 0x7f
	s_mov_b64 s[34:35], 0
	s_waitcnt vmcnt(0)
	v_cmp_lt_i16_e32 vcc, s0, v3
	s_and_saveexec_b64 s[0:1], vcc
	s_xor_b64 s[0:1], exec, s[0:1]
	s_cbranch_execz .LBB38_561
; %bb.545:
	s_movk_i32 s34, 0x80
	v_cmp_ne_u16_e32 vcc, s34, v3
	s_and_b64 s[34:35], vcc, exec
	s_andn2_saveexec_b64 s[0:1], s[0:1]
	s_cbranch_execnz .LBB38_562
.LBB38_546:
	s_or_b64 exec, exec, s[0:1]
	v_mov_b32_e32 v2, 0
	s_and_saveexec_b64 s[0:1], s[34:35]
	s_cbranch_execz .LBB38_548
.LBB38_547:
	v_lshlrev_b32_e32 v2, 24, v3
	v_and_b32_e32 v3, 0xffff, v3
	v_and_b32_e32 v4, 7, v3
	v_ffbh_u32_e32 v6, v4
	v_min_u32_e32 v6, 32, v6
	v_subrev_u32_e32 v7, 28, v6
	v_bfe_u32 v5, v3, 3, 4
	v_lshlrev_b32_e32 v3, v7, v3
	v_sub_u32_e32 v6, 29, v6
	v_and_b32_e32 v3, 7, v3
	v_cmp_eq_u32_e32 vcc, 0, v5
	v_cndmask_b32_e32 v5, v5, v6, vcc
	v_cndmask_b32_e32 v3, v4, v3, vcc
	v_mov_b32_e32 v4, 0x3b800000
	v_lshlrev_b32_e32 v3, 20, v3
	v_and_b32_e32 v2, 0x80000000, v2
	v_lshl_add_u32 v4, v5, 23, v4
	v_or3_b32 v2, v2, v4, v3
	v_cvt_i32_f32_e32 v2, v2
.LBB38_548:
	s_or_b64 exec, exec, s[0:1]
.LBB38_549:
	s_mov_b64 s[0:1], -1
.LBB38_550:
	s_mov_b64 s[34:35], 0
.LBB38_551:
	s_and_b64 vcc, exec, s[34:35]
	s_cbranch_vccz .LBB38_584
; %bb.552:
	s_cmp_gt_i32 s14, 22
	s_cbranch_scc0 .LBB38_560
; %bb.553:
	s_cmp_lt_i32 s14, 24
	s_cbranch_scc1 .LBB38_563
; %bb.554:
	s_cmp_gt_i32 s14, 24
	s_cbranch_scc0 .LBB38_564
; %bb.555:
	global_load_ubyte v3, v[0:1], off
	s_movk_i32 s0, 0x7f
	s_mov_b64 s[34:35], 0
	s_waitcnt vmcnt(0)
	v_cmp_lt_i16_e32 vcc, s0, v3
	s_and_saveexec_b64 s[0:1], vcc
	s_xor_b64 s[0:1], exec, s[0:1]
	s_cbranch_execz .LBB38_576
; %bb.556:
	s_movk_i32 s34, 0x80
	v_cmp_ne_u16_e32 vcc, s34, v3
	s_and_b64 s[34:35], vcc, exec
	s_andn2_saveexec_b64 s[0:1], s[0:1]
	s_cbranch_execnz .LBB38_577
.LBB38_557:
	s_or_b64 exec, exec, s[0:1]
	v_mov_b32_e32 v2, 0
	s_and_saveexec_b64 s[0:1], s[34:35]
	s_cbranch_execz .LBB38_559
.LBB38_558:
	v_lshlrev_b32_e32 v2, 24, v3
	v_and_b32_e32 v3, 0xffff, v3
	v_and_b32_e32 v4, 3, v3
	v_ffbh_u32_e32 v6, v4
	v_min_u32_e32 v6, 32, v6
	v_subrev_u32_e32 v7, 29, v6
	v_bfe_u32 v5, v3, 2, 5
	v_lshlrev_b32_e32 v3, v7, v3
	v_sub_u32_e32 v6, 30, v6
	v_and_b32_e32 v3, 3, v3
	v_cmp_eq_u32_e32 vcc, 0, v5
	v_cndmask_b32_e32 v5, v5, v6, vcc
	v_cndmask_b32_e32 v3, v4, v3, vcc
	v_mov_b32_e32 v4, 0x37800000
	v_lshlrev_b32_e32 v3, 21, v3
	v_and_b32_e32 v2, 0x80000000, v2
	v_lshl_add_u32 v4, v5, 23, v4
	v_or3_b32 v2, v2, v4, v3
	v_cvt_i32_f32_e32 v2, v2
.LBB38_559:
	s_or_b64 exec, exec, s[0:1]
	s_mov_b64 s[0:1], 0
	s_branch .LBB38_565
.LBB38_560:
	s_mov_b64 s[34:35], -1
                                        ; implicit-def: $vgpr2
	s_branch .LBB38_571
.LBB38_561:
	s_andn2_saveexec_b64 s[0:1], s[0:1]
	s_cbranch_execz .LBB38_546
.LBB38_562:
	v_cmp_ne_u16_e32 vcc, 0, v3
	s_andn2_b64 s[34:35], s[34:35], exec
	s_and_b64 s[36:37], vcc, exec
	s_or_b64 s[34:35], s[34:35], s[36:37]
	s_or_b64 exec, exec, s[0:1]
	v_mov_b32_e32 v2, 0
	s_and_saveexec_b64 s[0:1], s[34:35]
	s_cbranch_execnz .LBB38_547
	s_branch .LBB38_548
.LBB38_563:
	s_mov_b64 s[0:1], -1
                                        ; implicit-def: $vgpr2
	s_branch .LBB38_568
.LBB38_564:
	s_mov_b64 s[0:1], -1
                                        ; implicit-def: $vgpr2
.LBB38_565:
	s_and_b64 vcc, exec, s[0:1]
	s_cbranch_vccz .LBB38_567
; %bb.566:
	global_load_ubyte v2, v[0:1], off
	s_mov_b32 s0, 0x7f800000
	s_waitcnt vmcnt(0)
	v_lshlrev_b32_e32 v2, 24, v2
	v_and_b32_e32 v3, 0x7f000000, v2
	v_ffbh_u32_e32 v4, v3
	v_min_u32_e32 v4, 32, v4
	v_sub_u32_e64 v4, v4, 4 clamp
	v_lshlrev_b32_e32 v6, v4, v3
	v_lshlrev_b32_e32 v4, 23, v4
	v_lshrrev_b32_e32 v6, 4, v6
	v_add_u32_e32 v5, 0x1000000, v3
	v_sub_u32_e32 v4, v6, v4
	v_ashrrev_i32_e32 v5, 8, v5
	v_add_u32_e32 v4, 0x3c000000, v4
	v_and_or_b32 v4, v5, s0, v4
	v_cmp_ne_u32_e32 vcc, 0, v3
	v_cndmask_b32_e32 v3, 0, v4, vcc
	s_brev_b32 s0, 1
	v_and_or_b32 v2, v2, s0, v3
	v_cvt_i32_f32_e32 v2, v2
.LBB38_567:
	s_mov_b64 s[0:1], 0
.LBB38_568:
	s_andn2_b64 vcc, exec, s[0:1]
	s_cbranch_vccnz .LBB38_570
; %bb.569:
	global_load_ubyte v2, v[0:1], off
	s_movk_i32 s0, 0x7f00
	s_brev_b32 s1, 16
	s_waitcnt vmcnt(0)
	v_lshlrev_b16_e32 v3, 8, v2
	v_lshlrev_b32_e32 v2, 25, v2
	v_lshrrev_b32_e32 v4, 4, v2
	v_and_or_b32 v5, v3, s0, 0.5
	v_or_b32_e32 v4, 0x70000000, v4
	v_add_f32_e32 v5, -0.5, v5
	v_mul_f32_e32 v4, 0x7800000, v4
	v_cmp_gt_u32_e32 vcc, s1, v2
	v_bfe_i32 v3, v3, 0, 16
	v_cndmask_b32_e32 v2, v4, v5, vcc
	s_brev_b32 s0, 1
	v_and_or_b32 v2, v3, s0, v2
	v_cvt_i32_f32_e32 v2, v2
.LBB38_570:
	s_mov_b64 s[34:35], 0
	s_mov_b64 s[0:1], -1
.LBB38_571:
	s_andn2_b64 vcc, exec, s[34:35]
	s_cbranch_vccnz .LBB38_584
; %bb.572:
	s_cmp_gt_i32 s14, 14
	s_cbranch_scc0 .LBB38_575
; %bb.573:
	s_cmp_eq_u32 s14, 15
	s_cbranch_scc0 .LBB38_578
; %bb.574:
	global_load_ushort v2, v[0:1], off
	s_mov_b64 s[0:1], -1
	s_mov_b64 s[30:31], 0
	s_waitcnt vmcnt(0)
	v_lshlrev_b32_e32 v2, 16, v2
	v_cvt_i32_f32_e32 v2, v2
	s_branch .LBB38_579
.LBB38_575:
	s_mov_b64 s[34:35], -1
                                        ; implicit-def: $vgpr2
	s_branch .LBB38_580
.LBB38_576:
	s_andn2_saveexec_b64 s[0:1], s[0:1]
	s_cbranch_execz .LBB38_557
.LBB38_577:
	v_cmp_ne_u16_e32 vcc, 0, v3
	s_andn2_b64 s[34:35], s[34:35], exec
	s_and_b64 s[36:37], vcc, exec
	s_or_b64 s[34:35], s[34:35], s[36:37]
	s_or_b64 exec, exec, s[0:1]
	v_mov_b32_e32 v2, 0
	s_and_saveexec_b64 s[0:1], s[34:35]
	s_cbranch_execnz .LBB38_558
	s_branch .LBB38_559
.LBB38_578:
	s_mov_b64 s[30:31], -1
                                        ; implicit-def: $vgpr2
.LBB38_579:
	s_mov_b64 s[34:35], 0
.LBB38_580:
	s_and_b64 vcc, exec, s[34:35]
	s_cbranch_vccz .LBB38_584
; %bb.581:
	s_cmp_eq_u32 s14, 11
	s_cbranch_scc0 .LBB38_583
; %bb.582:
	global_load_ubyte v2, v[0:1], off
	s_mov_b64 s[0:1], -1
	s_mov_b64 s[30:31], 0
	s_waitcnt vmcnt(0)
	v_cmp_ne_u16_e32 vcc, 0, v2
	v_cndmask_b32_e64 v2, 0, 1, vcc
	s_branch .LBB38_584
.LBB38_583:
	s_mov_b64 s[30:31], -1
                                        ; implicit-def: $vgpr2
.LBB38_584:
	s_mov_b64 s[34:35], 0
.LBB38_585:
	s_and_b64 vcc, exec, s[34:35]
	s_cbranch_vccz .LBB38_634
; %bb.586:
	s_and_b32 s3, 0xffff, s3
	s_cmp_lt_i32 s3, 5
	s_cbranch_scc1 .LBB38_591
; %bb.587:
	s_cmp_lt_i32 s3, 8
	s_cbranch_scc1 .LBB38_592
; %bb.588:
	;; [unrolled: 3-line block ×3, first 2 shown]
	s_cmp_gt_i32 s3, 9
	s_cbranch_scc0 .LBB38_594
; %bb.590:
	global_load_dwordx2 v[2:3], v[0:1], off
	s_mov_b64 s[0:1], 0
	s_waitcnt vmcnt(0)
	v_cvt_i32_f64_e32 v2, v[2:3]
	s_branch .LBB38_595
.LBB38_591:
	s_mov_b64 s[0:1], -1
                                        ; implicit-def: $vgpr2
	s_branch .LBB38_613
.LBB38_592:
	s_mov_b64 s[0:1], -1
                                        ; implicit-def: $vgpr2
	s_branch .LBB38_601
.LBB38_593:
	s_mov_b64 s[0:1], -1
                                        ; implicit-def: $vgpr2
	s_branch .LBB38_598
.LBB38_594:
	s_mov_b64 s[0:1], -1
                                        ; implicit-def: $vgpr2
.LBB38_595:
	s_andn2_b64 vcc, exec, s[0:1]
	s_cbranch_vccnz .LBB38_597
; %bb.596:
	global_load_dword v2, v[0:1], off
	s_waitcnt vmcnt(0)
	v_cvt_i32_f32_e32 v2, v2
.LBB38_597:
	s_mov_b64 s[0:1], 0
.LBB38_598:
	s_andn2_b64 vcc, exec, s[0:1]
	s_cbranch_vccnz .LBB38_600
; %bb.599:
	global_load_dword v2, v[0:1], off
	s_waitcnt vmcnt(0)
	v_cvt_i16_f16_e32 v2, v2
.LBB38_600:
	s_mov_b64 s[0:1], 0
.LBB38_601:
	s_andn2_b64 vcc, exec, s[0:1]
	s_cbranch_vccnz .LBB38_612
; %bb.602:
	s_cmp_lt_i32 s3, 6
	s_cbranch_scc1 .LBB38_605
; %bb.603:
	s_cmp_gt_i32 s3, 6
	s_cbranch_scc0 .LBB38_606
; %bb.604:
	global_load_dwordx2 v[2:3], v[0:1], off
	s_mov_b64 s[0:1], 0
	s_waitcnt vmcnt(0)
	v_cvt_i32_f64_e32 v2, v[2:3]
	s_branch .LBB38_607
.LBB38_605:
	s_mov_b64 s[0:1], -1
                                        ; implicit-def: $vgpr2
	s_branch .LBB38_610
.LBB38_606:
	s_mov_b64 s[0:1], -1
                                        ; implicit-def: $vgpr2
.LBB38_607:
	s_andn2_b64 vcc, exec, s[0:1]
	s_cbranch_vccnz .LBB38_609
; %bb.608:
	global_load_dword v2, v[0:1], off
	s_waitcnt vmcnt(0)
	v_cvt_i32_f32_e32 v2, v2
.LBB38_609:
	s_mov_b64 s[0:1], 0
.LBB38_610:
	s_andn2_b64 vcc, exec, s[0:1]
	s_cbranch_vccnz .LBB38_612
; %bb.611:
	global_load_ushort v2, v[0:1], off
	s_waitcnt vmcnt(0)
	v_cvt_i16_f16_e32 v2, v2
.LBB38_612:
	s_mov_b64 s[0:1], 0
.LBB38_613:
	s_andn2_b64 vcc, exec, s[0:1]
	s_cbranch_vccnz .LBB38_633
; %bb.614:
	s_cmp_lt_i32 s3, 2
	s_cbranch_scc1 .LBB38_618
; %bb.615:
	s_cmp_lt_i32 s3, 3
	s_cbranch_scc1 .LBB38_619
; %bb.616:
	s_cmp_gt_i32 s3, 3
	s_cbranch_scc0 .LBB38_620
; %bb.617:
	global_load_dwordx2 v[2:3], v[0:1], off
	s_mov_b64 s[0:1], 0
	s_branch .LBB38_621
.LBB38_618:
	s_mov_b64 s[0:1], -1
                                        ; implicit-def: $vgpr2
	s_branch .LBB38_627
.LBB38_619:
	s_mov_b64 s[0:1], -1
                                        ; implicit-def: $vgpr2
	s_branch .LBB38_624
.LBB38_620:
	s_mov_b64 s[0:1], -1
                                        ; implicit-def: $vgpr2
.LBB38_621:
	s_andn2_b64 vcc, exec, s[0:1]
	s_cbranch_vccnz .LBB38_623
; %bb.622:
	global_load_dword v2, v[0:1], off
.LBB38_623:
	s_mov_b64 s[0:1], 0
.LBB38_624:
	s_andn2_b64 vcc, exec, s[0:1]
	s_cbranch_vccnz .LBB38_626
; %bb.625:
	global_load_ushort v2, v[0:1], off
.LBB38_626:
	s_mov_b64 s[0:1], 0
.LBB38_627:
	s_andn2_b64 vcc, exec, s[0:1]
	s_cbranch_vccnz .LBB38_633
; %bb.628:
	s_cmp_gt_i32 s3, 0
	s_cbranch_scc0 .LBB38_630
; %bb.629:
	global_load_ubyte v2, v[0:1], off
	s_mov_b64 s[0:1], 0
	s_branch .LBB38_631
.LBB38_630:
	s_mov_b64 s[0:1], -1
                                        ; implicit-def: $vgpr2
.LBB38_631:
	s_andn2_b64 vcc, exec, s[0:1]
	s_cbranch_vccnz .LBB38_633
; %bb.632:
	global_load_ubyte v2, v[0:1], off
.LBB38_633:
	s_mov_b64 s[0:1], -1
.LBB38_634:
	s_andn2_b64 vcc, exec, s[0:1]
	s_cbranch_vccnz .LBB38_642
; %bb.635:
	v_mul_lo_u32 v1, v9, s12
	v_mov_b32_e32 v0, s46
	s_waitcnt vmcnt(0)
	v_mov_b32_e32 v3, s47
	v_cmp_gt_i16_sdwa vcc, sext(v2), s33 src0_sel:BYTE_0 src1_sel:DWORD
	v_cndmask_b32_e32 v2, v0, v3, vcc
	v_ashrrev_i32_e32 v3, 31, v1
	v_mov_b32_e32 v4, s9
	s_and_b32 s3, s2, 0xff
	v_add_co_u32_e32 v0, vcc, s8, v1
	s_cmp_lt_i32 s3, 11
	v_addc_co_u32_e32 v1, vcc, v4, v3, vcc
	s_cbranch_scc1 .LBB38_643
; %bb.636:
	s_and_b32 s14, 0xffff, s3
	s_cmp_gt_i32 s14, 25
	s_cbranch_scc0 .LBB38_644
; %bb.637:
	s_cmp_gt_i32 s14, 28
	s_cbranch_scc0 .LBB38_645
; %bb.638:
	;; [unrolled: 3-line block ×4, first 2 shown]
	s_mov_b64 s[36:37], 0
	s_mov_b64 s[0:1], -1
	s_cmp_eq_u32 s14, 46
	s_mov_b64 s[34:35], 0
	s_cbranch_scc0 .LBB38_648
; %bb.641:
	v_bfe_i32 v3, v2, 0, 8
	v_cvt_f32_i32_sdwa v3, sext(v3) dst_sel:DWORD dst_unused:UNUSED_PAD src0_sel:WORD_0
	s_movk_i32 s0, 0x7fff
	s_mov_b64 s[34:35], -1
	v_bfe_u32 v4, v3, 16, 1
	v_add3_u32 v3, v3, v4, s0
	v_lshrrev_b32_e32 v3, 16, v3
	global_store_dword v[0:1], v3, off
	s_mov_b64 s[0:1], 0
	s_branch .LBB38_648
.LBB38_642:
	s_mov_b64 s[36:37], 0
                                        ; implicit-def: $vgpr9
	s_mov_b64 s[0:1], s[24:25]
	s_branch .LBB38_759
.LBB38_643:
	s_mov_b64 s[36:37], -1
	s_mov_b64 s[34:35], 0
	s_mov_b64 s[0:1], s[24:25]
	s_branch .LBB38_717
.LBB38_644:
	s_mov_b64 s[36:37], -1
	s_mov_b64 s[34:35], 0
	s_mov_b64 s[0:1], s[24:25]
	s_branch .LBB38_675
.LBB38_645:
	s_mov_b64 s[36:37], -1
	s_mov_b64 s[34:35], 0
	s_mov_b64 s[0:1], s[24:25]
	s_branch .LBB38_658
.LBB38_646:
	s_mov_b64 s[36:37], -1
	s_mov_b64 s[34:35], 0
	s_mov_b64 s[0:1], s[24:25]
	s_branch .LBB38_654
.LBB38_647:
	s_mov_b64 s[36:37], -1
	s_mov_b64 s[34:35], 0
	s_mov_b64 s[0:1], s[24:25]
.LBB38_648:
	s_and_b64 vcc, exec, s[36:37]
	s_cbranch_vccz .LBB38_653
; %bb.649:
	s_cmp_eq_u32 s14, 44
	s_mov_b64 s[0:1], -1
	s_cbranch_scc0 .LBB38_653
; %bb.650:
	v_bfe_i32 v3, v2, 0, 8
	v_cvt_f32_i32_sdwa v3, sext(v3) dst_sel:DWORD dst_unused:UNUSED_PAD src0_sel:WORD_0
	s_movk_i32 s0, 0xff
	v_mov_b32_e32 v5, 0xff
	v_bfe_u32 v4, v3, 23, 8
	v_cmp_ne_u32_e32 vcc, s0, v4
	s_and_saveexec_b64 s[34:35], vcc
; %bb.651:
	s_mov_b32 s0, 0x3fffff
	v_lshrrev_b32_e32 v5, 23, v3
	v_and_b32_e32 v6, 0x400000, v3
	v_and_or_b32 v3, v3, s0, v4
	v_cmp_ne_u32_e32 vcc, 0, v6
	v_cmp_ne_u32_e64 s[0:1], 0, v3
	s_and_b64 s[0:1], vcc, s[0:1]
	v_cndmask_b32_e64 v3, 0, 1, s[0:1]
	v_add_u32_e32 v5, v5, v3
; %bb.652:
	s_or_b64 exec, exec, s[34:35]
	s_mov_b64 s[34:35], -1
	s_mov_b64 s[0:1], 0
	global_store_byte v[0:1], v5, off
.LBB38_653:
	s_mov_b64 s[36:37], 0
.LBB38_654:
	s_and_b64 vcc, exec, s[36:37]
	s_cbranch_vccz .LBB38_657
; %bb.655:
	s_cmp_eq_u32 s14, 29
	s_mov_b64 s[0:1], -1
	s_cbranch_scc0 .LBB38_657
; %bb.656:
	v_bfe_i32 v3, v2, 0, 8
	v_ashrrev_i32_e32 v4, 31, v3
	global_store_dwordx2 v[0:1], v[3:4], off
	s_mov_b64 s[34:35], -1
	s_mov_b64 s[0:1], 0
.LBB38_657:
	s_mov_b64 s[36:37], 0
.LBB38_658:
	s_and_b64 vcc, exec, s[36:37]
	s_cbranch_vccz .LBB38_674
; %bb.659:
	s_cmp_lt_i32 s14, 27
	s_mov_b64 s[34:35], -1
	s_cbranch_scc1 .LBB38_665
; %bb.660:
	s_cmp_gt_i32 s14, 27
	s_cbranch_scc0 .LBB38_662
; %bb.661:
	v_bfe_i32 v3, v2, 0, 8
	s_mov_b64 s[34:35], 0
	global_store_dword v[0:1], v3, off
.LBB38_662:
	s_andn2_b64 vcc, exec, s[34:35]
	s_cbranch_vccnz .LBB38_664
; %bb.663:
	v_bfe_i32 v3, v2, 0, 8
	global_store_short v[0:1], v3, off
.LBB38_664:
	s_mov_b64 s[34:35], 0
.LBB38_665:
	s_andn2_b64 vcc, exec, s[34:35]
	s_cbranch_vccnz .LBB38_673
; %bb.666:
	v_bfe_i32 v3, v2, 0, 8
	v_cvt_f32_i32_sdwa v3, sext(v3) dst_sel:DWORD dst_unused:UNUSED_PAD src0_sel:WORD_0
	s_mov_b32 s34, 0x43800000
	v_mov_b32_e32 v5, 0x80
	v_and_b32_e32 v4, 0x7fffffff, v3
	v_cmp_gt_u32_e32 vcc, s34, v4
	s_and_saveexec_b64 s[34:35], vcc
	s_cbranch_execz .LBB38_672
; %bb.667:
	s_mov_b32 s36, 0x3bffffff
	v_cmp_lt_u32_e32 vcc, s36, v4
	s_mov_b64 s[36:37], 0
                                        ; implicit-def: $vgpr4
	s_and_saveexec_b64 s[38:39], vcc
	s_xor_b64 s[38:39], exec, s[38:39]
	s_cbranch_execz .LBB38_773
; %bb.668:
	v_bfe_u32 v4, v3, 20, 1
	s_mov_b32 s40, 0x487ffff
	v_add3_u32 v4, v3, v4, s40
	s_mov_b64 s[36:37], exec
	v_lshrrev_b32_e32 v4, 20, v4
	s_andn2_saveexec_b64 s[38:39], s[38:39]
	s_cbranch_execnz .LBB38_774
.LBB38_669:
	s_or_b64 exec, exec, s[38:39]
	v_mov_b32_e32 v5, 0
	s_and_saveexec_b64 s[38:39], s[36:37]
.LBB38_670:
	v_lshrrev_b32_e32 v3, 24, v3
	s_movk_i32 s36, 0x80
	v_and_or_b32 v5, v3, s36, v4
.LBB38_671:
	s_or_b64 exec, exec, s[38:39]
.LBB38_672:
	s_or_b64 exec, exec, s[34:35]
	global_store_byte v[0:1], v5, off
.LBB38_673:
	s_mov_b64 s[34:35], -1
.LBB38_674:
	s_mov_b64 s[36:37], 0
.LBB38_675:
	s_and_b64 vcc, exec, s[36:37]
	s_cbranch_vccz .LBB38_716
; %bb.676:
	s_cmp_gt_i32 s14, 22
	s_mov_b64 s[36:37], -1
	s_cbranch_scc0 .LBB38_708
; %bb.677:
	s_cmp_lt_i32 s14, 24
	s_mov_b64 s[34:35], -1
	s_cbranch_scc1 .LBB38_697
; %bb.678:
	s_cmp_gt_i32 s14, 24
	s_cbranch_scc0 .LBB38_686
; %bb.679:
	v_bfe_i32 v3, v2, 0, 8
	v_cvt_f32_i32_sdwa v3, sext(v3) dst_sel:DWORD dst_unused:UNUSED_PAD src0_sel:WORD_0
	s_mov_b32 s34, 0x47800000
	v_mov_b32_e32 v5, 0x80
	v_and_b32_e32 v4, 0x7fffffff, v3
	v_cmp_gt_u32_e32 vcc, s34, v4
	s_and_saveexec_b64 s[34:35], vcc
	s_cbranch_execz .LBB38_685
; %bb.680:
	s_mov_b32 s36, 0x37ffffff
	v_cmp_lt_u32_e32 vcc, s36, v4
	s_mov_b64 s[36:37], 0
                                        ; implicit-def: $vgpr4
	s_and_saveexec_b64 s[38:39], vcc
	s_xor_b64 s[38:39], exec, s[38:39]
	s_cbranch_execz .LBB38_776
; %bb.681:
	v_bfe_u32 v4, v3, 21, 1
	s_mov_b32 s40, 0x88fffff
	v_add3_u32 v4, v3, v4, s40
	s_mov_b64 s[36:37], exec
	v_lshrrev_b32_e32 v4, 21, v4
	s_andn2_saveexec_b64 s[38:39], s[38:39]
	s_cbranch_execnz .LBB38_777
.LBB38_682:
	s_or_b64 exec, exec, s[38:39]
	v_mov_b32_e32 v5, 0
	s_and_saveexec_b64 s[38:39], s[36:37]
.LBB38_683:
	v_lshrrev_b32_e32 v3, 24, v3
	s_movk_i32 s36, 0x80
	v_and_or_b32 v5, v3, s36, v4
.LBB38_684:
	s_or_b64 exec, exec, s[38:39]
.LBB38_685:
	s_or_b64 exec, exec, s[34:35]
	s_mov_b64 s[34:35], 0
	global_store_byte v[0:1], v5, off
.LBB38_686:
	s_and_b64 vcc, exec, s[34:35]
	s_cbranch_vccz .LBB38_696
; %bb.687:
	v_bfe_i32 v3, v2, 0, 8
	v_cvt_f32_i32_sdwa v3, sext(v3) dst_sel:DWORD dst_unused:UNUSED_PAD src0_sel:WORD_0
	s_mov_b32 s34, 0x43f00000
                                        ; implicit-def: $vgpr4
	v_and_b32_e32 v5, 0x7fffffff, v3
	v_cmp_gt_u32_e32 vcc, s34, v5
	s_and_saveexec_b64 s[34:35], vcc
	s_xor_b64 s[34:35], exec, s[34:35]
	s_cbranch_execz .LBB38_693
; %bb.688:
	s_mov_b32 s36, 0x3c7fffff
	v_cmp_lt_u32_e32 vcc, s36, v5
                                        ; implicit-def: $vgpr4
	s_and_saveexec_b64 s[36:37], vcc
	s_xor_b64 s[36:37], exec, s[36:37]
; %bb.689:
	v_bfe_u32 v4, v3, 20, 1
	s_mov_b32 s38, 0x407ffff
	v_add3_u32 v4, v3, v4, s38
	v_lshrrev_b32_e32 v5, 20, v4
	v_and_b32_e32 v4, 0xff00000, v4
	s_mov_b32 s38, 0x7f00000
	v_mov_b32_e32 v6, 0x7e
	v_cmp_ne_u32_e32 vcc, s38, v4
	v_cndmask_b32_e32 v4, v6, v5, vcc
; %bb.690:
	s_andn2_saveexec_b64 s[36:37], s[36:37]
; %bb.691:
	s_mov_b32 s38, 0x46800000
	v_add_f32_e64 v4, |v3|, s38
; %bb.692:
	s_or_b64 exec, exec, s[36:37]
                                        ; implicit-def: $vgpr5
.LBB38_693:
	s_andn2_saveexec_b64 s[34:35], s[34:35]
; %bb.694:
	s_mov_b32 s36, 0x7f800000
	v_mov_b32_e32 v4, 0x7e
	v_mov_b32_e32 v6, 0x7f
	v_cmp_lt_u32_e32 vcc, s36, v5
	v_cndmask_b32_e32 v4, v4, v6, vcc
; %bb.695:
	s_or_b64 exec, exec, s[34:35]
	v_lshrrev_b32_e32 v3, 24, v3
	s_movk_i32 s34, 0x80
	v_and_or_b32 v3, v3, s34, v4
	global_store_byte v[0:1], v3, off
.LBB38_696:
	s_mov_b64 s[34:35], 0
.LBB38_697:
	s_andn2_b64 vcc, exec, s[34:35]
	s_cbranch_vccnz .LBB38_707
; %bb.698:
	v_bfe_i32 v3, v2, 0, 8
	v_cvt_f32_i32_sdwa v3, sext(v3) dst_sel:DWORD dst_unused:UNUSED_PAD src0_sel:WORD_0
	s_mov_b32 s34, 0x47800000
                                        ; implicit-def: $vgpr4
	v_and_b32_e32 v5, 0x7fffffff, v3
	v_cmp_gt_u32_e32 vcc, s34, v5
	s_and_saveexec_b64 s[34:35], vcc
	s_xor_b64 s[34:35], exec, s[34:35]
	s_cbranch_execz .LBB38_704
; %bb.699:
	s_mov_b32 s36, 0x387fffff
	v_cmp_lt_u32_e32 vcc, s36, v5
                                        ; implicit-def: $vgpr4
	s_and_saveexec_b64 s[36:37], vcc
	s_xor_b64 s[36:37], exec, s[36:37]
; %bb.700:
	v_bfe_u32 v4, v3, 21, 1
	s_mov_b32 s38, 0x80fffff
	v_add3_u32 v4, v3, v4, s38
	v_lshrrev_b32_e32 v4, 21, v4
; %bb.701:
	s_andn2_saveexec_b64 s[36:37], s[36:37]
; %bb.702:
	s_mov_b32 s38, 0x43000000
	v_add_f32_e64 v4, |v3|, s38
; %bb.703:
	s_or_b64 exec, exec, s[36:37]
                                        ; implicit-def: $vgpr5
.LBB38_704:
	s_andn2_saveexec_b64 s[34:35], s[34:35]
; %bb.705:
	s_mov_b32 s36, 0x7f800000
	v_mov_b32_e32 v4, 0x7c
	v_mov_b32_e32 v6, 0x7f
	v_cmp_lt_u32_e32 vcc, s36, v5
	v_cndmask_b32_e32 v4, v4, v6, vcc
; %bb.706:
	s_or_b64 exec, exec, s[34:35]
	v_lshrrev_b32_e32 v3, 24, v3
	s_movk_i32 s34, 0x80
	v_and_or_b32 v3, v3, s34, v4
	global_store_byte v[0:1], v3, off
.LBB38_707:
	s_mov_b64 s[36:37], 0
	s_mov_b64 s[34:35], -1
.LBB38_708:
	s_andn2_b64 vcc, exec, s[36:37]
	s_cbranch_vccnz .LBB38_716
; %bb.709:
	s_cmp_gt_i32 s14, 14
	s_mov_b64 s[36:37], -1
	s_cbranch_scc0 .LBB38_713
; %bb.710:
	s_cmp_eq_u32 s14, 15
	s_mov_b64 s[0:1], -1
	s_cbranch_scc0 .LBB38_712
; %bb.711:
	v_bfe_i32 v3, v2, 0, 8
	v_cvt_f32_i32_sdwa v3, sext(v3) dst_sel:DWORD dst_unused:UNUSED_PAD src0_sel:WORD_0
	s_movk_i32 s0, 0x7fff
	s_mov_b64 s[34:35], -1
	v_bfe_u32 v4, v3, 16, 1
	v_add3_u32 v3, v3, v4, s0
	global_store_short_d16_hi v[0:1], v3, off
	s_mov_b64 s[0:1], 0
.LBB38_712:
	s_mov_b64 s[36:37], 0
.LBB38_713:
	s_and_b64 vcc, exec, s[36:37]
	s_cbranch_vccz .LBB38_716
; %bb.714:
	s_cmp_eq_u32 s14, 11
	s_mov_b64 s[0:1], -1
	s_cbranch_scc0 .LBB38_716
; %bb.715:
	v_mov_b32_e32 v3, 0
	v_cmp_ne_u16_sdwa s[0:1], v2, v3 src0_sel:BYTE_0 src1_sel:DWORD
	v_cndmask_b32_e64 v3, 0, 1, s[0:1]
	s_mov_b64 s[34:35], -1
	s_mov_b64 s[0:1], 0
	global_store_byte v[0:1], v3, off
.LBB38_716:
	s_mov_b64 s[36:37], 0
.LBB38_717:
	s_and_b64 vcc, exec, s[36:37]
	s_cbranch_vccz .LBB38_756
; %bb.718:
	s_and_b32 s3, 0xffff, s3
	s_cmp_lt_i32 s3, 5
	s_mov_b64 s[34:35], -1
	s_cbranch_scc1 .LBB38_739
; %bb.719:
	s_cmp_lt_i32 s3, 8
	s_cbranch_scc1 .LBB38_729
; %bb.720:
	s_cmp_lt_i32 s3, 9
	s_cbranch_scc1 .LBB38_726
; %bb.721:
	s_cmp_gt_i32 s3, 9
	s_cbranch_scc0 .LBB38_723
; %bb.722:
	v_bfe_i32 v3, v2, 0, 8
	v_bfe_i32 v3, v3, 0, 16
	v_cvt_f64_i32_e32 v[3:4], v3
	v_mov_b32_e32 v5, 0
	v_mov_b32_e32 v6, v5
	s_mov_b64 s[34:35], 0
	global_store_dwordx4 v[0:1], v[3:6], off
.LBB38_723:
	s_andn2_b64 vcc, exec, s[34:35]
	s_cbranch_vccnz .LBB38_725
; %bb.724:
	v_bfe_i32 v3, v2, 0, 8
	v_cvt_f32_i32_sdwa v3, sext(v3) dst_sel:DWORD dst_unused:UNUSED_PAD src0_sel:WORD_0
	v_mov_b32_e32 v4, 0
	global_store_dwordx2 v[0:1], v[3:4], off
.LBB38_725:
	s_mov_b64 s[34:35], 0
.LBB38_726:
	s_andn2_b64 vcc, exec, s[34:35]
	s_cbranch_vccnz .LBB38_728
; %bb.727:
	v_cvt_f16_i16_sdwa v3, sext(v2) dst_sel:DWORD dst_unused:UNUSED_PAD src0_sel:BYTE_0
	global_store_dword v[0:1], v3, off
.LBB38_728:
	s_mov_b64 s[34:35], 0
.LBB38_729:
	s_andn2_b64 vcc, exec, s[34:35]
	s_cbranch_vccnz .LBB38_738
; %bb.730:
	s_cmp_lt_i32 s3, 6
	s_mov_b64 s[34:35], -1
	s_cbranch_scc1 .LBB38_736
; %bb.731:
	s_cmp_gt_i32 s3, 6
	s_cbranch_scc0 .LBB38_733
; %bb.732:
	v_bfe_i32 v3, v2, 0, 8
	v_bfe_i32 v3, v3, 0, 16
	v_cvt_f64_i32_e32 v[3:4], v3
	s_mov_b64 s[34:35], 0
	global_store_dwordx2 v[0:1], v[3:4], off
.LBB38_733:
	s_andn2_b64 vcc, exec, s[34:35]
	s_cbranch_vccnz .LBB38_735
; %bb.734:
	v_bfe_i32 v3, v2, 0, 8
	v_cvt_f32_i32_sdwa v3, sext(v3) dst_sel:DWORD dst_unused:UNUSED_PAD src0_sel:WORD_0
	global_store_dword v[0:1], v3, off
.LBB38_735:
	s_mov_b64 s[34:35], 0
.LBB38_736:
	s_andn2_b64 vcc, exec, s[34:35]
	s_cbranch_vccnz .LBB38_738
; %bb.737:
	v_cvt_f16_i16_sdwa v3, sext(v2) dst_sel:DWORD dst_unused:UNUSED_PAD src0_sel:BYTE_0
	global_store_short v[0:1], v3, off
.LBB38_738:
	s_mov_b64 s[34:35], 0
.LBB38_739:
	s_andn2_b64 vcc, exec, s[34:35]
	s_cbranch_vccnz .LBB38_755
; %bb.740:
	s_cmp_lt_i32 s3, 2
	s_mov_b64 s[34:35], -1
	s_cbranch_scc1 .LBB38_750
; %bb.741:
	s_cmp_lt_i32 s3, 3
	s_cbranch_scc1 .LBB38_747
; %bb.742:
	s_cmp_gt_i32 s3, 3
	s_cbranch_scc0 .LBB38_744
; %bb.743:
	v_bfe_i32 v3, v2, 0, 8
	v_ashrrev_i32_e32 v4, 31, v3
	s_mov_b64 s[34:35], 0
	global_store_dwordx2 v[0:1], v[3:4], off
.LBB38_744:
	s_andn2_b64 vcc, exec, s[34:35]
	s_cbranch_vccnz .LBB38_746
; %bb.745:
	v_bfe_i32 v3, v2, 0, 8
	global_store_dword v[0:1], v3, off
.LBB38_746:
	s_mov_b64 s[34:35], 0
.LBB38_747:
	s_andn2_b64 vcc, exec, s[34:35]
	s_cbranch_vccnz .LBB38_749
; %bb.748:
	v_bfe_i32 v3, v2, 0, 8
	global_store_short v[0:1], v3, off
.LBB38_749:
	s_mov_b64 s[34:35], 0
.LBB38_750:
	s_andn2_b64 vcc, exec, s[34:35]
	s_cbranch_vccnz .LBB38_755
; %bb.751:
	s_cmp_gt_i32 s3, 0
	s_mov_b64 s[34:35], -1
	s_cbranch_scc0 .LBB38_753
; %bb.752:
	s_mov_b64 s[34:35], 0
	global_store_byte v[0:1], v2, off
.LBB38_753:
	s_andn2_b64 vcc, exec, s[34:35]
	s_cbranch_vccnz .LBB38_755
; %bb.754:
	global_store_byte v[0:1], v2, off
.LBB38_755:
	s_mov_b64 s[34:35], -1
.LBB38_756:
	s_andn2_b64 vcc, exec, s[34:35]
	s_cbranch_vccnz .LBB38_758
; %bb.757:
	v_add_u32_e32 v9, 0x80, v9
	s_mov_b64 s[36:37], -1
	s_branch .LBB38_759
.LBB38_758:
	s_mov_b64 s[36:37], 0
                                        ; implicit-def: $vgpr9
.LBB38_759:
	s_andn2_b64 s[34:35], s[24:25], exec
	s_and_b64 s[0:1], s[0:1], exec
	s_or_b64 s[34:35], s[34:35], s[0:1]
	s_andn2_b64 s[0:1], s[22:23], exec
	s_and_b64 s[30:31], s[30:31], exec
	s_or_b64 s[0:1], s[0:1], s[30:31]
	s_orn2_b64 s[38:39], s[36:37], exec
.LBB38_760:
	s_or_b64 exec, exec, s[28:29]
	s_mov_b64 s[36:37], 0
	s_mov_b64 s[30:31], 0
	;; [unrolled: 1-line block ×3, first 2 shown]
                                        ; implicit-def: $sgpr3
                                        ; implicit-def: $vgpr0_vgpr1
                                        ; implicit-def: $vgpr2
	s_and_saveexec_b64 s[28:29], s[38:39]
	s_cbranch_execz .LBB38_841
; %bb.761:
	v_cmp_gt_i32_e32 vcc, s42, v9
	s_mov_b64 s[38:39], 0
	s_mov_b64 s[42:43], s[0:1]
	;; [unrolled: 1-line block ×3, first 2 shown]
                                        ; implicit-def: $sgpr3
                                        ; implicit-def: $vgpr0_vgpr1
                                        ; implicit-def: $vgpr2
	s_and_saveexec_b64 s[30:31], vcc
	s_cbranch_execz .LBB38_840
; %bb.762:
	v_mul_lo_u32 v0, v9, s13
	v_mov_b32_e32 v1, s11
	s_and_b32 s3, s15, 0xff
	s_cmp_lt_i32 s3, 11
	s_waitcnt vmcnt(0)
	v_ashrrev_i32_e32 v2, 31, v0
	v_add_co_u32_e32 v0, vcc, s10, v0
	v_addc_co_u32_e32 v1, vcc, v1, v2, vcc
	s_cbranch_scc1 .LBB38_769
; %bb.763:
	s_and_b32 s14, 0xffff, s3
	s_cmp_gt_i32 s14, 25
	s_cbranch_scc0 .LBB38_770
; %bb.764:
	s_cmp_gt_i32 s14, 28
	s_cbranch_scc0 .LBB38_771
; %bb.765:
	;; [unrolled: 3-line block ×4, first 2 shown]
	s_cmp_eq_u32 s14, 46
	s_mov_b64 s[42:43], 0
	s_cbranch_scc0 .LBB38_778
; %bb.768:
	global_load_dword v2, v[0:1], off
	s_mov_b64 s[40:41], -1
	s_waitcnt vmcnt(0)
	v_lshlrev_b32_e32 v2, 16, v2
	v_cvt_i32_f32_e32 v2, v2
	s_branch .LBB38_780
.LBB38_769:
	s_mov_b64 s[42:43], -1
                                        ; implicit-def: $vgpr2
	s_mov_b64 s[36:37], s[0:1]
	s_branch .LBB38_839
.LBB38_770:
	s_mov_b64 s[42:43], -1
	s_mov_b64 s[36:37], s[0:1]
                                        ; implicit-def: $vgpr2
	s_branch .LBB38_807
.LBB38_771:
	s_mov_b64 s[42:43], -1
	s_mov_b64 s[36:37], s[0:1]
                                        ; implicit-def: $vgpr2
	s_branch .LBB38_790
.LBB38_772:
	s_mov_b64 s[42:43], -1
	s_mov_b64 s[36:37], s[0:1]
                                        ; implicit-def: $vgpr2
	s_branch .LBB38_785
.LBB38_773:
	s_andn2_saveexec_b64 s[38:39], s[38:39]
	s_cbranch_execz .LBB38_669
.LBB38_774:
	s_mov_b32 s40, 0x46000000
	v_add_f32_e64 v4, |v3|, s40
	v_and_b32_e32 v4, 0xff, v4
	v_cmp_ne_u32_e32 vcc, 0, v4
	s_andn2_b64 s[36:37], s[36:37], exec
	s_and_b64 s[40:41], vcc, exec
	s_or_b64 s[36:37], s[36:37], s[40:41]
	s_or_b64 exec, exec, s[38:39]
	v_mov_b32_e32 v5, 0
	s_and_saveexec_b64 s[38:39], s[36:37]
	s_cbranch_execnz .LBB38_670
	s_branch .LBB38_671
.LBB38_775:
	s_mov_b64 s[42:43], -1
	s_mov_b64 s[36:37], s[0:1]
	s_branch .LBB38_779
.LBB38_776:
	s_andn2_saveexec_b64 s[38:39], s[38:39]
	s_cbranch_execz .LBB38_682
.LBB38_777:
	s_mov_b32 s40, 0x42800000
	v_add_f32_e64 v4, |v3|, s40
	v_and_b32_e32 v4, 0xff, v4
	v_cmp_ne_u32_e32 vcc, 0, v4
	s_andn2_b64 s[36:37], s[36:37], exec
	s_and_b64 s[40:41], vcc, exec
	s_or_b64 s[36:37], s[36:37], s[40:41]
	s_or_b64 exec, exec, s[38:39]
	v_mov_b32_e32 v5, 0
	s_and_saveexec_b64 s[38:39], s[36:37]
	s_cbranch_execnz .LBB38_683
	s_branch .LBB38_684
.LBB38_778:
	s_mov_b64 s[36:37], -1
.LBB38_779:
                                        ; implicit-def: $vgpr2
.LBB38_780:
	s_and_b64 vcc, exec, s[42:43]
	s_cbranch_vccz .LBB38_784
; %bb.781:
	s_cmp_eq_u32 s14, 44
	s_cbranch_scc0 .LBB38_783
; %bb.782:
	global_load_ubyte v2, v[0:1], off
	s_mov_b64 s[36:37], 0
	s_mov_b64 s[40:41], -1
	s_waitcnt vmcnt(0)
	v_lshlrev_b32_e32 v3, 23, v2
	v_cvt_i32_f32_e32 v3, v3
	v_cmp_ne_u32_e32 vcc, 0, v2
	v_cndmask_b32_e32 v2, 0, v3, vcc
	s_branch .LBB38_784
.LBB38_783:
	s_mov_b64 s[36:37], -1
                                        ; implicit-def: $vgpr2
.LBB38_784:
	s_mov_b64 s[42:43], 0
.LBB38_785:
	s_and_b64 vcc, exec, s[42:43]
	s_cbranch_vccz .LBB38_789
; %bb.786:
	s_cmp_eq_u32 s14, 29
	s_cbranch_scc0 .LBB38_788
; %bb.787:
	global_load_dwordx2 v[2:3], v[0:1], off
	s_mov_b64 s[36:37], 0
	s_mov_b64 s[40:41], -1
	s_branch .LBB38_789
.LBB38_788:
	s_mov_b64 s[36:37], -1
                                        ; implicit-def: $vgpr2
.LBB38_789:
	s_mov_b64 s[42:43], 0
.LBB38_790:
	s_and_b64 vcc, exec, s[42:43]
	s_cbranch_vccz .LBB38_806
; %bb.791:
	s_cmp_lt_i32 s14, 27
	s_cbranch_scc1 .LBB38_794
; %bb.792:
	s_cmp_gt_i32 s14, 27
	s_cbranch_scc0 .LBB38_795
; %bb.793:
	global_load_dword v2, v[0:1], off
	s_mov_b64 s[40:41], 0
	s_branch .LBB38_796
.LBB38_794:
	s_mov_b64 s[40:41], -1
                                        ; implicit-def: $vgpr2
	s_branch .LBB38_799
.LBB38_795:
	s_mov_b64 s[40:41], -1
                                        ; implicit-def: $vgpr2
.LBB38_796:
	s_andn2_b64 vcc, exec, s[40:41]
	s_cbranch_vccnz .LBB38_798
; %bb.797:
	global_load_ushort v2, v[0:1], off
.LBB38_798:
	s_mov_b64 s[40:41], 0
.LBB38_799:
	s_andn2_b64 vcc, exec, s[40:41]
	s_cbranch_vccnz .LBB38_805
; %bb.800:
	global_load_ubyte v3, v[0:1], off
	s_movk_i32 s40, 0x7f
	s_mov_b64 s[42:43], 0
	s_waitcnt vmcnt(0)
	v_cmp_lt_i16_e32 vcc, s40, v3
	s_and_saveexec_b64 s[40:41], vcc
	s_xor_b64 s[40:41], exec, s[40:41]
	s_cbranch_execz .LBB38_817
; %bb.801:
	s_movk_i32 s42, 0x80
	v_cmp_ne_u16_e32 vcc, s42, v3
	s_and_b64 s[42:43], vcc, exec
	s_andn2_saveexec_b64 s[40:41], s[40:41]
	s_cbranch_execnz .LBB38_818
.LBB38_802:
	s_or_b64 exec, exec, s[40:41]
	v_mov_b32_e32 v2, 0
	s_and_saveexec_b64 s[40:41], s[42:43]
	s_cbranch_execz .LBB38_804
.LBB38_803:
	v_lshlrev_b32_e32 v2, 24, v3
	v_and_b32_e32 v3, 0xffff, v3
	v_and_b32_e32 v4, 7, v3
	v_ffbh_u32_e32 v6, v4
	v_min_u32_e32 v6, 32, v6
	v_subrev_u32_e32 v7, 28, v6
	v_bfe_u32 v5, v3, 3, 4
	v_lshlrev_b32_e32 v3, v7, v3
	v_sub_u32_e32 v6, 29, v6
	v_and_b32_e32 v3, 7, v3
	v_cmp_eq_u32_e32 vcc, 0, v5
	v_cndmask_b32_e32 v5, v5, v6, vcc
	v_cndmask_b32_e32 v3, v4, v3, vcc
	v_mov_b32_e32 v4, 0x3b800000
	v_lshlrev_b32_e32 v3, 20, v3
	v_and_b32_e32 v2, 0x80000000, v2
	v_lshl_add_u32 v4, v5, 23, v4
	v_or3_b32 v2, v2, v4, v3
	v_cvt_i32_f32_e32 v2, v2
.LBB38_804:
	s_or_b64 exec, exec, s[40:41]
.LBB38_805:
	s_mov_b64 s[40:41], -1
.LBB38_806:
	s_mov_b64 s[42:43], 0
.LBB38_807:
	s_and_b64 vcc, exec, s[42:43]
	s_cbranch_vccz .LBB38_838
; %bb.808:
	s_cmp_gt_i32 s14, 22
	s_cbranch_scc0 .LBB38_816
; %bb.809:
	s_cmp_lt_i32 s14, 24
	s_cbranch_scc1 .LBB38_819
; %bb.810:
	s_cmp_gt_i32 s14, 24
	s_cbranch_scc0 .LBB38_820
; %bb.811:
	global_load_ubyte v3, v[0:1], off
	s_movk_i32 s38, 0x7f
	s_mov_b64 s[40:41], 0
	s_waitcnt vmcnt(0)
	v_cmp_lt_i16_e32 vcc, s38, v3
	s_and_saveexec_b64 s[38:39], vcc
	s_xor_b64 s[38:39], exec, s[38:39]
	s_cbranch_execz .LBB38_832
; %bb.812:
	s_movk_i32 s40, 0x80
	v_cmp_ne_u16_e32 vcc, s40, v3
	s_and_b64 s[40:41], vcc, exec
	s_andn2_saveexec_b64 s[38:39], s[38:39]
	s_cbranch_execnz .LBB38_833
.LBB38_813:
	s_or_b64 exec, exec, s[38:39]
	v_mov_b32_e32 v2, 0
	s_and_saveexec_b64 s[38:39], s[40:41]
	s_cbranch_execz .LBB38_815
.LBB38_814:
	v_lshlrev_b32_e32 v2, 24, v3
	v_and_b32_e32 v3, 0xffff, v3
	v_and_b32_e32 v4, 3, v3
	v_ffbh_u32_e32 v6, v4
	v_min_u32_e32 v6, 32, v6
	v_subrev_u32_e32 v7, 29, v6
	v_bfe_u32 v5, v3, 2, 5
	v_lshlrev_b32_e32 v3, v7, v3
	v_sub_u32_e32 v6, 30, v6
	v_and_b32_e32 v3, 3, v3
	v_cmp_eq_u32_e32 vcc, 0, v5
	v_cndmask_b32_e32 v5, v5, v6, vcc
	v_cndmask_b32_e32 v3, v4, v3, vcc
	v_mov_b32_e32 v4, 0x37800000
	v_lshlrev_b32_e32 v3, 21, v3
	v_and_b32_e32 v2, 0x80000000, v2
	v_lshl_add_u32 v4, v5, 23, v4
	v_or3_b32 v2, v2, v4, v3
	v_cvt_i32_f32_e32 v2, v2
.LBB38_815:
	s_or_b64 exec, exec, s[38:39]
	s_mov_b64 s[38:39], 0
	s_branch .LBB38_821
.LBB38_816:
	s_mov_b64 s[38:39], -1
                                        ; implicit-def: $vgpr2
	s_branch .LBB38_827
.LBB38_817:
	s_andn2_saveexec_b64 s[40:41], s[40:41]
	s_cbranch_execz .LBB38_802
.LBB38_818:
	v_cmp_ne_u16_e32 vcc, 0, v3
	s_andn2_b64 s[42:43], s[42:43], exec
	s_and_b64 s[44:45], vcc, exec
	s_or_b64 s[42:43], s[42:43], s[44:45]
	s_or_b64 exec, exec, s[40:41]
	v_mov_b32_e32 v2, 0
	s_and_saveexec_b64 s[40:41], s[42:43]
	s_cbranch_execnz .LBB38_803
	s_branch .LBB38_804
.LBB38_819:
	s_mov_b64 s[38:39], -1
                                        ; implicit-def: $vgpr2
	s_branch .LBB38_824
.LBB38_820:
	s_mov_b64 s[38:39], -1
                                        ; implicit-def: $vgpr2
.LBB38_821:
	s_and_b64 vcc, exec, s[38:39]
	s_cbranch_vccz .LBB38_823
; %bb.822:
	global_load_ubyte v2, v[0:1], off
	s_mov_b32 s38, 0x7f800000
	s_waitcnt vmcnt(0)
	v_lshlrev_b32_e32 v2, 24, v2
	v_and_b32_e32 v3, 0x7f000000, v2
	v_ffbh_u32_e32 v4, v3
	v_min_u32_e32 v4, 32, v4
	v_sub_u32_e64 v4, v4, 4 clamp
	v_lshlrev_b32_e32 v6, v4, v3
	v_lshlrev_b32_e32 v4, 23, v4
	v_lshrrev_b32_e32 v6, 4, v6
	v_add_u32_e32 v5, 0x1000000, v3
	v_sub_u32_e32 v4, v6, v4
	v_ashrrev_i32_e32 v5, 8, v5
	v_add_u32_e32 v4, 0x3c000000, v4
	v_and_or_b32 v4, v5, s38, v4
	v_cmp_ne_u32_e32 vcc, 0, v3
	v_cndmask_b32_e32 v3, 0, v4, vcc
	s_brev_b32 s38, 1
	v_and_or_b32 v2, v2, s38, v3
	v_cvt_i32_f32_e32 v2, v2
.LBB38_823:
	s_mov_b64 s[38:39], 0
.LBB38_824:
	s_andn2_b64 vcc, exec, s[38:39]
	s_cbranch_vccnz .LBB38_826
; %bb.825:
	global_load_ubyte v2, v[0:1], off
	s_movk_i32 s38, 0x7f00
	s_brev_b32 s39, 16
	s_waitcnt vmcnt(0)
	v_lshlrev_b16_e32 v3, 8, v2
	v_lshlrev_b32_e32 v2, 25, v2
	v_lshrrev_b32_e32 v4, 4, v2
	v_and_or_b32 v5, v3, s38, 0.5
	v_or_b32_e32 v4, 0x70000000, v4
	v_add_f32_e32 v5, -0.5, v5
	v_mul_f32_e32 v4, 0x7800000, v4
	v_cmp_gt_u32_e32 vcc, s39, v2
	v_bfe_i32 v3, v3, 0, 16
	v_cndmask_b32_e32 v2, v4, v5, vcc
	s_brev_b32 s38, 1
	v_and_or_b32 v2, v3, s38, v2
	v_cvt_i32_f32_e32 v2, v2
.LBB38_826:
	s_mov_b64 s[38:39], 0
	s_mov_b64 s[40:41], -1
.LBB38_827:
	s_andn2_b64 vcc, exec, s[38:39]
	s_mov_b64 s[38:39], 0
	s_cbranch_vccnz .LBB38_838
; %bb.828:
	s_cmp_gt_i32 s14, 14
	s_cbranch_scc0 .LBB38_831
; %bb.829:
	s_cmp_eq_u32 s14, 15
	s_cbranch_scc0 .LBB38_834
; %bb.830:
	global_load_ushort v2, v[0:1], off
	s_mov_b64 s[36:37], 0
	s_mov_b64 s[40:41], -1
	s_waitcnt vmcnt(0)
	v_lshlrev_b32_e32 v2, 16, v2
	v_cvt_i32_f32_e32 v2, v2
	s_branch .LBB38_835
.LBB38_831:
	s_mov_b64 s[42:43], -1
                                        ; implicit-def: $vgpr2
	s_branch .LBB38_836
.LBB38_832:
	s_andn2_saveexec_b64 s[38:39], s[38:39]
	s_cbranch_execz .LBB38_813
.LBB38_833:
	v_cmp_ne_u16_e32 vcc, 0, v3
	s_andn2_b64 s[40:41], s[40:41], exec
	s_and_b64 s[42:43], vcc, exec
	s_or_b64 s[40:41], s[40:41], s[42:43]
	s_or_b64 exec, exec, s[38:39]
	v_mov_b32_e32 v2, 0
	s_and_saveexec_b64 s[38:39], s[40:41]
	s_cbranch_execnz .LBB38_814
	s_branch .LBB38_815
.LBB38_834:
	s_mov_b64 s[36:37], -1
                                        ; implicit-def: $vgpr2
.LBB38_835:
	s_mov_b64 s[42:43], 0
.LBB38_836:
	s_and_b64 vcc, exec, s[42:43]
	s_cbranch_vccz .LBB38_838
; %bb.837:
	s_cmp_lg_u32 s14, 11
	s_cselect_b64 s[42:43], -1, 0
	s_andn2_b64 s[36:37], s[36:37], exec
	s_and_b64 s[42:43], s[42:43], exec
	s_mov_b64 s[38:39], -1
	s_or_b64 s[36:37], s[36:37], s[42:43]
.LBB38_838:
	s_mov_b64 s[42:43], 0
.LBB38_839:
	s_and_b64 s[44:45], s[42:43], exec
	s_andn2_b64 s[42:43], s[0:1], exec
	s_and_b64 s[36:37], s[36:37], exec
	s_and_b64 s[40:41], s[40:41], exec
	;; [unrolled: 1-line block ×3, first 2 shown]
	s_or_b64 s[42:43], s[42:43], s[36:37]
.LBB38_840:
	s_or_b64 exec, exec, s[30:31]
	s_and_b64 s[36:37], s[38:39], exec
	s_andn2_b64 s[0:1], s[0:1], exec
	s_and_b64 s[38:39], s[42:43], exec
	s_and_b64 s[40:41], s[40:41], exec
	;; [unrolled: 1-line block ×3, first 2 shown]
	s_or_b64 s[0:1], s[0:1], s[38:39]
.LBB38_841:
	s_or_b64 exec, exec, s[28:29]
	s_andn2_b64 s[24:25], s[24:25], exec
	s_and_b64 s[28:29], s[34:35], exec
	s_andn2_b64 s[22:23], s[22:23], exec
	s_and_b64 s[0:1], s[0:1], exec
	s_or_b64 s[24:25], s[24:25], s[28:29]
	s_and_b64 s[34:35], s[40:41], exec
	s_and_b64 s[30:31], s[30:31], exec
	;; [unrolled: 1-line block ×3, first 2 shown]
	s_or_b64 s[22:23], s[22:23], s[0:1]
.LBB38_842:
	s_or_b64 exec, exec, s[26:27]
	s_andn2_b64 s[0:1], s[16:17], exec
	s_and_b64 s[16:17], s[24:25], exec
	s_andn2_b64 s[18:19], s[18:19], exec
	s_and_b64 s[22:23], s[22:23], exec
	s_or_b64 s[16:17], s[0:1], s[16:17]
	s_and_b64 s[0:1], s[34:35], exec
	s_and_b64 s[26:27], s[30:31], exec
	;; [unrolled: 1-line block ×3, first 2 shown]
	s_or_b64 s[18:19], s[18:19], s[22:23]
	s_or_b64 exec, exec, s[20:21]
	s_mov_b64 s[20:21], 0
	s_and_saveexec_b64 s[22:23], s[18:19]
	s_cbranch_execz .LBB38_258
.LBB38_843:
	s_mov_b64 s[20:21], exec
	s_andn2_b64 s[24:25], s[24:25], exec
	s_trap 2
	s_or_b64 exec, exec, s[22:23]
	s_and_saveexec_b64 s[18:19], s[24:25]
	s_xor_b64 s[18:19], exec, s[18:19]
	s_cbranch_execnz .LBB38_259
.LBB38_844:
	s_or_b64 exec, exec, s[18:19]
	s_and_saveexec_b64 s[18:19], s[26:27]
	s_cbranch_execz .LBB38_890
.LBB38_845:
	s_sext_i32_i16 s14, s3
	s_cmp_lt_i32 s14, 5
	s_cbranch_scc1 .LBB38_850
; %bb.846:
	s_cmp_lt_i32 s14, 8
	s_cbranch_scc1 .LBB38_851
; %bb.847:
	;; [unrolled: 3-line block ×3, first 2 shown]
	s_cmp_gt_i32 s14, 9
	s_cbranch_scc0 .LBB38_853
; %bb.849:
	global_load_dwordx2 v[2:3], v[0:1], off
	s_mov_b64 s[22:23], 0
	s_waitcnt vmcnt(0)
	v_cvt_i32_f64_e32 v2, v[2:3]
	s_branch .LBB38_854
.LBB38_850:
                                        ; implicit-def: $vgpr2
	s_branch .LBB38_871
.LBB38_851:
                                        ; implicit-def: $vgpr2
	s_branch .LBB38_860
.LBB38_852:
	s_mov_b64 s[22:23], -1
                                        ; implicit-def: $vgpr2
	s_branch .LBB38_857
.LBB38_853:
	s_mov_b64 s[22:23], -1
                                        ; implicit-def: $vgpr2
.LBB38_854:
	s_andn2_b64 vcc, exec, s[22:23]
	s_cbranch_vccnz .LBB38_856
; %bb.855:
	global_load_dword v2, v[0:1], off
	s_waitcnt vmcnt(0)
	v_cvt_i32_f32_e32 v2, v2
.LBB38_856:
	s_mov_b64 s[22:23], 0
.LBB38_857:
	s_andn2_b64 vcc, exec, s[22:23]
	s_cbranch_vccnz .LBB38_859
; %bb.858:
	global_load_dword v2, v[0:1], off
	s_waitcnt vmcnt(0)
	v_cvt_i16_f16_e32 v2, v2
.LBB38_859:
	s_cbranch_execnz .LBB38_870
.LBB38_860:
	s_sext_i32_i16 s14, s3
	s_cmp_lt_i32 s14, 6
	s_cbranch_scc1 .LBB38_863
; %bb.861:
	s_cmp_gt_i32 s14, 6
	s_cbranch_scc0 .LBB38_864
; %bb.862:
	global_load_dwordx2 v[2:3], v[0:1], off
	s_mov_b64 s[22:23], 0
	s_waitcnt vmcnt(0)
	v_cvt_i32_f64_e32 v2, v[2:3]
	s_branch .LBB38_865
.LBB38_863:
	s_mov_b64 s[22:23], -1
                                        ; implicit-def: $vgpr2
	s_branch .LBB38_868
.LBB38_864:
	s_mov_b64 s[22:23], -1
                                        ; implicit-def: $vgpr2
.LBB38_865:
	s_andn2_b64 vcc, exec, s[22:23]
	s_cbranch_vccnz .LBB38_867
; %bb.866:
	global_load_dword v2, v[0:1], off
	s_waitcnt vmcnt(0)
	v_cvt_i32_f32_e32 v2, v2
.LBB38_867:
	s_mov_b64 s[22:23], 0
.LBB38_868:
	s_andn2_b64 vcc, exec, s[22:23]
	s_cbranch_vccnz .LBB38_870
; %bb.869:
	global_load_ushort v2, v[0:1], off
	s_waitcnt vmcnt(0)
	v_cvt_i16_f16_e32 v2, v2
.LBB38_870:
	s_cbranch_execnz .LBB38_889
.LBB38_871:
	s_sext_i32_i16 s14, s3
	s_cmp_lt_i32 s14, 2
	s_cbranch_scc1 .LBB38_875
; %bb.872:
	s_cmp_lt_i32 s14, 3
	s_cbranch_scc1 .LBB38_876
; %bb.873:
	s_cmp_gt_i32 s14, 3
	s_cbranch_scc0 .LBB38_877
; %bb.874:
	global_load_dwordx2 v[2:3], v[0:1], off
	s_mov_b64 s[22:23], 0
	s_branch .LBB38_878
.LBB38_875:
                                        ; implicit-def: $vgpr2
	s_branch .LBB38_884
.LBB38_876:
	s_mov_b64 s[22:23], -1
                                        ; implicit-def: $vgpr2
	s_branch .LBB38_881
.LBB38_877:
	s_mov_b64 s[22:23], -1
                                        ; implicit-def: $vgpr2
.LBB38_878:
	s_andn2_b64 vcc, exec, s[22:23]
	s_cbranch_vccnz .LBB38_880
; %bb.879:
	global_load_dword v2, v[0:1], off
.LBB38_880:
	s_mov_b64 s[22:23], 0
.LBB38_881:
	s_andn2_b64 vcc, exec, s[22:23]
	s_cbranch_vccnz .LBB38_883
; %bb.882:
	global_load_ushort v2, v[0:1], off
.LBB38_883:
	s_cbranch_execnz .LBB38_889
.LBB38_884:
	s_sext_i32_i16 s3, s3
	s_cmp_gt_i32 s3, 0
	s_cbranch_scc0 .LBB38_886
; %bb.885:
	global_load_ubyte v2, v[0:1], off
	s_mov_b64 s[22:23], 0
	s_branch .LBB38_887
.LBB38_886:
	s_mov_b64 s[22:23], -1
                                        ; implicit-def: $vgpr2
.LBB38_887:
	s_andn2_b64 vcc, exec, s[22:23]
	s_cbranch_vccnz .LBB38_889
; %bb.888:
	global_load_ubyte v2, v[0:1], off
.LBB38_889:
	s_or_b64 s[0:1], s[0:1], exec
.LBB38_890:
	s_or_b64 exec, exec, s[18:19]
	s_mov_b64 s[24:25], 0
	s_mov_b64 s[22:23], 0
                                        ; implicit-def: $sgpr3
                                        ; implicit-def: $vgpr0_vgpr1
                                        ; implicit-def: $vgpr3
	s_and_saveexec_b64 s[18:19], s[0:1]
	s_cbranch_execz .LBB38_898
; %bb.891:
	v_mul_lo_u32 v1, v9, s12
	v_mov_b32_e32 v0, s46
	s_waitcnt vmcnt(0)
	v_mov_b32_e32 v3, s47
	v_cmp_gt_i16_sdwa vcc, sext(v2), s33 src0_sel:BYTE_0 src1_sel:DWORD
	v_cndmask_b32_e32 v3, v0, v3, vcc
	v_ashrrev_i32_e32 v2, 31, v1
	v_mov_b32_e32 v4, s9
	s_and_b32 s3, s2, 0xff
	v_add_co_u32_e32 v0, vcc, s8, v1
	s_cmp_lt_i32 s3, 11
	v_addc_co_u32_e32 v1, vcc, v4, v2, vcc
	s_cbranch_scc1 .LBB38_901
; %bb.892:
	s_and_b32 s14, 0xffff, s3
	s_mov_b64 s[24:25], -1
	s_cmp_gt_i32 s14, 25
	s_mov_b64 s[0:1], s[16:17]
	s_cbranch_scc0 .LBB38_929
; %bb.893:
	s_mov_b64 s[22:23], -1
	s_cmp_gt_i32 s14, 28
	s_mov_b64 s[0:1], s[16:17]
	s_cbranch_scc0 .LBB38_913
; %bb.894:
	s_cmp_gt_i32 s14, 43
	s_mov_b64 s[0:1], s[16:17]
	s_cbranch_scc0 .LBB38_909
; %bb.895:
	;; [unrolled: 4-line block ×3, first 2 shown]
	s_cmp_eq_u32 s14, 46
	s_mov_b64 s[0:1], -1
	s_cbranch_scc0 .LBB38_902
; %bb.897:
	v_bfe_i32 v2, v3, 0, 8
	v_cvt_f32_i32_sdwa v2, sext(v2) dst_sel:DWORD dst_unused:UNUSED_PAD src0_sel:WORD_0
	s_movk_i32 s0, 0x7fff
	s_mov_b64 s[22:23], 0
	v_bfe_u32 v4, v2, 16, 1
	v_add3_u32 v2, v2, v4, s0
	v_lshrrev_b32_e32 v2, 16, v2
	global_store_dword v[0:1], v2, off
	s_mov_b64 s[0:1], 0
	s_branch .LBB38_903
.LBB38_898:
	s_or_b64 exec, exec, s[18:19]
	s_and_saveexec_b64 s[0:1], s[16:17]
	s_cbranch_execnz .LBB38_971
.LBB38_899:
	s_or_b64 exec, exec, s[0:1]
	s_and_saveexec_b64 s[0:1], s[24:25]
	s_xor_b64 s[0:1], exec, s[0:1]
	s_cbranch_execz .LBB38_972
.LBB38_900:
	s_waitcnt vmcnt(0)
	v_mov_b32_e32 v2, 0
	v_cmp_ne_u16_sdwa s[16:17], v3, v2 src0_sel:BYTE_0 src1_sel:DWORD
	v_cndmask_b32_e64 v2, 0, 1, s[16:17]
	global_store_byte v[0:1], v2, off
	s_or_b64 exec, exec, s[0:1]
	s_and_saveexec_b64 s[0:1], s[22:23]
	s_xor_b64 s[0:1], exec, s[0:1]
	s_cbranch_execz .LBB38_1010
	s_branch .LBB38_973
.LBB38_901:
	s_mov_b64 s[22:23], -1
	s_mov_b64 s[0:1], s[16:17]
	s_branch .LBB38_970
.LBB38_902:
	s_mov_b64 s[22:23], 0
.LBB38_903:
	s_and_b64 vcc, exec, s[22:23]
	s_cbranch_vccz .LBB38_908
; %bb.904:
	s_cmp_eq_u32 s14, 44
	s_mov_b64 s[0:1], -1
	s_cbranch_scc0 .LBB38_908
; %bb.905:
	v_bfe_i32 v2, v3, 0, 8
	v_cvt_f32_i32_sdwa v2, sext(v2) dst_sel:DWORD dst_unused:UNUSED_PAD src0_sel:WORD_0
	s_movk_i32 s0, 0xff
	v_mov_b32_e32 v5, 0xff
	v_bfe_u32 v4, v2, 23, 8
	v_cmp_ne_u32_e32 vcc, s0, v4
	s_and_saveexec_b64 s[22:23], vcc
; %bb.906:
	s_mov_b32 s0, 0x3fffff
	v_lshrrev_b32_e32 v5, 23, v2
	v_and_b32_e32 v6, 0x400000, v2
	v_and_or_b32 v2, v2, s0, v4
	v_cmp_ne_u32_e32 vcc, 0, v6
	v_cmp_ne_u32_e64 s[0:1], 0, v2
	s_and_b64 s[0:1], vcc, s[0:1]
	v_cndmask_b32_e64 v2, 0, 1, s[0:1]
	v_add_u32_e32 v5, v5, v2
; %bb.907:
	s_or_b64 exec, exec, s[22:23]
	s_mov_b64 s[0:1], 0
	global_store_byte v[0:1], v5, off
.LBB38_908:
	s_mov_b64 s[22:23], 0
.LBB38_909:
	s_and_b64 vcc, exec, s[22:23]
	s_cbranch_vccz .LBB38_912
; %bb.910:
	s_cmp_eq_u32 s14, 29
	s_mov_b64 s[0:1], -1
	s_cbranch_scc0 .LBB38_912
; %bb.911:
	v_bfe_i32 v4, v3, 0, 8
	v_ashrrev_i32_e32 v5, 31, v4
	global_store_dwordx2 v[0:1], v[4:5], off
	s_mov_b64 s[0:1], 0
.LBB38_912:
	s_mov_b64 s[22:23], 0
.LBB38_913:
	s_and_b64 vcc, exec, s[22:23]
	s_cbranch_vccz .LBB38_928
; %bb.914:
	s_cmp_lt_i32 s14, 27
	s_mov_b64 s[22:23], -1
	s_cbranch_scc1 .LBB38_920
; %bb.915:
	s_cmp_gt_i32 s14, 27
	s_cbranch_scc0 .LBB38_917
; %bb.916:
	v_bfe_i32 v2, v3, 0, 8
	s_mov_b64 s[22:23], 0
	global_store_dword v[0:1], v2, off
.LBB38_917:
	s_andn2_b64 vcc, exec, s[22:23]
	s_cbranch_vccnz .LBB38_919
; %bb.918:
	v_bfe_i32 v2, v3, 0, 8
	global_store_short v[0:1], v2, off
.LBB38_919:
	s_mov_b64 s[22:23], 0
.LBB38_920:
	s_andn2_b64 vcc, exec, s[22:23]
	s_cbranch_vccnz .LBB38_928
; %bb.921:
	v_bfe_i32 v2, v3, 0, 8
	v_cvt_f32_i32_sdwa v2, sext(v2) dst_sel:DWORD dst_unused:UNUSED_PAD src0_sel:WORD_0
	s_mov_b32 s22, 0x43800000
	v_mov_b32_e32 v5, 0x80
	v_and_b32_e32 v4, 0x7fffffff, v2
	v_cmp_gt_u32_e32 vcc, s22, v4
	s_and_saveexec_b64 s[22:23], vcc
	s_cbranch_execz .LBB38_927
; %bb.922:
	s_mov_b32 s24, 0x3bffffff
	v_cmp_lt_u32_e32 vcc, s24, v4
	s_mov_b64 s[24:25], 0
                                        ; implicit-def: $vgpr4
	s_and_saveexec_b64 s[26:27], vcc
	s_xor_b64 s[26:27], exec, s[26:27]
	s_cbranch_execz .LBB38_1025
; %bb.923:
	v_bfe_u32 v4, v2, 20, 1
	s_mov_b32 s28, 0x487ffff
	v_add3_u32 v4, v2, v4, s28
	s_mov_b64 s[24:25], exec
	v_lshrrev_b32_e32 v4, 20, v4
	s_andn2_saveexec_b64 s[26:27], s[26:27]
	s_cbranch_execnz .LBB38_1026
.LBB38_924:
	s_or_b64 exec, exec, s[26:27]
	v_mov_b32_e32 v5, 0
	s_and_saveexec_b64 s[26:27], s[24:25]
.LBB38_925:
	v_lshrrev_b32_e32 v2, 24, v2
	s_movk_i32 s24, 0x80
	v_and_or_b32 v5, v2, s24, v4
.LBB38_926:
	s_or_b64 exec, exec, s[26:27]
.LBB38_927:
	s_or_b64 exec, exec, s[22:23]
	global_store_byte v[0:1], v5, off
.LBB38_928:
	s_mov_b64 s[24:25], 0
.LBB38_929:
	s_mov_b64 s[22:23], 0
	s_and_b64 vcc, exec, s[24:25]
	s_cbranch_vccz .LBB38_969
; %bb.930:
	s_cmp_gt_i32 s14, 22
	s_mov_b64 s[24:25], -1
	s_cbranch_scc0 .LBB38_962
; %bb.931:
	s_cmp_lt_i32 s14, 24
	s_cbranch_scc1 .LBB38_951
; %bb.932:
	s_cmp_gt_i32 s14, 24
	s_cbranch_scc0 .LBB38_940
; %bb.933:
	v_bfe_i32 v2, v3, 0, 8
	v_cvt_f32_i32_sdwa v2, sext(v2) dst_sel:DWORD dst_unused:UNUSED_PAD src0_sel:WORD_0
	s_mov_b32 s24, 0x47800000
	v_mov_b32_e32 v5, 0x80
	v_and_b32_e32 v4, 0x7fffffff, v2
	v_cmp_gt_u32_e32 vcc, s24, v4
	s_and_saveexec_b64 s[24:25], vcc
	s_cbranch_execz .LBB38_939
; %bb.934:
	s_mov_b32 s26, 0x37ffffff
	v_cmp_lt_u32_e32 vcc, s26, v4
	s_mov_b64 s[26:27], 0
                                        ; implicit-def: $vgpr4
	s_and_saveexec_b64 s[28:29], vcc
	s_xor_b64 s[28:29], exec, s[28:29]
	s_cbranch_execz .LBB38_1145
; %bb.935:
	v_bfe_u32 v4, v2, 21, 1
	s_mov_b32 s30, 0x88fffff
	v_add3_u32 v4, v2, v4, s30
	s_mov_b64 s[26:27], exec
	v_lshrrev_b32_e32 v4, 21, v4
	s_andn2_saveexec_b64 s[28:29], s[28:29]
	s_cbranch_execnz .LBB38_1146
.LBB38_936:
	s_or_b64 exec, exec, s[28:29]
	v_mov_b32_e32 v5, 0
	s_and_saveexec_b64 s[28:29], s[26:27]
.LBB38_937:
	v_lshrrev_b32_e32 v2, 24, v2
	s_movk_i32 s26, 0x80
	v_and_or_b32 v5, v2, s26, v4
.LBB38_938:
	s_or_b64 exec, exec, s[28:29]
.LBB38_939:
	s_or_b64 exec, exec, s[24:25]
	s_mov_b64 s[24:25], 0
	global_store_byte v[0:1], v5, off
.LBB38_940:
	s_and_b64 vcc, exec, s[24:25]
	s_cbranch_vccz .LBB38_950
; %bb.941:
	v_bfe_i32 v2, v3, 0, 8
	v_cvt_f32_i32_sdwa v2, sext(v2) dst_sel:DWORD dst_unused:UNUSED_PAD src0_sel:WORD_0
	s_mov_b32 s24, 0x43f00000
                                        ; implicit-def: $vgpr4
	v_and_b32_e32 v5, 0x7fffffff, v2
	v_cmp_gt_u32_e32 vcc, s24, v5
	s_and_saveexec_b64 s[24:25], vcc
	s_xor_b64 s[24:25], exec, s[24:25]
	s_cbranch_execz .LBB38_947
; %bb.942:
	s_mov_b32 s26, 0x3c7fffff
	v_cmp_lt_u32_e32 vcc, s26, v5
                                        ; implicit-def: $vgpr4
	s_and_saveexec_b64 s[26:27], vcc
	s_xor_b64 s[26:27], exec, s[26:27]
; %bb.943:
	v_bfe_u32 v4, v2, 20, 1
	s_mov_b32 s28, 0x407ffff
	v_add3_u32 v4, v2, v4, s28
	v_lshrrev_b32_e32 v5, 20, v4
	v_and_b32_e32 v4, 0xff00000, v4
	s_mov_b32 s28, 0x7f00000
	v_mov_b32_e32 v6, 0x7e
	v_cmp_ne_u32_e32 vcc, s28, v4
	v_cndmask_b32_e32 v4, v6, v5, vcc
; %bb.944:
	s_andn2_saveexec_b64 s[26:27], s[26:27]
; %bb.945:
	s_mov_b32 s28, 0x46800000
	v_add_f32_e64 v4, |v2|, s28
; %bb.946:
	s_or_b64 exec, exec, s[26:27]
                                        ; implicit-def: $vgpr5
.LBB38_947:
	s_andn2_saveexec_b64 s[24:25], s[24:25]
; %bb.948:
	s_mov_b32 s26, 0x7f800000
	v_mov_b32_e32 v4, 0x7e
	v_mov_b32_e32 v6, 0x7f
	v_cmp_lt_u32_e32 vcc, s26, v5
	v_cndmask_b32_e32 v4, v4, v6, vcc
; %bb.949:
	s_or_b64 exec, exec, s[24:25]
	v_lshrrev_b32_e32 v2, 24, v2
	s_movk_i32 s24, 0x80
	v_and_or_b32 v2, v2, s24, v4
	global_store_byte v[0:1], v2, off
.LBB38_950:
	s_mov_b64 s[24:25], 0
.LBB38_951:
	s_andn2_b64 vcc, exec, s[24:25]
	s_cbranch_vccnz .LBB38_961
; %bb.952:
	v_bfe_i32 v2, v3, 0, 8
	v_cvt_f32_i32_sdwa v2, sext(v2) dst_sel:DWORD dst_unused:UNUSED_PAD src0_sel:WORD_0
	s_mov_b32 s24, 0x47800000
                                        ; implicit-def: $vgpr4
	v_and_b32_e32 v5, 0x7fffffff, v2
	v_cmp_gt_u32_e32 vcc, s24, v5
	s_and_saveexec_b64 s[24:25], vcc
	s_xor_b64 s[24:25], exec, s[24:25]
	s_cbranch_execz .LBB38_958
; %bb.953:
	s_mov_b32 s26, 0x387fffff
	v_cmp_lt_u32_e32 vcc, s26, v5
                                        ; implicit-def: $vgpr4
	s_and_saveexec_b64 s[26:27], vcc
	s_xor_b64 s[26:27], exec, s[26:27]
; %bb.954:
	v_bfe_u32 v4, v2, 21, 1
	s_mov_b32 s28, 0x80fffff
	v_add3_u32 v4, v2, v4, s28
	v_lshrrev_b32_e32 v4, 21, v4
; %bb.955:
	s_andn2_saveexec_b64 s[26:27], s[26:27]
; %bb.956:
	s_mov_b32 s28, 0x43000000
	v_add_f32_e64 v4, |v2|, s28
; %bb.957:
	s_or_b64 exec, exec, s[26:27]
                                        ; implicit-def: $vgpr5
.LBB38_958:
	s_andn2_saveexec_b64 s[24:25], s[24:25]
; %bb.959:
	s_mov_b32 s26, 0x7f800000
	v_mov_b32_e32 v4, 0x7c
	v_mov_b32_e32 v6, 0x7f
	v_cmp_lt_u32_e32 vcc, s26, v5
	v_cndmask_b32_e32 v4, v4, v6, vcc
; %bb.960:
	s_or_b64 exec, exec, s[24:25]
	v_lshrrev_b32_e32 v2, 24, v2
	s_movk_i32 s24, 0x80
	v_and_or_b32 v2, v2, s24, v4
	global_store_byte v[0:1], v2, off
.LBB38_961:
	s_mov_b64 s[24:25], 0
.LBB38_962:
	s_andn2_b64 vcc, exec, s[24:25]
	s_mov_b64 s[24:25], 0
	s_cbranch_vccnz .LBB38_970
; %bb.963:
	s_cmp_gt_i32 s14, 14
	s_mov_b64 s[26:27], -1
	s_cbranch_scc0 .LBB38_967
; %bb.964:
	s_cmp_eq_u32 s14, 15
	s_mov_b64 s[0:1], -1
	s_cbranch_scc0 .LBB38_966
; %bb.965:
	v_bfe_i32 v2, v3, 0, 8
	v_cvt_f32_i32_sdwa v2, sext(v2) dst_sel:DWORD dst_unused:UNUSED_PAD src0_sel:WORD_0
	s_movk_i32 s0, 0x7fff
	v_bfe_u32 v4, v2, 16, 1
	v_add3_u32 v2, v2, v4, s0
	global_store_short_d16_hi v[0:1], v2, off
	s_mov_b64 s[0:1], 0
.LBB38_966:
	s_mov_b64 s[26:27], 0
.LBB38_967:
	s_and_b64 vcc, exec, s[26:27]
	s_cbranch_vccz .LBB38_970
; %bb.968:
	s_cmp_lg_u32 s14, 11
	s_cselect_b64 s[26:27], -1, 0
	s_andn2_b64 s[0:1], s[0:1], exec
	s_and_b64 s[26:27], s[26:27], exec
	s_mov_b64 s[24:25], -1
	s_or_b64 s[0:1], s[0:1], s[26:27]
	s_branch .LBB38_970
.LBB38_969:
	s_mov_b64 s[24:25], 0
.LBB38_970:
	s_andn2_b64 s[16:17], s[16:17], exec
	s_and_b64 s[0:1], s[0:1], exec
	s_and_b64 s[22:23], s[22:23], exec
	s_and_b64 s[24:25], s[24:25], exec
	s_or_b64 s[16:17], s[16:17], s[0:1]
	s_or_b64 exec, exec, s[18:19]
	s_and_saveexec_b64 s[0:1], s[16:17]
	s_cbranch_execz .LBB38_899
.LBB38_971:
	s_or_b64 s[20:21], s[20:21], exec
	s_andn2_b64 s[24:25], s[24:25], exec
	s_trap 2
	s_or_b64 exec, exec, s[0:1]
	s_and_saveexec_b64 s[0:1], s[24:25]
	s_xor_b64 s[0:1], exec, s[0:1]
	s_cbranch_execnz .LBB38_900
.LBB38_972:
	s_or_b64 exec, exec, s[0:1]
	s_and_saveexec_b64 s[0:1], s[22:23]
	s_xor_b64 s[0:1], exec, s[0:1]
	s_cbranch_execz .LBB38_1010
.LBB38_973:
	s_sext_i32_i16 s14, s3
	s_cmp_lt_i32 s14, 5
	s_mov_b64 s[16:17], -1
	s_cbranch_scc1 .LBB38_994
; %bb.974:
	s_cmp_lt_i32 s14, 8
	s_cbranch_scc1 .LBB38_984
; %bb.975:
	s_cmp_lt_i32 s14, 9
	s_cbranch_scc1 .LBB38_981
; %bb.976:
	s_cmp_gt_i32 s14, 9
	s_cbranch_scc0 .LBB38_978
; %bb.977:
	s_waitcnt vmcnt(0)
	v_bfe_i32 v2, v3, 0, 8
	v_bfe_i32 v2, v2, 0, 16
	v_cvt_f64_i32_e32 v[4:5], v2
	v_mov_b32_e32 v6, 0
	v_mov_b32_e32 v7, v6
	s_mov_b64 s[16:17], 0
	global_store_dwordx4 v[0:1], v[4:7], off
.LBB38_978:
	s_andn2_b64 vcc, exec, s[16:17]
	s_cbranch_vccnz .LBB38_980
; %bb.979:
	s_waitcnt vmcnt(0)
	v_bfe_i32 v2, v3, 0, 8
	v_cvt_f32_i32_sdwa v4, sext(v2) dst_sel:DWORD dst_unused:UNUSED_PAD src0_sel:WORD_0
	v_mov_b32_e32 v5, 0
	global_store_dwordx2 v[0:1], v[4:5], off
.LBB38_980:
	s_mov_b64 s[16:17], 0
.LBB38_981:
	s_andn2_b64 vcc, exec, s[16:17]
	s_cbranch_vccnz .LBB38_983
; %bb.982:
	s_waitcnt vmcnt(0)
	v_cvt_f16_i16_sdwa v2, sext(v3) dst_sel:DWORD dst_unused:UNUSED_PAD src0_sel:BYTE_0
	global_store_dword v[0:1], v2, off
.LBB38_983:
	s_mov_b64 s[16:17], 0
.LBB38_984:
	s_andn2_b64 vcc, exec, s[16:17]
	s_cbranch_vccnz .LBB38_993
; %bb.985:
	s_sext_i32_i16 s14, s3
	s_cmp_lt_i32 s14, 6
	s_mov_b64 s[16:17], -1
	s_cbranch_scc1 .LBB38_991
; %bb.986:
	s_cmp_gt_i32 s14, 6
	s_cbranch_scc0 .LBB38_988
; %bb.987:
	s_waitcnt vmcnt(0)
	v_bfe_i32 v2, v3, 0, 8
	v_bfe_i32 v2, v2, 0, 16
	v_cvt_f64_i32_e32 v[4:5], v2
	s_mov_b64 s[16:17], 0
	global_store_dwordx2 v[0:1], v[4:5], off
.LBB38_988:
	s_andn2_b64 vcc, exec, s[16:17]
	s_cbranch_vccnz .LBB38_990
; %bb.989:
	s_waitcnt vmcnt(0)
	v_bfe_i32 v2, v3, 0, 8
	v_cvt_f32_i32_sdwa v2, sext(v2) dst_sel:DWORD dst_unused:UNUSED_PAD src0_sel:WORD_0
	global_store_dword v[0:1], v2, off
.LBB38_990:
	s_mov_b64 s[16:17], 0
.LBB38_991:
	s_andn2_b64 vcc, exec, s[16:17]
	s_cbranch_vccnz .LBB38_993
; %bb.992:
	s_waitcnt vmcnt(0)
	v_cvt_f16_i16_sdwa v2, sext(v3) dst_sel:DWORD dst_unused:UNUSED_PAD src0_sel:BYTE_0
	global_store_short v[0:1], v2, off
.LBB38_993:
	s_mov_b64 s[16:17], 0
.LBB38_994:
	s_andn2_b64 vcc, exec, s[16:17]
	s_cbranch_vccnz .LBB38_1010
; %bb.995:
	s_sext_i32_i16 s14, s3
	s_cmp_lt_i32 s14, 2
	s_mov_b64 s[16:17], -1
	s_cbranch_scc1 .LBB38_1005
; %bb.996:
	s_cmp_lt_i32 s14, 3
	s_cbranch_scc1 .LBB38_1002
; %bb.997:
	s_cmp_gt_i32 s14, 3
	s_cbranch_scc0 .LBB38_999
; %bb.998:
	s_waitcnt vmcnt(0)
	v_bfe_i32 v4, v3, 0, 8
	v_ashrrev_i32_e32 v5, 31, v4
	s_mov_b64 s[16:17], 0
	global_store_dwordx2 v[0:1], v[4:5], off
.LBB38_999:
	s_andn2_b64 vcc, exec, s[16:17]
	s_cbranch_vccnz .LBB38_1001
; %bb.1000:
	s_waitcnt vmcnt(0)
	v_bfe_i32 v2, v3, 0, 8
	global_store_dword v[0:1], v2, off
.LBB38_1001:
	s_mov_b64 s[16:17], 0
.LBB38_1002:
	s_andn2_b64 vcc, exec, s[16:17]
	s_cbranch_vccnz .LBB38_1004
; %bb.1003:
	s_waitcnt vmcnt(0)
	v_bfe_i32 v2, v3, 0, 8
	global_store_short v[0:1], v2, off
.LBB38_1004:
	s_mov_b64 s[16:17], 0
.LBB38_1005:
	s_andn2_b64 vcc, exec, s[16:17]
	s_cbranch_vccnz .LBB38_1010
; %bb.1006:
	s_sext_i32_i16 s3, s3
	s_cmp_gt_i32 s3, 0
	s_mov_b64 s[16:17], -1
	s_cbranch_scc0 .LBB38_1008
; %bb.1007:
	s_mov_b64 s[16:17], 0
	s_waitcnt vmcnt(0)
	global_store_byte v[0:1], v3, off
.LBB38_1008:
	s_andn2_b64 vcc, exec, s[16:17]
	s_cbranch_vccnz .LBB38_1010
; %bb.1009:
	s_waitcnt vmcnt(0)
	global_store_byte v[0:1], v3, off
.LBB38_1010:
	s_or_b64 exec, exec, s[0:1]
	s_and_b64 s[16:17], s[20:21], exec
                                        ; implicit-def: $vgpr9
.LBB38_1011:
	s_or_saveexec_b64 s[6:7], s[6:7]
	s_mov_b64 s[0:1], 0
                                        ; implicit-def: $sgpr20
                                        ; implicit-def: $vgpr0_vgpr1
                                        ; implicit-def: $vgpr2
	s_xor_b64 exec, exec, s[6:7]
	s_cbranch_execz .LBB38_1942
; %bb.1012:
	s_waitcnt vmcnt(0)
	v_mul_lo_u32 v2, s13, v9
	v_mov_b32_e32 v1, s11
	s_and_b32 s3, s15, 0xff
	s_cmp_lt_i32 s3, 11
	v_ashrrev_i32_e32 v3, 31, v2
	v_add_co_u32_e32 v0, vcc, s10, v2
	v_addc_co_u32_e32 v1, vcc, v1, v3, vcc
	s_cbranch_scc1 .LBB38_1019
; %bb.1013:
	s_and_b32 s20, 0xffff, s3
	s_cmp_gt_i32 s20, 25
	s_cbranch_scc0 .LBB38_1021
; %bb.1014:
	s_cmp_gt_i32 s20, 28
	s_cbranch_scc0 .LBB38_1022
; %bb.1015:
	;; [unrolled: 3-line block ×4, first 2 shown]
	s_cmp_eq_u32 s20, 46
	s_mov_b64 s[14:15], 0
	s_cbranch_scc0 .LBB38_1027
; %bb.1018:
	global_load_dword v3, v[0:1], off
	s_mov_b64 s[18:19], -1
	s_waitcnt vmcnt(0)
	v_lshlrev_b32_e32 v3, 16, v3
	v_cvt_i32_f32_e32 v6, v3
	s_branch .LBB38_1028
.LBB38_1019:
	s_mov_b64 s[18:19], 0
                                        ; implicit-def: $vgpr6
	s_mov_b64 s[14:15], s[16:17]
	s_cbranch_execnz .LBB38_1086
.LBB38_1020:
	s_andn2_b64 vcc, exec, s[18:19]
	s_cbranch_vccz .LBB38_1131
	s_branch .LBB38_1940
.LBB38_1021:
	s_mov_b64 s[18:19], 0
                                        ; implicit-def: $vgpr6
	s_cbranch_execnz .LBB38_1053
	s_branch .LBB38_1082
.LBB38_1022:
	s_mov_b64 s[18:19], 0
                                        ; implicit-def: $vgpr6
	s_cbranch_execz .LBB38_1052
	s_branch .LBB38_1037
.LBB38_1023:
	s_mov_b64 s[18:19], 0
                                        ; implicit-def: $vgpr6
	s_cbranch_execnz .LBB38_1033
	s_branch .LBB38_1036
.LBB38_1024:
	s_mov_b64 s[14:15], -1
	s_mov_b64 s[18:19], 0
                                        ; implicit-def: $vgpr6
	s_branch .LBB38_1028
.LBB38_1025:
	s_andn2_saveexec_b64 s[26:27], s[26:27]
	s_cbranch_execz .LBB38_924
.LBB38_1026:
	s_mov_b32 s28, 0x46000000
	v_add_f32_e64 v4, |v2|, s28
	v_and_b32_e32 v4, 0xff, v4
	v_cmp_ne_u32_e32 vcc, 0, v4
	s_andn2_b64 s[24:25], s[24:25], exec
	s_and_b64 s[28:29], vcc, exec
	s_or_b64 s[24:25], s[24:25], s[28:29]
	s_or_b64 exec, exec, s[26:27]
	v_mov_b32_e32 v5, 0
	s_and_saveexec_b64 s[26:27], s[24:25]
	s_cbranch_execnz .LBB38_925
	s_branch .LBB38_926
.LBB38_1027:
	s_mov_b64 s[0:1], -1
                                        ; implicit-def: $vgpr6
	s_mov_b64 s[18:19], 0
.LBB38_1028:
	s_and_b64 vcc, exec, s[14:15]
	s_cbranch_vccz .LBB38_1031
; %bb.1029:
	s_cmp_eq_u32 s20, 44
	s_cbranch_scc0 .LBB38_1032
; %bb.1030:
	global_load_ubyte v3, v[0:1], off
	s_mov_b64 s[0:1], 0
	s_mov_b64 s[18:19], -1
	s_waitcnt vmcnt(0)
	v_lshlrev_b32_e32 v4, 23, v3
	v_cvt_i32_f32_e32 v4, v4
	v_cmp_ne_u32_e32 vcc, 0, v3
	v_cndmask_b32_e32 v6, 0, v4, vcc
.LBB38_1031:
	s_branch .LBB38_1036
.LBB38_1032:
	s_mov_b64 s[0:1], -1
                                        ; implicit-def: $vgpr6
	s_branch .LBB38_1036
.LBB38_1033:
	s_cmp_eq_u32 s20, 29
	s_cbranch_scc0 .LBB38_1035
; %bb.1034:
	global_load_dwordx2 v[6:7], v[0:1], off
	s_mov_b64 s[0:1], 0
	s_mov_b64 s[18:19], -1
	s_branch .LBB38_1036
.LBB38_1035:
	s_mov_b64 s[0:1], -1
                                        ; implicit-def: $vgpr6
.LBB38_1036:
	s_branch .LBB38_1052
.LBB38_1037:
	s_cmp_lt_i32 s20, 27
	s_cbranch_scc1 .LBB38_1040
; %bb.1038:
	s_cmp_gt_i32 s20, 27
	s_cbranch_scc0 .LBB38_1041
; %bb.1039:
	global_load_dword v6, v[0:1], off
	s_mov_b64 s[14:15], 0
	s_branch .LBB38_1042
.LBB38_1040:
	s_mov_b64 s[14:15], -1
                                        ; implicit-def: $vgpr6
	s_branch .LBB38_1045
.LBB38_1041:
	s_mov_b64 s[14:15], -1
                                        ; implicit-def: $vgpr6
.LBB38_1042:
	s_andn2_b64 vcc, exec, s[14:15]
	s_cbranch_vccnz .LBB38_1044
; %bb.1043:
	global_load_ushort v6, v[0:1], off
.LBB38_1044:
	s_mov_b64 s[14:15], 0
.LBB38_1045:
	s_andn2_b64 vcc, exec, s[14:15]
	s_cbranch_vccnz .LBB38_1051
; %bb.1046:
	global_load_ubyte v3, v[0:1], off
	s_movk_i32 s14, 0x7f
	s_mov_b64 s[18:19], 0
	s_waitcnt vmcnt(0)
	v_cmp_lt_i16_e32 vcc, s14, v3
	s_and_saveexec_b64 s[14:15], vcc
	s_xor_b64 s[14:15], exec, s[14:15]
	s_cbranch_execz .LBB38_1062
; %bb.1047:
	s_movk_i32 s18, 0x80
	v_cmp_ne_u16_e32 vcc, s18, v3
	s_and_b64 s[18:19], vcc, exec
	s_andn2_saveexec_b64 s[14:15], s[14:15]
	s_cbranch_execnz .LBB38_1063
.LBB38_1048:
	s_or_b64 exec, exec, s[14:15]
	v_mov_b32_e32 v6, 0
	s_and_saveexec_b64 s[14:15], s[18:19]
	s_cbranch_execz .LBB38_1050
.LBB38_1049:
	v_lshlrev_b32_e32 v4, 24, v3
	v_and_b32_e32 v3, 0xffff, v3
	v_and_b32_e32 v5, 7, v3
	v_ffbh_u32_e32 v7, v5
	v_min_u32_e32 v7, 32, v7
	v_subrev_u32_e32 v8, 28, v7
	v_bfe_u32 v6, v3, 3, 4
	v_lshlrev_b32_e32 v3, v8, v3
	v_sub_u32_e32 v7, 29, v7
	v_and_b32_e32 v3, 7, v3
	v_cmp_eq_u32_e32 vcc, 0, v6
	v_cndmask_b32_e32 v6, v6, v7, vcc
	v_cndmask_b32_e32 v3, v5, v3, vcc
	v_mov_b32_e32 v5, 0x3b800000
	v_lshlrev_b32_e32 v3, 20, v3
	v_and_b32_e32 v4, 0x80000000, v4
	v_lshl_add_u32 v5, v6, 23, v5
	v_or3_b32 v3, v4, v5, v3
	v_cvt_i32_f32_e32 v6, v3
.LBB38_1050:
	s_or_b64 exec, exec, s[14:15]
.LBB38_1051:
	s_mov_b64 s[18:19], -1
.LBB38_1052:
	s_branch .LBB38_1082
.LBB38_1053:
	s_cmp_gt_i32 s20, 22
	s_cbranch_scc0 .LBB38_1061
; %bb.1054:
	s_cmp_lt_i32 s20, 24
	s_cbranch_scc1 .LBB38_1064
; %bb.1055:
	s_cmp_gt_i32 s20, 24
	s_cbranch_scc0 .LBB38_1065
; %bb.1056:
	global_load_ubyte v3, v[0:1], off
	s_movk_i32 s4, 0x7f
	s_mov_b64 s[14:15], 0
	s_waitcnt vmcnt(0)
	v_cmp_lt_i16_e32 vcc, s4, v3
	s_and_saveexec_b64 s[4:5], vcc
	s_xor_b64 s[4:5], exec, s[4:5]
	s_cbranch_execz .LBB38_1076
; %bb.1057:
	s_movk_i32 s14, 0x80
	v_cmp_ne_u16_e32 vcc, s14, v3
	s_and_b64 s[14:15], vcc, exec
	s_andn2_saveexec_b64 s[4:5], s[4:5]
	s_cbranch_execnz .LBB38_1077
.LBB38_1058:
	s_or_b64 exec, exec, s[4:5]
	v_mov_b32_e32 v6, 0
	s_and_saveexec_b64 s[4:5], s[14:15]
	s_cbranch_execz .LBB38_1060
.LBB38_1059:
	v_lshlrev_b32_e32 v4, 24, v3
	v_and_b32_e32 v3, 0xffff, v3
	v_and_b32_e32 v5, 3, v3
	v_ffbh_u32_e32 v7, v5
	v_min_u32_e32 v7, 32, v7
	v_subrev_u32_e32 v8, 29, v7
	v_bfe_u32 v6, v3, 2, 5
	v_lshlrev_b32_e32 v3, v8, v3
	v_sub_u32_e32 v7, 30, v7
	v_and_b32_e32 v3, 3, v3
	v_cmp_eq_u32_e32 vcc, 0, v6
	v_cndmask_b32_e32 v6, v6, v7, vcc
	v_cndmask_b32_e32 v3, v5, v3, vcc
	v_mov_b32_e32 v5, 0x37800000
	v_lshlrev_b32_e32 v3, 21, v3
	v_and_b32_e32 v4, 0x80000000, v4
	v_lshl_add_u32 v5, v6, 23, v5
	v_or3_b32 v3, v4, v5, v3
	v_cvt_i32_f32_e32 v6, v3
.LBB38_1060:
	s_or_b64 exec, exec, s[4:5]
	s_mov_b64 s[4:5], 0
	s_branch .LBB38_1066
.LBB38_1061:
                                        ; implicit-def: $vgpr6
	s_mov_b64 s[4:5], 0
	s_branch .LBB38_1072
.LBB38_1062:
	s_andn2_saveexec_b64 s[14:15], s[14:15]
	s_cbranch_execz .LBB38_1048
.LBB38_1063:
	v_cmp_ne_u16_e32 vcc, 0, v3
	s_andn2_b64 s[18:19], s[18:19], exec
	s_and_b64 s[22:23], vcc, exec
	s_or_b64 s[18:19], s[18:19], s[22:23]
	s_or_b64 exec, exec, s[14:15]
	v_mov_b32_e32 v6, 0
	s_and_saveexec_b64 s[14:15], s[18:19]
	s_cbranch_execnz .LBB38_1049
	s_branch .LBB38_1050
.LBB38_1064:
	s_mov_b64 s[4:5], -1
                                        ; implicit-def: $vgpr6
	s_branch .LBB38_1069
.LBB38_1065:
	s_mov_b64 s[4:5], -1
                                        ; implicit-def: $vgpr6
.LBB38_1066:
	s_and_b64 vcc, exec, s[4:5]
	s_cbranch_vccz .LBB38_1068
; %bb.1067:
	global_load_ubyte v3, v[0:1], off
	s_mov_b32 s4, 0x7f800000
	s_waitcnt vmcnt(0)
	v_lshlrev_b32_e32 v3, 24, v3
	v_and_b32_e32 v4, 0x7f000000, v3
	v_ffbh_u32_e32 v5, v4
	v_min_u32_e32 v5, 32, v5
	v_sub_u32_e64 v5, v5, 4 clamp
	v_lshlrev_b32_e32 v7, v5, v4
	v_lshlrev_b32_e32 v5, 23, v5
	v_lshrrev_b32_e32 v7, 4, v7
	v_add_u32_e32 v6, 0x1000000, v4
	v_sub_u32_e32 v5, v7, v5
	v_ashrrev_i32_e32 v6, 8, v6
	v_add_u32_e32 v5, 0x3c000000, v5
	v_and_or_b32 v5, v6, s4, v5
	v_cmp_ne_u32_e32 vcc, 0, v4
	v_cndmask_b32_e32 v4, 0, v5, vcc
	s_brev_b32 s4, 1
	v_and_or_b32 v3, v3, s4, v4
	v_cvt_i32_f32_e32 v6, v3
.LBB38_1068:
	s_mov_b64 s[4:5], 0
.LBB38_1069:
	s_andn2_b64 vcc, exec, s[4:5]
	s_cbranch_vccnz .LBB38_1071
; %bb.1070:
	global_load_ubyte v3, v[0:1], off
	s_movk_i32 s4, 0x7f00
	s_brev_b32 s5, 16
	s_waitcnt vmcnt(0)
	v_lshlrev_b16_e32 v4, 8, v3
	v_lshlrev_b32_e32 v3, 25, v3
	v_lshrrev_b32_e32 v5, 4, v3
	v_and_or_b32 v6, v4, s4, 0.5
	v_or_b32_e32 v5, 0x70000000, v5
	v_add_f32_e32 v6, -0.5, v6
	v_mul_f32_e32 v5, 0x7800000, v5
	v_cmp_gt_u32_e32 vcc, s5, v3
	v_bfe_i32 v4, v4, 0, 16
	v_cndmask_b32_e32 v3, v5, v6, vcc
	s_brev_b32 s4, 1
	v_and_or_b32 v3, v4, s4, v3
	v_cvt_i32_f32_e32 v6, v3
.LBB38_1071:
	s_mov_b64 s[18:19], -1
	s_mov_b64 s[4:5], 0
	s_cbranch_execnz .LBB38_1082
.LBB38_1072:
	s_cmp_gt_i32 s20, 14
	s_cbranch_scc0 .LBB38_1075
; %bb.1073:
	s_cmp_eq_u32 s20, 15
	s_cbranch_scc0 .LBB38_1078
; %bb.1074:
	global_load_ushort v3, v[0:1], off
	s_mov_b64 s[0:1], 0
	s_mov_b64 s[18:19], -1
	s_waitcnt vmcnt(0)
	v_lshlrev_b32_e32 v3, 16, v3
	v_cvt_i32_f32_e32 v6, v3
	s_branch .LBB38_1079
.LBB38_1075:
	s_mov_b64 s[14:15], -1
                                        ; implicit-def: $vgpr6
	s_branch .LBB38_1080
.LBB38_1076:
	s_andn2_saveexec_b64 s[4:5], s[4:5]
	s_cbranch_execz .LBB38_1058
.LBB38_1077:
	v_cmp_ne_u16_e32 vcc, 0, v3
	s_andn2_b64 s[14:15], s[14:15], exec
	s_and_b64 s[18:19], vcc, exec
	s_or_b64 s[14:15], s[14:15], s[18:19]
	s_or_b64 exec, exec, s[4:5]
	v_mov_b32_e32 v6, 0
	s_and_saveexec_b64 s[4:5], s[14:15]
	s_cbranch_execnz .LBB38_1059
	s_branch .LBB38_1060
.LBB38_1078:
	s_mov_b64 s[0:1], -1
                                        ; implicit-def: $vgpr6
.LBB38_1079:
	s_mov_b64 s[14:15], 0
.LBB38_1080:
	s_and_b64 vcc, exec, s[14:15]
	s_cbranch_vccz .LBB38_1082
; %bb.1081:
	s_cmp_lg_u32 s20, 11
	s_mov_b64 s[4:5], -1
	s_cselect_b64 s[0:1], -1, 0
.LBB38_1082:
	s_and_b64 vcc, exec, s[0:1]
	s_mov_b64 s[14:15], s[16:17]
	s_cbranch_vccnz .LBB38_1143
; %bb.1083:
	s_andn2_b64 vcc, exec, s[4:5]
	s_cbranch_vccnz .LBB38_1085
.LBB38_1084:
	global_load_ubyte v3, v[0:1], off
	s_mov_b64 s[18:19], -1
	s_waitcnt vmcnt(0)
	v_cmp_ne_u16_e32 vcc, 0, v3
	v_cndmask_b32_e64 v6, 0, 1, vcc
.LBB38_1085:
	s_branch .LBB38_1020
.LBB38_1086:
	s_and_b32 s4, 0xffff, s3
	s_cmp_lt_i32 s4, 5
	s_cbranch_scc1 .LBB38_1091
; %bb.1087:
	s_cmp_lt_i32 s4, 8
	s_cbranch_scc1 .LBB38_1092
; %bb.1088:
	;; [unrolled: 3-line block ×3, first 2 shown]
	s_cmp_gt_i32 s4, 9
	s_cbranch_scc0 .LBB38_1094
; %bb.1090:
	global_load_dwordx2 v[3:4], v[0:1], off
	s_mov_b64 s[0:1], 0
	s_waitcnt vmcnt(0)
	v_cvt_i32_f64_e32 v6, v[3:4]
	s_branch .LBB38_1095
.LBB38_1091:
                                        ; implicit-def: $vgpr6
	s_branch .LBB38_1112
.LBB38_1092:
                                        ; implicit-def: $vgpr6
	s_branch .LBB38_1101
.LBB38_1093:
	s_mov_b64 s[0:1], -1
                                        ; implicit-def: $vgpr6
	s_branch .LBB38_1098
.LBB38_1094:
	s_mov_b64 s[0:1], -1
                                        ; implicit-def: $vgpr6
.LBB38_1095:
	s_andn2_b64 vcc, exec, s[0:1]
	s_cbranch_vccnz .LBB38_1097
; %bb.1096:
	global_load_dword v3, v[0:1], off
	s_waitcnt vmcnt(0)
	v_cvt_i32_f32_e32 v6, v3
.LBB38_1097:
	s_mov_b64 s[0:1], 0
.LBB38_1098:
	s_andn2_b64 vcc, exec, s[0:1]
	s_cbranch_vccnz .LBB38_1100
; %bb.1099:
	global_load_dword v3, v[0:1], off
	s_waitcnt vmcnt(0)
	v_cvt_i16_f16_e32 v6, v3
.LBB38_1100:
	s_cbranch_execnz .LBB38_1111
.LBB38_1101:
	s_cmp_lt_i32 s4, 6
	s_cbranch_scc1 .LBB38_1104
; %bb.1102:
	s_cmp_gt_i32 s4, 6
	s_cbranch_scc0 .LBB38_1105
; %bb.1103:
	global_load_dwordx2 v[3:4], v[0:1], off
	s_mov_b64 s[0:1], 0
	s_waitcnt vmcnt(0)
	v_cvt_i32_f64_e32 v6, v[3:4]
	s_branch .LBB38_1106
.LBB38_1104:
	s_mov_b64 s[0:1], -1
                                        ; implicit-def: $vgpr6
	s_branch .LBB38_1109
.LBB38_1105:
	s_mov_b64 s[0:1], -1
                                        ; implicit-def: $vgpr6
.LBB38_1106:
	s_andn2_b64 vcc, exec, s[0:1]
	s_cbranch_vccnz .LBB38_1108
; %bb.1107:
	global_load_dword v3, v[0:1], off
	s_waitcnt vmcnt(0)
	v_cvt_i32_f32_e32 v6, v3
.LBB38_1108:
	s_mov_b64 s[0:1], 0
.LBB38_1109:
	s_andn2_b64 vcc, exec, s[0:1]
	s_cbranch_vccnz .LBB38_1111
; %bb.1110:
	global_load_ushort v3, v[0:1], off
	s_waitcnt vmcnt(0)
	v_cvt_i16_f16_e32 v6, v3
.LBB38_1111:
	s_cbranch_execnz .LBB38_1130
.LBB38_1112:
	s_cmp_lt_i32 s4, 2
	s_cbranch_scc1 .LBB38_1116
; %bb.1113:
	s_cmp_lt_i32 s4, 3
	s_cbranch_scc1 .LBB38_1117
; %bb.1114:
	s_cmp_gt_i32 s4, 3
	s_cbranch_scc0 .LBB38_1118
; %bb.1115:
	global_load_dwordx2 v[6:7], v[0:1], off
	s_mov_b64 s[0:1], 0
	s_branch .LBB38_1119
.LBB38_1116:
                                        ; implicit-def: $vgpr6
	s_branch .LBB38_1125
.LBB38_1117:
	s_mov_b64 s[0:1], -1
                                        ; implicit-def: $vgpr6
	s_branch .LBB38_1122
.LBB38_1118:
	s_mov_b64 s[0:1], -1
                                        ; implicit-def: $vgpr6
.LBB38_1119:
	s_andn2_b64 vcc, exec, s[0:1]
	s_cbranch_vccnz .LBB38_1121
; %bb.1120:
	global_load_dword v6, v[0:1], off
.LBB38_1121:
	s_mov_b64 s[0:1], 0
.LBB38_1122:
	s_andn2_b64 vcc, exec, s[0:1]
	s_cbranch_vccnz .LBB38_1124
; %bb.1123:
	global_load_ushort v6, v[0:1], off
.LBB38_1124:
	s_cbranch_execnz .LBB38_1130
.LBB38_1125:
	s_cmp_gt_i32 s4, 0
	s_cbranch_scc0 .LBB38_1127
; %bb.1126:
	global_load_ubyte v6, v[0:1], off
	s_mov_b64 s[0:1], 0
	s_branch .LBB38_1128
.LBB38_1127:
	s_mov_b64 s[0:1], -1
                                        ; implicit-def: $vgpr6
.LBB38_1128:
	s_andn2_b64 vcc, exec, s[0:1]
	s_cbranch_vccnz .LBB38_1130
; %bb.1129:
	global_load_ubyte v6, v[0:1], off
.LBB38_1130:
.LBB38_1131:
	s_lshl_b32 s13, s13, 7
	v_add_u32_e32 v2, s13, v2
	v_ashrrev_i32_e32 v1, 31, v2
	v_mov_b32_e32 v3, s11
	v_add_co_u32_e32 v0, vcc, s10, v2
	s_cmp_lt_i32 s3, 11
	v_addc_co_u32_e32 v1, vcc, v3, v1, vcc
	s_cbranch_scc1 .LBB38_1138
; %bb.1132:
	s_and_b32 s22, 0xffff, s3
	s_cmp_gt_i32 s22, 25
	s_mov_b64 s[4:5], 0
	s_cbranch_scc0 .LBB38_1140
; %bb.1133:
	s_cmp_gt_i32 s22, 28
	s_cbranch_scc0 .LBB38_1141
; %bb.1134:
	s_cmp_gt_i32 s22, 43
	;; [unrolled: 3-line block ×3, first 2 shown]
	s_cbranch_scc0 .LBB38_1144
; %bb.1136:
	s_cmp_eq_u32 s22, 46
	s_mov_b64 s[20:21], 0
	s_cbranch_scc0 .LBB38_1147
; %bb.1137:
	global_load_dword v3, v[0:1], off
	s_mov_b64 s[0:1], 0
	s_mov_b64 s[18:19], -1
	s_waitcnt vmcnt(0)
	v_lshlrev_b32_e32 v3, 16, v3
	v_cvt_i32_f32_e32 v4, v3
	s_branch .LBB38_1148
.LBB38_1138:
	s_mov_b64 s[18:19], 0
                                        ; implicit-def: $vgpr4
	s_cbranch_execnz .LBB38_1209
.LBB38_1139:
	s_andn2_b64 vcc, exec, s[18:19]
	s_cbranch_vccnz .LBB38_1940
	s_branch .LBB38_1256
.LBB38_1140:
	s_mov_b64 s[18:19], 0
	s_mov_b64 s[0:1], 0
                                        ; implicit-def: $vgpr4
	s_cbranch_execnz .LBB38_1175
	s_branch .LBB38_1205
.LBB38_1141:
	s_mov_b64 s[20:21], -1
	s_mov_b64 s[18:19], 0
	s_mov_b64 s[0:1], 0
                                        ; implicit-def: $vgpr4
	s_branch .LBB38_1158
.LBB38_1142:
	s_mov_b64 s[20:21], -1
	s_mov_b64 s[18:19], 0
	s_mov_b64 s[0:1], 0
                                        ; implicit-def: $vgpr4
	s_branch .LBB38_1153
.LBB38_1143:
	s_or_b64 s[14:15], s[16:17], exec
	s_trap 2
	s_cbranch_execz .LBB38_1084
	s_branch .LBB38_1085
.LBB38_1144:
	s_mov_b64 s[20:21], -1
	s_mov_b64 s[18:19], 0
	s_mov_b64 s[0:1], 0
                                        ; implicit-def: $vgpr4
	s_branch .LBB38_1148
.LBB38_1145:
	s_andn2_saveexec_b64 s[28:29], s[28:29]
	s_cbranch_execz .LBB38_936
.LBB38_1146:
	s_mov_b32 s30, 0x42800000
	v_add_f32_e64 v4, |v2|, s30
	v_and_b32_e32 v4, 0xff, v4
	v_cmp_ne_u32_e32 vcc, 0, v4
	s_andn2_b64 s[26:27], s[26:27], exec
	s_and_b64 s[30:31], vcc, exec
	s_or_b64 s[26:27], s[26:27], s[30:31]
	s_or_b64 exec, exec, s[28:29]
	v_mov_b32_e32 v5, 0
	s_and_saveexec_b64 s[28:29], s[26:27]
	s_cbranch_execnz .LBB38_937
	s_branch .LBB38_938
.LBB38_1147:
	s_mov_b64 s[0:1], -1
                                        ; implicit-def: $vgpr4
	s_mov_b64 s[18:19], 0
.LBB38_1148:
	s_and_b64 vcc, exec, s[20:21]
	s_cbranch_vccz .LBB38_1152
; %bb.1149:
	s_cmp_eq_u32 s22, 44
	s_cbranch_scc0 .LBB38_1151
; %bb.1150:
	global_load_ubyte v3, v[0:1], off
	s_mov_b64 s[0:1], 0
	s_mov_b64 s[18:19], -1
	s_waitcnt vmcnt(0)
	v_lshlrev_b32_e32 v4, 23, v3
	v_cvt_i32_f32_e32 v4, v4
	v_cmp_ne_u32_e32 vcc, 0, v3
	v_cndmask_b32_e32 v4, 0, v4, vcc
	s_branch .LBB38_1152
.LBB38_1151:
	s_mov_b64 s[0:1], -1
                                        ; implicit-def: $vgpr4
.LBB38_1152:
	s_mov_b64 s[20:21], 0
.LBB38_1153:
	s_and_b64 vcc, exec, s[20:21]
	s_cbranch_vccz .LBB38_1157
; %bb.1154:
	s_cmp_eq_u32 s22, 29
	s_cbranch_scc0 .LBB38_1156
; %bb.1155:
	global_load_dwordx2 v[4:5], v[0:1], off
	s_mov_b64 s[0:1], 0
	s_mov_b64 s[18:19], -1
	s_branch .LBB38_1157
.LBB38_1156:
	s_mov_b64 s[0:1], -1
                                        ; implicit-def: $vgpr4
.LBB38_1157:
	s_mov_b64 s[20:21], 0
.LBB38_1158:
	s_and_b64 vcc, exec, s[20:21]
	s_cbranch_vccz .LBB38_1174
; %bb.1159:
	s_cmp_lt_i32 s22, 27
	s_cbranch_scc1 .LBB38_1162
; %bb.1160:
	s_cmp_gt_i32 s22, 27
	s_cbranch_scc0 .LBB38_1163
; %bb.1161:
	global_load_dword v4, v[0:1], off
	s_mov_b64 s[18:19], 0
	s_branch .LBB38_1164
.LBB38_1162:
	s_mov_b64 s[18:19], -1
                                        ; implicit-def: $vgpr4
	s_branch .LBB38_1167
.LBB38_1163:
	s_mov_b64 s[18:19], -1
                                        ; implicit-def: $vgpr4
.LBB38_1164:
	s_andn2_b64 vcc, exec, s[18:19]
	s_cbranch_vccnz .LBB38_1166
; %bb.1165:
	global_load_ushort v4, v[0:1], off
.LBB38_1166:
	s_mov_b64 s[18:19], 0
.LBB38_1167:
	s_andn2_b64 vcc, exec, s[18:19]
	s_cbranch_vccnz .LBB38_1173
; %bb.1168:
	global_load_ubyte v3, v[0:1], off
	s_movk_i32 s18, 0x7f
	s_mov_b64 s[20:21], 0
	s_waitcnt vmcnt(0)
	v_cmp_lt_i16_e32 vcc, s18, v3
	s_and_saveexec_b64 s[18:19], vcc
	s_xor_b64 s[18:19], exec, s[18:19]
	s_cbranch_execz .LBB38_1184
; %bb.1169:
	s_movk_i32 s20, 0x80
	v_cmp_ne_u16_e32 vcc, s20, v3
	s_and_b64 s[20:21], vcc, exec
	s_andn2_saveexec_b64 s[18:19], s[18:19]
	s_cbranch_execnz .LBB38_1185
.LBB38_1170:
	s_or_b64 exec, exec, s[18:19]
	v_mov_b32_e32 v4, 0
	s_and_saveexec_b64 s[18:19], s[20:21]
	s_cbranch_execz .LBB38_1172
.LBB38_1171:
	v_lshlrev_b32_e32 v4, 24, v3
	v_and_b32_e32 v3, 0xffff, v3
	v_and_b32_e32 v5, 7, v3
	v_ffbh_u32_e32 v8, v5
	v_min_u32_e32 v8, 32, v8
	v_subrev_u32_e32 v10, 28, v8
	v_bfe_u32 v7, v3, 3, 4
	v_lshlrev_b32_e32 v3, v10, v3
	v_sub_u32_e32 v8, 29, v8
	v_and_b32_e32 v3, 7, v3
	v_cmp_eq_u32_e32 vcc, 0, v7
	v_cndmask_b32_e32 v7, v7, v8, vcc
	v_cndmask_b32_e32 v3, v5, v3, vcc
	v_mov_b32_e32 v5, 0x3b800000
	v_lshlrev_b32_e32 v3, 20, v3
	v_and_b32_e32 v4, 0x80000000, v4
	v_lshl_add_u32 v5, v7, 23, v5
	v_or3_b32 v3, v4, v5, v3
	v_cvt_i32_f32_e32 v4, v3
.LBB38_1172:
	s_or_b64 exec, exec, s[18:19]
.LBB38_1173:
	s_mov_b64 s[18:19], -1
.LBB38_1174:
	s_branch .LBB38_1205
.LBB38_1175:
	s_cmp_gt_i32 s22, 22
	s_cbranch_scc0 .LBB38_1183
; %bb.1176:
	s_cmp_lt_i32 s22, 24
	s_cbranch_scc1 .LBB38_1186
; %bb.1177:
	s_cmp_gt_i32 s22, 24
	s_cbranch_scc0 .LBB38_1187
; %bb.1178:
	global_load_ubyte v3, v[0:1], off
	s_movk_i32 s4, 0x7f
	s_mov_b64 s[18:19], 0
	s_waitcnt vmcnt(0)
	v_cmp_lt_i16_e32 vcc, s4, v3
	s_and_saveexec_b64 s[4:5], vcc
	s_xor_b64 s[4:5], exec, s[4:5]
	s_cbranch_execz .LBB38_1199
; %bb.1179:
	s_movk_i32 s18, 0x80
	v_cmp_ne_u16_e32 vcc, s18, v3
	s_and_b64 s[18:19], vcc, exec
	s_andn2_saveexec_b64 s[4:5], s[4:5]
	s_cbranch_execnz .LBB38_1200
.LBB38_1180:
	s_or_b64 exec, exec, s[4:5]
	v_mov_b32_e32 v4, 0
	s_and_saveexec_b64 s[4:5], s[18:19]
	s_cbranch_execz .LBB38_1182
.LBB38_1181:
	v_lshlrev_b32_e32 v4, 24, v3
	v_and_b32_e32 v3, 0xffff, v3
	v_and_b32_e32 v5, 3, v3
	v_ffbh_u32_e32 v8, v5
	v_min_u32_e32 v8, 32, v8
	v_subrev_u32_e32 v10, 29, v8
	v_bfe_u32 v7, v3, 2, 5
	v_lshlrev_b32_e32 v3, v10, v3
	v_sub_u32_e32 v8, 30, v8
	v_and_b32_e32 v3, 3, v3
	v_cmp_eq_u32_e32 vcc, 0, v7
	v_cndmask_b32_e32 v7, v7, v8, vcc
	v_cndmask_b32_e32 v3, v5, v3, vcc
	v_mov_b32_e32 v5, 0x37800000
	v_lshlrev_b32_e32 v3, 21, v3
	v_and_b32_e32 v4, 0x80000000, v4
	v_lshl_add_u32 v5, v7, 23, v5
	v_or3_b32 v3, v4, v5, v3
	v_cvt_i32_f32_e32 v4, v3
.LBB38_1182:
	s_or_b64 exec, exec, s[4:5]
	s_mov_b64 s[4:5], 0
	s_branch .LBB38_1188
.LBB38_1183:
	s_mov_b64 s[4:5], -1
                                        ; implicit-def: $vgpr4
	s_branch .LBB38_1194
.LBB38_1184:
	s_andn2_saveexec_b64 s[18:19], s[18:19]
	s_cbranch_execz .LBB38_1170
.LBB38_1185:
	v_cmp_ne_u16_e32 vcc, 0, v3
	s_andn2_b64 s[20:21], s[20:21], exec
	s_and_b64 s[24:25], vcc, exec
	s_or_b64 s[20:21], s[20:21], s[24:25]
	s_or_b64 exec, exec, s[18:19]
	v_mov_b32_e32 v4, 0
	s_and_saveexec_b64 s[18:19], s[20:21]
	s_cbranch_execnz .LBB38_1171
	s_branch .LBB38_1172
.LBB38_1186:
	s_mov_b64 s[4:5], -1
                                        ; implicit-def: $vgpr4
	s_branch .LBB38_1191
.LBB38_1187:
	s_mov_b64 s[4:5], -1
                                        ; implicit-def: $vgpr4
.LBB38_1188:
	s_and_b64 vcc, exec, s[4:5]
	s_cbranch_vccz .LBB38_1190
; %bb.1189:
	global_load_ubyte v3, v[0:1], off
	s_mov_b32 s4, 0x7f800000
	s_waitcnt vmcnt(0)
	v_lshlrev_b32_e32 v3, 24, v3
	v_and_b32_e32 v4, 0x7f000000, v3
	v_ffbh_u32_e32 v5, v4
	v_min_u32_e32 v5, 32, v5
	v_sub_u32_e64 v5, v5, 4 clamp
	v_lshlrev_b32_e32 v8, v5, v4
	v_lshlrev_b32_e32 v5, 23, v5
	v_lshrrev_b32_e32 v8, 4, v8
	v_add_u32_e32 v7, 0x1000000, v4
	v_sub_u32_e32 v5, v8, v5
	v_ashrrev_i32_e32 v7, 8, v7
	v_add_u32_e32 v5, 0x3c000000, v5
	v_and_or_b32 v5, v7, s4, v5
	v_cmp_ne_u32_e32 vcc, 0, v4
	v_cndmask_b32_e32 v4, 0, v5, vcc
	s_brev_b32 s4, 1
	v_and_or_b32 v3, v3, s4, v4
	v_cvt_i32_f32_e32 v4, v3
.LBB38_1190:
	s_mov_b64 s[4:5], 0
.LBB38_1191:
	s_andn2_b64 vcc, exec, s[4:5]
	s_cbranch_vccnz .LBB38_1193
; %bb.1192:
	global_load_ubyte v3, v[0:1], off
	s_movk_i32 s4, 0x7f00
	s_brev_b32 s5, 16
	s_waitcnt vmcnt(0)
	v_lshlrev_b16_e32 v4, 8, v3
	v_lshlrev_b32_e32 v3, 25, v3
	v_lshrrev_b32_e32 v5, 4, v3
	v_and_or_b32 v7, v4, s4, 0.5
	v_or_b32_e32 v5, 0x70000000, v5
	v_add_f32_e32 v7, -0.5, v7
	v_mul_f32_e32 v5, 0x7800000, v5
	v_cmp_gt_u32_e32 vcc, s5, v3
	v_bfe_i32 v4, v4, 0, 16
	v_cndmask_b32_e32 v3, v5, v7, vcc
	s_brev_b32 s4, 1
	v_and_or_b32 v3, v4, s4, v3
	v_cvt_i32_f32_e32 v4, v3
.LBB38_1193:
	s_mov_b64 s[4:5], 0
	s_mov_b64 s[18:19], -1
.LBB38_1194:
	s_andn2_b64 vcc, exec, s[4:5]
	s_mov_b64 s[4:5], 0
	s_cbranch_vccnz .LBB38_1205
; %bb.1195:
	s_cmp_gt_i32 s22, 14
	s_cbranch_scc0 .LBB38_1198
; %bb.1196:
	s_cmp_eq_u32 s22, 15
	s_cbranch_scc0 .LBB38_1201
; %bb.1197:
	global_load_ushort v3, v[0:1], off
	s_mov_b64 s[0:1], 0
	s_mov_b64 s[18:19], -1
	s_waitcnt vmcnt(0)
	v_lshlrev_b32_e32 v3, 16, v3
	v_cvt_i32_f32_e32 v4, v3
	s_branch .LBB38_1202
.LBB38_1198:
	s_mov_b64 s[20:21], -1
                                        ; implicit-def: $vgpr4
	s_branch .LBB38_1203
.LBB38_1199:
	s_andn2_saveexec_b64 s[4:5], s[4:5]
	s_cbranch_execz .LBB38_1180
.LBB38_1200:
	v_cmp_ne_u16_e32 vcc, 0, v3
	s_andn2_b64 s[18:19], s[18:19], exec
	s_and_b64 s[20:21], vcc, exec
	s_or_b64 s[18:19], s[18:19], s[20:21]
	s_or_b64 exec, exec, s[4:5]
	v_mov_b32_e32 v4, 0
	s_and_saveexec_b64 s[4:5], s[18:19]
	s_cbranch_execnz .LBB38_1181
	s_branch .LBB38_1182
.LBB38_1201:
	s_mov_b64 s[0:1], -1
                                        ; implicit-def: $vgpr4
.LBB38_1202:
	s_mov_b64 s[20:21], 0
.LBB38_1203:
	s_and_b64 vcc, exec, s[20:21]
	s_cbranch_vccz .LBB38_1205
; %bb.1204:
	s_cmp_lg_u32 s22, 11
	s_mov_b64 s[4:5], -1
	s_cselect_b64 s[0:1], -1, 0
.LBB38_1205:
	s_and_b64 vcc, exec, s[0:1]
	s_cbranch_vccnz .LBB38_1268
; %bb.1206:
	s_andn2_b64 vcc, exec, s[4:5]
	s_cbranch_vccnz .LBB38_1208
.LBB38_1207:
	global_load_ubyte v3, v[0:1], off
	s_mov_b64 s[18:19], -1
	s_waitcnt vmcnt(0)
	v_cmp_ne_u16_e32 vcc, 0, v3
	v_cndmask_b32_e64 v4, 0, 1, vcc
.LBB38_1208:
	s_branch .LBB38_1139
.LBB38_1209:
	s_and_b32 s4, 0xffff, s3
	s_cmp_lt_i32 s4, 5
	s_cbranch_scc1 .LBB38_1214
; %bb.1210:
	s_cmp_lt_i32 s4, 8
	s_cbranch_scc1 .LBB38_1215
; %bb.1211:
	;; [unrolled: 3-line block ×3, first 2 shown]
	s_cmp_gt_i32 s4, 9
	s_cbranch_scc0 .LBB38_1217
; %bb.1213:
	global_load_dwordx2 v[3:4], v[0:1], off
	s_mov_b64 s[0:1], 0
	s_waitcnt vmcnt(0)
	v_cvt_i32_f64_e32 v4, v[3:4]
	s_branch .LBB38_1218
.LBB38_1214:
                                        ; implicit-def: $vgpr4
	s_branch .LBB38_1236
.LBB38_1215:
	s_mov_b64 s[0:1], -1
                                        ; implicit-def: $vgpr4
	s_branch .LBB38_1224
.LBB38_1216:
	s_mov_b64 s[0:1], -1
                                        ; implicit-def: $vgpr4
	s_branch .LBB38_1221
.LBB38_1217:
	s_mov_b64 s[0:1], -1
                                        ; implicit-def: $vgpr4
.LBB38_1218:
	s_andn2_b64 vcc, exec, s[0:1]
	s_cbranch_vccnz .LBB38_1220
; %bb.1219:
	global_load_dword v3, v[0:1], off
	s_waitcnt vmcnt(0)
	v_cvt_i32_f32_e32 v4, v3
.LBB38_1220:
	s_mov_b64 s[0:1], 0
.LBB38_1221:
	s_andn2_b64 vcc, exec, s[0:1]
	s_cbranch_vccnz .LBB38_1223
; %bb.1222:
	global_load_dword v3, v[0:1], off
	s_waitcnt vmcnt(0)
	v_cvt_i16_f16_e32 v4, v3
.LBB38_1223:
	s_mov_b64 s[0:1], 0
.LBB38_1224:
	s_andn2_b64 vcc, exec, s[0:1]
	s_cbranch_vccnz .LBB38_1235
; %bb.1225:
	s_cmp_lt_i32 s4, 6
	s_cbranch_scc1 .LBB38_1228
; %bb.1226:
	s_cmp_gt_i32 s4, 6
	s_cbranch_scc0 .LBB38_1229
; %bb.1227:
	global_load_dwordx2 v[3:4], v[0:1], off
	s_mov_b64 s[0:1], 0
	s_waitcnt vmcnt(0)
	v_cvt_i32_f64_e32 v4, v[3:4]
	s_branch .LBB38_1230
.LBB38_1228:
	s_mov_b64 s[0:1], -1
                                        ; implicit-def: $vgpr4
	s_branch .LBB38_1233
.LBB38_1229:
	s_mov_b64 s[0:1], -1
                                        ; implicit-def: $vgpr4
.LBB38_1230:
	s_andn2_b64 vcc, exec, s[0:1]
	s_cbranch_vccnz .LBB38_1232
; %bb.1231:
	global_load_dword v3, v[0:1], off
	s_waitcnt vmcnt(0)
	v_cvt_i32_f32_e32 v4, v3
.LBB38_1232:
	s_mov_b64 s[0:1], 0
.LBB38_1233:
	s_andn2_b64 vcc, exec, s[0:1]
	s_cbranch_vccnz .LBB38_1235
; %bb.1234:
	global_load_ushort v3, v[0:1], off
	s_waitcnt vmcnt(0)
	v_cvt_i16_f16_e32 v4, v3
.LBB38_1235:
	s_cbranch_execnz .LBB38_1255
.LBB38_1236:
	s_cmp_lt_i32 s4, 2
	s_cbranch_scc1 .LBB38_1240
; %bb.1237:
	s_cmp_lt_i32 s4, 3
	s_cbranch_scc1 .LBB38_1241
; %bb.1238:
	s_cmp_gt_i32 s4, 3
	s_cbranch_scc0 .LBB38_1242
; %bb.1239:
	global_load_dwordx2 v[4:5], v[0:1], off
	s_mov_b64 s[0:1], 0
	s_branch .LBB38_1243
.LBB38_1240:
	s_mov_b64 s[0:1], -1
                                        ; implicit-def: $vgpr4
	s_branch .LBB38_1249
.LBB38_1241:
	s_mov_b64 s[0:1], -1
                                        ; implicit-def: $vgpr4
	s_branch .LBB38_1246
.LBB38_1242:
	s_mov_b64 s[0:1], -1
                                        ; implicit-def: $vgpr4
.LBB38_1243:
	s_andn2_b64 vcc, exec, s[0:1]
	s_cbranch_vccnz .LBB38_1245
; %bb.1244:
	global_load_dword v4, v[0:1], off
.LBB38_1245:
	s_mov_b64 s[0:1], 0
.LBB38_1246:
	s_andn2_b64 vcc, exec, s[0:1]
	s_cbranch_vccnz .LBB38_1248
; %bb.1247:
	global_load_ushort v4, v[0:1], off
.LBB38_1248:
	s_mov_b64 s[0:1], 0
.LBB38_1249:
	s_andn2_b64 vcc, exec, s[0:1]
	s_cbranch_vccnz .LBB38_1255
; %bb.1250:
	s_cmp_gt_i32 s4, 0
	s_cbranch_scc0 .LBB38_1252
; %bb.1251:
	global_load_ubyte v4, v[0:1], off
	s_mov_b64 s[0:1], 0
	s_branch .LBB38_1253
.LBB38_1252:
	s_mov_b64 s[0:1], -1
                                        ; implicit-def: $vgpr4
.LBB38_1253:
	s_andn2_b64 vcc, exec, s[0:1]
	s_cbranch_vccnz .LBB38_1255
; %bb.1254:
	global_load_ubyte v4, v[0:1], off
.LBB38_1255:
.LBB38_1256:
	s_waitcnt vmcnt(0)
	v_add_u32_e32 v5, s13, v2
	v_ashrrev_i32_e32 v1, 31, v5
	v_mov_b32_e32 v2, s11
	v_add_co_u32_e32 v0, vcc, s10, v5
	s_cmp_lt_i32 s3, 11
	v_addc_co_u32_e32 v1, vcc, v2, v1, vcc
	s_cbranch_scc1 .LBB38_1263
; %bb.1257:
	s_and_b32 s22, 0xffff, s3
	s_cmp_gt_i32 s22, 25
	s_mov_b64 s[4:5], 0
	s_cbranch_scc0 .LBB38_1265
; %bb.1258:
	s_cmp_gt_i32 s22, 28
	s_cbranch_scc0 .LBB38_1266
; %bb.1259:
	s_cmp_gt_i32 s22, 43
	;; [unrolled: 3-line block ×3, first 2 shown]
	s_cbranch_scc0 .LBB38_1269
; %bb.1261:
	s_cmp_eq_u32 s22, 46
	s_mov_b64 s[20:21], 0
	s_cbranch_scc0 .LBB38_1270
; %bb.1262:
	global_load_dword v2, v[0:1], off
	s_mov_b64 s[0:1], 0
	s_mov_b64 s[18:19], -1
	s_waitcnt vmcnt(0)
	v_lshlrev_b32_e32 v2, 16, v2
	v_cvt_i32_f32_e32 v2, v2
	s_branch .LBB38_1271
.LBB38_1263:
	s_mov_b64 s[18:19], 0
                                        ; implicit-def: $vgpr2
	s_cbranch_execnz .LBB38_1333
.LBB38_1264:
	s_andn2_b64 vcc, exec, s[18:19]
	s_cbranch_vccnz .LBB38_1940
	s_branch .LBB38_1381
.LBB38_1265:
	s_mov_b64 s[20:21], -1
	s_mov_b64 s[18:19], 0
	s_mov_b64 s[0:1], 0
                                        ; implicit-def: $vgpr2
	s_branch .LBB38_1298
.LBB38_1266:
	s_mov_b64 s[20:21], -1
	s_mov_b64 s[18:19], 0
	s_mov_b64 s[0:1], 0
                                        ; implicit-def: $vgpr2
	s_branch .LBB38_1281
.LBB38_1267:
	s_mov_b64 s[20:21], -1
	s_mov_b64 s[18:19], 0
	s_mov_b64 s[0:1], 0
                                        ; implicit-def: $vgpr2
	s_branch .LBB38_1276
.LBB38_1268:
	s_trap 2
	s_or_b64 s[14:15], s[14:15], exec
	s_cbranch_execz .LBB38_1207
	s_branch .LBB38_1208
.LBB38_1269:
	s_mov_b64 s[20:21], -1
	s_mov_b64 s[18:19], 0
	s_mov_b64 s[0:1], 0
                                        ; implicit-def: $vgpr2
	s_branch .LBB38_1271
.LBB38_1270:
	s_mov_b64 s[0:1], -1
                                        ; implicit-def: $vgpr2
	s_mov_b64 s[18:19], 0
.LBB38_1271:
	s_and_b64 vcc, exec, s[20:21]
	s_cbranch_vccz .LBB38_1275
; %bb.1272:
	s_cmp_eq_u32 s22, 44
	s_cbranch_scc0 .LBB38_1274
; %bb.1273:
	global_load_ubyte v2, v[0:1], off
	s_mov_b64 s[0:1], 0
	s_mov_b64 s[18:19], -1
	s_waitcnt vmcnt(0)
	v_lshlrev_b32_e32 v3, 23, v2
	v_cvt_i32_f32_e32 v3, v3
	v_cmp_ne_u32_e32 vcc, 0, v2
	v_cndmask_b32_e32 v2, 0, v3, vcc
	s_branch .LBB38_1275
.LBB38_1274:
	s_mov_b64 s[0:1], -1
                                        ; implicit-def: $vgpr2
.LBB38_1275:
	s_mov_b64 s[20:21], 0
.LBB38_1276:
	s_and_b64 vcc, exec, s[20:21]
	s_cbranch_vccz .LBB38_1280
; %bb.1277:
	s_cmp_eq_u32 s22, 29
	s_cbranch_scc0 .LBB38_1279
; %bb.1278:
	global_load_dwordx2 v[2:3], v[0:1], off
	s_mov_b64 s[0:1], 0
	s_mov_b64 s[18:19], -1
	s_branch .LBB38_1280
.LBB38_1279:
	s_mov_b64 s[0:1], -1
                                        ; implicit-def: $vgpr2
.LBB38_1280:
	s_mov_b64 s[20:21], 0
.LBB38_1281:
	s_and_b64 vcc, exec, s[20:21]
	s_cbranch_vccz .LBB38_1297
; %bb.1282:
	s_cmp_lt_i32 s22, 27
	s_cbranch_scc1 .LBB38_1285
; %bb.1283:
	s_cmp_gt_i32 s22, 27
	s_cbranch_scc0 .LBB38_1286
; %bb.1284:
	global_load_dword v2, v[0:1], off
	s_mov_b64 s[18:19], 0
	s_branch .LBB38_1287
.LBB38_1285:
	s_mov_b64 s[18:19], -1
                                        ; implicit-def: $vgpr2
	s_branch .LBB38_1290
.LBB38_1286:
	s_mov_b64 s[18:19], -1
                                        ; implicit-def: $vgpr2
.LBB38_1287:
	s_andn2_b64 vcc, exec, s[18:19]
	s_cbranch_vccnz .LBB38_1289
; %bb.1288:
	global_load_ushort v2, v[0:1], off
.LBB38_1289:
	s_mov_b64 s[18:19], 0
.LBB38_1290:
	s_andn2_b64 vcc, exec, s[18:19]
	s_cbranch_vccnz .LBB38_1296
; %bb.1291:
	global_load_ubyte v3, v[0:1], off
	s_movk_i32 s18, 0x7f
	s_mov_b64 s[20:21], 0
	s_waitcnt vmcnt(0)
	v_cmp_lt_i16_e32 vcc, s18, v3
	s_and_saveexec_b64 s[18:19], vcc
	s_xor_b64 s[18:19], exec, s[18:19]
	s_cbranch_execz .LBB38_1308
; %bb.1292:
	s_movk_i32 s20, 0x80
	v_cmp_ne_u16_e32 vcc, s20, v3
	s_and_b64 s[20:21], vcc, exec
	s_andn2_saveexec_b64 s[18:19], s[18:19]
	s_cbranch_execnz .LBB38_1309
.LBB38_1293:
	s_or_b64 exec, exec, s[18:19]
	v_mov_b32_e32 v2, 0
	s_and_saveexec_b64 s[18:19], s[20:21]
	s_cbranch_execz .LBB38_1295
.LBB38_1294:
	v_lshlrev_b32_e32 v2, 24, v3
	v_and_b32_e32 v3, 0xffff, v3
	v_and_b32_e32 v7, 7, v3
	v_ffbh_u32_e32 v10, v7
	v_min_u32_e32 v10, 32, v10
	v_subrev_u32_e32 v11, 28, v10
	v_bfe_u32 v8, v3, 3, 4
	v_lshlrev_b32_e32 v3, v11, v3
	v_sub_u32_e32 v10, 29, v10
	v_and_b32_e32 v3, 7, v3
	v_cmp_eq_u32_e32 vcc, 0, v8
	v_cndmask_b32_e32 v8, v8, v10, vcc
	v_cndmask_b32_e32 v3, v7, v3, vcc
	v_mov_b32_e32 v7, 0x3b800000
	v_lshlrev_b32_e32 v3, 20, v3
	v_and_b32_e32 v2, 0x80000000, v2
	v_lshl_add_u32 v7, v8, 23, v7
	v_or3_b32 v2, v2, v7, v3
	v_cvt_i32_f32_e32 v2, v2
.LBB38_1295:
	s_or_b64 exec, exec, s[18:19]
.LBB38_1296:
	s_mov_b64 s[18:19], -1
.LBB38_1297:
	s_mov_b64 s[20:21], 0
.LBB38_1298:
	s_and_b64 vcc, exec, s[20:21]
	s_cbranch_vccz .LBB38_1329
; %bb.1299:
	s_cmp_gt_i32 s22, 22
	s_cbranch_scc0 .LBB38_1307
; %bb.1300:
	s_cmp_lt_i32 s22, 24
	s_cbranch_scc1 .LBB38_1310
; %bb.1301:
	s_cmp_gt_i32 s22, 24
	s_cbranch_scc0 .LBB38_1311
; %bb.1302:
	global_load_ubyte v3, v[0:1], off
	s_movk_i32 s4, 0x7f
	s_mov_b64 s[18:19], 0
	s_waitcnt vmcnt(0)
	v_cmp_lt_i16_e32 vcc, s4, v3
	s_and_saveexec_b64 s[4:5], vcc
	s_xor_b64 s[4:5], exec, s[4:5]
	s_cbranch_execz .LBB38_1323
; %bb.1303:
	s_movk_i32 s18, 0x80
	v_cmp_ne_u16_e32 vcc, s18, v3
	s_and_b64 s[18:19], vcc, exec
	s_andn2_saveexec_b64 s[4:5], s[4:5]
	s_cbranch_execnz .LBB38_1324
.LBB38_1304:
	s_or_b64 exec, exec, s[4:5]
	v_mov_b32_e32 v2, 0
	s_and_saveexec_b64 s[4:5], s[18:19]
	s_cbranch_execz .LBB38_1306
.LBB38_1305:
	v_lshlrev_b32_e32 v2, 24, v3
	v_and_b32_e32 v3, 0xffff, v3
	v_and_b32_e32 v7, 3, v3
	v_ffbh_u32_e32 v10, v7
	v_min_u32_e32 v10, 32, v10
	v_subrev_u32_e32 v11, 29, v10
	v_bfe_u32 v8, v3, 2, 5
	v_lshlrev_b32_e32 v3, v11, v3
	v_sub_u32_e32 v10, 30, v10
	v_and_b32_e32 v3, 3, v3
	v_cmp_eq_u32_e32 vcc, 0, v8
	v_cndmask_b32_e32 v8, v8, v10, vcc
	v_cndmask_b32_e32 v3, v7, v3, vcc
	v_mov_b32_e32 v7, 0x37800000
	v_lshlrev_b32_e32 v3, 21, v3
	v_and_b32_e32 v2, 0x80000000, v2
	v_lshl_add_u32 v7, v8, 23, v7
	v_or3_b32 v2, v2, v7, v3
	v_cvt_i32_f32_e32 v2, v2
.LBB38_1306:
	s_or_b64 exec, exec, s[4:5]
	s_mov_b64 s[4:5], 0
	s_branch .LBB38_1312
.LBB38_1307:
	s_mov_b64 s[4:5], -1
                                        ; implicit-def: $vgpr2
	s_branch .LBB38_1318
.LBB38_1308:
	s_andn2_saveexec_b64 s[18:19], s[18:19]
	s_cbranch_execz .LBB38_1293
.LBB38_1309:
	v_cmp_ne_u16_e32 vcc, 0, v3
	s_andn2_b64 s[20:21], s[20:21], exec
	s_and_b64 s[24:25], vcc, exec
	s_or_b64 s[20:21], s[20:21], s[24:25]
	s_or_b64 exec, exec, s[18:19]
	v_mov_b32_e32 v2, 0
	s_and_saveexec_b64 s[18:19], s[20:21]
	s_cbranch_execnz .LBB38_1294
	s_branch .LBB38_1295
.LBB38_1310:
	s_mov_b64 s[4:5], -1
                                        ; implicit-def: $vgpr2
	s_branch .LBB38_1315
.LBB38_1311:
	s_mov_b64 s[4:5], -1
                                        ; implicit-def: $vgpr2
.LBB38_1312:
	s_and_b64 vcc, exec, s[4:5]
	s_cbranch_vccz .LBB38_1314
; %bb.1313:
	global_load_ubyte v2, v[0:1], off
	s_mov_b32 s4, 0x7f800000
	s_waitcnt vmcnt(0)
	v_lshlrev_b32_e32 v2, 24, v2
	v_and_b32_e32 v3, 0x7f000000, v2
	v_ffbh_u32_e32 v7, v3
	v_min_u32_e32 v7, 32, v7
	v_sub_u32_e64 v7, v7, 4 clamp
	v_lshlrev_b32_e32 v10, v7, v3
	v_lshlrev_b32_e32 v7, 23, v7
	v_lshrrev_b32_e32 v10, 4, v10
	v_add_u32_e32 v8, 0x1000000, v3
	v_sub_u32_e32 v7, v10, v7
	v_ashrrev_i32_e32 v8, 8, v8
	v_add_u32_e32 v7, 0x3c000000, v7
	v_and_or_b32 v7, v8, s4, v7
	v_cmp_ne_u32_e32 vcc, 0, v3
	v_cndmask_b32_e32 v3, 0, v7, vcc
	s_brev_b32 s4, 1
	v_and_or_b32 v2, v2, s4, v3
	v_cvt_i32_f32_e32 v2, v2
.LBB38_1314:
	s_mov_b64 s[4:5], 0
.LBB38_1315:
	s_andn2_b64 vcc, exec, s[4:5]
	s_cbranch_vccnz .LBB38_1317
; %bb.1316:
	global_load_ubyte v2, v[0:1], off
	s_movk_i32 s4, 0x7f00
	s_brev_b32 s5, 16
	s_waitcnt vmcnt(0)
	v_lshlrev_b16_e32 v3, 8, v2
	v_lshlrev_b32_e32 v2, 25, v2
	v_lshrrev_b32_e32 v7, 4, v2
	v_and_or_b32 v8, v3, s4, 0.5
	v_or_b32_e32 v7, 0x70000000, v7
	v_add_f32_e32 v8, -0.5, v8
	v_mul_f32_e32 v7, 0x7800000, v7
	v_cmp_gt_u32_e32 vcc, s5, v2
	v_bfe_i32 v3, v3, 0, 16
	v_cndmask_b32_e32 v2, v7, v8, vcc
	s_brev_b32 s4, 1
	v_and_or_b32 v2, v3, s4, v2
	v_cvt_i32_f32_e32 v2, v2
.LBB38_1317:
	s_mov_b64 s[4:5], 0
	s_mov_b64 s[18:19], -1
.LBB38_1318:
	s_andn2_b64 vcc, exec, s[4:5]
	s_mov_b64 s[4:5], 0
	s_cbranch_vccnz .LBB38_1329
; %bb.1319:
	s_cmp_gt_i32 s22, 14
	s_cbranch_scc0 .LBB38_1322
; %bb.1320:
	s_cmp_eq_u32 s22, 15
	s_cbranch_scc0 .LBB38_1325
; %bb.1321:
	global_load_ushort v2, v[0:1], off
	s_mov_b64 s[0:1], 0
	s_mov_b64 s[18:19], -1
	s_waitcnt vmcnt(0)
	v_lshlrev_b32_e32 v2, 16, v2
	v_cvt_i32_f32_e32 v2, v2
	s_branch .LBB38_1326
.LBB38_1322:
	s_mov_b64 s[20:21], -1
                                        ; implicit-def: $vgpr2
	s_branch .LBB38_1327
.LBB38_1323:
	s_andn2_saveexec_b64 s[4:5], s[4:5]
	s_cbranch_execz .LBB38_1304
.LBB38_1324:
	v_cmp_ne_u16_e32 vcc, 0, v3
	s_andn2_b64 s[18:19], s[18:19], exec
	s_and_b64 s[20:21], vcc, exec
	s_or_b64 s[18:19], s[18:19], s[20:21]
	s_or_b64 exec, exec, s[4:5]
	v_mov_b32_e32 v2, 0
	s_and_saveexec_b64 s[4:5], s[18:19]
	s_cbranch_execnz .LBB38_1305
	s_branch .LBB38_1306
.LBB38_1325:
	s_mov_b64 s[0:1], -1
                                        ; implicit-def: $vgpr2
.LBB38_1326:
	s_mov_b64 s[20:21], 0
.LBB38_1327:
	s_and_b64 vcc, exec, s[20:21]
	s_cbranch_vccz .LBB38_1329
; %bb.1328:
	s_cmp_lg_u32 s22, 11
	s_mov_b64 s[4:5], -1
	s_cselect_b64 s[0:1], -1, 0
.LBB38_1329:
	s_and_b64 vcc, exec, s[0:1]
	s_cbranch_vccnz .LBB38_1392
; %bb.1330:
	s_andn2_b64 vcc, exec, s[4:5]
	s_cbranch_vccnz .LBB38_1332
.LBB38_1331:
	global_load_ubyte v2, v[0:1], off
	s_mov_b64 s[18:19], -1
	s_waitcnt vmcnt(0)
	v_cmp_ne_u16_e32 vcc, 0, v2
	v_cndmask_b32_e64 v2, 0, 1, vcc
.LBB38_1332:
	s_branch .LBB38_1264
.LBB38_1333:
	s_and_b32 s4, 0xffff, s3
	s_cmp_lt_i32 s4, 5
	s_cbranch_scc1 .LBB38_1338
; %bb.1334:
	s_cmp_lt_i32 s4, 8
	s_cbranch_scc1 .LBB38_1339
; %bb.1335:
	;; [unrolled: 3-line block ×3, first 2 shown]
	s_cmp_gt_i32 s4, 9
	s_cbranch_scc0 .LBB38_1341
; %bb.1337:
	global_load_dwordx2 v[2:3], v[0:1], off
	s_mov_b64 s[0:1], 0
	s_waitcnt vmcnt(0)
	v_cvt_i32_f64_e32 v2, v[2:3]
	s_branch .LBB38_1342
.LBB38_1338:
	s_mov_b64 s[0:1], -1
                                        ; implicit-def: $vgpr2
	s_branch .LBB38_1360
.LBB38_1339:
	s_mov_b64 s[0:1], -1
                                        ; implicit-def: $vgpr2
	s_branch .LBB38_1348
.LBB38_1340:
	s_mov_b64 s[0:1], -1
                                        ; implicit-def: $vgpr2
	s_branch .LBB38_1345
.LBB38_1341:
	s_mov_b64 s[0:1], -1
                                        ; implicit-def: $vgpr2
.LBB38_1342:
	s_andn2_b64 vcc, exec, s[0:1]
	s_cbranch_vccnz .LBB38_1344
; %bb.1343:
	global_load_dword v2, v[0:1], off
	s_waitcnt vmcnt(0)
	v_cvt_i32_f32_e32 v2, v2
.LBB38_1344:
	s_mov_b64 s[0:1], 0
.LBB38_1345:
	s_andn2_b64 vcc, exec, s[0:1]
	s_cbranch_vccnz .LBB38_1347
; %bb.1346:
	global_load_dword v2, v[0:1], off
	s_waitcnt vmcnt(0)
	v_cvt_i16_f16_e32 v2, v2
.LBB38_1347:
	s_mov_b64 s[0:1], 0
.LBB38_1348:
	s_andn2_b64 vcc, exec, s[0:1]
	s_cbranch_vccnz .LBB38_1359
; %bb.1349:
	s_cmp_lt_i32 s4, 6
	s_cbranch_scc1 .LBB38_1352
; %bb.1350:
	s_cmp_gt_i32 s4, 6
	s_cbranch_scc0 .LBB38_1353
; %bb.1351:
	global_load_dwordx2 v[2:3], v[0:1], off
	s_mov_b64 s[0:1], 0
	s_waitcnt vmcnt(0)
	v_cvt_i32_f64_e32 v2, v[2:3]
	s_branch .LBB38_1354
.LBB38_1352:
	s_mov_b64 s[0:1], -1
                                        ; implicit-def: $vgpr2
	s_branch .LBB38_1357
.LBB38_1353:
	s_mov_b64 s[0:1], -1
                                        ; implicit-def: $vgpr2
.LBB38_1354:
	s_andn2_b64 vcc, exec, s[0:1]
	s_cbranch_vccnz .LBB38_1356
; %bb.1355:
	global_load_dword v2, v[0:1], off
	s_waitcnt vmcnt(0)
	v_cvt_i32_f32_e32 v2, v2
.LBB38_1356:
	s_mov_b64 s[0:1], 0
.LBB38_1357:
	s_andn2_b64 vcc, exec, s[0:1]
	s_cbranch_vccnz .LBB38_1359
; %bb.1358:
	global_load_ushort v2, v[0:1], off
	s_waitcnt vmcnt(0)
	v_cvt_i16_f16_e32 v2, v2
.LBB38_1359:
	s_mov_b64 s[0:1], 0
.LBB38_1360:
	s_andn2_b64 vcc, exec, s[0:1]
	s_cbranch_vccnz .LBB38_1380
; %bb.1361:
	s_cmp_lt_i32 s4, 2
	s_cbranch_scc1 .LBB38_1365
; %bb.1362:
	s_cmp_lt_i32 s4, 3
	s_cbranch_scc1 .LBB38_1366
; %bb.1363:
	s_cmp_gt_i32 s4, 3
	s_cbranch_scc0 .LBB38_1367
; %bb.1364:
	global_load_dwordx2 v[2:3], v[0:1], off
	s_mov_b64 s[0:1], 0
	s_branch .LBB38_1368
.LBB38_1365:
	s_mov_b64 s[0:1], -1
                                        ; implicit-def: $vgpr2
	s_branch .LBB38_1374
.LBB38_1366:
	s_mov_b64 s[0:1], -1
                                        ; implicit-def: $vgpr2
	s_branch .LBB38_1371
.LBB38_1367:
	s_mov_b64 s[0:1], -1
                                        ; implicit-def: $vgpr2
.LBB38_1368:
	s_andn2_b64 vcc, exec, s[0:1]
	s_cbranch_vccnz .LBB38_1370
; %bb.1369:
	global_load_dword v2, v[0:1], off
.LBB38_1370:
	s_mov_b64 s[0:1], 0
.LBB38_1371:
	s_andn2_b64 vcc, exec, s[0:1]
	s_cbranch_vccnz .LBB38_1373
; %bb.1372:
	global_load_ushort v2, v[0:1], off
.LBB38_1373:
	s_mov_b64 s[0:1], 0
.LBB38_1374:
	s_andn2_b64 vcc, exec, s[0:1]
	s_cbranch_vccnz .LBB38_1380
; %bb.1375:
	s_cmp_gt_i32 s4, 0
	s_cbranch_scc0 .LBB38_1377
; %bb.1376:
	global_load_ubyte v2, v[0:1], off
	s_mov_b64 s[0:1], 0
	s_branch .LBB38_1378
.LBB38_1377:
	s_mov_b64 s[0:1], -1
                                        ; implicit-def: $vgpr2
.LBB38_1378:
	s_andn2_b64 vcc, exec, s[0:1]
	s_cbranch_vccnz .LBB38_1380
; %bb.1379:
	global_load_ubyte v2, v[0:1], off
.LBB38_1380:
.LBB38_1381:
	v_add_u32_e32 v0, s13, v5
	v_ashrrev_i32_e32 v1, 31, v0
	s_waitcnt vmcnt(0)
	v_mov_b32_e32 v3, s11
	v_add_co_u32_e32 v7, vcc, s10, v0
	s_cmp_lt_i32 s3, 11
	v_addc_co_u32_e32 v8, vcc, v3, v1, vcc
	s_cbranch_scc1 .LBB38_1388
; %bb.1382:
	s_and_b32 s13, 0xffff, s3
	s_cmp_gt_i32 s13, 25
	s_mov_b64 s[4:5], 0
	s_cbranch_scc0 .LBB38_1389
; %bb.1383:
	s_cmp_gt_i32 s13, 28
	s_cbranch_scc0 .LBB38_1390
; %bb.1384:
	s_cmp_gt_i32 s13, 43
	;; [unrolled: 3-line block ×3, first 2 shown]
	s_cbranch_scc0 .LBB38_1393
; %bb.1386:
	s_cmp_eq_u32 s13, 46
	s_mov_b64 s[18:19], 0
	s_cbranch_scc0 .LBB38_1394
; %bb.1387:
	global_load_dword v0, v[7:8], off
	s_mov_b64 s[0:1], 0
	s_mov_b64 s[10:11], -1
	s_waitcnt vmcnt(0)
	v_lshlrev_b32_e32 v0, 16, v0
	v_cvt_i32_f32_e32 v0, v0
	s_branch .LBB38_1395
.LBB38_1388:
	s_mov_b64 s[0:1], -1
	s_mov_b64 s[10:11], 0
                                        ; implicit-def: $vgpr0
	s_branch .LBB38_1457
.LBB38_1389:
	s_mov_b64 s[18:19], -1
	s_mov_b64 s[10:11], 0
	s_mov_b64 s[0:1], 0
                                        ; implicit-def: $vgpr0
	s_branch .LBB38_1422
.LBB38_1390:
	s_mov_b64 s[18:19], -1
	s_mov_b64 s[10:11], 0
	s_mov_b64 s[0:1], 0
                                        ; implicit-def: $vgpr0
	s_branch .LBB38_1405
.LBB38_1391:
	s_mov_b64 s[18:19], -1
	s_mov_b64 s[10:11], 0
	s_mov_b64 s[0:1], 0
                                        ; implicit-def: $vgpr0
	s_branch .LBB38_1400
.LBB38_1392:
	s_trap 2
	s_or_b64 s[14:15], s[14:15], exec
	s_cbranch_execz .LBB38_1331
	s_branch .LBB38_1332
.LBB38_1393:
	s_mov_b64 s[18:19], -1
	s_mov_b64 s[10:11], 0
	s_mov_b64 s[0:1], 0
                                        ; implicit-def: $vgpr0
	s_branch .LBB38_1395
.LBB38_1394:
	s_mov_b64 s[0:1], -1
                                        ; implicit-def: $vgpr0
	s_mov_b64 s[10:11], 0
.LBB38_1395:
	s_and_b64 vcc, exec, s[18:19]
	s_cbranch_vccz .LBB38_1399
; %bb.1396:
	s_cmp_eq_u32 s13, 44
	s_cbranch_scc0 .LBB38_1398
; %bb.1397:
	global_load_ubyte v0, v[7:8], off
	s_mov_b64 s[0:1], 0
	s_mov_b64 s[10:11], -1
	s_waitcnt vmcnt(0)
	v_lshlrev_b32_e32 v1, 23, v0
	v_cvt_i32_f32_e32 v1, v1
	v_cmp_ne_u32_e32 vcc, 0, v0
	v_cndmask_b32_e32 v0, 0, v1, vcc
	s_branch .LBB38_1399
.LBB38_1398:
	s_mov_b64 s[0:1], -1
                                        ; implicit-def: $vgpr0
.LBB38_1399:
	s_mov_b64 s[18:19], 0
.LBB38_1400:
	s_and_b64 vcc, exec, s[18:19]
	s_cbranch_vccz .LBB38_1404
; %bb.1401:
	s_cmp_eq_u32 s13, 29
	s_cbranch_scc0 .LBB38_1403
; %bb.1402:
	global_load_dwordx2 v[0:1], v[7:8], off
	s_mov_b64 s[0:1], 0
	s_mov_b64 s[10:11], -1
	s_branch .LBB38_1404
.LBB38_1403:
	s_mov_b64 s[0:1], -1
                                        ; implicit-def: $vgpr0
.LBB38_1404:
	s_mov_b64 s[18:19], 0
.LBB38_1405:
	s_and_b64 vcc, exec, s[18:19]
	s_cbranch_vccz .LBB38_1421
; %bb.1406:
	s_cmp_lt_i32 s13, 27
	s_cbranch_scc1 .LBB38_1409
; %bb.1407:
	s_cmp_gt_i32 s13, 27
	s_cbranch_scc0 .LBB38_1410
; %bb.1408:
	global_load_dword v0, v[7:8], off
	s_mov_b64 s[10:11], 0
	s_branch .LBB38_1411
.LBB38_1409:
	s_mov_b64 s[10:11], -1
                                        ; implicit-def: $vgpr0
	s_branch .LBB38_1414
.LBB38_1410:
	s_mov_b64 s[10:11], -1
                                        ; implicit-def: $vgpr0
.LBB38_1411:
	s_andn2_b64 vcc, exec, s[10:11]
	s_cbranch_vccnz .LBB38_1413
; %bb.1412:
	global_load_ushort v0, v[7:8], off
.LBB38_1413:
	s_mov_b64 s[10:11], 0
.LBB38_1414:
	s_andn2_b64 vcc, exec, s[10:11]
	s_cbranch_vccnz .LBB38_1420
; %bb.1415:
	global_load_ubyte v1, v[7:8], off
	s_movk_i32 s10, 0x7f
	s_mov_b64 s[18:19], 0
	s_waitcnt vmcnt(0)
	v_cmp_lt_i16_e32 vcc, s10, v1
	s_and_saveexec_b64 s[10:11], vcc
	s_xor_b64 s[10:11], exec, s[10:11]
	s_cbranch_execz .LBB38_1432
; %bb.1416:
	s_movk_i32 s18, 0x80
	v_cmp_ne_u16_e32 vcc, s18, v1
	s_and_b64 s[18:19], vcc, exec
	s_andn2_saveexec_b64 s[10:11], s[10:11]
	s_cbranch_execnz .LBB38_1433
.LBB38_1417:
	s_or_b64 exec, exec, s[10:11]
	v_mov_b32_e32 v0, 0
	s_and_saveexec_b64 s[10:11], s[18:19]
	s_cbranch_execz .LBB38_1419
.LBB38_1418:
	v_lshlrev_b32_e32 v0, 24, v1
	v_and_b32_e32 v1, 0xffff, v1
	v_and_b32_e32 v3, 7, v1
	v_ffbh_u32_e32 v10, v3
	v_min_u32_e32 v10, 32, v10
	v_subrev_u32_e32 v11, 28, v10
	v_bfe_u32 v5, v1, 3, 4
	v_lshlrev_b32_e32 v1, v11, v1
	v_sub_u32_e32 v10, 29, v10
	v_and_b32_e32 v1, 7, v1
	v_cmp_eq_u32_e32 vcc, 0, v5
	v_cndmask_b32_e32 v5, v5, v10, vcc
	v_cndmask_b32_e32 v1, v3, v1, vcc
	v_mov_b32_e32 v3, 0x3b800000
	v_lshlrev_b32_e32 v1, 20, v1
	v_and_b32_e32 v0, 0x80000000, v0
	v_lshl_add_u32 v3, v5, 23, v3
	v_or3_b32 v0, v0, v3, v1
	v_cvt_i32_f32_e32 v0, v0
.LBB38_1419:
	s_or_b64 exec, exec, s[10:11]
.LBB38_1420:
	s_mov_b64 s[10:11], -1
.LBB38_1421:
	s_mov_b64 s[18:19], 0
.LBB38_1422:
	s_and_b64 vcc, exec, s[18:19]
	s_cbranch_vccz .LBB38_1453
; %bb.1423:
	s_cmp_gt_i32 s13, 22
	s_cbranch_scc0 .LBB38_1431
; %bb.1424:
	s_cmp_lt_i32 s13, 24
	s_cbranch_scc1 .LBB38_1434
; %bb.1425:
	s_cmp_gt_i32 s13, 24
	s_cbranch_scc0 .LBB38_1435
; %bb.1426:
	global_load_ubyte v1, v[7:8], off
	s_movk_i32 s4, 0x7f
	s_mov_b64 s[10:11], 0
	s_waitcnt vmcnt(0)
	v_cmp_lt_i16_e32 vcc, s4, v1
	s_and_saveexec_b64 s[4:5], vcc
	s_xor_b64 s[4:5], exec, s[4:5]
	s_cbranch_execz .LBB38_1447
; %bb.1427:
	s_movk_i32 s10, 0x80
	v_cmp_ne_u16_e32 vcc, s10, v1
	s_and_b64 s[10:11], vcc, exec
	s_andn2_saveexec_b64 s[4:5], s[4:5]
	s_cbranch_execnz .LBB38_1448
.LBB38_1428:
	s_or_b64 exec, exec, s[4:5]
	v_mov_b32_e32 v0, 0
	s_and_saveexec_b64 s[4:5], s[10:11]
	s_cbranch_execz .LBB38_1430
.LBB38_1429:
	v_lshlrev_b32_e32 v0, 24, v1
	v_and_b32_e32 v1, 0xffff, v1
	v_and_b32_e32 v3, 3, v1
	v_ffbh_u32_e32 v10, v3
	v_min_u32_e32 v10, 32, v10
	v_subrev_u32_e32 v11, 29, v10
	v_bfe_u32 v5, v1, 2, 5
	v_lshlrev_b32_e32 v1, v11, v1
	v_sub_u32_e32 v10, 30, v10
	v_and_b32_e32 v1, 3, v1
	v_cmp_eq_u32_e32 vcc, 0, v5
	v_cndmask_b32_e32 v5, v5, v10, vcc
	v_cndmask_b32_e32 v1, v3, v1, vcc
	v_mov_b32_e32 v3, 0x37800000
	v_lshlrev_b32_e32 v1, 21, v1
	v_and_b32_e32 v0, 0x80000000, v0
	v_lshl_add_u32 v3, v5, 23, v3
	v_or3_b32 v0, v0, v3, v1
	v_cvt_i32_f32_e32 v0, v0
.LBB38_1430:
	s_or_b64 exec, exec, s[4:5]
	s_mov_b64 s[4:5], 0
	s_branch .LBB38_1436
.LBB38_1431:
	s_mov_b64 s[4:5], -1
                                        ; implicit-def: $vgpr0
	s_branch .LBB38_1442
.LBB38_1432:
	s_andn2_saveexec_b64 s[10:11], s[10:11]
	s_cbranch_execz .LBB38_1417
.LBB38_1433:
	v_cmp_ne_u16_e32 vcc, 0, v1
	s_andn2_b64 s[18:19], s[18:19], exec
	s_and_b64 s[20:21], vcc, exec
	s_or_b64 s[18:19], s[18:19], s[20:21]
	s_or_b64 exec, exec, s[10:11]
	v_mov_b32_e32 v0, 0
	s_and_saveexec_b64 s[10:11], s[18:19]
	s_cbranch_execnz .LBB38_1418
	s_branch .LBB38_1419
.LBB38_1434:
	s_mov_b64 s[4:5], -1
                                        ; implicit-def: $vgpr0
	s_branch .LBB38_1439
.LBB38_1435:
	s_mov_b64 s[4:5], -1
                                        ; implicit-def: $vgpr0
.LBB38_1436:
	s_and_b64 vcc, exec, s[4:5]
	s_cbranch_vccz .LBB38_1438
; %bb.1437:
	global_load_ubyte v0, v[7:8], off
	s_mov_b32 s4, 0x7f800000
	s_waitcnt vmcnt(0)
	v_lshlrev_b32_e32 v0, 24, v0
	v_and_b32_e32 v1, 0x7f000000, v0
	v_ffbh_u32_e32 v3, v1
	v_min_u32_e32 v3, 32, v3
	v_sub_u32_e64 v3, v3, 4 clamp
	v_lshlrev_b32_e32 v10, v3, v1
	v_lshlrev_b32_e32 v3, 23, v3
	v_lshrrev_b32_e32 v10, 4, v10
	v_add_u32_e32 v5, 0x1000000, v1
	v_sub_u32_e32 v3, v10, v3
	v_ashrrev_i32_e32 v5, 8, v5
	v_add_u32_e32 v3, 0x3c000000, v3
	v_and_or_b32 v3, v5, s4, v3
	v_cmp_ne_u32_e32 vcc, 0, v1
	v_cndmask_b32_e32 v1, 0, v3, vcc
	s_brev_b32 s4, 1
	v_and_or_b32 v0, v0, s4, v1
	v_cvt_i32_f32_e32 v0, v0
.LBB38_1438:
	s_mov_b64 s[4:5], 0
.LBB38_1439:
	s_andn2_b64 vcc, exec, s[4:5]
	s_cbranch_vccnz .LBB38_1441
; %bb.1440:
	global_load_ubyte v0, v[7:8], off
	s_movk_i32 s4, 0x7f00
	s_brev_b32 s5, 16
	s_waitcnt vmcnt(0)
	v_lshlrev_b16_e32 v1, 8, v0
	v_lshlrev_b32_e32 v0, 25, v0
	v_lshrrev_b32_e32 v3, 4, v0
	v_and_or_b32 v5, v1, s4, 0.5
	v_or_b32_e32 v3, 0x70000000, v3
	v_add_f32_e32 v5, -0.5, v5
	v_mul_f32_e32 v3, 0x7800000, v3
	v_cmp_gt_u32_e32 vcc, s5, v0
	v_bfe_i32 v1, v1, 0, 16
	v_cndmask_b32_e32 v0, v3, v5, vcc
	s_brev_b32 s4, 1
	v_and_or_b32 v0, v1, s4, v0
	v_cvt_i32_f32_e32 v0, v0
.LBB38_1441:
	s_mov_b64 s[4:5], 0
	s_mov_b64 s[10:11], -1
.LBB38_1442:
	s_andn2_b64 vcc, exec, s[4:5]
	s_mov_b64 s[4:5], 0
	s_cbranch_vccnz .LBB38_1453
; %bb.1443:
	s_cmp_gt_i32 s13, 14
	s_cbranch_scc0 .LBB38_1446
; %bb.1444:
	s_cmp_eq_u32 s13, 15
	s_cbranch_scc0 .LBB38_1449
; %bb.1445:
	global_load_ushort v0, v[7:8], off
	s_mov_b64 s[0:1], 0
	s_mov_b64 s[10:11], -1
	s_waitcnt vmcnt(0)
	v_lshlrev_b32_e32 v0, 16, v0
	v_cvt_i32_f32_e32 v0, v0
	s_branch .LBB38_1450
.LBB38_1446:
	s_mov_b64 s[18:19], -1
                                        ; implicit-def: $vgpr0
	s_branch .LBB38_1451
.LBB38_1447:
	s_andn2_saveexec_b64 s[4:5], s[4:5]
	s_cbranch_execz .LBB38_1428
.LBB38_1448:
	v_cmp_ne_u16_e32 vcc, 0, v1
	s_andn2_b64 s[10:11], s[10:11], exec
	s_and_b64 s[18:19], vcc, exec
	s_or_b64 s[10:11], s[10:11], s[18:19]
	s_or_b64 exec, exec, s[4:5]
	v_mov_b32_e32 v0, 0
	s_and_saveexec_b64 s[4:5], s[10:11]
	s_cbranch_execnz .LBB38_1429
	s_branch .LBB38_1430
.LBB38_1449:
	s_mov_b64 s[0:1], -1
                                        ; implicit-def: $vgpr0
.LBB38_1450:
	s_mov_b64 s[18:19], 0
.LBB38_1451:
	s_and_b64 vcc, exec, s[18:19]
	s_cbranch_vccz .LBB38_1453
; %bb.1452:
	s_cmp_lg_u32 s13, 11
	s_mov_b64 s[4:5], -1
	s_cselect_b64 s[0:1], -1, 0
.LBB38_1453:
	s_and_b64 vcc, exec, s[0:1]
	s_cbranch_vccnz .LBB38_1986
; %bb.1454:
	s_andn2_b64 vcc, exec, s[4:5]
	s_cbranch_vccnz .LBB38_1456
.LBB38_1455:
	global_load_ubyte v0, v[7:8], off
	s_mov_b64 s[10:11], -1
	s_waitcnt vmcnt(0)
	v_cmp_ne_u16_e32 vcc, 0, v0
	v_cndmask_b32_e64 v0, 0, 1, vcc
.LBB38_1456:
	s_mov_b64 s[0:1], 0
.LBB38_1457:
	s_and_b64 vcc, exec, s[0:1]
	s_cbranch_vccz .LBB38_1506
; %bb.1458:
	s_and_b32 s3, 0xffff, s3
	s_cmp_lt_i32 s3, 5
	s_cbranch_scc1 .LBB38_1463
; %bb.1459:
	s_cmp_lt_i32 s3, 8
	s_cbranch_scc1 .LBB38_1464
; %bb.1460:
	;; [unrolled: 3-line block ×3, first 2 shown]
	s_cmp_gt_i32 s3, 9
	s_cbranch_scc0 .LBB38_1466
; %bb.1462:
	global_load_dwordx2 v[0:1], v[7:8], off
	s_mov_b64 s[0:1], 0
	s_waitcnt vmcnt(0)
	v_cvt_i32_f64_e32 v0, v[0:1]
	s_branch .LBB38_1467
.LBB38_1463:
	s_mov_b64 s[0:1], -1
                                        ; implicit-def: $vgpr0
	s_branch .LBB38_1485
.LBB38_1464:
	s_mov_b64 s[0:1], -1
                                        ; implicit-def: $vgpr0
	s_branch .LBB38_1473
.LBB38_1465:
	s_mov_b64 s[0:1], -1
                                        ; implicit-def: $vgpr0
	s_branch .LBB38_1470
.LBB38_1466:
	s_mov_b64 s[0:1], -1
                                        ; implicit-def: $vgpr0
.LBB38_1467:
	s_andn2_b64 vcc, exec, s[0:1]
	s_cbranch_vccnz .LBB38_1469
; %bb.1468:
	global_load_dword v0, v[7:8], off
	s_waitcnt vmcnt(0)
	v_cvt_i32_f32_e32 v0, v0
.LBB38_1469:
	s_mov_b64 s[0:1], 0
.LBB38_1470:
	s_andn2_b64 vcc, exec, s[0:1]
	s_cbranch_vccnz .LBB38_1472
; %bb.1471:
	global_load_dword v0, v[7:8], off
	s_waitcnt vmcnt(0)
	v_cvt_i16_f16_e32 v0, v0
.LBB38_1472:
	s_mov_b64 s[0:1], 0
.LBB38_1473:
	s_andn2_b64 vcc, exec, s[0:1]
	s_cbranch_vccnz .LBB38_1484
; %bb.1474:
	s_cmp_lt_i32 s3, 6
	s_cbranch_scc1 .LBB38_1477
; %bb.1475:
	s_cmp_gt_i32 s3, 6
	s_cbranch_scc0 .LBB38_1478
; %bb.1476:
	global_load_dwordx2 v[0:1], v[7:8], off
	s_mov_b64 s[0:1], 0
	s_waitcnt vmcnt(0)
	v_cvt_i32_f64_e32 v0, v[0:1]
	s_branch .LBB38_1479
.LBB38_1477:
	s_mov_b64 s[0:1], -1
                                        ; implicit-def: $vgpr0
	s_branch .LBB38_1482
.LBB38_1478:
	s_mov_b64 s[0:1], -1
                                        ; implicit-def: $vgpr0
.LBB38_1479:
	s_andn2_b64 vcc, exec, s[0:1]
	s_cbranch_vccnz .LBB38_1481
; %bb.1480:
	global_load_dword v0, v[7:8], off
	s_waitcnt vmcnt(0)
	v_cvt_i32_f32_e32 v0, v0
.LBB38_1481:
	s_mov_b64 s[0:1], 0
.LBB38_1482:
	s_andn2_b64 vcc, exec, s[0:1]
	s_cbranch_vccnz .LBB38_1484
; %bb.1483:
	global_load_ushort v0, v[7:8], off
	s_waitcnt vmcnt(0)
	v_cvt_i16_f16_e32 v0, v0
.LBB38_1484:
	s_mov_b64 s[0:1], 0
.LBB38_1485:
	s_andn2_b64 vcc, exec, s[0:1]
	s_cbranch_vccnz .LBB38_1505
; %bb.1486:
	s_cmp_lt_i32 s3, 2
	s_cbranch_scc1 .LBB38_1490
; %bb.1487:
	s_cmp_lt_i32 s3, 3
	s_cbranch_scc1 .LBB38_1491
; %bb.1488:
	s_cmp_gt_i32 s3, 3
	s_cbranch_scc0 .LBB38_1492
; %bb.1489:
	global_load_dwordx2 v[0:1], v[7:8], off
	s_mov_b64 s[0:1], 0
	s_branch .LBB38_1493
.LBB38_1490:
	s_mov_b64 s[0:1], -1
                                        ; implicit-def: $vgpr0
	s_branch .LBB38_1499
.LBB38_1491:
	s_mov_b64 s[0:1], -1
                                        ; implicit-def: $vgpr0
	s_branch .LBB38_1496
.LBB38_1492:
	s_mov_b64 s[0:1], -1
                                        ; implicit-def: $vgpr0
.LBB38_1493:
	s_andn2_b64 vcc, exec, s[0:1]
	s_cbranch_vccnz .LBB38_1495
; %bb.1494:
	global_load_dword v0, v[7:8], off
.LBB38_1495:
	s_mov_b64 s[0:1], 0
.LBB38_1496:
	s_andn2_b64 vcc, exec, s[0:1]
	s_cbranch_vccnz .LBB38_1498
; %bb.1497:
	global_load_ushort v0, v[7:8], off
.LBB38_1498:
	s_mov_b64 s[0:1], 0
.LBB38_1499:
	s_andn2_b64 vcc, exec, s[0:1]
	s_cbranch_vccnz .LBB38_1505
; %bb.1500:
	s_cmp_gt_i32 s3, 0
	s_cbranch_scc0 .LBB38_1502
; %bb.1501:
	global_load_ubyte v0, v[7:8], off
	s_mov_b64 s[0:1], 0
	s_branch .LBB38_1503
.LBB38_1502:
	s_mov_b64 s[0:1], -1
                                        ; implicit-def: $vgpr0
.LBB38_1503:
	s_andn2_b64 vcc, exec, s[0:1]
	s_cbranch_vccnz .LBB38_1505
; %bb.1504:
	global_load_ubyte v0, v[7:8], off
.LBB38_1505:
	s_mov_b64 s[10:11], -1
.LBB38_1506:
	s_andn2_b64 vcc, exec, s[10:11]
	s_cbranch_vccnz .LBB38_1940
; %bb.1507:
	s_waitcnt vmcnt(0)
	v_mul_lo_u32 v1, s12, v9
	v_mov_b32_e32 v3, s46
	v_mov_b32_e32 v5, s47
	v_cmp_gt_i16_sdwa vcc, sext(v6), s33 src0_sel:BYTE_0 src1_sel:DWORD
	v_cndmask_b32_e32 v3, v3, v5, vcc
	v_ashrrev_i32_e32 v6, 31, v1
	v_mov_b32_e32 v7, s9
	s_and_b32 s20, s2, 0xff
	v_add_co_u32_e32 v5, vcc, s8, v1
	s_cmp_lt_i32 s20, 11
	v_addc_co_u32_e32 v6, vcc, v7, v6, vcc
	s_cbranch_scc1 .LBB38_1585
; %bb.1508:
	s_and_b32 s13, 0xffff, s20
	s_mov_b64 s[10:11], -1
	s_mov_b64 s[2:3], 0
	s_cmp_gt_i32 s13, 25
	s_mov_b64 s[4:5], 0
	s_mov_b64 s[0:1], 0
	s_cbranch_scc0 .LBB38_1541
; %bb.1509:
	s_cmp_gt_i32 s13, 28
	s_cbranch_scc0 .LBB38_1524
; %bb.1510:
	s_cmp_gt_i32 s13, 43
	;; [unrolled: 3-line block ×3, first 2 shown]
	s_cbranch_scc0 .LBB38_1514
; %bb.1512:
	s_mov_b64 s[0:1], -1
	s_mov_b64 s[10:11], 0
	s_cmp_eq_u32 s13, 46
	s_cbranch_scc0 .LBB38_1514
; %bb.1513:
	v_bfe_i32 v7, v3, 0, 8
	v_cvt_f32_i32_sdwa v7, sext(v7) dst_sel:DWORD dst_unused:UNUSED_PAD src0_sel:WORD_0
	s_movk_i32 s4, 0x7fff
	s_mov_b64 s[0:1], 0
	v_bfe_u32 v8, v7, 16, 1
	v_add3_u32 v7, v7, v8, s4
	v_lshrrev_b32_e32 v7, 16, v7
	global_store_dword v[5:6], v7, off
	s_mov_b64 s[4:5], -1
.LBB38_1514:
	s_and_b64 vcc, exec, s[10:11]
	s_cbranch_vccz .LBB38_1519
; %bb.1515:
	s_cmp_eq_u32 s13, 44
	s_mov_b64 s[0:1], -1
	s_cbranch_scc0 .LBB38_1519
; %bb.1516:
	v_bfe_i32 v7, v3, 0, 8
	v_cvt_f32_i32_sdwa v7, sext(v7) dst_sel:DWORD dst_unused:UNUSED_PAD src0_sel:WORD_0
	s_movk_i32 s0, 0xff
	v_mov_b32_e32 v9, 0xff
	v_bfe_u32 v8, v7, 23, 8
	v_cmp_ne_u32_e32 vcc, s0, v8
	s_and_saveexec_b64 s[4:5], vcc
; %bb.1517:
	s_mov_b32 s0, 0x3fffff
	v_lshrrev_b32_e32 v9, 23, v7
	v_and_b32_e32 v10, 0x400000, v7
	v_and_or_b32 v7, v7, s0, v8
	v_cmp_ne_u32_e32 vcc, 0, v10
	v_cmp_ne_u32_e64 s[0:1], 0, v7
	s_and_b64 s[0:1], vcc, s[0:1]
	v_cndmask_b32_e64 v7, 0, 1, s[0:1]
	v_add_u32_e32 v9, v9, v7
; %bb.1518:
	s_or_b64 exec, exec, s[4:5]
	s_mov_b64 s[0:1], 0
	s_mov_b64 s[4:5], -1
	global_store_byte v[5:6], v9, off
.LBB38_1519:
	s_mov_b64 s[10:11], 0
.LBB38_1520:
	s_and_b64 vcc, exec, s[10:11]
	s_cbranch_vccz .LBB38_1523
; %bb.1521:
	s_cmp_eq_u32 s13, 29
	s_mov_b64 s[0:1], -1
	s_cbranch_scc0 .LBB38_1523
; %bb.1522:
	v_bfe_i32 v7, v3, 0, 8
	v_ashrrev_i32_e32 v8, 31, v7
	global_store_dwordx2 v[5:6], v[7:8], off
	s_mov_b64 s[0:1], 0
	s_mov_b64 s[4:5], -1
.LBB38_1523:
	s_mov_b64 s[10:11], 0
.LBB38_1524:
	s_and_b64 vcc, exec, s[10:11]
	s_cbranch_vccz .LBB38_1540
; %bb.1525:
	s_cmp_lt_i32 s13, 27
	s_mov_b64 s[4:5], -1
	s_cbranch_scc1 .LBB38_1531
; %bb.1526:
	s_cmp_gt_i32 s13, 27
	s_cbranch_scc0 .LBB38_1528
; %bb.1527:
	v_bfe_i32 v7, v3, 0, 8
	s_mov_b64 s[4:5], 0
	global_store_dword v[5:6], v7, off
.LBB38_1528:
	s_andn2_b64 vcc, exec, s[4:5]
	s_cbranch_vccnz .LBB38_1530
; %bb.1529:
	v_bfe_i32 v7, v3, 0, 8
	global_store_short v[5:6], v7, off
.LBB38_1530:
	s_mov_b64 s[4:5], 0
.LBB38_1531:
	s_andn2_b64 vcc, exec, s[4:5]
	s_cbranch_vccnz .LBB38_1539
; %bb.1532:
	v_bfe_i32 v7, v3, 0, 8
	v_cvt_f32_i32_sdwa v7, sext(v7) dst_sel:DWORD dst_unused:UNUSED_PAD src0_sel:WORD_0
	s_mov_b32 s4, 0x43800000
	v_mov_b32_e32 v9, 0x80
	v_and_b32_e32 v8, 0x7fffffff, v7
	v_cmp_gt_u32_e32 vcc, s4, v8
	s_and_saveexec_b64 s[4:5], vcc
	s_cbranch_execz .LBB38_1538
; %bb.1533:
	s_mov_b32 s10, 0x3bffffff
	v_cmp_lt_u32_e32 vcc, s10, v8
	s_mov_b64 s[10:11], 0
                                        ; implicit-def: $vgpr8
	s_and_saveexec_b64 s[18:19], vcc
	s_xor_b64 s[18:19], exec, s[18:19]
	s_cbranch_execz .LBB38_1987
; %bb.1534:
	v_bfe_u32 v8, v7, 20, 1
	s_mov_b32 s21, 0x487ffff
	v_add3_u32 v8, v7, v8, s21
	s_mov_b64 s[10:11], exec
	v_lshrrev_b32_e32 v8, 20, v8
	s_andn2_saveexec_b64 s[18:19], s[18:19]
	s_cbranch_execnz .LBB38_1988
.LBB38_1535:
	s_or_b64 exec, exec, s[18:19]
	v_mov_b32_e32 v9, 0
	s_and_saveexec_b64 s[18:19], s[10:11]
.LBB38_1536:
	v_lshrrev_b32_e32 v7, 24, v7
	s_movk_i32 s10, 0x80
	v_and_or_b32 v9, v7, s10, v8
.LBB38_1537:
	s_or_b64 exec, exec, s[18:19]
.LBB38_1538:
	s_or_b64 exec, exec, s[4:5]
	global_store_byte v[5:6], v9, off
.LBB38_1539:
	s_mov_b64 s[4:5], -1
.LBB38_1540:
	s_mov_b64 s[10:11], 0
.LBB38_1541:
	s_and_b64 vcc, exec, s[10:11]
	s_cbranch_vccz .LBB38_1581
; %bb.1542:
	s_cmp_gt_i32 s13, 22
	s_mov_b64 s[2:3], -1
	s_cbranch_scc0 .LBB38_1574
; %bb.1543:
	s_cmp_lt_i32 s13, 24
	s_cbranch_scc1 .LBB38_1563
; %bb.1544:
	s_cmp_gt_i32 s13, 24
	s_cbranch_scc0 .LBB38_1552
; %bb.1545:
	v_bfe_i32 v7, v3, 0, 8
	v_cvt_f32_i32_sdwa v7, sext(v7) dst_sel:DWORD dst_unused:UNUSED_PAD src0_sel:WORD_0
	s_mov_b32 s2, 0x47800000
	v_mov_b32_e32 v9, 0x80
	v_and_b32_e32 v8, 0x7fffffff, v7
	v_cmp_gt_u32_e32 vcc, s2, v8
	s_and_saveexec_b64 s[2:3], vcc
	s_cbranch_execz .LBB38_1551
; %bb.1546:
	s_mov_b32 s4, 0x37ffffff
	v_cmp_lt_u32_e32 vcc, s4, v8
	s_mov_b64 s[4:5], 0
                                        ; implicit-def: $vgpr8
	s_and_saveexec_b64 s[10:11], vcc
	s_xor_b64 s[10:11], exec, s[10:11]
	s_cbranch_execz .LBB38_1990
; %bb.1547:
	v_bfe_u32 v8, v7, 21, 1
	s_mov_b32 s18, 0x88fffff
	v_add3_u32 v8, v7, v8, s18
	s_mov_b64 s[4:5], exec
	v_lshrrev_b32_e32 v8, 21, v8
	s_andn2_saveexec_b64 s[10:11], s[10:11]
	s_cbranch_execnz .LBB38_1991
.LBB38_1548:
	s_or_b64 exec, exec, s[10:11]
	v_mov_b32_e32 v9, 0
	s_and_saveexec_b64 s[10:11], s[4:5]
.LBB38_1549:
	v_lshrrev_b32_e32 v7, 24, v7
	s_movk_i32 s4, 0x80
	v_and_or_b32 v9, v7, s4, v8
.LBB38_1550:
	s_or_b64 exec, exec, s[10:11]
.LBB38_1551:
	s_or_b64 exec, exec, s[2:3]
	s_mov_b64 s[2:3], 0
	global_store_byte v[5:6], v9, off
.LBB38_1552:
	s_and_b64 vcc, exec, s[2:3]
	s_cbranch_vccz .LBB38_1562
; %bb.1553:
	v_bfe_i32 v7, v3, 0, 8
	v_cvt_f32_i32_sdwa v7, sext(v7) dst_sel:DWORD dst_unused:UNUSED_PAD src0_sel:WORD_0
	s_mov_b32 s2, 0x43f00000
                                        ; implicit-def: $vgpr8
	v_and_b32_e32 v9, 0x7fffffff, v7
	v_cmp_gt_u32_e32 vcc, s2, v9
	s_and_saveexec_b64 s[2:3], vcc
	s_xor_b64 s[2:3], exec, s[2:3]
	s_cbranch_execz .LBB38_1559
; %bb.1554:
	s_mov_b32 s4, 0x3c7fffff
	v_cmp_lt_u32_e32 vcc, s4, v9
                                        ; implicit-def: $vgpr8
	s_and_saveexec_b64 s[4:5], vcc
	s_xor_b64 s[4:5], exec, s[4:5]
; %bb.1555:
	v_bfe_u32 v8, v7, 20, 1
	s_mov_b32 s10, 0x407ffff
	v_add3_u32 v8, v7, v8, s10
	v_lshrrev_b32_e32 v9, 20, v8
	v_and_b32_e32 v8, 0xff00000, v8
	s_mov_b32 s10, 0x7f00000
	v_mov_b32_e32 v10, 0x7e
	v_cmp_ne_u32_e32 vcc, s10, v8
	v_cndmask_b32_e32 v8, v10, v9, vcc
; %bb.1556:
	s_andn2_saveexec_b64 s[4:5], s[4:5]
; %bb.1557:
	s_mov_b32 s10, 0x46800000
	v_add_f32_e64 v8, |v7|, s10
; %bb.1558:
	s_or_b64 exec, exec, s[4:5]
                                        ; implicit-def: $vgpr9
.LBB38_1559:
	s_andn2_saveexec_b64 s[2:3], s[2:3]
; %bb.1560:
	s_mov_b32 s4, 0x7f800000
	v_mov_b32_e32 v8, 0x7e
	v_mov_b32_e32 v10, 0x7f
	v_cmp_lt_u32_e32 vcc, s4, v9
	v_cndmask_b32_e32 v8, v8, v10, vcc
; %bb.1561:
	s_or_b64 exec, exec, s[2:3]
	v_lshrrev_b32_e32 v7, 24, v7
	s_movk_i32 s2, 0x80
	v_and_or_b32 v7, v7, s2, v8
	global_store_byte v[5:6], v7, off
.LBB38_1562:
	s_mov_b64 s[2:3], 0
.LBB38_1563:
	s_andn2_b64 vcc, exec, s[2:3]
	s_cbranch_vccnz .LBB38_1573
; %bb.1564:
	v_bfe_i32 v7, v3, 0, 8
	v_cvt_f32_i32_sdwa v7, sext(v7) dst_sel:DWORD dst_unused:UNUSED_PAD src0_sel:WORD_0
	s_mov_b32 s2, 0x47800000
                                        ; implicit-def: $vgpr8
	v_and_b32_e32 v9, 0x7fffffff, v7
	v_cmp_gt_u32_e32 vcc, s2, v9
	s_and_saveexec_b64 s[2:3], vcc
	s_xor_b64 s[2:3], exec, s[2:3]
	s_cbranch_execz .LBB38_1570
; %bb.1565:
	s_mov_b32 s4, 0x387fffff
	v_cmp_lt_u32_e32 vcc, s4, v9
                                        ; implicit-def: $vgpr8
	s_and_saveexec_b64 s[4:5], vcc
	s_xor_b64 s[4:5], exec, s[4:5]
; %bb.1566:
	v_bfe_u32 v8, v7, 21, 1
	s_mov_b32 s10, 0x80fffff
	v_add3_u32 v8, v7, v8, s10
	v_lshrrev_b32_e32 v8, 21, v8
; %bb.1567:
	s_andn2_saveexec_b64 s[4:5], s[4:5]
; %bb.1568:
	s_mov_b32 s10, 0x43000000
	v_add_f32_e64 v8, |v7|, s10
; %bb.1569:
	s_or_b64 exec, exec, s[4:5]
                                        ; implicit-def: $vgpr9
.LBB38_1570:
	s_andn2_saveexec_b64 s[2:3], s[2:3]
; %bb.1571:
	s_mov_b32 s4, 0x7f800000
	v_mov_b32_e32 v8, 0x7c
	v_mov_b32_e32 v10, 0x7f
	v_cmp_lt_u32_e32 vcc, s4, v9
	v_cndmask_b32_e32 v8, v8, v10, vcc
; %bb.1572:
	s_or_b64 exec, exec, s[2:3]
	v_lshrrev_b32_e32 v7, 24, v7
	s_movk_i32 s2, 0x80
	v_and_or_b32 v7, v7, s2, v8
	global_store_byte v[5:6], v7, off
.LBB38_1573:
	s_mov_b64 s[2:3], 0
	s_mov_b64 s[4:5], -1
.LBB38_1574:
	s_andn2_b64 vcc, exec, s[2:3]
	s_mov_b64 s[2:3], 0
	s_cbranch_vccnz .LBB38_1581
; %bb.1575:
	s_cmp_gt_i32 s13, 14
	s_mov_b64 s[10:11], -1
	s_cbranch_scc0 .LBB38_1579
; %bb.1576:
	s_cmp_eq_u32 s13, 15
	s_mov_b64 s[0:1], -1
	s_cbranch_scc0 .LBB38_1578
; %bb.1577:
	v_bfe_i32 v7, v3, 0, 8
	v_cvt_f32_i32_sdwa v7, sext(v7) dst_sel:DWORD dst_unused:UNUSED_PAD src0_sel:WORD_0
	s_movk_i32 s2, 0x7fff
	s_mov_b64 s[0:1], 0
	s_mov_b64 s[4:5], -1
	v_bfe_u32 v8, v7, 16, 1
	v_add3_u32 v7, v7, v8, s2
	global_store_short_d16_hi v[5:6], v7, off
.LBB38_1578:
	s_mov_b64 s[10:11], 0
.LBB38_1579:
	s_mov_b64 s[2:3], 0
	s_and_b64 vcc, exec, s[10:11]
	s_cbranch_vccz .LBB38_1581
; %bb.1580:
	s_cmp_lg_u32 s13, 11
	s_mov_b64 s[2:3], -1
	s_cselect_b64 s[0:1], -1, 0
.LBB38_1581:
	s_and_b64 vcc, exec, s[0:1]
	s_cbranch_vccnz .LBB38_1989
; %bb.1582:
	s_andn2_b64 vcc, exec, s[2:3]
	s_cbranch_vccnz .LBB38_1584
.LBB38_1583:
	v_mov_b32_e32 v7, 0
	v_cmp_ne_u16_sdwa s[0:1], v3, v7 src0_sel:BYTE_0 src1_sel:DWORD
	v_cndmask_b32_e64 v7, 0, 1, s[0:1]
	s_mov_b64 s[4:5], -1
	global_store_byte v[5:6], v7, off
.LBB38_1584:
	s_mov_b64 s[0:1], 0
	s_branch .LBB38_1586
.LBB38_1585:
	s_mov_b64 s[0:1], -1
	s_mov_b64 s[4:5], 0
.LBB38_1586:
	s_and_b64 vcc, exec, s[0:1]
	s_cbranch_vccz .LBB38_1625
; %bb.1587:
	s_and_b32 s2, 0xffff, s20
	s_cmp_lt_i32 s2, 5
	s_mov_b64 s[0:1], -1
	s_cbranch_scc1 .LBB38_1608
; %bb.1588:
	s_cmp_lt_i32 s2, 8
	s_cbranch_scc1 .LBB38_1598
; %bb.1589:
	s_cmp_lt_i32 s2, 9
	s_cbranch_scc1 .LBB38_1595
; %bb.1590:
	s_cmp_gt_i32 s2, 9
	s_cbranch_scc0 .LBB38_1592
; %bb.1591:
	v_bfe_i32 v7, v3, 0, 8
	v_bfe_i32 v7, v7, 0, 16
	v_cvt_f64_i32_e32 v[7:8], v7
	v_mov_b32_e32 v9, 0
	v_mov_b32_e32 v10, v9
	s_mov_b64 s[0:1], 0
	global_store_dwordx4 v[5:6], v[7:10], off
.LBB38_1592:
	s_andn2_b64 vcc, exec, s[0:1]
	s_cbranch_vccnz .LBB38_1594
; %bb.1593:
	v_bfe_i32 v7, v3, 0, 8
	v_cvt_f32_i32_sdwa v7, sext(v7) dst_sel:DWORD dst_unused:UNUSED_PAD src0_sel:WORD_0
	v_mov_b32_e32 v8, 0
	global_store_dwordx2 v[5:6], v[7:8], off
.LBB38_1594:
	s_mov_b64 s[0:1], 0
.LBB38_1595:
	s_andn2_b64 vcc, exec, s[0:1]
	s_cbranch_vccnz .LBB38_1597
; %bb.1596:
	v_cvt_f16_i16_sdwa v7, sext(v3) dst_sel:DWORD dst_unused:UNUSED_PAD src0_sel:BYTE_0
	global_store_dword v[5:6], v7, off
.LBB38_1597:
	s_mov_b64 s[0:1], 0
.LBB38_1598:
	s_andn2_b64 vcc, exec, s[0:1]
	s_cbranch_vccnz .LBB38_1607
; %bb.1599:
	s_cmp_lt_i32 s2, 6
	s_mov_b64 s[0:1], -1
	s_cbranch_scc1 .LBB38_1605
; %bb.1600:
	s_cmp_gt_i32 s2, 6
	s_cbranch_scc0 .LBB38_1602
; %bb.1601:
	v_bfe_i32 v7, v3, 0, 8
	v_bfe_i32 v7, v7, 0, 16
	v_cvt_f64_i32_e32 v[7:8], v7
	s_mov_b64 s[0:1], 0
	global_store_dwordx2 v[5:6], v[7:8], off
.LBB38_1602:
	s_andn2_b64 vcc, exec, s[0:1]
	s_cbranch_vccnz .LBB38_1604
; %bb.1603:
	v_bfe_i32 v7, v3, 0, 8
	v_cvt_f32_i32_sdwa v7, sext(v7) dst_sel:DWORD dst_unused:UNUSED_PAD src0_sel:WORD_0
	global_store_dword v[5:6], v7, off
.LBB38_1604:
	s_mov_b64 s[0:1], 0
.LBB38_1605:
	s_andn2_b64 vcc, exec, s[0:1]
	s_cbranch_vccnz .LBB38_1607
; %bb.1606:
	v_cvt_f16_i16_sdwa v7, sext(v3) dst_sel:DWORD dst_unused:UNUSED_PAD src0_sel:BYTE_0
	global_store_short v[5:6], v7, off
.LBB38_1607:
	s_mov_b64 s[0:1], 0
.LBB38_1608:
	s_andn2_b64 vcc, exec, s[0:1]
	s_cbranch_vccnz .LBB38_1624
; %bb.1609:
	s_cmp_lt_i32 s2, 2
	s_mov_b64 s[0:1], -1
	s_cbranch_scc1 .LBB38_1619
; %bb.1610:
	s_cmp_lt_i32 s2, 3
	s_cbranch_scc1 .LBB38_1616
; %bb.1611:
	s_cmp_gt_i32 s2, 3
	s_cbranch_scc0 .LBB38_1613
; %bb.1612:
	v_bfe_i32 v7, v3, 0, 8
	v_ashrrev_i32_e32 v8, 31, v7
	global_store_dwordx2 v[5:6], v[7:8], off
	s_mov_b64 s[0:1], 0
.LBB38_1613:
	s_andn2_b64 vcc, exec, s[0:1]
	s_cbranch_vccnz .LBB38_1615
; %bb.1614:
	v_bfe_i32 v7, v3, 0, 8
	global_store_dword v[5:6], v7, off
.LBB38_1615:
	s_mov_b64 s[0:1], 0
.LBB38_1616:
	s_andn2_b64 vcc, exec, s[0:1]
	s_cbranch_vccnz .LBB38_1618
; %bb.1617:
	v_bfe_i32 v7, v3, 0, 8
	global_store_short v[5:6], v7, off
.LBB38_1618:
	s_mov_b64 s[0:1], 0
.LBB38_1619:
	s_andn2_b64 vcc, exec, s[0:1]
	s_cbranch_vccnz .LBB38_1624
; %bb.1620:
	s_cmp_gt_i32 s2, 0
	s_mov_b64 s[0:1], -1
	s_cbranch_scc0 .LBB38_1622
; %bb.1621:
	global_store_byte v[5:6], v3, off
	s_mov_b64 s[0:1], 0
.LBB38_1622:
	s_andn2_b64 vcc, exec, s[0:1]
	s_cbranch_vccnz .LBB38_1624
; %bb.1623:
	global_store_byte v[5:6], v3, off
.LBB38_1624:
	s_mov_b64 s[4:5], -1
.LBB38_1625:
	s_andn2_b64 vcc, exec, s[4:5]
	s_cbranch_vccnz .LBB38_1940
; %bb.1626:
	s_lshl_b32 s18, s12, 7
	v_mov_b32_e32 v3, s46
	v_mov_b32_e32 v5, s47
	v_cmp_gt_i16_sdwa vcc, sext(v4), s33 src0_sel:BYTE_0 src1_sel:DWORD
	v_add_u32_e32 v1, s18, v1
	v_cndmask_b32_e32 v5, v3, v5, vcc
	v_ashrrev_i32_e32 v4, 31, v1
	v_mov_b32_e32 v6, s9
	v_add_co_u32_e32 v3, vcc, s8, v1
	s_cmp_lt_i32 s20, 11
	v_addc_co_u32_e32 v4, vcc, v6, v4, vcc
	s_cbranch_scc1 .LBB38_1704
; %bb.1627:
	s_and_b32 s19, 0xffff, s20
	s_mov_b64 s[10:11], -1
	s_mov_b64 s[2:3], 0
	s_cmp_gt_i32 s19, 25
	s_mov_b64 s[4:5], 0
	s_mov_b64 s[0:1], 0
	s_cbranch_scc0 .LBB38_1660
; %bb.1628:
	s_cmp_gt_i32 s19, 28
	s_cbranch_scc0 .LBB38_1643
; %bb.1629:
	s_cmp_gt_i32 s19, 43
	;; [unrolled: 3-line block ×3, first 2 shown]
	s_cbranch_scc0 .LBB38_1633
; %bb.1631:
	s_mov_b64 s[0:1], -1
	s_mov_b64 s[10:11], 0
	s_cmp_eq_u32 s19, 46
	s_cbranch_scc0 .LBB38_1633
; %bb.1632:
	v_bfe_i32 v6, v5, 0, 8
	v_cvt_f32_i32_sdwa v6, sext(v6) dst_sel:DWORD dst_unused:UNUSED_PAD src0_sel:WORD_0
	s_movk_i32 s4, 0x7fff
	s_mov_b64 s[0:1], 0
	v_bfe_u32 v7, v6, 16, 1
	v_add3_u32 v6, v6, v7, s4
	v_lshrrev_b32_e32 v6, 16, v6
	global_store_dword v[3:4], v6, off
	s_mov_b64 s[4:5], -1
.LBB38_1633:
	s_and_b64 vcc, exec, s[10:11]
	s_cbranch_vccz .LBB38_1638
; %bb.1634:
	s_cmp_eq_u32 s19, 44
	s_mov_b64 s[0:1], -1
	s_cbranch_scc0 .LBB38_1638
; %bb.1635:
	v_bfe_i32 v6, v5, 0, 8
	v_cvt_f32_i32_sdwa v6, sext(v6) dst_sel:DWORD dst_unused:UNUSED_PAD src0_sel:WORD_0
	s_movk_i32 s0, 0xff
	v_mov_b32_e32 v8, 0xff
	v_bfe_u32 v7, v6, 23, 8
	v_cmp_ne_u32_e32 vcc, s0, v7
	s_and_saveexec_b64 s[4:5], vcc
; %bb.1636:
	s_mov_b32 s0, 0x3fffff
	v_lshrrev_b32_e32 v8, 23, v6
	v_and_b32_e32 v9, 0x400000, v6
	v_and_or_b32 v6, v6, s0, v7
	v_cmp_ne_u32_e32 vcc, 0, v9
	v_cmp_ne_u32_e64 s[0:1], 0, v6
	s_and_b64 s[0:1], vcc, s[0:1]
	v_cndmask_b32_e64 v6, 0, 1, s[0:1]
	v_add_u32_e32 v8, v8, v6
; %bb.1637:
	s_or_b64 exec, exec, s[4:5]
	s_mov_b64 s[0:1], 0
	s_mov_b64 s[4:5], -1
	global_store_byte v[3:4], v8, off
.LBB38_1638:
	s_mov_b64 s[10:11], 0
.LBB38_1639:
	s_and_b64 vcc, exec, s[10:11]
	s_cbranch_vccz .LBB38_1642
; %bb.1640:
	s_cmp_eq_u32 s19, 29
	s_mov_b64 s[0:1], -1
	s_cbranch_scc0 .LBB38_1642
; %bb.1641:
	v_bfe_i32 v6, v5, 0, 8
	v_ashrrev_i32_e32 v7, 31, v6
	global_store_dwordx2 v[3:4], v[6:7], off
	s_mov_b64 s[0:1], 0
	s_mov_b64 s[4:5], -1
.LBB38_1642:
	s_mov_b64 s[10:11], 0
.LBB38_1643:
	s_and_b64 vcc, exec, s[10:11]
	s_cbranch_vccz .LBB38_1659
; %bb.1644:
	s_cmp_lt_i32 s19, 27
	s_mov_b64 s[4:5], -1
	s_cbranch_scc1 .LBB38_1650
; %bb.1645:
	s_cmp_gt_i32 s19, 27
	s_cbranch_scc0 .LBB38_1647
; %bb.1646:
	v_bfe_i32 v6, v5, 0, 8
	s_mov_b64 s[4:5], 0
	global_store_dword v[3:4], v6, off
.LBB38_1647:
	s_andn2_b64 vcc, exec, s[4:5]
	s_cbranch_vccnz .LBB38_1649
; %bb.1648:
	v_bfe_i32 v6, v5, 0, 8
	global_store_short v[3:4], v6, off
.LBB38_1649:
	s_mov_b64 s[4:5], 0
.LBB38_1650:
	s_andn2_b64 vcc, exec, s[4:5]
	s_cbranch_vccnz .LBB38_1658
; %bb.1651:
	v_bfe_i32 v6, v5, 0, 8
	v_cvt_f32_i32_sdwa v6, sext(v6) dst_sel:DWORD dst_unused:UNUSED_PAD src0_sel:WORD_0
	s_mov_b32 s4, 0x43800000
	v_mov_b32_e32 v8, 0x80
	v_and_b32_e32 v7, 0x7fffffff, v6
	v_cmp_gt_u32_e32 vcc, s4, v7
	s_and_saveexec_b64 s[4:5], vcc
	s_cbranch_execz .LBB38_1657
; %bb.1652:
	s_mov_b32 s10, 0x3bffffff
	v_cmp_lt_u32_e32 vcc, s10, v7
	s_mov_b64 s[10:11], 0
                                        ; implicit-def: $vgpr7
	s_and_saveexec_b64 s[12:13], vcc
	s_xor_b64 s[12:13], exec, s[12:13]
	s_cbranch_execz .LBB38_1992
; %bb.1653:
	v_bfe_u32 v7, v6, 20, 1
	s_mov_b32 s21, 0x487ffff
	v_add3_u32 v7, v6, v7, s21
	s_mov_b64 s[10:11], exec
	v_lshrrev_b32_e32 v7, 20, v7
	s_andn2_saveexec_b64 s[12:13], s[12:13]
	s_cbranch_execnz .LBB38_1993
.LBB38_1654:
	s_or_b64 exec, exec, s[12:13]
	v_mov_b32_e32 v8, 0
	s_and_saveexec_b64 s[12:13], s[10:11]
.LBB38_1655:
	v_lshrrev_b32_e32 v6, 24, v6
	s_movk_i32 s10, 0x80
	v_and_or_b32 v8, v6, s10, v7
.LBB38_1656:
	s_or_b64 exec, exec, s[12:13]
.LBB38_1657:
	s_or_b64 exec, exec, s[4:5]
	global_store_byte v[3:4], v8, off
.LBB38_1658:
	s_mov_b64 s[4:5], -1
.LBB38_1659:
	s_mov_b64 s[10:11], 0
.LBB38_1660:
	s_and_b64 vcc, exec, s[10:11]
	s_cbranch_vccz .LBB38_1700
; %bb.1661:
	s_cmp_gt_i32 s19, 22
	s_mov_b64 s[2:3], -1
	s_cbranch_scc0 .LBB38_1693
; %bb.1662:
	s_cmp_lt_i32 s19, 24
	s_cbranch_scc1 .LBB38_1682
; %bb.1663:
	s_cmp_gt_i32 s19, 24
	s_cbranch_scc0 .LBB38_1671
; %bb.1664:
	v_bfe_i32 v6, v5, 0, 8
	v_cvt_f32_i32_sdwa v6, sext(v6) dst_sel:DWORD dst_unused:UNUSED_PAD src0_sel:WORD_0
	s_mov_b32 s2, 0x47800000
	v_mov_b32_e32 v8, 0x80
	v_and_b32_e32 v7, 0x7fffffff, v6
	v_cmp_gt_u32_e32 vcc, s2, v7
	s_and_saveexec_b64 s[2:3], vcc
	s_cbranch_execz .LBB38_1670
; %bb.1665:
	s_mov_b32 s4, 0x37ffffff
	v_cmp_lt_u32_e32 vcc, s4, v7
	s_mov_b64 s[4:5], 0
                                        ; implicit-def: $vgpr7
	s_and_saveexec_b64 s[10:11], vcc
	s_xor_b64 s[10:11], exec, s[10:11]
	s_cbranch_execz .LBB38_1995
; %bb.1666:
	v_bfe_u32 v7, v6, 21, 1
	s_mov_b32 s12, 0x88fffff
	v_add3_u32 v7, v6, v7, s12
	s_mov_b64 s[4:5], exec
	v_lshrrev_b32_e32 v7, 21, v7
	s_andn2_saveexec_b64 s[10:11], s[10:11]
	s_cbranch_execnz .LBB38_1996
.LBB38_1667:
	s_or_b64 exec, exec, s[10:11]
	v_mov_b32_e32 v8, 0
	s_and_saveexec_b64 s[10:11], s[4:5]
.LBB38_1668:
	v_lshrrev_b32_e32 v6, 24, v6
	s_movk_i32 s4, 0x80
	v_and_or_b32 v8, v6, s4, v7
.LBB38_1669:
	s_or_b64 exec, exec, s[10:11]
.LBB38_1670:
	s_or_b64 exec, exec, s[2:3]
	s_mov_b64 s[2:3], 0
	global_store_byte v[3:4], v8, off
.LBB38_1671:
	s_and_b64 vcc, exec, s[2:3]
	s_cbranch_vccz .LBB38_1681
; %bb.1672:
	v_bfe_i32 v6, v5, 0, 8
	v_cvt_f32_i32_sdwa v6, sext(v6) dst_sel:DWORD dst_unused:UNUSED_PAD src0_sel:WORD_0
	s_mov_b32 s2, 0x43f00000
                                        ; implicit-def: $vgpr7
	v_and_b32_e32 v8, 0x7fffffff, v6
	v_cmp_gt_u32_e32 vcc, s2, v8
	s_and_saveexec_b64 s[2:3], vcc
	s_xor_b64 s[2:3], exec, s[2:3]
	s_cbranch_execz .LBB38_1678
; %bb.1673:
	s_mov_b32 s4, 0x3c7fffff
	v_cmp_lt_u32_e32 vcc, s4, v8
                                        ; implicit-def: $vgpr7
	s_and_saveexec_b64 s[4:5], vcc
	s_xor_b64 s[4:5], exec, s[4:5]
; %bb.1674:
	v_bfe_u32 v7, v6, 20, 1
	s_mov_b32 s10, 0x407ffff
	v_add3_u32 v7, v6, v7, s10
	v_lshrrev_b32_e32 v8, 20, v7
	v_and_b32_e32 v7, 0xff00000, v7
	s_mov_b32 s10, 0x7f00000
	v_mov_b32_e32 v9, 0x7e
	v_cmp_ne_u32_e32 vcc, s10, v7
	v_cndmask_b32_e32 v7, v9, v8, vcc
; %bb.1675:
	s_andn2_saveexec_b64 s[4:5], s[4:5]
; %bb.1676:
	s_mov_b32 s10, 0x46800000
	v_add_f32_e64 v7, |v6|, s10
; %bb.1677:
	s_or_b64 exec, exec, s[4:5]
                                        ; implicit-def: $vgpr8
.LBB38_1678:
	s_andn2_saveexec_b64 s[2:3], s[2:3]
; %bb.1679:
	s_mov_b32 s4, 0x7f800000
	v_mov_b32_e32 v7, 0x7e
	v_mov_b32_e32 v9, 0x7f
	v_cmp_lt_u32_e32 vcc, s4, v8
	v_cndmask_b32_e32 v7, v7, v9, vcc
; %bb.1680:
	s_or_b64 exec, exec, s[2:3]
	v_lshrrev_b32_e32 v6, 24, v6
	s_movk_i32 s2, 0x80
	v_and_or_b32 v6, v6, s2, v7
	global_store_byte v[3:4], v6, off
.LBB38_1681:
	s_mov_b64 s[2:3], 0
.LBB38_1682:
	s_andn2_b64 vcc, exec, s[2:3]
	s_cbranch_vccnz .LBB38_1692
; %bb.1683:
	v_bfe_i32 v6, v5, 0, 8
	v_cvt_f32_i32_sdwa v6, sext(v6) dst_sel:DWORD dst_unused:UNUSED_PAD src0_sel:WORD_0
	s_mov_b32 s2, 0x47800000
                                        ; implicit-def: $vgpr7
	v_and_b32_e32 v8, 0x7fffffff, v6
	v_cmp_gt_u32_e32 vcc, s2, v8
	s_and_saveexec_b64 s[2:3], vcc
	s_xor_b64 s[2:3], exec, s[2:3]
	s_cbranch_execz .LBB38_1689
; %bb.1684:
	s_mov_b32 s4, 0x387fffff
	v_cmp_lt_u32_e32 vcc, s4, v8
                                        ; implicit-def: $vgpr7
	s_and_saveexec_b64 s[4:5], vcc
	s_xor_b64 s[4:5], exec, s[4:5]
; %bb.1685:
	v_bfe_u32 v7, v6, 21, 1
	s_mov_b32 s10, 0x80fffff
	v_add3_u32 v7, v6, v7, s10
	v_lshrrev_b32_e32 v7, 21, v7
; %bb.1686:
	s_andn2_saveexec_b64 s[4:5], s[4:5]
; %bb.1687:
	s_mov_b32 s10, 0x43000000
	v_add_f32_e64 v7, |v6|, s10
; %bb.1688:
	s_or_b64 exec, exec, s[4:5]
                                        ; implicit-def: $vgpr8
.LBB38_1689:
	s_andn2_saveexec_b64 s[2:3], s[2:3]
; %bb.1690:
	s_mov_b32 s4, 0x7f800000
	v_mov_b32_e32 v7, 0x7c
	v_mov_b32_e32 v9, 0x7f
	v_cmp_lt_u32_e32 vcc, s4, v8
	v_cndmask_b32_e32 v7, v7, v9, vcc
; %bb.1691:
	s_or_b64 exec, exec, s[2:3]
	v_lshrrev_b32_e32 v6, 24, v6
	s_movk_i32 s2, 0x80
	v_and_or_b32 v6, v6, s2, v7
	global_store_byte v[3:4], v6, off
.LBB38_1692:
	s_mov_b64 s[2:3], 0
	s_mov_b64 s[4:5], -1
.LBB38_1693:
	s_andn2_b64 vcc, exec, s[2:3]
	s_mov_b64 s[2:3], 0
	s_cbranch_vccnz .LBB38_1700
; %bb.1694:
	s_cmp_gt_i32 s19, 14
	s_mov_b64 s[10:11], -1
	s_cbranch_scc0 .LBB38_1698
; %bb.1695:
	s_cmp_eq_u32 s19, 15
	s_mov_b64 s[0:1], -1
	s_cbranch_scc0 .LBB38_1697
; %bb.1696:
	v_bfe_i32 v6, v5, 0, 8
	v_cvt_f32_i32_sdwa v6, sext(v6) dst_sel:DWORD dst_unused:UNUSED_PAD src0_sel:WORD_0
	s_movk_i32 s2, 0x7fff
	s_mov_b64 s[0:1], 0
	s_mov_b64 s[4:5], -1
	v_bfe_u32 v7, v6, 16, 1
	v_add3_u32 v6, v6, v7, s2
	global_store_short_d16_hi v[3:4], v6, off
.LBB38_1697:
	s_mov_b64 s[10:11], 0
.LBB38_1698:
	s_mov_b64 s[2:3], 0
	s_and_b64 vcc, exec, s[10:11]
	s_cbranch_vccz .LBB38_1700
; %bb.1699:
	s_cmp_lg_u32 s19, 11
	s_mov_b64 s[2:3], -1
	s_cselect_b64 s[0:1], -1, 0
.LBB38_1700:
	s_and_b64 vcc, exec, s[0:1]
	s_cbranch_vccnz .LBB38_1994
; %bb.1701:
	s_andn2_b64 vcc, exec, s[2:3]
	s_cbranch_vccnz .LBB38_1703
.LBB38_1702:
	v_mov_b32_e32 v6, 0
	v_cmp_ne_u16_sdwa s[0:1], v5, v6 src0_sel:BYTE_0 src1_sel:DWORD
	v_cndmask_b32_e64 v6, 0, 1, s[0:1]
	s_mov_b64 s[4:5], -1
	global_store_byte v[3:4], v6, off
.LBB38_1703:
	s_mov_b64 s[0:1], 0
	s_branch .LBB38_1705
.LBB38_1704:
	s_mov_b64 s[0:1], -1
	s_mov_b64 s[4:5], 0
.LBB38_1705:
	s_and_b64 vcc, exec, s[0:1]
	s_cbranch_vccz .LBB38_1744
; %bb.1706:
	s_and_b32 s2, 0xffff, s20
	s_cmp_lt_i32 s2, 5
	s_mov_b64 s[0:1], -1
	s_cbranch_scc1 .LBB38_1727
; %bb.1707:
	s_cmp_lt_i32 s2, 8
	s_cbranch_scc1 .LBB38_1717
; %bb.1708:
	s_cmp_lt_i32 s2, 9
	s_cbranch_scc1 .LBB38_1714
; %bb.1709:
	s_cmp_gt_i32 s2, 9
	s_cbranch_scc0 .LBB38_1711
; %bb.1710:
	v_bfe_i32 v6, v5, 0, 8
	v_bfe_i32 v6, v6, 0, 16
	v_cvt_f64_i32_e32 v[6:7], v6
	v_mov_b32_e32 v8, 0
	v_mov_b32_e32 v9, v8
	s_mov_b64 s[0:1], 0
	global_store_dwordx4 v[3:4], v[6:9], off
.LBB38_1711:
	s_andn2_b64 vcc, exec, s[0:1]
	s_cbranch_vccnz .LBB38_1713
; %bb.1712:
	v_bfe_i32 v6, v5, 0, 8
	v_cvt_f32_i32_sdwa v6, sext(v6) dst_sel:DWORD dst_unused:UNUSED_PAD src0_sel:WORD_0
	v_mov_b32_e32 v7, 0
	global_store_dwordx2 v[3:4], v[6:7], off
.LBB38_1713:
	s_mov_b64 s[0:1], 0
.LBB38_1714:
	s_andn2_b64 vcc, exec, s[0:1]
	s_cbranch_vccnz .LBB38_1716
; %bb.1715:
	v_cvt_f16_i16_sdwa v6, sext(v5) dst_sel:DWORD dst_unused:UNUSED_PAD src0_sel:BYTE_0
	global_store_dword v[3:4], v6, off
.LBB38_1716:
	s_mov_b64 s[0:1], 0
.LBB38_1717:
	s_andn2_b64 vcc, exec, s[0:1]
	s_cbranch_vccnz .LBB38_1726
; %bb.1718:
	s_cmp_lt_i32 s2, 6
	s_mov_b64 s[0:1], -1
	s_cbranch_scc1 .LBB38_1724
; %bb.1719:
	s_cmp_gt_i32 s2, 6
	s_cbranch_scc0 .LBB38_1721
; %bb.1720:
	v_bfe_i32 v6, v5, 0, 8
	v_bfe_i32 v6, v6, 0, 16
	v_cvt_f64_i32_e32 v[6:7], v6
	s_mov_b64 s[0:1], 0
	global_store_dwordx2 v[3:4], v[6:7], off
.LBB38_1721:
	s_andn2_b64 vcc, exec, s[0:1]
	s_cbranch_vccnz .LBB38_1723
; %bb.1722:
	v_bfe_i32 v6, v5, 0, 8
	v_cvt_f32_i32_sdwa v6, sext(v6) dst_sel:DWORD dst_unused:UNUSED_PAD src0_sel:WORD_0
	global_store_dword v[3:4], v6, off
.LBB38_1723:
	s_mov_b64 s[0:1], 0
.LBB38_1724:
	s_andn2_b64 vcc, exec, s[0:1]
	s_cbranch_vccnz .LBB38_1726
; %bb.1725:
	v_cvt_f16_i16_sdwa v6, sext(v5) dst_sel:DWORD dst_unused:UNUSED_PAD src0_sel:BYTE_0
	global_store_short v[3:4], v6, off
.LBB38_1726:
	s_mov_b64 s[0:1], 0
.LBB38_1727:
	s_andn2_b64 vcc, exec, s[0:1]
	s_cbranch_vccnz .LBB38_1743
; %bb.1728:
	s_cmp_lt_i32 s2, 2
	s_mov_b64 s[0:1], -1
	s_cbranch_scc1 .LBB38_1738
; %bb.1729:
	s_cmp_lt_i32 s2, 3
	s_cbranch_scc1 .LBB38_1735
; %bb.1730:
	s_cmp_gt_i32 s2, 3
	s_cbranch_scc0 .LBB38_1732
; %bb.1731:
	v_bfe_i32 v6, v5, 0, 8
	v_ashrrev_i32_e32 v7, 31, v6
	global_store_dwordx2 v[3:4], v[6:7], off
	s_mov_b64 s[0:1], 0
.LBB38_1732:
	s_andn2_b64 vcc, exec, s[0:1]
	s_cbranch_vccnz .LBB38_1734
; %bb.1733:
	v_bfe_i32 v6, v5, 0, 8
	global_store_dword v[3:4], v6, off
.LBB38_1734:
	s_mov_b64 s[0:1], 0
.LBB38_1735:
	s_andn2_b64 vcc, exec, s[0:1]
	s_cbranch_vccnz .LBB38_1737
; %bb.1736:
	v_bfe_i32 v6, v5, 0, 8
	global_store_short v[3:4], v6, off
.LBB38_1737:
	s_mov_b64 s[0:1], 0
.LBB38_1738:
	s_andn2_b64 vcc, exec, s[0:1]
	s_cbranch_vccnz .LBB38_1743
; %bb.1739:
	s_cmp_gt_i32 s2, 0
	s_mov_b64 s[0:1], -1
	s_cbranch_scc0 .LBB38_1741
; %bb.1740:
	global_store_byte v[3:4], v5, off
	s_mov_b64 s[0:1], 0
.LBB38_1741:
	s_andn2_b64 vcc, exec, s[0:1]
	s_cbranch_vccnz .LBB38_1743
; %bb.1742:
	global_store_byte v[3:4], v5, off
.LBB38_1743:
	s_mov_b64 s[4:5], -1
.LBB38_1744:
	s_andn2_b64 vcc, exec, s[4:5]
	s_cbranch_vccnz .LBB38_1940
; %bb.1745:
	v_mov_b32_e32 v3, s46
	v_mov_b32_e32 v4, s47
	v_cmp_gt_i16_sdwa vcc, sext(v2), s33 src0_sel:BYTE_0 src1_sel:DWORD
	v_cndmask_b32_e32 v4, v3, v4, vcc
	v_add_u32_e32 v3, s18, v1
	v_ashrrev_i32_e32 v2, 31, v3
	v_mov_b32_e32 v5, s9
	v_add_co_u32_e32 v1, vcc, s8, v3
	s_cmp_lt_i32 s20, 11
	v_addc_co_u32_e32 v2, vcc, v5, v2, vcc
	s_cbranch_scc1 .LBB38_1823
; %bb.1746:
	s_and_b32 s19, 0xffff, s20
	s_mov_b64 s[10:11], -1
	s_mov_b64 s[2:3], 0
	s_cmp_gt_i32 s19, 25
	s_mov_b64 s[4:5], 0
	s_mov_b64 s[0:1], 0
	s_cbranch_scc0 .LBB38_1779
; %bb.1747:
	s_cmp_gt_i32 s19, 28
	s_cbranch_scc0 .LBB38_1762
; %bb.1748:
	s_cmp_gt_i32 s19, 43
	s_cbranch_scc0 .LBB38_1758
; %bb.1749:
	s_cmp_gt_i32 s19, 45
	s_cbranch_scc0 .LBB38_1752
; %bb.1750:
	s_mov_b64 s[0:1], -1
	s_mov_b64 s[10:11], 0
	s_cmp_eq_u32 s19, 46
	s_cbranch_scc0 .LBB38_1752
; %bb.1751:
	v_bfe_i32 v5, v4, 0, 8
	v_cvt_f32_i32_sdwa v5, sext(v5) dst_sel:DWORD dst_unused:UNUSED_PAD src0_sel:WORD_0
	s_movk_i32 s4, 0x7fff
	s_mov_b64 s[0:1], 0
	v_bfe_u32 v6, v5, 16, 1
	v_add3_u32 v5, v5, v6, s4
	v_lshrrev_b32_e32 v5, 16, v5
	global_store_dword v[1:2], v5, off
	s_mov_b64 s[4:5], -1
.LBB38_1752:
	s_and_b64 vcc, exec, s[10:11]
	s_cbranch_vccz .LBB38_1757
; %bb.1753:
	s_cmp_eq_u32 s19, 44
	s_mov_b64 s[0:1], -1
	s_cbranch_scc0 .LBB38_1757
; %bb.1754:
	v_bfe_i32 v5, v4, 0, 8
	v_cvt_f32_i32_sdwa v5, sext(v5) dst_sel:DWORD dst_unused:UNUSED_PAD src0_sel:WORD_0
	s_movk_i32 s0, 0xff
	v_mov_b32_e32 v7, 0xff
	v_bfe_u32 v6, v5, 23, 8
	v_cmp_ne_u32_e32 vcc, s0, v6
	s_and_saveexec_b64 s[4:5], vcc
; %bb.1755:
	s_mov_b32 s0, 0x3fffff
	v_lshrrev_b32_e32 v7, 23, v5
	v_and_b32_e32 v8, 0x400000, v5
	v_and_or_b32 v5, v5, s0, v6
	v_cmp_ne_u32_e32 vcc, 0, v8
	v_cmp_ne_u32_e64 s[0:1], 0, v5
	s_and_b64 s[0:1], vcc, s[0:1]
	v_cndmask_b32_e64 v5, 0, 1, s[0:1]
	v_add_u32_e32 v7, v7, v5
; %bb.1756:
	s_or_b64 exec, exec, s[4:5]
	s_mov_b64 s[0:1], 0
	s_mov_b64 s[4:5], -1
	global_store_byte v[1:2], v7, off
.LBB38_1757:
	s_mov_b64 s[10:11], 0
.LBB38_1758:
	s_and_b64 vcc, exec, s[10:11]
	s_cbranch_vccz .LBB38_1761
; %bb.1759:
	s_cmp_eq_u32 s19, 29
	s_mov_b64 s[0:1], -1
	s_cbranch_scc0 .LBB38_1761
; %bb.1760:
	v_bfe_i32 v5, v4, 0, 8
	v_ashrrev_i32_e32 v6, 31, v5
	global_store_dwordx2 v[1:2], v[5:6], off
	s_mov_b64 s[0:1], 0
	s_mov_b64 s[4:5], -1
.LBB38_1761:
	s_mov_b64 s[10:11], 0
.LBB38_1762:
	s_and_b64 vcc, exec, s[10:11]
	s_cbranch_vccz .LBB38_1778
; %bb.1763:
	s_cmp_lt_i32 s19, 27
	s_mov_b64 s[4:5], -1
	s_cbranch_scc1 .LBB38_1769
; %bb.1764:
	s_cmp_gt_i32 s19, 27
	s_cbranch_scc0 .LBB38_1766
; %bb.1765:
	v_bfe_i32 v5, v4, 0, 8
	s_mov_b64 s[4:5], 0
	global_store_dword v[1:2], v5, off
.LBB38_1766:
	s_andn2_b64 vcc, exec, s[4:5]
	s_cbranch_vccnz .LBB38_1768
; %bb.1767:
	v_bfe_i32 v5, v4, 0, 8
	global_store_short v[1:2], v5, off
.LBB38_1768:
	s_mov_b64 s[4:5], 0
.LBB38_1769:
	s_andn2_b64 vcc, exec, s[4:5]
	s_cbranch_vccnz .LBB38_1777
; %bb.1770:
	v_bfe_i32 v5, v4, 0, 8
	v_cvt_f32_i32_sdwa v5, sext(v5) dst_sel:DWORD dst_unused:UNUSED_PAD src0_sel:WORD_0
	s_mov_b32 s4, 0x43800000
	v_mov_b32_e32 v7, 0x80
	v_and_b32_e32 v6, 0x7fffffff, v5
	v_cmp_gt_u32_e32 vcc, s4, v6
	s_and_saveexec_b64 s[4:5], vcc
	s_cbranch_execz .LBB38_1776
; %bb.1771:
	s_mov_b32 s10, 0x3bffffff
	v_cmp_lt_u32_e32 vcc, s10, v6
	s_mov_b64 s[10:11], 0
                                        ; implicit-def: $vgpr6
	s_and_saveexec_b64 s[12:13], vcc
	s_xor_b64 s[12:13], exec, s[12:13]
	s_cbranch_execz .LBB38_1997
; %bb.1772:
	v_bfe_u32 v6, v5, 20, 1
	s_mov_b32 s21, 0x487ffff
	v_add3_u32 v6, v5, v6, s21
	s_mov_b64 s[10:11], exec
	v_lshrrev_b32_e32 v6, 20, v6
	s_andn2_saveexec_b64 s[12:13], s[12:13]
	s_cbranch_execnz .LBB38_1998
.LBB38_1773:
	s_or_b64 exec, exec, s[12:13]
	v_mov_b32_e32 v7, 0
	s_and_saveexec_b64 s[12:13], s[10:11]
.LBB38_1774:
	v_lshrrev_b32_e32 v5, 24, v5
	s_movk_i32 s10, 0x80
	v_and_or_b32 v7, v5, s10, v6
.LBB38_1775:
	s_or_b64 exec, exec, s[12:13]
.LBB38_1776:
	s_or_b64 exec, exec, s[4:5]
	global_store_byte v[1:2], v7, off
.LBB38_1777:
	s_mov_b64 s[4:5], -1
.LBB38_1778:
	s_mov_b64 s[10:11], 0
.LBB38_1779:
	s_and_b64 vcc, exec, s[10:11]
	s_cbranch_vccz .LBB38_1819
; %bb.1780:
	s_cmp_gt_i32 s19, 22
	s_mov_b64 s[2:3], -1
	s_cbranch_scc0 .LBB38_1812
; %bb.1781:
	s_cmp_lt_i32 s19, 24
	s_cbranch_scc1 .LBB38_1801
; %bb.1782:
	s_cmp_gt_i32 s19, 24
	s_cbranch_scc0 .LBB38_1790
; %bb.1783:
	v_bfe_i32 v5, v4, 0, 8
	v_cvt_f32_i32_sdwa v5, sext(v5) dst_sel:DWORD dst_unused:UNUSED_PAD src0_sel:WORD_0
	s_mov_b32 s2, 0x47800000
	v_mov_b32_e32 v7, 0x80
	v_and_b32_e32 v6, 0x7fffffff, v5
	v_cmp_gt_u32_e32 vcc, s2, v6
	s_and_saveexec_b64 s[2:3], vcc
	s_cbranch_execz .LBB38_1789
; %bb.1784:
	s_mov_b32 s4, 0x37ffffff
	v_cmp_lt_u32_e32 vcc, s4, v6
	s_mov_b64 s[4:5], 0
                                        ; implicit-def: $vgpr6
	s_and_saveexec_b64 s[10:11], vcc
	s_xor_b64 s[10:11], exec, s[10:11]
	s_cbranch_execz .LBB38_2000
; %bb.1785:
	v_bfe_u32 v6, v5, 21, 1
	s_mov_b32 s12, 0x88fffff
	v_add3_u32 v6, v5, v6, s12
	s_mov_b64 s[4:5], exec
	v_lshrrev_b32_e32 v6, 21, v6
	s_andn2_saveexec_b64 s[10:11], s[10:11]
	s_cbranch_execnz .LBB38_2001
.LBB38_1786:
	s_or_b64 exec, exec, s[10:11]
	v_mov_b32_e32 v7, 0
	s_and_saveexec_b64 s[10:11], s[4:5]
.LBB38_1787:
	v_lshrrev_b32_e32 v5, 24, v5
	s_movk_i32 s4, 0x80
	v_and_or_b32 v7, v5, s4, v6
.LBB38_1788:
	s_or_b64 exec, exec, s[10:11]
.LBB38_1789:
	s_or_b64 exec, exec, s[2:3]
	s_mov_b64 s[2:3], 0
	global_store_byte v[1:2], v7, off
.LBB38_1790:
	s_and_b64 vcc, exec, s[2:3]
	s_cbranch_vccz .LBB38_1800
; %bb.1791:
	v_bfe_i32 v5, v4, 0, 8
	v_cvt_f32_i32_sdwa v5, sext(v5) dst_sel:DWORD dst_unused:UNUSED_PAD src0_sel:WORD_0
	s_mov_b32 s2, 0x43f00000
                                        ; implicit-def: $vgpr6
	v_and_b32_e32 v7, 0x7fffffff, v5
	v_cmp_gt_u32_e32 vcc, s2, v7
	s_and_saveexec_b64 s[2:3], vcc
	s_xor_b64 s[2:3], exec, s[2:3]
	s_cbranch_execz .LBB38_1797
; %bb.1792:
	s_mov_b32 s4, 0x3c7fffff
	v_cmp_lt_u32_e32 vcc, s4, v7
                                        ; implicit-def: $vgpr6
	s_and_saveexec_b64 s[4:5], vcc
	s_xor_b64 s[4:5], exec, s[4:5]
; %bb.1793:
	v_bfe_u32 v6, v5, 20, 1
	s_mov_b32 s10, 0x407ffff
	v_add3_u32 v6, v5, v6, s10
	v_lshrrev_b32_e32 v7, 20, v6
	v_and_b32_e32 v6, 0xff00000, v6
	s_mov_b32 s10, 0x7f00000
	v_mov_b32_e32 v8, 0x7e
	v_cmp_ne_u32_e32 vcc, s10, v6
	v_cndmask_b32_e32 v6, v8, v7, vcc
; %bb.1794:
	s_andn2_saveexec_b64 s[4:5], s[4:5]
; %bb.1795:
	s_mov_b32 s10, 0x46800000
	v_add_f32_e64 v6, |v5|, s10
; %bb.1796:
	s_or_b64 exec, exec, s[4:5]
                                        ; implicit-def: $vgpr7
.LBB38_1797:
	s_andn2_saveexec_b64 s[2:3], s[2:3]
; %bb.1798:
	s_mov_b32 s4, 0x7f800000
	v_mov_b32_e32 v6, 0x7e
	v_mov_b32_e32 v8, 0x7f
	v_cmp_lt_u32_e32 vcc, s4, v7
	v_cndmask_b32_e32 v6, v6, v8, vcc
; %bb.1799:
	s_or_b64 exec, exec, s[2:3]
	v_lshrrev_b32_e32 v5, 24, v5
	s_movk_i32 s2, 0x80
	v_and_or_b32 v5, v5, s2, v6
	global_store_byte v[1:2], v5, off
.LBB38_1800:
	s_mov_b64 s[2:3], 0
.LBB38_1801:
	s_andn2_b64 vcc, exec, s[2:3]
	s_cbranch_vccnz .LBB38_1811
; %bb.1802:
	v_bfe_i32 v5, v4, 0, 8
	v_cvt_f32_i32_sdwa v5, sext(v5) dst_sel:DWORD dst_unused:UNUSED_PAD src0_sel:WORD_0
	s_mov_b32 s2, 0x47800000
                                        ; implicit-def: $vgpr6
	v_and_b32_e32 v7, 0x7fffffff, v5
	v_cmp_gt_u32_e32 vcc, s2, v7
	s_and_saveexec_b64 s[2:3], vcc
	s_xor_b64 s[2:3], exec, s[2:3]
	s_cbranch_execz .LBB38_1808
; %bb.1803:
	s_mov_b32 s4, 0x387fffff
	v_cmp_lt_u32_e32 vcc, s4, v7
                                        ; implicit-def: $vgpr6
	s_and_saveexec_b64 s[4:5], vcc
	s_xor_b64 s[4:5], exec, s[4:5]
; %bb.1804:
	v_bfe_u32 v6, v5, 21, 1
	s_mov_b32 s10, 0x80fffff
	v_add3_u32 v6, v5, v6, s10
	v_lshrrev_b32_e32 v6, 21, v6
; %bb.1805:
	s_andn2_saveexec_b64 s[4:5], s[4:5]
; %bb.1806:
	s_mov_b32 s10, 0x43000000
	v_add_f32_e64 v6, |v5|, s10
; %bb.1807:
	s_or_b64 exec, exec, s[4:5]
                                        ; implicit-def: $vgpr7
.LBB38_1808:
	s_andn2_saveexec_b64 s[2:3], s[2:3]
; %bb.1809:
	s_mov_b32 s4, 0x7f800000
	v_mov_b32_e32 v6, 0x7c
	v_mov_b32_e32 v8, 0x7f
	v_cmp_lt_u32_e32 vcc, s4, v7
	v_cndmask_b32_e32 v6, v6, v8, vcc
; %bb.1810:
	s_or_b64 exec, exec, s[2:3]
	v_lshrrev_b32_e32 v5, 24, v5
	s_movk_i32 s2, 0x80
	v_and_or_b32 v5, v5, s2, v6
	global_store_byte v[1:2], v5, off
.LBB38_1811:
	s_mov_b64 s[2:3], 0
	s_mov_b64 s[4:5], -1
.LBB38_1812:
	s_andn2_b64 vcc, exec, s[2:3]
	s_mov_b64 s[2:3], 0
	s_cbranch_vccnz .LBB38_1819
; %bb.1813:
	s_cmp_gt_i32 s19, 14
	s_mov_b64 s[10:11], -1
	s_cbranch_scc0 .LBB38_1817
; %bb.1814:
	s_cmp_eq_u32 s19, 15
	s_mov_b64 s[0:1], -1
	s_cbranch_scc0 .LBB38_1816
; %bb.1815:
	v_bfe_i32 v5, v4, 0, 8
	v_cvt_f32_i32_sdwa v5, sext(v5) dst_sel:DWORD dst_unused:UNUSED_PAD src0_sel:WORD_0
	s_movk_i32 s2, 0x7fff
	s_mov_b64 s[0:1], 0
	s_mov_b64 s[4:5], -1
	v_bfe_u32 v6, v5, 16, 1
	v_add3_u32 v5, v5, v6, s2
	global_store_short_d16_hi v[1:2], v5, off
.LBB38_1816:
	s_mov_b64 s[10:11], 0
.LBB38_1817:
	s_mov_b64 s[2:3], 0
	s_and_b64 vcc, exec, s[10:11]
	s_cbranch_vccz .LBB38_1819
; %bb.1818:
	s_cmp_lg_u32 s19, 11
	s_mov_b64 s[2:3], -1
	s_cselect_b64 s[0:1], -1, 0
.LBB38_1819:
	s_and_b64 vcc, exec, s[0:1]
	s_cbranch_vccnz .LBB38_1999
; %bb.1820:
	s_andn2_b64 vcc, exec, s[2:3]
	s_cbranch_vccnz .LBB38_1822
.LBB38_1821:
	v_mov_b32_e32 v5, 0
	v_cmp_ne_u16_sdwa s[0:1], v4, v5 src0_sel:BYTE_0 src1_sel:DWORD
	v_cndmask_b32_e64 v5, 0, 1, s[0:1]
	s_mov_b64 s[4:5], -1
	global_store_byte v[1:2], v5, off
.LBB38_1822:
	s_mov_b64 s[0:1], 0
	s_branch .LBB38_1824
.LBB38_1823:
	s_mov_b64 s[0:1], -1
	s_mov_b64 s[4:5], 0
.LBB38_1824:
	s_and_b64 vcc, exec, s[0:1]
	s_cbranch_vccz .LBB38_1863
; %bb.1825:
	s_and_b32 s2, 0xffff, s20
	s_cmp_lt_i32 s2, 5
	s_mov_b64 s[0:1], -1
	s_cbranch_scc1 .LBB38_1846
; %bb.1826:
	s_cmp_lt_i32 s2, 8
	s_cbranch_scc1 .LBB38_1836
; %bb.1827:
	s_cmp_lt_i32 s2, 9
	s_cbranch_scc1 .LBB38_1833
; %bb.1828:
	s_cmp_gt_i32 s2, 9
	s_cbranch_scc0 .LBB38_1830
; %bb.1829:
	v_bfe_i32 v5, v4, 0, 8
	v_bfe_i32 v5, v5, 0, 16
	v_cvt_f64_i32_e32 v[5:6], v5
	v_mov_b32_e32 v7, 0
	v_mov_b32_e32 v8, v7
	s_mov_b64 s[0:1], 0
	global_store_dwordx4 v[1:2], v[5:8], off
.LBB38_1830:
	s_andn2_b64 vcc, exec, s[0:1]
	s_cbranch_vccnz .LBB38_1832
; %bb.1831:
	v_bfe_i32 v5, v4, 0, 8
	v_cvt_f32_i32_sdwa v5, sext(v5) dst_sel:DWORD dst_unused:UNUSED_PAD src0_sel:WORD_0
	v_mov_b32_e32 v6, 0
	global_store_dwordx2 v[1:2], v[5:6], off
.LBB38_1832:
	s_mov_b64 s[0:1], 0
.LBB38_1833:
	s_andn2_b64 vcc, exec, s[0:1]
	s_cbranch_vccnz .LBB38_1835
; %bb.1834:
	v_cvt_f16_i16_sdwa v5, sext(v4) dst_sel:DWORD dst_unused:UNUSED_PAD src0_sel:BYTE_0
	global_store_dword v[1:2], v5, off
.LBB38_1835:
	s_mov_b64 s[0:1], 0
.LBB38_1836:
	s_andn2_b64 vcc, exec, s[0:1]
	s_cbranch_vccnz .LBB38_1845
; %bb.1837:
	s_cmp_lt_i32 s2, 6
	s_mov_b64 s[0:1], -1
	s_cbranch_scc1 .LBB38_1843
; %bb.1838:
	s_cmp_gt_i32 s2, 6
	s_cbranch_scc0 .LBB38_1840
; %bb.1839:
	v_bfe_i32 v5, v4, 0, 8
	v_bfe_i32 v5, v5, 0, 16
	v_cvt_f64_i32_e32 v[5:6], v5
	s_mov_b64 s[0:1], 0
	global_store_dwordx2 v[1:2], v[5:6], off
.LBB38_1840:
	s_andn2_b64 vcc, exec, s[0:1]
	s_cbranch_vccnz .LBB38_1842
; %bb.1841:
	v_bfe_i32 v5, v4, 0, 8
	v_cvt_f32_i32_sdwa v5, sext(v5) dst_sel:DWORD dst_unused:UNUSED_PAD src0_sel:WORD_0
	global_store_dword v[1:2], v5, off
.LBB38_1842:
	s_mov_b64 s[0:1], 0
.LBB38_1843:
	s_andn2_b64 vcc, exec, s[0:1]
	s_cbranch_vccnz .LBB38_1845
; %bb.1844:
	v_cvt_f16_i16_sdwa v5, sext(v4) dst_sel:DWORD dst_unused:UNUSED_PAD src0_sel:BYTE_0
	global_store_short v[1:2], v5, off
.LBB38_1845:
	s_mov_b64 s[0:1], 0
.LBB38_1846:
	s_andn2_b64 vcc, exec, s[0:1]
	s_cbranch_vccnz .LBB38_1862
; %bb.1847:
	s_cmp_lt_i32 s2, 2
	s_mov_b64 s[0:1], -1
	s_cbranch_scc1 .LBB38_1857
; %bb.1848:
	s_cmp_lt_i32 s2, 3
	s_cbranch_scc1 .LBB38_1854
; %bb.1849:
	s_cmp_gt_i32 s2, 3
	s_cbranch_scc0 .LBB38_1851
; %bb.1850:
	v_bfe_i32 v5, v4, 0, 8
	v_ashrrev_i32_e32 v6, 31, v5
	global_store_dwordx2 v[1:2], v[5:6], off
	s_mov_b64 s[0:1], 0
.LBB38_1851:
	s_andn2_b64 vcc, exec, s[0:1]
	s_cbranch_vccnz .LBB38_1853
; %bb.1852:
	v_bfe_i32 v5, v4, 0, 8
	global_store_dword v[1:2], v5, off
.LBB38_1853:
	s_mov_b64 s[0:1], 0
.LBB38_1854:
	s_andn2_b64 vcc, exec, s[0:1]
	s_cbranch_vccnz .LBB38_1856
; %bb.1855:
	v_bfe_i32 v5, v4, 0, 8
	global_store_short v[1:2], v5, off
.LBB38_1856:
	s_mov_b64 s[0:1], 0
.LBB38_1857:
	s_andn2_b64 vcc, exec, s[0:1]
	s_cbranch_vccnz .LBB38_1862
; %bb.1858:
	s_cmp_gt_i32 s2, 0
	s_mov_b64 s[0:1], -1
	s_cbranch_scc0 .LBB38_1860
; %bb.1859:
	global_store_byte v[1:2], v4, off
	s_mov_b64 s[0:1], 0
.LBB38_1860:
	s_andn2_b64 vcc, exec, s[0:1]
	s_cbranch_vccnz .LBB38_1862
; %bb.1861:
	global_store_byte v[1:2], v4, off
.LBB38_1862:
	s_mov_b64 s[4:5], -1
.LBB38_1863:
	s_andn2_b64 vcc, exec, s[4:5]
	s_cbranch_vccnz .LBB38_1940
; %bb.1864:
	v_mov_b32_e32 v1, s46
	v_mov_b32_e32 v2, s47
	v_cmp_gt_i16_sdwa vcc, sext(v0), s33 src0_sel:BYTE_0 src1_sel:DWORD
	v_add_u32_e32 v0, s18, v3
	v_cndmask_b32_e32 v2, v1, v2, vcc
	v_ashrrev_i32_e32 v1, 31, v0
	v_mov_b32_e32 v3, s9
	v_add_co_u32_e32 v0, vcc, s8, v0
	s_cmp_lt_i32 s20, 11
	v_addc_co_u32_e32 v1, vcc, v3, v1, vcc
	s_cbranch_scc1 .LBB38_1985
; %bb.1865:
	s_and_b32 s12, 0xffff, s20
	s_mov_b64 s[4:5], -1
	s_mov_b64 s[2:3], 0
	s_cmp_gt_i32 s12, 25
	s_mov_b64 s[0:1], 0
	s_cbranch_scc0 .LBB38_1898
; %bb.1866:
	s_cmp_gt_i32 s12, 28
	s_cbranch_scc0 .LBB38_1882
; %bb.1867:
	s_cmp_gt_i32 s12, 43
	;; [unrolled: 3-line block ×3, first 2 shown]
	s_cbranch_scc0 .LBB38_1872
; %bb.1869:
	s_cmp_eq_u32 s12, 46
	s_mov_b64 s[0:1], -1
	s_cbranch_scc0 .LBB38_1871
; %bb.1870:
	v_bfe_i32 v3, v2, 0, 8
	v_cvt_f32_i32_sdwa v3, sext(v3) dst_sel:DWORD dst_unused:UNUSED_PAD src0_sel:WORD_0
	s_movk_i32 s0, 0x7fff
	v_bfe_u32 v4, v3, 16, 1
	v_add3_u32 v3, v3, v4, s0
	v_lshrrev_b32_e32 v3, 16, v3
	global_store_dword v[0:1], v3, off
	s_mov_b64 s[0:1], 0
.LBB38_1871:
	s_mov_b64 s[4:5], 0
.LBB38_1872:
	s_and_b64 vcc, exec, s[4:5]
	s_cbranch_vccz .LBB38_1877
; %bb.1873:
	s_cmp_eq_u32 s12, 44
	s_mov_b64 s[0:1], -1
	s_cbranch_scc0 .LBB38_1877
; %bb.1874:
	v_bfe_i32 v3, v2, 0, 8
	v_cvt_f32_i32_sdwa v3, sext(v3) dst_sel:DWORD dst_unused:UNUSED_PAD src0_sel:WORD_0
	s_movk_i32 s0, 0xff
	v_mov_b32_e32 v5, 0xff
	v_bfe_u32 v4, v3, 23, 8
	v_cmp_ne_u32_e32 vcc, s0, v4
	s_and_saveexec_b64 s[4:5], vcc
; %bb.1875:
	s_mov_b32 s0, 0x3fffff
	v_lshrrev_b32_e32 v5, 23, v3
	v_and_b32_e32 v6, 0x400000, v3
	v_and_or_b32 v3, v3, s0, v4
	v_cmp_ne_u32_e32 vcc, 0, v6
	v_cmp_ne_u32_e64 s[0:1], 0, v3
	s_and_b64 s[0:1], vcc, s[0:1]
	v_cndmask_b32_e64 v3, 0, 1, s[0:1]
	v_add_u32_e32 v5, v5, v3
; %bb.1876:
	s_or_b64 exec, exec, s[4:5]
	s_mov_b64 s[0:1], 0
	global_store_byte v[0:1], v5, off
.LBB38_1877:
	s_mov_b64 s[4:5], 0
.LBB38_1878:
	s_and_b64 vcc, exec, s[4:5]
	s_cbranch_vccz .LBB38_1881
; %bb.1879:
	s_cmp_eq_u32 s12, 29
	s_mov_b64 s[0:1], -1
	s_cbranch_scc0 .LBB38_1881
; %bb.1880:
	v_bfe_i32 v3, v2, 0, 8
	v_ashrrev_i32_e32 v4, 31, v3
	global_store_dwordx2 v[0:1], v[3:4], off
	s_mov_b64 s[0:1], 0
.LBB38_1881:
	s_mov_b64 s[4:5], 0
.LBB38_1882:
	s_and_b64 vcc, exec, s[4:5]
	s_cbranch_vccz .LBB38_1897
; %bb.1883:
	s_cmp_lt_i32 s12, 27
	s_mov_b64 s[4:5], -1
	s_cbranch_scc1 .LBB38_1889
; %bb.1884:
	s_cmp_gt_i32 s12, 27
	s_cbranch_scc0 .LBB38_1886
; %bb.1885:
	v_bfe_i32 v3, v2, 0, 8
	global_store_dword v[0:1], v3, off
	s_mov_b64 s[4:5], 0
.LBB38_1886:
	s_andn2_b64 vcc, exec, s[4:5]
	s_cbranch_vccnz .LBB38_1888
; %bb.1887:
	v_bfe_i32 v3, v2, 0, 8
	global_store_short v[0:1], v3, off
.LBB38_1888:
	s_mov_b64 s[4:5], 0
.LBB38_1889:
	s_andn2_b64 vcc, exec, s[4:5]
	s_cbranch_vccnz .LBB38_1897
; %bb.1890:
	v_bfe_i32 v3, v2, 0, 8
	v_cvt_f32_i32_sdwa v3, sext(v3) dst_sel:DWORD dst_unused:UNUSED_PAD src0_sel:WORD_0
	s_mov_b32 s4, 0x43800000
	v_mov_b32_e32 v5, 0x80
	v_and_b32_e32 v4, 0x7fffffff, v3
	v_cmp_gt_u32_e32 vcc, s4, v4
	s_and_saveexec_b64 s[4:5], vcc
	s_cbranch_execz .LBB38_1896
; %bb.1891:
	s_mov_b32 s8, 0x3bffffff
	v_cmp_lt_u32_e32 vcc, s8, v4
	s_mov_b64 s[8:9], 0
                                        ; implicit-def: $vgpr4
	s_and_saveexec_b64 s[10:11], vcc
	s_xor_b64 s[10:11], exec, s[10:11]
	s_cbranch_execz .LBB38_2002
; %bb.1892:
	v_bfe_u32 v4, v3, 20, 1
	s_mov_b32 s13, 0x487ffff
	v_add3_u32 v4, v3, v4, s13
	s_mov_b64 s[8:9], exec
	v_lshrrev_b32_e32 v4, 20, v4
	s_andn2_saveexec_b64 s[10:11], s[10:11]
	s_cbranch_execnz .LBB38_2003
.LBB38_1893:
	s_or_b64 exec, exec, s[10:11]
	v_mov_b32_e32 v5, 0
	s_and_saveexec_b64 s[10:11], s[8:9]
.LBB38_1894:
	v_lshrrev_b32_e32 v3, 24, v3
	s_movk_i32 s8, 0x80
	v_and_or_b32 v5, v3, s8, v4
.LBB38_1895:
	s_or_b64 exec, exec, s[10:11]
.LBB38_1896:
	s_or_b64 exec, exec, s[4:5]
	global_store_byte v[0:1], v5, off
.LBB38_1897:
	s_mov_b64 s[4:5], 0
.LBB38_1898:
	s_and_b64 vcc, exec, s[4:5]
	s_cbranch_vccz .LBB38_1938
; %bb.1899:
	s_cmp_gt_i32 s12, 22
	s_mov_b64 s[2:3], -1
	s_cbranch_scc0 .LBB38_1931
; %bb.1900:
	s_cmp_lt_i32 s12, 24
	s_cbranch_scc1 .LBB38_1920
; %bb.1901:
	s_cmp_gt_i32 s12, 24
	s_cbranch_scc0 .LBB38_1909
; %bb.1902:
	v_bfe_i32 v3, v2, 0, 8
	v_cvt_f32_i32_sdwa v3, sext(v3) dst_sel:DWORD dst_unused:UNUSED_PAD src0_sel:WORD_0
	s_mov_b32 s2, 0x47800000
	v_mov_b32_e32 v5, 0x80
	v_and_b32_e32 v4, 0x7fffffff, v3
	v_cmp_gt_u32_e32 vcc, s2, v4
	s_and_saveexec_b64 s[2:3], vcc
	s_cbranch_execz .LBB38_1908
; %bb.1903:
	s_mov_b32 s4, 0x37ffffff
	v_cmp_lt_u32_e32 vcc, s4, v4
	s_mov_b64 s[4:5], 0
                                        ; implicit-def: $vgpr4
	s_and_saveexec_b64 s[8:9], vcc
	s_xor_b64 s[8:9], exec, s[8:9]
	s_cbranch_execz .LBB38_2005
; %bb.1904:
	v_bfe_u32 v4, v3, 21, 1
	s_mov_b32 s10, 0x88fffff
	v_add3_u32 v4, v3, v4, s10
	s_mov_b64 s[4:5], exec
	v_lshrrev_b32_e32 v4, 21, v4
	s_andn2_saveexec_b64 s[8:9], s[8:9]
	s_cbranch_execnz .LBB38_2006
.LBB38_1905:
	s_or_b64 exec, exec, s[8:9]
	v_mov_b32_e32 v5, 0
	s_and_saveexec_b64 s[8:9], s[4:5]
.LBB38_1906:
	v_lshrrev_b32_e32 v3, 24, v3
	s_movk_i32 s4, 0x80
	v_and_or_b32 v5, v3, s4, v4
.LBB38_1907:
	s_or_b64 exec, exec, s[8:9]
.LBB38_1908:
	s_or_b64 exec, exec, s[2:3]
	s_mov_b64 s[2:3], 0
	global_store_byte v[0:1], v5, off
.LBB38_1909:
	s_and_b64 vcc, exec, s[2:3]
	s_cbranch_vccz .LBB38_1919
; %bb.1910:
	v_bfe_i32 v3, v2, 0, 8
	v_cvt_f32_i32_sdwa v3, sext(v3) dst_sel:DWORD dst_unused:UNUSED_PAD src0_sel:WORD_0
	s_mov_b32 s2, 0x43f00000
                                        ; implicit-def: $vgpr4
	v_and_b32_e32 v5, 0x7fffffff, v3
	v_cmp_gt_u32_e32 vcc, s2, v5
	s_and_saveexec_b64 s[2:3], vcc
	s_xor_b64 s[2:3], exec, s[2:3]
	s_cbranch_execz .LBB38_1916
; %bb.1911:
	s_mov_b32 s4, 0x3c7fffff
	v_cmp_lt_u32_e32 vcc, s4, v5
                                        ; implicit-def: $vgpr4
	s_and_saveexec_b64 s[4:5], vcc
	s_xor_b64 s[4:5], exec, s[4:5]
; %bb.1912:
	v_bfe_u32 v4, v3, 20, 1
	s_mov_b32 s8, 0x407ffff
	v_add3_u32 v4, v3, v4, s8
	v_lshrrev_b32_e32 v5, 20, v4
	v_and_b32_e32 v4, 0xff00000, v4
	s_mov_b32 s8, 0x7f00000
	v_mov_b32_e32 v6, 0x7e
	v_cmp_ne_u32_e32 vcc, s8, v4
	v_cndmask_b32_e32 v4, v6, v5, vcc
; %bb.1913:
	s_andn2_saveexec_b64 s[4:5], s[4:5]
; %bb.1914:
	s_mov_b32 s8, 0x46800000
	v_add_f32_e64 v4, |v3|, s8
; %bb.1915:
	s_or_b64 exec, exec, s[4:5]
                                        ; implicit-def: $vgpr5
.LBB38_1916:
	s_andn2_saveexec_b64 s[2:3], s[2:3]
; %bb.1917:
	s_mov_b32 s4, 0x7f800000
	v_mov_b32_e32 v4, 0x7e
	v_mov_b32_e32 v6, 0x7f
	v_cmp_lt_u32_e32 vcc, s4, v5
	v_cndmask_b32_e32 v4, v4, v6, vcc
; %bb.1918:
	s_or_b64 exec, exec, s[2:3]
	v_lshrrev_b32_e32 v3, 24, v3
	s_movk_i32 s2, 0x80
	v_and_or_b32 v3, v3, s2, v4
	global_store_byte v[0:1], v3, off
.LBB38_1919:
	s_mov_b64 s[2:3], 0
.LBB38_1920:
	s_andn2_b64 vcc, exec, s[2:3]
	s_cbranch_vccnz .LBB38_1930
; %bb.1921:
	v_bfe_i32 v3, v2, 0, 8
	v_cvt_f32_i32_sdwa v3, sext(v3) dst_sel:DWORD dst_unused:UNUSED_PAD src0_sel:WORD_0
	s_mov_b32 s2, 0x47800000
                                        ; implicit-def: $vgpr4
	v_and_b32_e32 v5, 0x7fffffff, v3
	v_cmp_gt_u32_e32 vcc, s2, v5
	s_and_saveexec_b64 s[2:3], vcc
	s_xor_b64 s[2:3], exec, s[2:3]
	s_cbranch_execz .LBB38_1927
; %bb.1922:
	s_mov_b32 s4, 0x387fffff
	v_cmp_lt_u32_e32 vcc, s4, v5
                                        ; implicit-def: $vgpr4
	s_and_saveexec_b64 s[4:5], vcc
	s_xor_b64 s[4:5], exec, s[4:5]
; %bb.1923:
	v_bfe_u32 v4, v3, 21, 1
	s_mov_b32 s8, 0x80fffff
	v_add3_u32 v4, v3, v4, s8
	v_lshrrev_b32_e32 v4, 21, v4
; %bb.1924:
	s_andn2_saveexec_b64 s[4:5], s[4:5]
; %bb.1925:
	s_mov_b32 s8, 0x43000000
	v_add_f32_e64 v4, |v3|, s8
; %bb.1926:
	s_or_b64 exec, exec, s[4:5]
                                        ; implicit-def: $vgpr5
.LBB38_1927:
	s_andn2_saveexec_b64 s[2:3], s[2:3]
; %bb.1928:
	s_mov_b32 s4, 0x7f800000
	v_mov_b32_e32 v4, 0x7c
	v_mov_b32_e32 v6, 0x7f
	v_cmp_lt_u32_e32 vcc, s4, v5
	v_cndmask_b32_e32 v4, v4, v6, vcc
; %bb.1929:
	s_or_b64 exec, exec, s[2:3]
	v_lshrrev_b32_e32 v3, 24, v3
	s_movk_i32 s2, 0x80
	v_and_or_b32 v3, v3, s2, v4
	global_store_byte v[0:1], v3, off
.LBB38_1930:
	s_mov_b64 s[2:3], 0
.LBB38_1931:
	s_andn2_b64 vcc, exec, s[2:3]
	s_mov_b64 s[2:3], 0
	s_cbranch_vccnz .LBB38_1938
; %bb.1932:
	s_cmp_gt_i32 s12, 14
	s_mov_b64 s[4:5], -1
	s_cbranch_scc0 .LBB38_1936
; %bb.1933:
	s_cmp_eq_u32 s12, 15
	s_mov_b64 s[0:1], -1
	s_cbranch_scc0 .LBB38_1935
; %bb.1934:
	v_bfe_i32 v3, v2, 0, 8
	v_cvt_f32_i32_sdwa v3, sext(v3) dst_sel:DWORD dst_unused:UNUSED_PAD src0_sel:WORD_0
	s_movk_i32 s0, 0x7fff
	v_bfe_u32 v4, v3, 16, 1
	v_add3_u32 v3, v3, v4, s0
	global_store_short_d16_hi v[0:1], v3, off
	s_mov_b64 s[0:1], 0
.LBB38_1935:
	s_mov_b64 s[4:5], 0
.LBB38_1936:
	s_and_b64 vcc, exec, s[4:5]
	s_cbranch_vccz .LBB38_1938
; %bb.1937:
	s_cmp_lg_u32 s12, 11
	s_mov_b64 s[2:3], -1
	s_cselect_b64 s[0:1], -1, 0
.LBB38_1938:
	s_and_b64 vcc, exec, s[0:1]
	s_cbranch_vccnz .LBB38_2004
.LBB38_1939:
	s_mov_b64 s[0:1], 0
	s_branch .LBB38_1941
.LBB38_1940:
	s_mov_b64 s[0:1], 0
	s_mov_b64 s[2:3], 0
                                        ; implicit-def: $sgpr20
                                        ; implicit-def: $vgpr0_vgpr1
                                        ; implicit-def: $vgpr2
.LBB38_1941:
	s_and_b64 s[4:5], s[2:3], exec
	s_andn2_b64 s[2:3], s[16:17], exec
	s_and_b64 s[8:9], s[14:15], exec
	s_and_b64 s[0:1], s[0:1], exec
	s_or_b64 s[16:17], s[2:3], s[8:9]
.LBB38_1942:
	s_or_b64 exec, exec, s[6:7]
	s_and_saveexec_b64 s[2:3], s[16:17]
	s_cbranch_execz .LBB38_1945
; %bb.1943:
	; divergent unreachable
	s_or_b64 exec, exec, s[2:3]
	s_and_saveexec_b64 s[2:3], s[4:5]
	s_xor_b64 s[2:3], exec, s[2:3]
	s_cbranch_execnz .LBB38_1946
.LBB38_1944:
	s_or_b64 exec, exec, s[2:3]
	s_and_saveexec_b64 s[2:3], s[0:1]
	s_cbranch_execnz .LBB38_1947
	s_branch .LBB38_1984
.LBB38_1945:
	s_or_b64 exec, exec, s[2:3]
	s_and_saveexec_b64 s[2:3], s[4:5]
	s_xor_b64 s[2:3], exec, s[2:3]
	s_cbranch_execz .LBB38_1944
.LBB38_1946:
	s_waitcnt vmcnt(0)
	v_mov_b32_e32 v3, 0
	v_cmp_ne_u16_sdwa s[4:5], v2, v3 src0_sel:BYTE_0 src1_sel:DWORD
	v_cndmask_b32_e64 v3, 0, 1, s[4:5]
	global_store_byte v[0:1], v3, off
	s_or_b64 exec, exec, s[2:3]
	s_and_saveexec_b64 s[2:3], s[0:1]
	s_cbranch_execz .LBB38_1984
.LBB38_1947:
	s_sext_i32_i16 s2, s20
	s_cmp_lt_i32 s2, 5
	s_mov_b64 s[0:1], -1
	s_cbranch_scc1 .LBB38_1968
; %bb.1948:
	s_cmp_lt_i32 s2, 8
	s_cbranch_scc1 .LBB38_1958
; %bb.1949:
	s_cmp_lt_i32 s2, 9
	s_cbranch_scc1 .LBB38_1955
; %bb.1950:
	s_cmp_gt_i32 s2, 9
	s_cbranch_scc0 .LBB38_1952
; %bb.1951:
	s_waitcnt vmcnt(0)
	v_bfe_i32 v3, v2, 0, 8
	v_bfe_i32 v3, v3, 0, 16
	v_cvt_f64_i32_e32 v[3:4], v3
	v_mov_b32_e32 v5, 0
	v_mov_b32_e32 v6, v5
	s_mov_b64 s[0:1], 0
	global_store_dwordx4 v[0:1], v[3:6], off
.LBB38_1952:
	s_andn2_b64 vcc, exec, s[0:1]
	s_cbranch_vccnz .LBB38_1954
; %bb.1953:
	s_waitcnt vmcnt(0)
	v_bfe_i32 v3, v2, 0, 8
	v_cvt_f32_i32_sdwa v3, sext(v3) dst_sel:DWORD dst_unused:UNUSED_PAD src0_sel:WORD_0
	v_mov_b32_e32 v4, 0
	global_store_dwordx2 v[0:1], v[3:4], off
.LBB38_1954:
	s_mov_b64 s[0:1], 0
.LBB38_1955:
	s_andn2_b64 vcc, exec, s[0:1]
	s_cbranch_vccnz .LBB38_1957
; %bb.1956:
	s_waitcnt vmcnt(0)
	v_cvt_f16_i16_sdwa v3, sext(v2) dst_sel:DWORD dst_unused:UNUSED_PAD src0_sel:BYTE_0
	global_store_dword v[0:1], v3, off
.LBB38_1957:
	s_mov_b64 s[0:1], 0
.LBB38_1958:
	s_andn2_b64 vcc, exec, s[0:1]
	s_cbranch_vccnz .LBB38_1967
; %bb.1959:
	s_sext_i32_i16 s2, s20
	s_cmp_lt_i32 s2, 6
	s_mov_b64 s[0:1], -1
	s_cbranch_scc1 .LBB38_1965
; %bb.1960:
	s_cmp_gt_i32 s2, 6
	s_cbranch_scc0 .LBB38_1962
; %bb.1961:
	s_waitcnt vmcnt(0)
	v_bfe_i32 v3, v2, 0, 8
	v_bfe_i32 v3, v3, 0, 16
	v_cvt_f64_i32_e32 v[3:4], v3
	s_mov_b64 s[0:1], 0
	global_store_dwordx2 v[0:1], v[3:4], off
.LBB38_1962:
	s_andn2_b64 vcc, exec, s[0:1]
	s_cbranch_vccnz .LBB38_1964
; %bb.1963:
	s_waitcnt vmcnt(0)
	v_bfe_i32 v3, v2, 0, 8
	v_cvt_f32_i32_sdwa v3, sext(v3) dst_sel:DWORD dst_unused:UNUSED_PAD src0_sel:WORD_0
	global_store_dword v[0:1], v3, off
.LBB38_1964:
	s_mov_b64 s[0:1], 0
.LBB38_1965:
	s_andn2_b64 vcc, exec, s[0:1]
	s_cbranch_vccnz .LBB38_1967
; %bb.1966:
	s_waitcnt vmcnt(0)
	v_cvt_f16_i16_sdwa v3, sext(v2) dst_sel:DWORD dst_unused:UNUSED_PAD src0_sel:BYTE_0
	global_store_short v[0:1], v3, off
.LBB38_1967:
	s_mov_b64 s[0:1], 0
.LBB38_1968:
	s_andn2_b64 vcc, exec, s[0:1]
	s_cbranch_vccnz .LBB38_1984
; %bb.1969:
	s_sext_i32_i16 s2, s20
	s_cmp_lt_i32 s2, 2
	s_mov_b64 s[0:1], -1
	s_cbranch_scc1 .LBB38_1979
; %bb.1970:
	s_cmp_lt_i32 s2, 3
	s_cbranch_scc1 .LBB38_1976
; %bb.1971:
	s_cmp_gt_i32 s2, 3
	s_cbranch_scc0 .LBB38_1973
; %bb.1972:
	s_waitcnt vmcnt(0)
	v_bfe_i32 v3, v2, 0, 8
	v_ashrrev_i32_e32 v4, 31, v3
	global_store_dwordx2 v[0:1], v[3:4], off
	s_mov_b64 s[0:1], 0
.LBB38_1973:
	s_andn2_b64 vcc, exec, s[0:1]
	s_cbranch_vccnz .LBB38_1975
; %bb.1974:
	s_waitcnt vmcnt(0)
	v_bfe_i32 v3, v2, 0, 8
	global_store_dword v[0:1], v3, off
.LBB38_1975:
	s_mov_b64 s[0:1], 0
.LBB38_1976:
	s_andn2_b64 vcc, exec, s[0:1]
	s_cbranch_vccnz .LBB38_1978
; %bb.1977:
	s_waitcnt vmcnt(0)
	v_bfe_i32 v3, v2, 0, 8
	global_store_short v[0:1], v3, off
.LBB38_1978:
	s_mov_b64 s[0:1], 0
.LBB38_1979:
	s_andn2_b64 vcc, exec, s[0:1]
	s_cbranch_vccnz .LBB38_1984
; %bb.1980:
	s_sext_i32_i16 s0, s20
	s_cmp_gt_i32 s0, 0
	s_mov_b64 s[0:1], -1
	s_cbranch_scc0 .LBB38_1982
; %bb.1981:
	s_waitcnt vmcnt(0)
	global_store_byte v[0:1], v2, off
	s_mov_b64 s[0:1], 0
.LBB38_1982:
	s_andn2_b64 vcc, exec, s[0:1]
	s_cbranch_vccnz .LBB38_1984
; %bb.1983:
	s_waitcnt vmcnt(0)
	global_store_byte v[0:1], v2, off
	s_endpgm
.LBB38_1984:
	s_endpgm
.LBB38_1985:
	s_mov_b64 s[2:3], 0
	s_mov_b64 s[0:1], -1
	s_branch .LBB38_1941
.LBB38_1986:
	s_trap 2
	s_or_b64 s[14:15], s[14:15], exec
	s_cbranch_execz .LBB38_1455
	s_branch .LBB38_1456
.LBB38_1987:
	s_andn2_saveexec_b64 s[18:19], s[18:19]
	s_cbranch_execz .LBB38_1535
.LBB38_1988:
	s_mov_b32 s21, 0x46000000
	v_add_f32_e64 v8, |v7|, s21
	v_and_b32_e32 v8, 0xff, v8
	v_cmp_ne_u32_e32 vcc, 0, v8
	s_andn2_b64 s[10:11], s[10:11], exec
	s_and_b64 s[22:23], vcc, exec
	s_or_b64 s[10:11], s[10:11], s[22:23]
	s_or_b64 exec, exec, s[18:19]
	v_mov_b32_e32 v9, 0
	s_and_saveexec_b64 s[18:19], s[10:11]
	s_cbranch_execnz .LBB38_1536
	s_branch .LBB38_1537
.LBB38_1989:
	s_trap 2
	s_or_b64 s[14:15], s[14:15], exec
	s_cbranch_execz .LBB38_1583
	s_branch .LBB38_1584
.LBB38_1990:
	s_andn2_saveexec_b64 s[10:11], s[10:11]
	s_cbranch_execz .LBB38_1548
.LBB38_1991:
	s_mov_b32 s18, 0x42800000
	v_add_f32_e64 v8, |v7|, s18
	v_and_b32_e32 v8, 0xff, v8
	v_cmp_ne_u32_e32 vcc, 0, v8
	s_andn2_b64 s[4:5], s[4:5], exec
	s_and_b64 s[18:19], vcc, exec
	s_or_b64 s[4:5], s[4:5], s[18:19]
	s_or_b64 exec, exec, s[10:11]
	v_mov_b32_e32 v9, 0
	s_and_saveexec_b64 s[10:11], s[4:5]
	s_cbranch_execnz .LBB38_1549
	s_branch .LBB38_1550
.LBB38_1992:
	s_andn2_saveexec_b64 s[12:13], s[12:13]
	s_cbranch_execz .LBB38_1654
.LBB38_1993:
	s_mov_b32 s21, 0x46000000
	v_add_f32_e64 v7, |v6|, s21
	v_and_b32_e32 v7, 0xff, v7
	v_cmp_ne_u32_e32 vcc, 0, v7
	s_andn2_b64 s[10:11], s[10:11], exec
	s_and_b64 s[22:23], vcc, exec
	s_or_b64 s[10:11], s[10:11], s[22:23]
	s_or_b64 exec, exec, s[12:13]
	v_mov_b32_e32 v8, 0
	s_and_saveexec_b64 s[12:13], s[10:11]
	s_cbranch_execnz .LBB38_1655
	s_branch .LBB38_1656
.LBB38_1994:
	s_trap 2
	s_or_b64 s[14:15], s[14:15], exec
	s_cbranch_execz .LBB38_1702
	s_branch .LBB38_1703
.LBB38_1995:
	s_andn2_saveexec_b64 s[10:11], s[10:11]
	s_cbranch_execz .LBB38_1667
.LBB38_1996:
	s_mov_b32 s12, 0x42800000
	v_add_f32_e64 v7, |v6|, s12
	v_and_b32_e32 v7, 0xff, v7
	v_cmp_ne_u32_e32 vcc, 0, v7
	s_andn2_b64 s[4:5], s[4:5], exec
	s_and_b64 s[12:13], vcc, exec
	s_or_b64 s[4:5], s[4:5], s[12:13]
	s_or_b64 exec, exec, s[10:11]
	v_mov_b32_e32 v8, 0
	s_and_saveexec_b64 s[10:11], s[4:5]
	s_cbranch_execnz .LBB38_1668
	s_branch .LBB38_1669
.LBB38_1997:
	s_andn2_saveexec_b64 s[12:13], s[12:13]
	s_cbranch_execz .LBB38_1773
.LBB38_1998:
	s_mov_b32 s21, 0x46000000
	v_add_f32_e64 v6, |v5|, s21
	v_and_b32_e32 v6, 0xff, v6
	v_cmp_ne_u32_e32 vcc, 0, v6
	s_andn2_b64 s[10:11], s[10:11], exec
	s_and_b64 s[22:23], vcc, exec
	s_or_b64 s[10:11], s[10:11], s[22:23]
	s_or_b64 exec, exec, s[12:13]
	v_mov_b32_e32 v7, 0
	s_and_saveexec_b64 s[12:13], s[10:11]
	s_cbranch_execnz .LBB38_1774
	s_branch .LBB38_1775
.LBB38_1999:
	s_trap 2
	s_or_b64 s[14:15], s[14:15], exec
	s_cbranch_execz .LBB38_1821
	s_branch .LBB38_1822
.LBB38_2000:
	s_andn2_saveexec_b64 s[10:11], s[10:11]
	s_cbranch_execz .LBB38_1786
.LBB38_2001:
	s_mov_b32 s12, 0x42800000
	v_add_f32_e64 v6, |v5|, s12
	v_and_b32_e32 v6, 0xff, v6
	v_cmp_ne_u32_e32 vcc, 0, v6
	s_andn2_b64 s[4:5], s[4:5], exec
	s_and_b64 s[12:13], vcc, exec
	s_or_b64 s[4:5], s[4:5], s[12:13]
	s_or_b64 exec, exec, s[10:11]
	v_mov_b32_e32 v7, 0
	s_and_saveexec_b64 s[10:11], s[4:5]
	s_cbranch_execnz .LBB38_1787
	s_branch .LBB38_1788
.LBB38_2002:
	s_andn2_saveexec_b64 s[10:11], s[10:11]
	s_cbranch_execz .LBB38_1893
.LBB38_2003:
	s_mov_b32 s13, 0x46000000
	v_add_f32_e64 v4, |v3|, s13
	v_and_b32_e32 v4, 0xff, v4
	v_cmp_ne_u32_e32 vcc, 0, v4
	s_andn2_b64 s[8:9], s[8:9], exec
	s_and_b64 s[18:19], vcc, exec
	s_or_b64 s[8:9], s[8:9], s[18:19]
	s_or_b64 exec, exec, s[10:11]
	v_mov_b32_e32 v5, 0
	s_and_saveexec_b64 s[10:11], s[8:9]
	s_cbranch_execnz .LBB38_1894
	s_branch .LBB38_1895
.LBB38_2004:
	s_mov_b64 s[2:3], 0
	s_or_b64 s[14:15], s[14:15], exec
	s_trap 2
	s_branch .LBB38_1939
.LBB38_2005:
	s_andn2_saveexec_b64 s[8:9], s[8:9]
	s_cbranch_execz .LBB38_1905
.LBB38_2006:
	s_mov_b32 s10, 0x42800000
	v_add_f32_e64 v4, |v3|, s10
	v_and_b32_e32 v4, 0xff, v4
	v_cmp_ne_u32_e32 vcc, 0, v4
	s_andn2_b64 s[4:5], s[4:5], exec
	s_and_b64 s[10:11], vcc, exec
	s_or_b64 s[4:5], s[4:5], s[10:11]
	s_or_b64 exec, exec, s[8:9]
	v_mov_b32_e32 v5, 0
	s_and_saveexec_b64 s[8:9], s[4:5]
	s_cbranch_execnz .LBB38_1906
	s_branch .LBB38_1907
	.section	.rodata,"a",@progbits
	.p2align	6, 0x0
	.amdhsa_kernel _ZN2at6native32elementwise_kernel_manual_unrollILi128ELi4EZNS0_15gpu_kernel_implINS0_13BUnaryFunctorIaaaZNS0_12_GLOBAL__N_121threshold_kernel_implIaEEvRNS_18TensorIteratorBaseET_S8_EUlaaE_EEEEvS7_RKS8_EUlibE_EEviT1_
		.amdhsa_group_segment_fixed_size 0
		.amdhsa_private_segment_fixed_size 0
		.amdhsa_kernarg_size 40
		.amdhsa_user_sgpr_count 6
		.amdhsa_user_sgpr_private_segment_buffer 1
		.amdhsa_user_sgpr_dispatch_ptr 0
		.amdhsa_user_sgpr_queue_ptr 0
		.amdhsa_user_sgpr_kernarg_segment_ptr 1
		.amdhsa_user_sgpr_dispatch_id 0
		.amdhsa_user_sgpr_flat_scratch_init 0
		.amdhsa_user_sgpr_private_segment_size 0
		.amdhsa_uses_dynamic_stack 0
		.amdhsa_system_sgpr_private_segment_wavefront_offset 0
		.amdhsa_system_sgpr_workgroup_id_x 1
		.amdhsa_system_sgpr_workgroup_id_y 0
		.amdhsa_system_sgpr_workgroup_id_z 0
		.amdhsa_system_sgpr_workgroup_info 0
		.amdhsa_system_vgpr_workitem_id 0
		.amdhsa_next_free_vgpr 12
		.amdhsa_next_free_sgpr 48
		.amdhsa_reserve_vcc 1
		.amdhsa_reserve_flat_scratch 0
		.amdhsa_float_round_mode_32 0
		.amdhsa_float_round_mode_16_64 0
		.amdhsa_float_denorm_mode_32 3
		.amdhsa_float_denorm_mode_16_64 3
		.amdhsa_dx10_clamp 1
		.amdhsa_ieee_mode 1
		.amdhsa_fp16_overflow 0
		.amdhsa_exception_fp_ieee_invalid_op 0
		.amdhsa_exception_fp_denorm_src 0
		.amdhsa_exception_fp_ieee_div_zero 0
		.amdhsa_exception_fp_ieee_overflow 0
		.amdhsa_exception_fp_ieee_underflow 0
		.amdhsa_exception_fp_ieee_inexact 0
		.amdhsa_exception_int_div_zero 0
	.end_amdhsa_kernel
	.section	.text._ZN2at6native32elementwise_kernel_manual_unrollILi128ELi4EZNS0_15gpu_kernel_implINS0_13BUnaryFunctorIaaaZNS0_12_GLOBAL__N_121threshold_kernel_implIaEEvRNS_18TensorIteratorBaseET_S8_EUlaaE_EEEEvS7_RKS8_EUlibE_EEviT1_,"axG",@progbits,_ZN2at6native32elementwise_kernel_manual_unrollILi128ELi4EZNS0_15gpu_kernel_implINS0_13BUnaryFunctorIaaaZNS0_12_GLOBAL__N_121threshold_kernel_implIaEEvRNS_18TensorIteratorBaseET_S8_EUlaaE_EEEEvS7_RKS8_EUlibE_EEviT1_,comdat
.Lfunc_end38:
	.size	_ZN2at6native32elementwise_kernel_manual_unrollILi128ELi4EZNS0_15gpu_kernel_implINS0_13BUnaryFunctorIaaaZNS0_12_GLOBAL__N_121threshold_kernel_implIaEEvRNS_18TensorIteratorBaseET_S8_EUlaaE_EEEEvS7_RKS8_EUlibE_EEviT1_, .Lfunc_end38-_ZN2at6native32elementwise_kernel_manual_unrollILi128ELi4EZNS0_15gpu_kernel_implINS0_13BUnaryFunctorIaaaZNS0_12_GLOBAL__N_121threshold_kernel_implIaEEvRNS_18TensorIteratorBaseET_S8_EUlaaE_EEEEvS7_RKS8_EUlibE_EEviT1_
                                        ; -- End function
	.set _ZN2at6native32elementwise_kernel_manual_unrollILi128ELi4EZNS0_15gpu_kernel_implINS0_13BUnaryFunctorIaaaZNS0_12_GLOBAL__N_121threshold_kernel_implIaEEvRNS_18TensorIteratorBaseET_S8_EUlaaE_EEEEvS7_RKS8_EUlibE_EEviT1_.num_vgpr, 12
	.set _ZN2at6native32elementwise_kernel_manual_unrollILi128ELi4EZNS0_15gpu_kernel_implINS0_13BUnaryFunctorIaaaZNS0_12_GLOBAL__N_121threshold_kernel_implIaEEvRNS_18TensorIteratorBaseET_S8_EUlaaE_EEEEvS7_RKS8_EUlibE_EEviT1_.num_agpr, 0
	.set _ZN2at6native32elementwise_kernel_manual_unrollILi128ELi4EZNS0_15gpu_kernel_implINS0_13BUnaryFunctorIaaaZNS0_12_GLOBAL__N_121threshold_kernel_implIaEEvRNS_18TensorIteratorBaseET_S8_EUlaaE_EEEEvS7_RKS8_EUlibE_EEviT1_.numbered_sgpr, 48
	.set _ZN2at6native32elementwise_kernel_manual_unrollILi128ELi4EZNS0_15gpu_kernel_implINS0_13BUnaryFunctorIaaaZNS0_12_GLOBAL__N_121threshold_kernel_implIaEEvRNS_18TensorIteratorBaseET_S8_EUlaaE_EEEEvS7_RKS8_EUlibE_EEviT1_.num_named_barrier, 0
	.set _ZN2at6native32elementwise_kernel_manual_unrollILi128ELi4EZNS0_15gpu_kernel_implINS0_13BUnaryFunctorIaaaZNS0_12_GLOBAL__N_121threshold_kernel_implIaEEvRNS_18TensorIteratorBaseET_S8_EUlaaE_EEEEvS7_RKS8_EUlibE_EEviT1_.private_seg_size, 0
	.set _ZN2at6native32elementwise_kernel_manual_unrollILi128ELi4EZNS0_15gpu_kernel_implINS0_13BUnaryFunctorIaaaZNS0_12_GLOBAL__N_121threshold_kernel_implIaEEvRNS_18TensorIteratorBaseET_S8_EUlaaE_EEEEvS7_RKS8_EUlibE_EEviT1_.uses_vcc, 1
	.set _ZN2at6native32elementwise_kernel_manual_unrollILi128ELi4EZNS0_15gpu_kernel_implINS0_13BUnaryFunctorIaaaZNS0_12_GLOBAL__N_121threshold_kernel_implIaEEvRNS_18TensorIteratorBaseET_S8_EUlaaE_EEEEvS7_RKS8_EUlibE_EEviT1_.uses_flat_scratch, 0
	.set _ZN2at6native32elementwise_kernel_manual_unrollILi128ELi4EZNS0_15gpu_kernel_implINS0_13BUnaryFunctorIaaaZNS0_12_GLOBAL__N_121threshold_kernel_implIaEEvRNS_18TensorIteratorBaseET_S8_EUlaaE_EEEEvS7_RKS8_EUlibE_EEviT1_.has_dyn_sized_stack, 0
	.set _ZN2at6native32elementwise_kernel_manual_unrollILi128ELi4EZNS0_15gpu_kernel_implINS0_13BUnaryFunctorIaaaZNS0_12_GLOBAL__N_121threshold_kernel_implIaEEvRNS_18TensorIteratorBaseET_S8_EUlaaE_EEEEvS7_RKS8_EUlibE_EEviT1_.has_recursion, 0
	.set _ZN2at6native32elementwise_kernel_manual_unrollILi128ELi4EZNS0_15gpu_kernel_implINS0_13BUnaryFunctorIaaaZNS0_12_GLOBAL__N_121threshold_kernel_implIaEEvRNS_18TensorIteratorBaseET_S8_EUlaaE_EEEEvS7_RKS8_EUlibE_EEviT1_.has_indirect_call, 0
	.section	.AMDGPU.csdata,"",@progbits
; Kernel info:
; codeLenInByte = 31060
; TotalNumSgprs: 52
; NumVgprs: 12
; ScratchSize: 0
; MemoryBound: 1
; FloatMode: 240
; IeeeMode: 1
; LDSByteSize: 0 bytes/workgroup (compile time only)
; SGPRBlocks: 6
; VGPRBlocks: 2
; NumSGPRsForWavesPerEU: 52
; NumVGPRsForWavesPerEU: 12
; Occupancy: 10
; WaveLimiterHint : 0
; COMPUTE_PGM_RSRC2:SCRATCH_EN: 0
; COMPUTE_PGM_RSRC2:USER_SGPR: 6
; COMPUTE_PGM_RSRC2:TRAP_HANDLER: 0
; COMPUTE_PGM_RSRC2:TGID_X_EN: 1
; COMPUTE_PGM_RSRC2:TGID_Y_EN: 0
; COMPUTE_PGM_RSRC2:TGID_Z_EN: 0
; COMPUTE_PGM_RSRC2:TIDIG_COMP_CNT: 0
	.section	.text._ZN2at6native32elementwise_kernel_manual_unrollILi128ELi4EZNS0_15gpu_kernel_implINS0_13BUnaryFunctorIaaaZNS0_12_GLOBAL__N_121threshold_kernel_implIaEEvRNS_18TensorIteratorBaseET_S8_EUlaaE_EEEEvS7_RKS8_EUlibE0_EEviT1_,"axG",@progbits,_ZN2at6native32elementwise_kernel_manual_unrollILi128ELi4EZNS0_15gpu_kernel_implINS0_13BUnaryFunctorIaaaZNS0_12_GLOBAL__N_121threshold_kernel_implIaEEvRNS_18TensorIteratorBaseET_S8_EUlaaE_EEEEvS7_RKS8_EUlibE0_EEviT1_,comdat
	.globl	_ZN2at6native32elementwise_kernel_manual_unrollILi128ELi4EZNS0_15gpu_kernel_implINS0_13BUnaryFunctorIaaaZNS0_12_GLOBAL__N_121threshold_kernel_implIaEEvRNS_18TensorIteratorBaseET_S8_EUlaaE_EEEEvS7_RKS8_EUlibE0_EEviT1_ ; -- Begin function _ZN2at6native32elementwise_kernel_manual_unrollILi128ELi4EZNS0_15gpu_kernel_implINS0_13BUnaryFunctorIaaaZNS0_12_GLOBAL__N_121threshold_kernel_implIaEEvRNS_18TensorIteratorBaseET_S8_EUlaaE_EEEEvS7_RKS8_EUlibE0_EEviT1_
	.p2align	8
	.type	_ZN2at6native32elementwise_kernel_manual_unrollILi128ELi4EZNS0_15gpu_kernel_implINS0_13BUnaryFunctorIaaaZNS0_12_GLOBAL__N_121threshold_kernel_implIaEEvRNS_18TensorIteratorBaseET_S8_EUlaaE_EEEEvS7_RKS8_EUlibE0_EEviT1_,@function
_ZN2at6native32elementwise_kernel_manual_unrollILi128ELi4EZNS0_15gpu_kernel_implINS0_13BUnaryFunctorIaaaZNS0_12_GLOBAL__N_121threshold_kernel_implIaEEvRNS_18TensorIteratorBaseET_S8_EUlaaE_EEEEvS7_RKS8_EUlibE0_EEviT1_: ; @_ZN2at6native32elementwise_kernel_manual_unrollILi128ELi4EZNS0_15gpu_kernel_implINS0_13BUnaryFunctorIaaaZNS0_12_GLOBAL__N_121threshold_kernel_implIaEEvRNS_18TensorIteratorBaseET_S8_EUlaaE_EEEEvS7_RKS8_EUlibE0_EEviT1_
; %bb.0:
	s_load_dword s74, s[4:5], 0x0
	s_load_dword s33, s[4:5], 0x8
	s_add_u32 s34, s4, 8
	s_addc_u32 s35, s5, 0
	v_lshl_or_b32 v8, s6, 9, v0
	v_or_b32_e32 v15, 0x180, v8
	s_waitcnt lgkmcnt(0)
	s_add_i32 s76, s33, -1
	s_cmp_gt_u32 s76, 1
	v_cmp_le_i32_e32 vcc, s74, v15
	s_cselect_b64 s[40:41], -1, 0
	s_mov_b64 s[6:7], 0
	s_mov_b64 s[28:29], 0
	s_and_saveexec_b64 s[0:1], vcc
	s_xor_b64 s[42:43], exec, s[0:1]
	s_cbranch_execz .LBB39_1070
; %bb.1:
	s_load_dwordx4 s[28:31], s[34:35], 0x4
	s_load_dwordx2 s[48:49], s[34:35], 0x14
	s_load_dwordx2 s[46:47], s[34:35], 0x158
	s_cmp_lg_u32 s33, 0
	s_load_dwordx4 s[36:39], s[34:35], 0xc4
	s_load_dwordx4 s[24:27], s[34:35], 0x148
	s_cselect_b64 s[54:55], -1, 0
	s_add_u32 s52, s34, 0xc4
	s_addc_u32 s53, s35, 0
	s_min_u32 s80, s76, 15
	s_cmp_gt_u32 s33, 1
	s_cselect_b64 s[50:51], -1, 0
	s_waitcnt lgkmcnt(0)
	s_bfe_i32 s77, s46, 0x80000
	s_lshr_b32 s78, s46, 8
	s_lshr_b32 s79, s46, 16
	s_lshr_b64 s[44:45], s[46:47], 24
	v_cmp_gt_i32_e32 vcc, s74, v8
	s_mov_b64 s[2:3], -1
	s_mov_b64 s[64:65], 0
	s_mov_b64 s[58:59], 0
	;; [unrolled: 1-line block ×3, first 2 shown]
	s_and_saveexec_b64 s[60:61], vcc
	s_cbranch_execz .LBB39_262
; %bb.2:
	s_andn2_b64 vcc, exec, s[40:41]
	s_cbranch_vccnz .LBB39_7
; %bb.3:
	s_andn2_b64 vcc, exec, s[54:55]
	s_cbranch_vccnz .LBB39_8
; %bb.4:
	s_add_i32 s46, s80, 1
	s_cmp_eq_u32 s76, 2
	s_cbranch_scc1 .LBB39_9
; %bb.5:
	s_and_b32 s45, s46, 28
	v_mov_b32_e32 v2, 0
	s_mov_b32 s62, 0
	s_mov_b64 s[56:57], s[34:35]
	s_mov_b64 s[58:59], s[52:53]
	v_mov_b32_e32 v0, 0
	v_mov_b32_e32 v1, v8
.LBB39_6:                               ; =>This Inner Loop Header: Depth=1
	s_load_dwordx8 s[16:23], s[56:57], 0x4
	s_load_dwordx4 s[0:3], s[56:57], 0x24
	s_load_dwordx8 s[8:15], s[58:59], 0x0
	s_add_u32 s56, s56, 48
	s_addc_u32 s57, s57, 0
	s_waitcnt lgkmcnt(0)
	v_mul_hi_u32 v3, s17, v1
	s_add_i32 s62, s62, 4
	s_add_u32 s58, s58, 32
	s_addc_u32 s59, s59, 0
	v_add_u32_e32 v3, v1, v3
	v_lshrrev_b32_e32 v3, s18, v3
	v_mul_lo_u32 v4, v3, s16
	v_mul_hi_u32 v5, s20, v3
	s_cmp_lg_u32 s45, s62
	v_sub_u32_e32 v1, v1, v4
	v_add_u32_e32 v4, v3, v5
	v_mul_lo_u32 v5, v1, s8
	v_mul_lo_u32 v6, v1, s9
	v_lshrrev_b32_e32 v1, s21, v4
	v_mul_lo_u32 v4, v1, s19
	v_mul_hi_u32 v7, s23, v1
	v_sub_u32_e32 v3, v3, v4
	v_add_u32_e32 v4, v1, v7
	v_lshrrev_b32_e32 v4, s0, v4
	v_mul_hi_u32 v9, s2, v4
	v_mul_lo_u32 v10, v4, s22
	v_mul_lo_u32 v7, v3, s10
	;; [unrolled: 1-line block ×3, first 2 shown]
	v_sub_u32_e32 v10, v1, v10
	v_add_u32_e32 v1, v4, v9
	v_lshrrev_b32_e32 v1, s3, v1
	v_mul_lo_u32 v9, v1, s1
	v_mul_lo_u32 v11, v10, s12
	;; [unrolled: 1-line block ×3, first 2 shown]
	v_add3_u32 v0, v5, v0, v7
	v_sub_u32_e32 v4, v4, v9
	v_mul_lo_u32 v9, v4, s14
	v_mul_lo_u32 v4, v4, s15
	v_add3_u32 v2, v6, v2, v3
	v_add3_u32 v0, v11, v0, v9
	;; [unrolled: 1-line block ×3, first 2 shown]
	s_cbranch_scc1 .LBB39_6
	s_branch .LBB39_10
.LBB39_7:
                                        ; implicit-def: $vgpr0
                                        ; implicit-def: $vgpr2
	s_branch .LBB39_14
.LBB39_8:
	v_mov_b32_e32 v0, 0
	v_mov_b32_e32 v2, 0
	s_branch .LBB39_13
.LBB39_9:
	s_mov_b32 s45, 0
	v_mov_b32_e32 v0, 0
	v_mov_b32_e32 v2, 0
	;; [unrolled: 1-line block ×3, first 2 shown]
.LBB39_10:
	s_and_b32 s8, s46, 3
	s_cmp_eq_u32 s8, 0
	s_cbranch_scc1 .LBB39_13
; %bb.11:
	s_lshl_b32 s0, s45, 3
	s_add_u32 s0, s34, s0
	s_addc_u32 s1, s35, 0
	s_add_u32 s0, s0, 0xc4
	s_addc_u32 s1, s1, 0
	s_mul_i32 s2, s45, 12
	s_add_u32 s2, s34, s2
	s_addc_u32 s3, s35, 0
.LBB39_12:                              ; =>This Inner Loop Header: Depth=1
	s_load_dwordx2 s[10:11], s[2:3], 0x4
	s_load_dword s9, s[2:3], 0xc
	s_load_dwordx2 s[12:13], s[0:1], 0x0
	s_add_u32 s2, s2, 12
	s_addc_u32 s3, s3, 0
	s_waitcnt lgkmcnt(0)
	v_mul_hi_u32 v3, s11, v1
	s_add_u32 s0, s0, 8
	s_addc_u32 s1, s1, 0
	s_add_i32 s8, s8, -1
	v_add_u32_e32 v3, v1, v3
	v_lshrrev_b32_e32 v4, s9, v3
	v_mul_lo_u32 v3, v4, s10
	s_cmp_lg_u32 s8, 0
	v_sub_u32_e32 v3, v1, v3
	v_mad_u64_u32 v[0:1], s[10:11], v3, s12, v[0:1]
	v_mad_u64_u32 v[2:3], s[10:11], v3, s13, v[2:3]
	v_mov_b32_e32 v1, v4
	s_cbranch_scc1 .LBB39_12
.LBB39_13:
	s_cbranch_execnz .LBB39_16
.LBB39_14:
	v_mul_hi_u32 v0, s29, v8
	s_andn2_b64 vcc, exec, s[50:51]
	v_add_u32_e32 v0, v8, v0
	v_lshrrev_b32_e32 v1, s30, v0
	v_mul_lo_u32 v0, v1, s28
	v_sub_u32_e32 v2, v8, v0
	v_mul_lo_u32 v0, v2, s36
	v_mul_lo_u32 v2, v2, s37
	s_cbranch_vccnz .LBB39_16
; %bb.15:
	v_mul_hi_u32 v3, s48, v1
	v_add_u32_e32 v3, v1, v3
	v_lshrrev_b32_e32 v3, s49, v3
	v_mul_lo_u32 v3, v3, s31
	v_sub_u32_e32 v3, v1, v3
	v_mad_u64_u32 v[0:1], s[0:1], v3, s38, v[0:1]
	v_mad_u64_u32 v[2:3], s[0:1], v3, s39, v[2:3]
.LBB39_16:
	v_mov_b32_e32 v3, s27
	s_and_b32 s10, s47, 0xff
	v_add_co_u32_e32 v1, vcc, s26, v2
	s_cmp_lt_i32 s10, 11
	v_addc_co_u32_e32 v2, vcc, 0, v3, vcc
	s_cbranch_scc1 .LBB39_23
; %bb.17:
	s_and_b32 s11, 0xffff, s10
	s_cmp_gt_i32 s11, 25
	s_cbranch_scc0 .LBB39_32
; %bb.18:
	s_cmp_gt_i32 s11, 28
	s_cbranch_scc0 .LBB39_35
; %bb.19:
	;; [unrolled: 3-line block ×4, first 2 shown]
	s_cmp_eq_u32 s11, 46
	s_mov_b64 s[8:9], 0
	s_cbranch_scc0 .LBB39_41
; %bb.22:
	global_load_dword v3, v[1:2], off
	s_mov_b64 s[0:1], -1
	s_mov_b64 s[2:3], 0
	s_waitcnt vmcnt(0)
	v_lshlrev_b32_e32 v3, 16, v3
	v_cvt_i32_f32_e32 v3, v3
	s_branch .LBB39_43
.LBB39_23:
	s_mov_b64 s[2:3], 0
                                        ; implicit-def: $vgpr3
	s_mov_b64 s[0:1], 0
	s_cbranch_execnz .LBB39_212
.LBB39_24:
	s_andn2_b64 vcc, exec, s[0:1]
	s_cbranch_vccnz .LBB39_259
.LBB39_25:
	v_mov_b32_e32 v1, s78
	v_mov_b32_e32 v2, s79
	s_waitcnt vmcnt(0)
	v_cmp_gt_i16_sdwa vcc, sext(v3), s77 src0_sel:BYTE_0 src1_sel:DWORD
	v_cndmask_b32_e32 v2, v1, v2, vcc
	v_mov_b32_e32 v1, s25
	s_and_b32 s14, s44, 0xff
	v_add_co_u32_e32 v0, vcc, s24, v0
	s_cmp_lt_i32 s14, 11
	v_addc_co_u32_e32 v1, vcc, 0, v1, vcc
	s_cbranch_scc1 .LBB39_33
; %bb.26:
	s_and_b32 s15, 0xffff, s14
	s_cmp_gt_i32 s15, 25
	s_cbranch_scc0 .LBB39_36
; %bb.27:
	s_cmp_gt_i32 s15, 28
	s_cbranch_scc0 .LBB39_38
; %bb.28:
	;; [unrolled: 3-line block ×4, first 2 shown]
	s_mov_b64 s[10:11], 0
	s_mov_b64 s[0:1], -1
	s_cmp_eq_u32 s15, 46
	s_mov_b64 s[8:9], 0
	s_cbranch_scc0 .LBB39_47
; %bb.31:
	v_bfe_i32 v3, v2, 0, 8
	v_cvt_f32_i32_sdwa v3, sext(v3) dst_sel:DWORD dst_unused:UNUSED_PAD src0_sel:WORD_0
	s_movk_i32 s0, 0x7fff
	s_mov_b64 s[8:9], -1
	v_bfe_u32 v4, v3, 16, 1
	v_add3_u32 v3, v3, v4, s0
	v_lshrrev_b32_e32 v3, 16, v3
	global_store_dword v[0:1], v3, off
	s_mov_b64 s[0:1], 0
	s_branch .LBB39_47
.LBB39_32:
	s_mov_b64 s[2:3], 0
	s_mov_b64 s[0:1], 0
                                        ; implicit-def: $vgpr3
	s_cbranch_execnz .LBB39_179
	s_branch .LBB39_211
.LBB39_33:
	s_mov_b64 s[0:1], 0
	s_mov_b64 s[8:9], 0
	s_cbranch_execnz .LBB39_116
.LBB39_34:
	s_andn2_b64 vcc, exec, s[8:9]
	s_cbranch_vccnz .LBB39_260
	s_branch .LBB39_154
.LBB39_35:
	s_mov_b64 s[8:9], -1
	s_mov_b64 s[2:3], 0
	s_mov_b64 s[0:1], 0
                                        ; implicit-def: $vgpr3
	s_branch .LBB39_162
.LBB39_36:
	s_mov_b64 s[10:11], -1
	s_mov_b64 s[0:1], 0
	s_mov_b64 s[8:9], 0
	s_branch .LBB39_74
.LBB39_37:
	s_mov_b64 s[8:9], -1
	s_mov_b64 s[2:3], 0
	s_mov_b64 s[0:1], 0
                                        ; implicit-def: $vgpr3
	s_branch .LBB39_157
.LBB39_38:
	s_mov_b64 s[10:11], -1
	s_mov_b64 s[0:1], 0
	s_mov_b64 s[8:9], 0
	s_branch .LBB39_57
.LBB39_39:
	s_mov_b64 s[8:9], -1
	s_mov_b64 s[2:3], 0
	s_branch .LBB39_42
.LBB39_40:
	s_mov_b64 s[10:11], -1
	s_mov_b64 s[0:1], 0
	s_mov_b64 s[8:9], 0
	s_branch .LBB39_53
.LBB39_41:
	s_mov_b64 s[2:3], -1
.LBB39_42:
	s_mov_b64 s[0:1], 0
                                        ; implicit-def: $vgpr3
.LBB39_43:
	s_and_b64 vcc, exec, s[8:9]
	s_cbranch_vccz .LBB39_156
; %bb.44:
	s_cmp_eq_u32 s11, 44
	s_cbranch_scc0 .LBB39_155
; %bb.45:
	global_load_ubyte v3, v[1:2], off
	s_mov_b64 s[0:1], -1
	s_mov_b64 s[2:3], 0
	s_waitcnt vmcnt(0)
	v_lshlrev_b32_e32 v4, 23, v3
	v_cvt_i32_f32_e32 v4, v4
	v_cmp_ne_u32_e32 vcc, 0, v3
	v_cndmask_b32_e32 v3, 0, v4, vcc
	s_branch .LBB39_156
.LBB39_46:
	s_mov_b64 s[10:11], -1
	s_mov_b64 s[0:1], 0
	s_mov_b64 s[8:9], 0
.LBB39_47:
	s_and_b64 vcc, exec, s[10:11]
	s_cbranch_vccz .LBB39_52
; %bb.48:
	s_cmp_eq_u32 s15, 44
	s_mov_b64 s[0:1], -1
	s_cbranch_scc0 .LBB39_52
; %bb.49:
	v_bfe_i32 v3, v2, 0, 8
	v_cvt_f32_i32_sdwa v3, sext(v3) dst_sel:DWORD dst_unused:UNUSED_PAD src0_sel:WORD_0
	s_movk_i32 s0, 0xff
	v_mov_b32_e32 v5, 0xff
	v_bfe_u32 v4, v3, 23, 8
	v_cmp_ne_u32_e32 vcc, s0, v4
	s_and_saveexec_b64 s[8:9], vcc
; %bb.50:
	s_mov_b32 s0, 0x3fffff
	v_lshrrev_b32_e32 v5, 23, v3
	v_and_b32_e32 v6, 0x400000, v3
	v_and_or_b32 v3, v3, s0, v4
	v_cmp_ne_u32_e32 vcc, 0, v6
	v_cmp_ne_u32_e64 s[0:1], 0, v3
	s_and_b64 s[0:1], vcc, s[0:1]
	v_cndmask_b32_e64 v3, 0, 1, s[0:1]
	v_add_u32_e32 v5, v5, v3
; %bb.51:
	s_or_b64 exec, exec, s[8:9]
	s_mov_b64 s[8:9], -1
	s_mov_b64 s[0:1], 0
	global_store_byte v[0:1], v5, off
.LBB39_52:
	s_mov_b64 s[10:11], 0
.LBB39_53:
	s_and_b64 vcc, exec, s[10:11]
	s_cbranch_vccz .LBB39_56
; %bb.54:
	s_cmp_eq_u32 s15, 29
	s_mov_b64 s[0:1], -1
	s_cbranch_scc0 .LBB39_56
; %bb.55:
	v_bfe_i32 v3, v2, 0, 8
	v_ashrrev_i32_e32 v4, 31, v3
	global_store_dwordx2 v[0:1], v[3:4], off
	s_mov_b64 s[8:9], -1
	s_mov_b64 s[0:1], 0
.LBB39_56:
	s_mov_b64 s[10:11], 0
.LBB39_57:
	s_and_b64 vcc, exec, s[10:11]
	s_cbranch_vccz .LBB39_73
; %bb.58:
	s_cmp_lt_i32 s15, 27
	s_mov_b64 s[8:9], -1
	s_cbranch_scc1 .LBB39_64
; %bb.59:
	s_cmp_gt_i32 s15, 27
	s_cbranch_scc0 .LBB39_61
; %bb.60:
	v_bfe_i32 v3, v2, 0, 8
	s_mov_b64 s[8:9], 0
	global_store_dword v[0:1], v3, off
.LBB39_61:
	s_andn2_b64 vcc, exec, s[8:9]
	s_cbranch_vccnz .LBB39_63
; %bb.62:
	v_bfe_i32 v3, v2, 0, 8
	global_store_short v[0:1], v3, off
.LBB39_63:
	s_mov_b64 s[8:9], 0
.LBB39_64:
	s_andn2_b64 vcc, exec, s[8:9]
	s_cbranch_vccnz .LBB39_72
; %bb.65:
	v_bfe_i32 v3, v2, 0, 8
	v_cvt_f32_i32_sdwa v3, sext(v3) dst_sel:DWORD dst_unused:UNUSED_PAD src0_sel:WORD_0
	s_mov_b32 s8, 0x43800000
	v_mov_b32_e32 v5, 0x80
	v_and_b32_e32 v4, 0x7fffffff, v3
	v_cmp_gt_u32_e32 vcc, s8, v4
	s_and_saveexec_b64 s[8:9], vcc
	s_cbranch_execz .LBB39_71
; %bb.66:
	s_mov_b32 s10, 0x3bffffff
	v_cmp_lt_u32_e32 vcc, s10, v4
	s_mov_b64 s[10:11], 0
                                        ; implicit-def: $vgpr4
	s_and_saveexec_b64 s[12:13], vcc
	s_xor_b64 s[12:13], exec, s[12:13]
	s_cbranch_execz .LBB39_303
; %bb.67:
	v_bfe_u32 v4, v3, 20, 1
	s_mov_b32 s16, 0x487ffff
	v_add3_u32 v4, v3, v4, s16
	s_mov_b64 s[10:11], exec
	v_lshrrev_b32_e32 v4, 20, v4
	s_andn2_saveexec_b64 s[12:13], s[12:13]
	s_cbranch_execnz .LBB39_304
.LBB39_68:
	s_or_b64 exec, exec, s[12:13]
	v_mov_b32_e32 v5, 0
	s_and_saveexec_b64 s[12:13], s[10:11]
.LBB39_69:
	v_lshrrev_b32_e32 v3, 24, v3
	s_movk_i32 s10, 0x80
	v_and_or_b32 v5, v3, s10, v4
.LBB39_70:
	s_or_b64 exec, exec, s[12:13]
.LBB39_71:
	s_or_b64 exec, exec, s[8:9]
	global_store_byte v[0:1], v5, off
.LBB39_72:
	s_mov_b64 s[8:9], -1
.LBB39_73:
	s_mov_b64 s[10:11], 0
.LBB39_74:
	s_and_b64 vcc, exec, s[10:11]
	s_cbranch_vccz .LBB39_115
; %bb.75:
	s_cmp_gt_i32 s15, 22
	s_mov_b64 s[10:11], -1
	s_cbranch_scc0 .LBB39_107
; %bb.76:
	s_cmp_lt_i32 s15, 24
	s_mov_b64 s[8:9], -1
	s_cbranch_scc1 .LBB39_96
; %bb.77:
	s_cmp_gt_i32 s15, 24
	s_cbranch_scc0 .LBB39_85
; %bb.78:
	v_bfe_i32 v3, v2, 0, 8
	v_cvt_f32_i32_sdwa v3, sext(v3) dst_sel:DWORD dst_unused:UNUSED_PAD src0_sel:WORD_0
	s_mov_b32 s8, 0x47800000
	v_mov_b32_e32 v5, 0x80
	v_and_b32_e32 v4, 0x7fffffff, v3
	v_cmp_gt_u32_e32 vcc, s8, v4
	s_and_saveexec_b64 s[8:9], vcc
	s_cbranch_execz .LBB39_84
; %bb.79:
	s_mov_b32 s10, 0x37ffffff
	v_cmp_lt_u32_e32 vcc, s10, v4
	s_mov_b64 s[10:11], 0
                                        ; implicit-def: $vgpr4
	s_and_saveexec_b64 s[12:13], vcc
	s_xor_b64 s[12:13], exec, s[12:13]
	s_cbranch_execz .LBB39_307
; %bb.80:
	v_bfe_u32 v4, v3, 21, 1
	s_mov_b32 s16, 0x88fffff
	v_add3_u32 v4, v3, v4, s16
	s_mov_b64 s[10:11], exec
	v_lshrrev_b32_e32 v4, 21, v4
	s_andn2_saveexec_b64 s[12:13], s[12:13]
	s_cbranch_execnz .LBB39_308
.LBB39_81:
	s_or_b64 exec, exec, s[12:13]
	v_mov_b32_e32 v5, 0
	s_and_saveexec_b64 s[12:13], s[10:11]
.LBB39_82:
	v_lshrrev_b32_e32 v3, 24, v3
	s_movk_i32 s10, 0x80
	v_and_or_b32 v5, v3, s10, v4
.LBB39_83:
	s_or_b64 exec, exec, s[12:13]
.LBB39_84:
	s_or_b64 exec, exec, s[8:9]
	s_mov_b64 s[8:9], 0
	global_store_byte v[0:1], v5, off
.LBB39_85:
	s_and_b64 vcc, exec, s[8:9]
	s_cbranch_vccz .LBB39_95
; %bb.86:
	v_bfe_i32 v3, v2, 0, 8
	v_cvt_f32_i32_sdwa v3, sext(v3) dst_sel:DWORD dst_unused:UNUSED_PAD src0_sel:WORD_0
	s_mov_b32 s8, 0x43f00000
                                        ; implicit-def: $vgpr4
	v_and_b32_e32 v5, 0x7fffffff, v3
	v_cmp_gt_u32_e32 vcc, s8, v5
	s_and_saveexec_b64 s[8:9], vcc
	s_xor_b64 s[8:9], exec, s[8:9]
	s_cbranch_execz .LBB39_92
; %bb.87:
	s_mov_b32 s10, 0x3c7fffff
	v_cmp_lt_u32_e32 vcc, s10, v5
                                        ; implicit-def: $vgpr4
	s_and_saveexec_b64 s[10:11], vcc
	s_xor_b64 s[10:11], exec, s[10:11]
; %bb.88:
	v_bfe_u32 v4, v3, 20, 1
	s_mov_b32 s12, 0x407ffff
	v_add3_u32 v4, v3, v4, s12
	v_lshrrev_b32_e32 v5, 20, v4
	v_and_b32_e32 v4, 0xff00000, v4
	s_mov_b32 s12, 0x7f00000
	v_mov_b32_e32 v6, 0x7e
	v_cmp_ne_u32_e32 vcc, s12, v4
	v_cndmask_b32_e32 v4, v6, v5, vcc
; %bb.89:
	s_andn2_saveexec_b64 s[10:11], s[10:11]
; %bb.90:
	s_mov_b32 s12, 0x46800000
	v_add_f32_e64 v4, |v3|, s12
; %bb.91:
	s_or_b64 exec, exec, s[10:11]
                                        ; implicit-def: $vgpr5
.LBB39_92:
	s_andn2_saveexec_b64 s[8:9], s[8:9]
; %bb.93:
	s_mov_b32 s10, 0x7f800000
	v_mov_b32_e32 v4, 0x7e
	v_mov_b32_e32 v6, 0x7f
	v_cmp_lt_u32_e32 vcc, s10, v5
	v_cndmask_b32_e32 v4, v4, v6, vcc
; %bb.94:
	s_or_b64 exec, exec, s[8:9]
	v_lshrrev_b32_e32 v3, 24, v3
	s_movk_i32 s8, 0x80
	v_and_or_b32 v3, v3, s8, v4
	global_store_byte v[0:1], v3, off
.LBB39_95:
	s_mov_b64 s[8:9], 0
.LBB39_96:
	s_andn2_b64 vcc, exec, s[8:9]
	s_cbranch_vccnz .LBB39_106
; %bb.97:
	v_bfe_i32 v3, v2, 0, 8
	v_cvt_f32_i32_sdwa v3, sext(v3) dst_sel:DWORD dst_unused:UNUSED_PAD src0_sel:WORD_0
	s_mov_b32 s8, 0x47800000
                                        ; implicit-def: $vgpr4
	v_and_b32_e32 v5, 0x7fffffff, v3
	v_cmp_gt_u32_e32 vcc, s8, v5
	s_and_saveexec_b64 s[8:9], vcc
	s_xor_b64 s[8:9], exec, s[8:9]
	s_cbranch_execz .LBB39_103
; %bb.98:
	s_mov_b32 s10, 0x387fffff
	v_cmp_lt_u32_e32 vcc, s10, v5
                                        ; implicit-def: $vgpr4
	s_and_saveexec_b64 s[10:11], vcc
	s_xor_b64 s[10:11], exec, s[10:11]
; %bb.99:
	v_bfe_u32 v4, v3, 21, 1
	s_mov_b32 s12, 0x80fffff
	v_add3_u32 v4, v3, v4, s12
	v_lshrrev_b32_e32 v4, 21, v4
; %bb.100:
	s_andn2_saveexec_b64 s[10:11], s[10:11]
; %bb.101:
	s_mov_b32 s12, 0x43000000
	v_add_f32_e64 v4, |v3|, s12
; %bb.102:
	s_or_b64 exec, exec, s[10:11]
                                        ; implicit-def: $vgpr5
.LBB39_103:
	s_andn2_saveexec_b64 s[8:9], s[8:9]
; %bb.104:
	s_mov_b32 s10, 0x7f800000
	v_mov_b32_e32 v4, 0x7c
	v_mov_b32_e32 v6, 0x7f
	v_cmp_lt_u32_e32 vcc, s10, v5
	v_cndmask_b32_e32 v4, v4, v6, vcc
; %bb.105:
	s_or_b64 exec, exec, s[8:9]
	v_lshrrev_b32_e32 v3, 24, v3
	s_movk_i32 s8, 0x80
	v_and_or_b32 v3, v3, s8, v4
	global_store_byte v[0:1], v3, off
.LBB39_106:
	s_mov_b64 s[10:11], 0
	s_mov_b64 s[8:9], -1
.LBB39_107:
	s_andn2_b64 vcc, exec, s[10:11]
	s_cbranch_vccnz .LBB39_115
; %bb.108:
	s_cmp_gt_i32 s15, 14
	s_mov_b64 s[10:11], -1
	s_cbranch_scc0 .LBB39_112
; %bb.109:
	s_cmp_eq_u32 s15, 15
	s_mov_b64 s[0:1], -1
	s_cbranch_scc0 .LBB39_111
; %bb.110:
	v_bfe_i32 v3, v2, 0, 8
	v_cvt_f32_i32_sdwa v3, sext(v3) dst_sel:DWORD dst_unused:UNUSED_PAD src0_sel:WORD_0
	s_movk_i32 s0, 0x7fff
	s_mov_b64 s[8:9], -1
	v_bfe_u32 v4, v3, 16, 1
	v_add3_u32 v3, v3, v4, s0
	global_store_short_d16_hi v[0:1], v3, off
	s_mov_b64 s[0:1], 0
.LBB39_111:
	s_mov_b64 s[10:11], 0
.LBB39_112:
	s_and_b64 vcc, exec, s[10:11]
	s_cbranch_vccz .LBB39_115
; %bb.113:
	s_cmp_eq_u32 s15, 11
	s_mov_b64 s[0:1], -1
	s_cbranch_scc0 .LBB39_115
; %bb.114:
	v_mov_b32_e32 v3, 0
	v_cmp_ne_u16_sdwa s[0:1], v2, v3 src0_sel:BYTE_0 src1_sel:DWORD
	v_cndmask_b32_e64 v3, 0, 1, s[0:1]
	s_mov_b64 s[8:9], -1
	s_mov_b64 s[0:1], 0
	global_store_byte v[0:1], v3, off
.LBB39_115:
	s_branch .LBB39_34
.LBB39_116:
	s_and_b32 s10, 0xffff, s14
	s_cmp_lt_i32 s10, 5
	s_mov_b64 s[8:9], -1
	s_cbranch_scc1 .LBB39_137
; %bb.117:
	s_cmp_lt_i32 s10, 8
	s_cbranch_scc1 .LBB39_127
; %bb.118:
	s_cmp_lt_i32 s10, 9
	s_cbranch_scc1 .LBB39_124
; %bb.119:
	s_cmp_gt_i32 s10, 9
	s_cbranch_scc0 .LBB39_121
; %bb.120:
	v_bfe_i32 v3, v2, 0, 8
	v_bfe_i32 v3, v3, 0, 16
	v_cvt_f64_i32_e32 v[3:4], v3
	v_mov_b32_e32 v5, 0
	v_mov_b32_e32 v6, v5
	s_mov_b64 s[8:9], 0
	global_store_dwordx4 v[0:1], v[3:6], off
.LBB39_121:
	s_andn2_b64 vcc, exec, s[8:9]
	s_cbranch_vccnz .LBB39_123
; %bb.122:
	v_bfe_i32 v3, v2, 0, 8
	v_cvt_f32_i32_sdwa v3, sext(v3) dst_sel:DWORD dst_unused:UNUSED_PAD src0_sel:WORD_0
	v_mov_b32_e32 v4, 0
	global_store_dwordx2 v[0:1], v[3:4], off
.LBB39_123:
	s_mov_b64 s[8:9], 0
.LBB39_124:
	s_andn2_b64 vcc, exec, s[8:9]
	s_cbranch_vccnz .LBB39_126
; %bb.125:
	v_cvt_f16_i16_sdwa v3, sext(v2) dst_sel:DWORD dst_unused:UNUSED_PAD src0_sel:BYTE_0
	global_store_dword v[0:1], v3, off
.LBB39_126:
	s_mov_b64 s[8:9], 0
.LBB39_127:
	s_andn2_b64 vcc, exec, s[8:9]
	s_cbranch_vccnz .LBB39_136
; %bb.128:
	s_cmp_lt_i32 s10, 6
	s_mov_b64 s[8:9], -1
	s_cbranch_scc1 .LBB39_134
; %bb.129:
	s_cmp_gt_i32 s10, 6
	s_cbranch_scc0 .LBB39_131
; %bb.130:
	v_bfe_i32 v3, v2, 0, 8
	v_bfe_i32 v3, v3, 0, 16
	v_cvt_f64_i32_e32 v[3:4], v3
	s_mov_b64 s[8:9], 0
	global_store_dwordx2 v[0:1], v[3:4], off
.LBB39_131:
	s_andn2_b64 vcc, exec, s[8:9]
	s_cbranch_vccnz .LBB39_133
; %bb.132:
	v_bfe_i32 v3, v2, 0, 8
	v_cvt_f32_i32_sdwa v3, sext(v3) dst_sel:DWORD dst_unused:UNUSED_PAD src0_sel:WORD_0
	global_store_dword v[0:1], v3, off
.LBB39_133:
	s_mov_b64 s[8:9], 0
.LBB39_134:
	s_andn2_b64 vcc, exec, s[8:9]
	s_cbranch_vccnz .LBB39_136
; %bb.135:
	v_cvt_f16_i16_sdwa v3, sext(v2) dst_sel:DWORD dst_unused:UNUSED_PAD src0_sel:BYTE_0
	global_store_short v[0:1], v3, off
.LBB39_136:
	s_mov_b64 s[8:9], 0
.LBB39_137:
	s_andn2_b64 vcc, exec, s[8:9]
	s_cbranch_vccnz .LBB39_153
; %bb.138:
	s_cmp_lt_i32 s10, 2
	s_mov_b64 s[8:9], -1
	s_cbranch_scc1 .LBB39_148
; %bb.139:
	s_cmp_lt_i32 s10, 3
	s_cbranch_scc1 .LBB39_145
; %bb.140:
	s_cmp_gt_i32 s10, 3
	s_cbranch_scc0 .LBB39_142
; %bb.141:
	v_bfe_i32 v3, v2, 0, 8
	v_ashrrev_i32_e32 v4, 31, v3
	global_store_dwordx2 v[0:1], v[3:4], off
	s_mov_b64 s[8:9], 0
.LBB39_142:
	s_andn2_b64 vcc, exec, s[8:9]
	s_cbranch_vccnz .LBB39_144
; %bb.143:
	v_bfe_i32 v3, v2, 0, 8
	global_store_dword v[0:1], v3, off
.LBB39_144:
	s_mov_b64 s[8:9], 0
.LBB39_145:
	s_andn2_b64 vcc, exec, s[8:9]
	s_cbranch_vccnz .LBB39_147
; %bb.146:
	v_bfe_i32 v3, v2, 0, 8
	global_store_short v[0:1], v3, off
.LBB39_147:
	s_mov_b64 s[8:9], 0
.LBB39_148:
	s_andn2_b64 vcc, exec, s[8:9]
	s_cbranch_vccnz .LBB39_153
; %bb.149:
	s_cmp_gt_i32 s10, 0
	s_mov_b64 s[8:9], -1
	s_cbranch_scc0 .LBB39_151
; %bb.150:
	global_store_byte v[0:1], v2, off
	s_mov_b64 s[8:9], 0
.LBB39_151:
	s_andn2_b64 vcc, exec, s[8:9]
	s_cbranch_vccnz .LBB39_153
; %bb.152:
	global_store_byte v[0:1], v2, off
.LBB39_153:
.LBB39_154:
	v_add_u32_e32 v8, 0x80, v8
	s_mov_b64 s[8:9], -1
	s_branch .LBB39_261
.LBB39_155:
	s_mov_b64 s[2:3], -1
                                        ; implicit-def: $vgpr3
.LBB39_156:
	s_mov_b64 s[8:9], 0
.LBB39_157:
	s_and_b64 vcc, exec, s[8:9]
	s_cbranch_vccz .LBB39_161
; %bb.158:
	s_cmp_eq_u32 s11, 29
	s_cbranch_scc0 .LBB39_160
; %bb.159:
	global_load_dwordx2 v[3:4], v[1:2], off
	s_mov_b64 s[0:1], -1
	s_mov_b64 s[2:3], 0
	s_branch .LBB39_161
.LBB39_160:
	s_mov_b64 s[2:3], -1
                                        ; implicit-def: $vgpr3
.LBB39_161:
	s_mov_b64 s[8:9], 0
.LBB39_162:
	s_and_b64 vcc, exec, s[8:9]
	s_cbranch_vccz .LBB39_178
; %bb.163:
	s_cmp_lt_i32 s11, 27
	s_cbranch_scc1 .LBB39_166
; %bb.164:
	s_cmp_gt_i32 s11, 27
	s_cbranch_scc0 .LBB39_167
; %bb.165:
	global_load_dword v3, v[1:2], off
	s_mov_b64 s[0:1], 0
	s_branch .LBB39_168
.LBB39_166:
	s_mov_b64 s[0:1], -1
                                        ; implicit-def: $vgpr3
	s_branch .LBB39_171
.LBB39_167:
	s_mov_b64 s[0:1], -1
                                        ; implicit-def: $vgpr3
.LBB39_168:
	s_andn2_b64 vcc, exec, s[0:1]
	s_cbranch_vccnz .LBB39_170
; %bb.169:
	global_load_ushort v3, v[1:2], off
.LBB39_170:
	s_mov_b64 s[0:1], 0
.LBB39_171:
	s_andn2_b64 vcc, exec, s[0:1]
	s_cbranch_vccnz .LBB39_177
; %bb.172:
	global_load_ubyte v4, v[1:2], off
	s_movk_i32 s0, 0x7f
	s_mov_b64 s[8:9], 0
	s_waitcnt vmcnt(0)
	v_cmp_lt_i16_e32 vcc, s0, v4
	s_and_saveexec_b64 s[0:1], vcc
	s_xor_b64 s[0:1], exec, s[0:1]
	s_cbranch_execz .LBB39_188
; %bb.173:
	s_movk_i32 s8, 0x80
	v_cmp_ne_u16_e32 vcc, s8, v4
	s_and_b64 s[8:9], vcc, exec
	s_andn2_saveexec_b64 s[0:1], s[0:1]
	s_cbranch_execnz .LBB39_189
.LBB39_174:
	s_or_b64 exec, exec, s[0:1]
	v_mov_b32_e32 v3, 0
	s_and_saveexec_b64 s[0:1], s[8:9]
	s_cbranch_execz .LBB39_176
.LBB39_175:
	v_lshlrev_b32_e32 v3, 24, v4
	v_and_b32_e32 v4, 0xffff, v4
	v_and_b32_e32 v5, 7, v4
	v_ffbh_u32_e32 v7, v5
	v_min_u32_e32 v7, 32, v7
	v_subrev_u32_e32 v9, 28, v7
	v_bfe_u32 v6, v4, 3, 4
	v_lshlrev_b32_e32 v4, v9, v4
	v_sub_u32_e32 v7, 29, v7
	v_and_b32_e32 v4, 7, v4
	v_cmp_eq_u32_e32 vcc, 0, v6
	v_cndmask_b32_e32 v6, v6, v7, vcc
	v_cndmask_b32_e32 v4, v5, v4, vcc
	v_mov_b32_e32 v5, 0x3b800000
	v_lshlrev_b32_e32 v4, 20, v4
	v_and_b32_e32 v3, 0x80000000, v3
	v_lshl_add_u32 v5, v6, 23, v5
	v_or3_b32 v3, v3, v5, v4
	v_cvt_i32_f32_e32 v3, v3
.LBB39_176:
	s_or_b64 exec, exec, s[0:1]
.LBB39_177:
	s_mov_b64 s[0:1], -1
.LBB39_178:
	s_branch .LBB39_211
.LBB39_179:
	s_cmp_gt_i32 s11, 22
	s_cbranch_scc0 .LBB39_187
; %bb.180:
	s_cmp_lt_i32 s11, 24
	s_cbranch_scc1 .LBB39_190
; %bb.181:
	s_cmp_gt_i32 s11, 24
	s_cbranch_scc0 .LBB39_191
; %bb.182:
	global_load_ubyte v4, v[1:2], off
	s_movk_i32 s0, 0x7f
	s_mov_b64 s[8:9], 0
	s_waitcnt vmcnt(0)
	v_cmp_lt_i16_e32 vcc, s0, v4
	s_and_saveexec_b64 s[0:1], vcc
	s_xor_b64 s[0:1], exec, s[0:1]
	s_cbranch_execz .LBB39_203
; %bb.183:
	s_movk_i32 s8, 0x80
	v_cmp_ne_u16_e32 vcc, s8, v4
	s_and_b64 s[8:9], vcc, exec
	s_andn2_saveexec_b64 s[0:1], s[0:1]
	s_cbranch_execnz .LBB39_204
.LBB39_184:
	s_or_b64 exec, exec, s[0:1]
	v_mov_b32_e32 v3, 0
	s_and_saveexec_b64 s[0:1], s[8:9]
	s_cbranch_execz .LBB39_186
.LBB39_185:
	v_lshlrev_b32_e32 v3, 24, v4
	v_and_b32_e32 v4, 0xffff, v4
	v_and_b32_e32 v5, 3, v4
	v_ffbh_u32_e32 v7, v5
	v_min_u32_e32 v7, 32, v7
	v_subrev_u32_e32 v9, 29, v7
	v_bfe_u32 v6, v4, 2, 5
	v_lshlrev_b32_e32 v4, v9, v4
	v_sub_u32_e32 v7, 30, v7
	v_and_b32_e32 v4, 3, v4
	v_cmp_eq_u32_e32 vcc, 0, v6
	v_cndmask_b32_e32 v6, v6, v7, vcc
	v_cndmask_b32_e32 v4, v5, v4, vcc
	v_mov_b32_e32 v5, 0x37800000
	v_lshlrev_b32_e32 v4, 21, v4
	v_and_b32_e32 v3, 0x80000000, v3
	v_lshl_add_u32 v5, v6, 23, v5
	v_or3_b32 v3, v3, v5, v4
	v_cvt_i32_f32_e32 v3, v3
.LBB39_186:
	s_or_b64 exec, exec, s[0:1]
	s_mov_b64 s[0:1], 0
	s_branch .LBB39_192
.LBB39_187:
	s_mov_b64 s[8:9], -1
                                        ; implicit-def: $vgpr3
	s_branch .LBB39_198
.LBB39_188:
	s_andn2_saveexec_b64 s[0:1], s[0:1]
	s_cbranch_execz .LBB39_174
.LBB39_189:
	v_cmp_ne_u16_e32 vcc, 0, v4
	s_andn2_b64 s[8:9], s[8:9], exec
	s_and_b64 s[12:13], vcc, exec
	s_or_b64 s[8:9], s[8:9], s[12:13]
	s_or_b64 exec, exec, s[0:1]
	v_mov_b32_e32 v3, 0
	s_and_saveexec_b64 s[0:1], s[8:9]
	s_cbranch_execnz .LBB39_175
	s_branch .LBB39_176
.LBB39_190:
	s_mov_b64 s[0:1], -1
                                        ; implicit-def: $vgpr3
	s_branch .LBB39_195
.LBB39_191:
	s_mov_b64 s[0:1], -1
                                        ; implicit-def: $vgpr3
.LBB39_192:
	s_and_b64 vcc, exec, s[0:1]
	s_cbranch_vccz .LBB39_194
; %bb.193:
	global_load_ubyte v3, v[1:2], off
	s_mov_b32 s0, 0x7f800000
	s_waitcnt vmcnt(0)
	v_lshlrev_b32_e32 v3, 24, v3
	v_and_b32_e32 v4, 0x7f000000, v3
	v_ffbh_u32_e32 v5, v4
	v_min_u32_e32 v5, 32, v5
	v_sub_u32_e64 v5, v5, 4 clamp
	v_lshlrev_b32_e32 v7, v5, v4
	v_lshlrev_b32_e32 v5, 23, v5
	v_lshrrev_b32_e32 v7, 4, v7
	v_add_u32_e32 v6, 0x1000000, v4
	v_sub_u32_e32 v5, v7, v5
	v_ashrrev_i32_e32 v6, 8, v6
	v_add_u32_e32 v5, 0x3c000000, v5
	v_and_or_b32 v5, v6, s0, v5
	v_cmp_ne_u32_e32 vcc, 0, v4
	v_cndmask_b32_e32 v4, 0, v5, vcc
	s_brev_b32 s0, 1
	v_and_or_b32 v3, v3, s0, v4
	v_cvt_i32_f32_e32 v3, v3
.LBB39_194:
	s_mov_b64 s[0:1], 0
.LBB39_195:
	s_andn2_b64 vcc, exec, s[0:1]
	s_cbranch_vccnz .LBB39_197
; %bb.196:
	global_load_ubyte v3, v[1:2], off
	s_movk_i32 s0, 0x7f00
	s_brev_b32 s1, 16
	s_waitcnt vmcnt(0)
	v_lshlrev_b16_e32 v4, 8, v3
	v_lshlrev_b32_e32 v3, 25, v3
	v_lshrrev_b32_e32 v5, 4, v3
	v_and_or_b32 v6, v4, s0, 0.5
	v_or_b32_e32 v5, 0x70000000, v5
	v_add_f32_e32 v6, -0.5, v6
	v_mul_f32_e32 v5, 0x7800000, v5
	v_cmp_gt_u32_e32 vcc, s1, v3
	v_bfe_i32 v4, v4, 0, 16
	v_cndmask_b32_e32 v3, v5, v6, vcc
	s_brev_b32 s0, 1
	v_and_or_b32 v3, v4, s0, v3
	v_cvt_i32_f32_e32 v3, v3
.LBB39_197:
	s_mov_b64 s[8:9], 0
	s_mov_b64 s[0:1], -1
.LBB39_198:
	s_andn2_b64 vcc, exec, s[8:9]
	s_cbranch_vccnz .LBB39_211
; %bb.199:
	s_cmp_gt_i32 s11, 14
	s_cbranch_scc0 .LBB39_202
; %bb.200:
	s_cmp_eq_u32 s11, 15
	s_cbranch_scc0 .LBB39_205
; %bb.201:
	global_load_ushort v3, v[1:2], off
	s_mov_b64 s[0:1], -1
	s_mov_b64 s[2:3], 0
	s_waitcnt vmcnt(0)
	v_lshlrev_b32_e32 v3, 16, v3
	v_cvt_i32_f32_e32 v3, v3
	s_branch .LBB39_206
.LBB39_202:
	s_mov_b64 s[8:9], -1
                                        ; implicit-def: $vgpr3
	s_branch .LBB39_207
.LBB39_203:
	s_andn2_saveexec_b64 s[0:1], s[0:1]
	s_cbranch_execz .LBB39_184
.LBB39_204:
	v_cmp_ne_u16_e32 vcc, 0, v4
	s_andn2_b64 s[8:9], s[8:9], exec
	s_and_b64 s[12:13], vcc, exec
	s_or_b64 s[8:9], s[8:9], s[12:13]
	s_or_b64 exec, exec, s[0:1]
	v_mov_b32_e32 v3, 0
	s_and_saveexec_b64 s[0:1], s[8:9]
	s_cbranch_execnz .LBB39_185
	s_branch .LBB39_186
.LBB39_205:
	s_mov_b64 s[2:3], -1
                                        ; implicit-def: $vgpr3
.LBB39_206:
	s_mov_b64 s[8:9], 0
.LBB39_207:
	s_and_b64 vcc, exec, s[8:9]
	s_cbranch_vccz .LBB39_211
; %bb.208:
	s_cmp_eq_u32 s11, 11
	s_cbranch_scc0 .LBB39_210
; %bb.209:
	global_load_ubyte v3, v[1:2], off
	s_mov_b64 s[0:1], -1
	s_mov_b64 s[2:3], 0
	s_waitcnt vmcnt(0)
	v_cmp_ne_u16_e32 vcc, 0, v3
	v_cndmask_b32_e64 v3, 0, 1, vcc
	s_branch .LBB39_211
.LBB39_210:
	s_mov_b64 s[2:3], -1
                                        ; implicit-def: $vgpr3
.LBB39_211:
	s_branch .LBB39_24
.LBB39_212:
	s_and_b32 s8, 0xffff, s10
	s_cmp_lt_i32 s8, 5
	s_cbranch_scc1 .LBB39_217
; %bb.213:
	s_cmp_lt_i32 s8, 8
	s_cbranch_scc1 .LBB39_218
; %bb.214:
	;; [unrolled: 3-line block ×3, first 2 shown]
	s_cmp_gt_i32 s8, 9
	s_cbranch_scc0 .LBB39_220
; %bb.216:
	global_load_dwordx2 v[3:4], v[1:2], off
	s_mov_b64 s[0:1], 0
	s_waitcnt vmcnt(0)
	v_cvt_i32_f64_e32 v3, v[3:4]
	s_branch .LBB39_221
.LBB39_217:
                                        ; implicit-def: $vgpr3
	s_branch .LBB39_239
.LBB39_218:
	s_mov_b64 s[0:1], -1
                                        ; implicit-def: $vgpr3
	s_branch .LBB39_227
.LBB39_219:
	s_mov_b64 s[0:1], -1
                                        ; implicit-def: $vgpr3
	s_branch .LBB39_224
.LBB39_220:
	s_mov_b64 s[0:1], -1
                                        ; implicit-def: $vgpr3
.LBB39_221:
	s_andn2_b64 vcc, exec, s[0:1]
	s_cbranch_vccnz .LBB39_223
; %bb.222:
	global_load_dword v3, v[1:2], off
	s_waitcnt vmcnt(0)
	v_cvt_i32_f32_e32 v3, v3
.LBB39_223:
	s_mov_b64 s[0:1], 0
.LBB39_224:
	s_andn2_b64 vcc, exec, s[0:1]
	s_cbranch_vccnz .LBB39_226
; %bb.225:
	global_load_dword v3, v[1:2], off
	s_waitcnt vmcnt(0)
	v_cvt_i16_f16_e32 v3, v3
.LBB39_226:
	s_mov_b64 s[0:1], 0
.LBB39_227:
	s_andn2_b64 vcc, exec, s[0:1]
	s_cbranch_vccnz .LBB39_238
; %bb.228:
	s_cmp_lt_i32 s8, 6
	s_cbranch_scc1 .LBB39_231
; %bb.229:
	s_cmp_gt_i32 s8, 6
	s_cbranch_scc0 .LBB39_232
; %bb.230:
	global_load_dwordx2 v[3:4], v[1:2], off
	s_mov_b64 s[0:1], 0
	s_waitcnt vmcnt(0)
	v_cvt_i32_f64_e32 v3, v[3:4]
	s_branch .LBB39_233
.LBB39_231:
	s_mov_b64 s[0:1], -1
                                        ; implicit-def: $vgpr3
	s_branch .LBB39_236
.LBB39_232:
	s_mov_b64 s[0:1], -1
                                        ; implicit-def: $vgpr3
.LBB39_233:
	s_andn2_b64 vcc, exec, s[0:1]
	s_cbranch_vccnz .LBB39_235
; %bb.234:
	global_load_dword v3, v[1:2], off
	s_waitcnt vmcnt(0)
	v_cvt_i32_f32_e32 v3, v3
.LBB39_235:
	s_mov_b64 s[0:1], 0
.LBB39_236:
	s_andn2_b64 vcc, exec, s[0:1]
	s_cbranch_vccnz .LBB39_238
; %bb.237:
	global_load_ushort v3, v[1:2], off
	s_waitcnt vmcnt(0)
	v_cvt_i16_f16_e32 v3, v3
.LBB39_238:
	s_cbranch_execnz .LBB39_258
.LBB39_239:
	s_cmp_lt_i32 s8, 2
	s_cbranch_scc1 .LBB39_243
; %bb.240:
	s_cmp_lt_i32 s8, 3
	s_cbranch_scc1 .LBB39_244
; %bb.241:
	s_cmp_gt_i32 s8, 3
	s_cbranch_scc0 .LBB39_245
; %bb.242:
	global_load_dwordx2 v[3:4], v[1:2], off
	s_mov_b64 s[0:1], 0
	s_branch .LBB39_246
.LBB39_243:
	s_mov_b64 s[0:1], -1
                                        ; implicit-def: $vgpr3
	s_branch .LBB39_252
.LBB39_244:
	s_mov_b64 s[0:1], -1
                                        ; implicit-def: $vgpr3
	s_branch .LBB39_249
.LBB39_245:
	s_mov_b64 s[0:1], -1
                                        ; implicit-def: $vgpr3
.LBB39_246:
	s_andn2_b64 vcc, exec, s[0:1]
	s_cbranch_vccnz .LBB39_248
; %bb.247:
	global_load_dword v3, v[1:2], off
.LBB39_248:
	s_mov_b64 s[0:1], 0
.LBB39_249:
	s_andn2_b64 vcc, exec, s[0:1]
	s_cbranch_vccnz .LBB39_251
; %bb.250:
	global_load_ushort v3, v[1:2], off
.LBB39_251:
	s_mov_b64 s[0:1], 0
.LBB39_252:
	s_andn2_b64 vcc, exec, s[0:1]
	s_cbranch_vccnz .LBB39_258
; %bb.253:
	s_cmp_gt_i32 s8, 0
	s_cbranch_scc0 .LBB39_255
; %bb.254:
	global_load_ubyte v3, v[1:2], off
	s_mov_b64 s[0:1], 0
	s_branch .LBB39_256
.LBB39_255:
	s_mov_b64 s[0:1], -1
                                        ; implicit-def: $vgpr3
.LBB39_256:
	s_andn2_b64 vcc, exec, s[0:1]
	s_cbranch_vccnz .LBB39_258
; %bb.257:
	global_load_ubyte v3, v[1:2], off
.LBB39_258:
	s_branch .LBB39_25
.LBB39_259:
	s_mov_b64 s[0:1], 0
.LBB39_260:
	s_mov_b64 s[8:9], 0
                                        ; implicit-def: $vgpr8
.LBB39_261:
	s_and_b64 s[56:57], s[0:1], exec
	s_and_b64 s[58:59], s[2:3], exec
	s_orn2_b64 s[2:3], s[8:9], exec
.LBB39_262:
	s_or_b64 exec, exec, s[60:61]
	s_mov_b64 s[10:11], 0
	s_mov_b64 s[0:1], 0
                                        ; implicit-def: $sgpr14
                                        ; implicit-def: $vgpr1_vgpr2
                                        ; implicit-def: $vgpr0
                                        ; implicit-def: $vgpr3
	s_and_saveexec_b64 s[60:61], s[2:3]
	s_cbranch_execz .LBB39_269
; %bb.263:
	v_cmp_gt_i32_e32 vcc, s74, v8
	s_mov_b64 s[0:1], -1
	s_mov_b64 s[62:63], s[58:59]
	s_mov_b64 s[64:65], s[56:57]
	s_and_saveexec_b64 s[66:67], vcc
	s_cbranch_execz .LBB39_534
; %bb.264:
	s_andn2_b64 vcc, exec, s[40:41]
	s_cbranch_vccnz .LBB39_272
; %bb.265:
	s_andn2_b64 vcc, exec, s[54:55]
	s_cbranch_vccnz .LBB39_273
; %bb.266:
	s_add_i32 s46, s80, 1
	s_cmp_eq_u32 s76, 2
	s_cbranch_scc1 .LBB39_274
; %bb.267:
	s_and_b32 s45, s46, 28
	v_mov_b32_e32 v2, 0
	s_mov_b32 s68, 0
	s_mov_b64 s[62:63], s[34:35]
	s_mov_b64 s[64:65], s[52:53]
	v_mov_b32_e32 v0, 0
	v_mov_b32_e32 v1, v8
.LBB39_268:                             ; =>This Inner Loop Header: Depth=1
	s_load_dwordx8 s[16:23], s[62:63], 0x4
	s_load_dwordx4 s[0:3], s[62:63], 0x24
	s_load_dwordx8 s[8:15], s[64:65], 0x0
	s_add_u32 s62, s62, 48
	s_addc_u32 s63, s63, 0
	s_waitcnt vmcnt(0) lgkmcnt(0)
	v_mul_hi_u32 v3, s17, v1
	s_add_i32 s68, s68, 4
	s_add_u32 s64, s64, 32
	s_addc_u32 s65, s65, 0
	v_add_u32_e32 v3, v1, v3
	v_lshrrev_b32_e32 v3, s18, v3
	v_mul_lo_u32 v4, v3, s16
	v_mul_hi_u32 v5, s20, v3
	s_cmp_eq_u32 s45, s68
	v_sub_u32_e32 v1, v1, v4
	v_add_u32_e32 v4, v3, v5
	v_mul_lo_u32 v5, v1, s8
	v_mul_lo_u32 v6, v1, s9
	v_lshrrev_b32_e32 v1, s21, v4
	v_mul_lo_u32 v4, v1, s19
	v_mul_hi_u32 v7, s23, v1
	v_sub_u32_e32 v3, v3, v4
	v_add_u32_e32 v4, v1, v7
	v_lshrrev_b32_e32 v4, s0, v4
	v_mul_hi_u32 v9, s2, v4
	v_mul_lo_u32 v10, v4, s22
	v_mul_lo_u32 v7, v3, s10
	;; [unrolled: 1-line block ×3, first 2 shown]
	v_sub_u32_e32 v10, v1, v10
	v_add_u32_e32 v1, v4, v9
	v_lshrrev_b32_e32 v1, s3, v1
	v_mul_lo_u32 v9, v1, s1
	v_mul_lo_u32 v11, v10, s12
	;; [unrolled: 1-line block ×3, first 2 shown]
	v_add3_u32 v0, v5, v0, v7
	v_sub_u32_e32 v4, v4, v9
	v_mul_lo_u32 v9, v4, s14
	v_mul_lo_u32 v4, v4, s15
	v_add3_u32 v2, v6, v2, v3
	v_add3_u32 v0, v11, v0, v9
	v_add3_u32 v2, v10, v2, v4
	s_cbranch_scc0 .LBB39_268
	s_branch .LBB39_275
.LBB39_269:
	s_or_b64 exec, exec, s[60:61]
	s_mov_b64 s[2:3], 0
	s_and_saveexec_b64 s[8:9], s[58:59]
	s_cbranch_execnz .LBB39_902
.LBB39_270:
	s_or_b64 exec, exec, s[8:9]
	s_and_saveexec_b64 s[8:9], s[64:65]
	s_xor_b64 s[8:9], exec, s[8:9]
	s_cbranch_execz .LBB39_903
.LBB39_271:
	global_load_ubyte v3, v[1:2], off
	s_or_b64 s[0:1], s[0:1], exec
	s_waitcnt vmcnt(0)
	v_cmp_ne_u16_e32 vcc, 0, v3
	v_cndmask_b32_e64 v3, 0, 1, vcc
	s_or_b64 exec, exec, s[8:9]
	s_and_saveexec_b64 s[8:9], s[10:11]
	s_cbranch_execz .LBB39_949
	s_branch .LBB39_904
.LBB39_272:
                                        ; implicit-def: $vgpr0
                                        ; implicit-def: $vgpr2
	s_andn2_b64 vcc, exec, s[0:1]
	s_cbranch_vccz .LBB39_279
	s_branch .LBB39_281
.LBB39_273:
	v_mov_b32_e32 v0, 0
	v_mov_b32_e32 v2, 0
	s_branch .LBB39_278
.LBB39_274:
	s_mov_b32 s45, 0
	v_mov_b32_e32 v0, 0
	v_mov_b32_e32 v2, 0
	;; [unrolled: 1-line block ×3, first 2 shown]
.LBB39_275:
	s_and_b32 s8, s46, 3
	s_cmp_eq_u32 s8, 0
	s_cbranch_scc1 .LBB39_278
; %bb.276:
	s_lshl_b32 s0, s45, 3
	s_add_u32 s0, s34, s0
	s_addc_u32 s1, s35, 0
	s_add_u32 s0, s0, 0xc4
	s_addc_u32 s1, s1, 0
	s_mul_i32 s2, s45, 12
	s_add_u32 s2, s34, s2
	s_addc_u32 s3, s35, 0
.LBB39_277:                             ; =>This Inner Loop Header: Depth=1
	s_load_dwordx2 s[10:11], s[2:3], 0x4
	s_load_dword s9, s[2:3], 0xc
	s_load_dwordx2 s[12:13], s[0:1], 0x0
	s_add_u32 s2, s2, 12
	s_addc_u32 s3, s3, 0
	s_waitcnt vmcnt(0) lgkmcnt(0)
	v_mul_hi_u32 v3, s11, v1
	s_add_u32 s0, s0, 8
	s_addc_u32 s1, s1, 0
	s_add_i32 s8, s8, -1
	v_add_u32_e32 v3, v1, v3
	v_lshrrev_b32_e32 v4, s9, v3
	v_mul_lo_u32 v3, v4, s10
	s_cmp_lg_u32 s8, 0
	v_sub_u32_e32 v3, v1, v3
	v_mad_u64_u32 v[0:1], s[10:11], v3, s12, v[0:1]
	v_mad_u64_u32 v[2:3], s[10:11], v3, s13, v[2:3]
	v_mov_b32_e32 v1, v4
	s_cbranch_scc1 .LBB39_277
.LBB39_278:
	s_cbranch_execnz .LBB39_281
.LBB39_279:
	v_mul_hi_u32 v0, s29, v8
	s_andn2_b64 vcc, exec, s[50:51]
	v_add_u32_e32 v0, v8, v0
	v_lshrrev_b32_e32 v1, s30, v0
	v_mul_lo_u32 v0, v1, s28
	v_sub_u32_e32 v2, v8, v0
	v_mul_lo_u32 v0, v2, s36
	v_mul_lo_u32 v2, v2, s37
	s_cbranch_vccnz .LBB39_281
; %bb.280:
	s_waitcnt vmcnt(0)
	v_mul_hi_u32 v3, s48, v1
	v_add_u32_e32 v3, v1, v3
	v_lshrrev_b32_e32 v3, s49, v3
	v_mul_lo_u32 v3, v3, s31
	v_sub_u32_e32 v3, v1, v3
	v_mad_u64_u32 v[0:1], s[0:1], v3, s38, v[0:1]
	v_mad_u64_u32 v[2:3], s[0:1], v3, s39, v[2:3]
.LBB39_281:
	s_waitcnt vmcnt(0)
	v_mov_b32_e32 v3, s27
	s_and_b32 s10, s47, 0xff
	v_add_co_u32_e32 v1, vcc, s26, v2
	s_cmp_lt_i32 s10, 11
	v_addc_co_u32_e32 v2, vcc, 0, v3, vcc
	s_cbranch_scc1 .LBB39_288
; %bb.282:
	s_and_b32 s11, 0xffff, s10
	s_cmp_gt_i32 s11, 25
	s_cbranch_scc0 .LBB39_297
; %bb.283:
	s_cmp_gt_i32 s11, 28
	s_cbranch_scc0 .LBB39_299
; %bb.284:
	;; [unrolled: 3-line block ×4, first 2 shown]
	s_cmp_eq_u32 s11, 46
	s_mov_b64 s[8:9], 0
	s_cbranch_scc0 .LBB39_309
; %bb.287:
	global_load_dword v3, v[1:2], off
	s_mov_b64 s[0:1], -1
	s_mov_b64 s[2:3], 0
	s_waitcnt vmcnt(0)
	v_lshlrev_b32_e32 v3, 16, v3
	v_cvt_i32_f32_e32 v3, v3
	s_branch .LBB39_310
.LBB39_288:
	s_mov_b64 s[0:1], 0
                                        ; implicit-def: $vgpr3
	s_mov_b64 s[2:3], s[58:59]
	s_cbranch_execnz .LBB39_483
.LBB39_289:
	s_andn2_b64 vcc, exec, s[0:1]
	s_cbranch_vccnz .LBB39_531
.LBB39_290:
	v_mov_b32_e32 v1, s78
	v_mov_b32_e32 v2, s79
	s_waitcnt vmcnt(0)
	v_cmp_gt_i16_sdwa vcc, sext(v3), s77 src0_sel:BYTE_0 src1_sel:DWORD
	v_cndmask_b32_e32 v2, v1, v2, vcc
	v_mov_b32_e32 v1, s25
	s_and_b32 s14, s44, 0xff
	v_add_co_u32_e32 v0, vcc, s24, v0
	s_cmp_lt_i32 s14, 11
	v_addc_co_u32_e32 v1, vcc, 0, v1, vcc
	s_cbranch_scc1 .LBB39_298
; %bb.291:
	s_and_b32 s15, 0xffff, s14
	s_cmp_gt_i32 s15, 25
	s_cbranch_scc0 .LBB39_300
; %bb.292:
	s_cmp_gt_i32 s15, 28
	s_cbranch_scc0 .LBB39_302
; %bb.293:
	;; [unrolled: 3-line block ×4, first 2 shown]
	s_mov_b64 s[10:11], 0
	s_mov_b64 s[0:1], -1
	s_cmp_eq_u32 s15, 46
	s_mov_b64 s[8:9], 0
	s_cbranch_scc0 .LBB39_314
; %bb.296:
	v_bfe_i32 v3, v2, 0, 8
	v_cvt_f32_i32_sdwa v3, sext(v3) dst_sel:DWORD dst_unused:UNUSED_PAD src0_sel:WORD_0
	s_movk_i32 s0, 0x7fff
	s_mov_b64 s[8:9], -1
	v_bfe_u32 v4, v3, 16, 1
	v_add3_u32 v3, v3, v4, s0
	v_lshrrev_b32_e32 v3, 16, v3
	global_store_dword v[0:1], v3, off
	s_mov_b64 s[0:1], 0
	s_branch .LBB39_314
.LBB39_297:
	s_mov_b64 s[8:9], -1
	s_mov_b64 s[0:1], 0
	s_mov_b64 s[2:3], s[58:59]
                                        ; implicit-def: $vgpr3
	s_branch .LBB39_449
.LBB39_298:
	s_mov_b64 s[10:11], -1
	s_mov_b64 s[8:9], 0
	s_mov_b64 s[0:1], s[56:57]
	s_branch .LBB39_383
.LBB39_299:
	s_mov_b64 s[8:9], -1
	s_mov_b64 s[0:1], 0
	s_mov_b64 s[2:3], s[58:59]
                                        ; implicit-def: $vgpr3
	s_branch .LBB39_432
.LBB39_300:
	s_mov_b64 s[10:11], -1
	s_mov_b64 s[8:9], 0
	s_mov_b64 s[0:1], s[56:57]
	s_branch .LBB39_341
.LBB39_301:
	s_mov_b64 s[8:9], -1
	s_mov_b64 s[0:1], 0
	s_mov_b64 s[2:3], s[58:59]
                                        ; implicit-def: $vgpr3
	s_branch .LBB39_427
.LBB39_302:
	s_mov_b64 s[10:11], -1
	s_mov_b64 s[8:9], 0
	s_mov_b64 s[0:1], s[56:57]
	s_branch .LBB39_324
.LBB39_303:
	s_andn2_saveexec_b64 s[12:13], s[12:13]
	s_cbranch_execz .LBB39_68
.LBB39_304:
	s_mov_b32 s16, 0x46000000
	v_add_f32_e64 v4, |v3|, s16
	v_and_b32_e32 v4, 0xff, v4
	v_cmp_ne_u32_e32 vcc, 0, v4
	s_andn2_b64 s[10:11], s[10:11], exec
	s_and_b64 s[16:17], vcc, exec
	s_or_b64 s[10:11], s[10:11], s[16:17]
	s_or_b64 exec, exec, s[12:13]
	v_mov_b32_e32 v5, 0
	s_and_saveexec_b64 s[12:13], s[10:11]
	s_cbranch_execnz .LBB39_69
	s_branch .LBB39_70
.LBB39_305:
	s_mov_b64 s[8:9], -1
	s_mov_b64 s[0:1], 0
	s_mov_b64 s[2:3], s[58:59]
                                        ; implicit-def: $vgpr3
	s_branch .LBB39_310
.LBB39_306:
	s_mov_b64 s[10:11], -1
	s_mov_b64 s[8:9], 0
	s_mov_b64 s[0:1], s[56:57]
	s_branch .LBB39_320
.LBB39_307:
	s_andn2_saveexec_b64 s[12:13], s[12:13]
	s_cbranch_execz .LBB39_81
.LBB39_308:
	s_mov_b32 s16, 0x42800000
	v_add_f32_e64 v4, |v3|, s16
	v_and_b32_e32 v4, 0xff, v4
	v_cmp_ne_u32_e32 vcc, 0, v4
	s_andn2_b64 s[10:11], s[10:11], exec
	s_and_b64 s[16:17], vcc, exec
	s_or_b64 s[10:11], s[10:11], s[16:17]
	s_or_b64 exec, exec, s[12:13]
	v_mov_b32_e32 v5, 0
	s_and_saveexec_b64 s[12:13], s[10:11]
	s_cbranch_execnz .LBB39_82
	s_branch .LBB39_83
.LBB39_309:
	s_mov_b64 s[2:3], -1
                                        ; implicit-def: $vgpr3
	s_mov_b64 s[0:1], 0
.LBB39_310:
	s_and_b64 vcc, exec, s[8:9]
	s_cbranch_vccz .LBB39_426
; %bb.311:
	s_cmp_eq_u32 s11, 44
	s_cbranch_scc0 .LBB39_425
; %bb.312:
	global_load_ubyte v3, v[1:2], off
	s_mov_b64 s[0:1], -1
	s_mov_b64 s[2:3], 0
	s_waitcnt vmcnt(0)
	v_lshlrev_b32_e32 v4, 23, v3
	v_cvt_i32_f32_e32 v4, v4
	v_cmp_ne_u32_e32 vcc, 0, v3
	v_cndmask_b32_e32 v3, 0, v4, vcc
	s_branch .LBB39_426
.LBB39_313:
	s_mov_b64 s[10:11], -1
	s_mov_b64 s[8:9], 0
	s_mov_b64 s[0:1], s[56:57]
.LBB39_314:
	s_and_b64 vcc, exec, s[10:11]
	s_cbranch_vccz .LBB39_319
; %bb.315:
	s_cmp_eq_u32 s15, 44
	s_mov_b64 s[0:1], -1
	s_cbranch_scc0 .LBB39_319
; %bb.316:
	v_bfe_i32 v3, v2, 0, 8
	v_cvt_f32_i32_sdwa v3, sext(v3) dst_sel:DWORD dst_unused:UNUSED_PAD src0_sel:WORD_0
	s_movk_i32 s0, 0xff
	v_mov_b32_e32 v5, 0xff
	v_bfe_u32 v4, v3, 23, 8
	v_cmp_ne_u32_e32 vcc, s0, v4
	s_and_saveexec_b64 s[8:9], vcc
; %bb.317:
	s_mov_b32 s0, 0x3fffff
	v_lshrrev_b32_e32 v5, 23, v3
	v_and_b32_e32 v6, 0x400000, v3
	v_and_or_b32 v3, v3, s0, v4
	v_cmp_ne_u32_e32 vcc, 0, v6
	v_cmp_ne_u32_e64 s[0:1], 0, v3
	s_and_b64 s[0:1], vcc, s[0:1]
	v_cndmask_b32_e64 v3, 0, 1, s[0:1]
	v_add_u32_e32 v5, v5, v3
; %bb.318:
	s_or_b64 exec, exec, s[8:9]
	s_mov_b64 s[8:9], -1
	s_mov_b64 s[0:1], 0
	global_store_byte v[0:1], v5, off
.LBB39_319:
	s_mov_b64 s[10:11], 0
.LBB39_320:
	s_and_b64 vcc, exec, s[10:11]
	s_cbranch_vccz .LBB39_323
; %bb.321:
	s_cmp_eq_u32 s15, 29
	s_mov_b64 s[0:1], -1
	s_cbranch_scc0 .LBB39_323
; %bb.322:
	v_bfe_i32 v3, v2, 0, 8
	v_ashrrev_i32_e32 v4, 31, v3
	global_store_dwordx2 v[0:1], v[3:4], off
	s_mov_b64 s[8:9], -1
	s_mov_b64 s[0:1], 0
.LBB39_323:
	s_mov_b64 s[10:11], 0
.LBB39_324:
	s_and_b64 vcc, exec, s[10:11]
	s_cbranch_vccz .LBB39_340
; %bb.325:
	s_cmp_lt_i32 s15, 27
	s_mov_b64 s[8:9], -1
	s_cbranch_scc1 .LBB39_331
; %bb.326:
	s_cmp_gt_i32 s15, 27
	s_cbranch_scc0 .LBB39_328
; %bb.327:
	v_bfe_i32 v3, v2, 0, 8
	s_mov_b64 s[8:9], 0
	global_store_dword v[0:1], v3, off
.LBB39_328:
	s_andn2_b64 vcc, exec, s[8:9]
	s_cbranch_vccnz .LBB39_330
; %bb.329:
	v_bfe_i32 v3, v2, 0, 8
	global_store_short v[0:1], v3, off
.LBB39_330:
	s_mov_b64 s[8:9], 0
.LBB39_331:
	s_andn2_b64 vcc, exec, s[8:9]
	s_cbranch_vccnz .LBB39_339
; %bb.332:
	v_bfe_i32 v3, v2, 0, 8
	v_cvt_f32_i32_sdwa v3, sext(v3) dst_sel:DWORD dst_unused:UNUSED_PAD src0_sel:WORD_0
	s_mov_b32 s8, 0x43800000
	v_mov_b32_e32 v5, 0x80
	v_and_b32_e32 v4, 0x7fffffff, v3
	v_cmp_gt_u32_e32 vcc, s8, v4
	s_and_saveexec_b64 s[8:9], vcc
	s_cbranch_execz .LBB39_338
; %bb.333:
	s_mov_b32 s10, 0x3bffffff
	v_cmp_lt_u32_e32 vcc, s10, v4
	s_mov_b64 s[10:11], 0
                                        ; implicit-def: $vgpr4
	s_and_saveexec_b64 s[12:13], vcc
	s_xor_b64 s[12:13], exec, s[12:13]
	s_cbranch_execz .LBB39_562
; %bb.334:
	v_bfe_u32 v4, v3, 20, 1
	s_mov_b32 s16, 0x487ffff
	v_add3_u32 v4, v3, v4, s16
	s_mov_b64 s[10:11], exec
	v_lshrrev_b32_e32 v4, 20, v4
	s_andn2_saveexec_b64 s[12:13], s[12:13]
	s_cbranch_execnz .LBB39_563
.LBB39_335:
	s_or_b64 exec, exec, s[12:13]
	v_mov_b32_e32 v5, 0
	s_and_saveexec_b64 s[12:13], s[10:11]
.LBB39_336:
	v_lshrrev_b32_e32 v3, 24, v3
	s_movk_i32 s10, 0x80
	v_and_or_b32 v5, v3, s10, v4
.LBB39_337:
	s_or_b64 exec, exec, s[12:13]
.LBB39_338:
	s_or_b64 exec, exec, s[8:9]
	global_store_byte v[0:1], v5, off
.LBB39_339:
	s_mov_b64 s[8:9], -1
.LBB39_340:
	s_mov_b64 s[10:11], 0
.LBB39_341:
	s_and_b64 vcc, exec, s[10:11]
	s_cbranch_vccz .LBB39_382
; %bb.342:
	s_cmp_gt_i32 s15, 22
	s_mov_b64 s[10:11], -1
	s_cbranch_scc0 .LBB39_374
; %bb.343:
	s_cmp_lt_i32 s15, 24
	s_mov_b64 s[8:9], -1
	s_cbranch_scc1 .LBB39_363
; %bb.344:
	s_cmp_gt_i32 s15, 24
	s_cbranch_scc0 .LBB39_352
; %bb.345:
	v_bfe_i32 v3, v2, 0, 8
	v_cvt_f32_i32_sdwa v3, sext(v3) dst_sel:DWORD dst_unused:UNUSED_PAD src0_sel:WORD_0
	s_mov_b32 s8, 0x47800000
	v_mov_b32_e32 v5, 0x80
	v_and_b32_e32 v4, 0x7fffffff, v3
	v_cmp_gt_u32_e32 vcc, s8, v4
	s_and_saveexec_b64 s[8:9], vcc
	s_cbranch_execz .LBB39_351
; %bb.346:
	s_mov_b32 s10, 0x37ffffff
	v_cmp_lt_u32_e32 vcc, s10, v4
	s_mov_b64 s[10:11], 0
                                        ; implicit-def: $vgpr4
	s_and_saveexec_b64 s[12:13], vcc
	s_xor_b64 s[12:13], exec, s[12:13]
	s_cbranch_execz .LBB39_565
; %bb.347:
	v_bfe_u32 v4, v3, 21, 1
	s_mov_b32 s16, 0x88fffff
	v_add3_u32 v4, v3, v4, s16
	s_mov_b64 s[10:11], exec
	v_lshrrev_b32_e32 v4, 21, v4
	s_andn2_saveexec_b64 s[12:13], s[12:13]
	s_cbranch_execnz .LBB39_566
.LBB39_348:
	s_or_b64 exec, exec, s[12:13]
	v_mov_b32_e32 v5, 0
	s_and_saveexec_b64 s[12:13], s[10:11]
.LBB39_349:
	v_lshrrev_b32_e32 v3, 24, v3
	s_movk_i32 s10, 0x80
	v_and_or_b32 v5, v3, s10, v4
.LBB39_350:
	s_or_b64 exec, exec, s[12:13]
.LBB39_351:
	s_or_b64 exec, exec, s[8:9]
	s_mov_b64 s[8:9], 0
	global_store_byte v[0:1], v5, off
.LBB39_352:
	s_and_b64 vcc, exec, s[8:9]
	s_cbranch_vccz .LBB39_362
; %bb.353:
	v_bfe_i32 v3, v2, 0, 8
	v_cvt_f32_i32_sdwa v3, sext(v3) dst_sel:DWORD dst_unused:UNUSED_PAD src0_sel:WORD_0
	s_mov_b32 s8, 0x43f00000
                                        ; implicit-def: $vgpr4
	v_and_b32_e32 v5, 0x7fffffff, v3
	v_cmp_gt_u32_e32 vcc, s8, v5
	s_and_saveexec_b64 s[8:9], vcc
	s_xor_b64 s[8:9], exec, s[8:9]
	s_cbranch_execz .LBB39_359
; %bb.354:
	s_mov_b32 s10, 0x3c7fffff
	v_cmp_lt_u32_e32 vcc, s10, v5
                                        ; implicit-def: $vgpr4
	s_and_saveexec_b64 s[10:11], vcc
	s_xor_b64 s[10:11], exec, s[10:11]
; %bb.355:
	v_bfe_u32 v4, v3, 20, 1
	s_mov_b32 s12, 0x407ffff
	v_add3_u32 v4, v3, v4, s12
	v_lshrrev_b32_e32 v5, 20, v4
	v_and_b32_e32 v4, 0xff00000, v4
	s_mov_b32 s12, 0x7f00000
	v_mov_b32_e32 v6, 0x7e
	v_cmp_ne_u32_e32 vcc, s12, v4
	v_cndmask_b32_e32 v4, v6, v5, vcc
; %bb.356:
	s_andn2_saveexec_b64 s[10:11], s[10:11]
; %bb.357:
	s_mov_b32 s12, 0x46800000
	v_add_f32_e64 v4, |v3|, s12
; %bb.358:
	s_or_b64 exec, exec, s[10:11]
                                        ; implicit-def: $vgpr5
.LBB39_359:
	s_andn2_saveexec_b64 s[8:9], s[8:9]
; %bb.360:
	s_mov_b32 s10, 0x7f800000
	v_mov_b32_e32 v4, 0x7e
	v_mov_b32_e32 v6, 0x7f
	v_cmp_lt_u32_e32 vcc, s10, v5
	v_cndmask_b32_e32 v4, v4, v6, vcc
; %bb.361:
	s_or_b64 exec, exec, s[8:9]
	v_lshrrev_b32_e32 v3, 24, v3
	s_movk_i32 s8, 0x80
	v_and_or_b32 v3, v3, s8, v4
	global_store_byte v[0:1], v3, off
.LBB39_362:
	s_mov_b64 s[8:9], 0
.LBB39_363:
	s_andn2_b64 vcc, exec, s[8:9]
	s_cbranch_vccnz .LBB39_373
; %bb.364:
	v_bfe_i32 v3, v2, 0, 8
	v_cvt_f32_i32_sdwa v3, sext(v3) dst_sel:DWORD dst_unused:UNUSED_PAD src0_sel:WORD_0
	s_mov_b32 s8, 0x47800000
                                        ; implicit-def: $vgpr4
	v_and_b32_e32 v5, 0x7fffffff, v3
	v_cmp_gt_u32_e32 vcc, s8, v5
	s_and_saveexec_b64 s[8:9], vcc
	s_xor_b64 s[8:9], exec, s[8:9]
	s_cbranch_execz .LBB39_370
; %bb.365:
	s_mov_b32 s10, 0x387fffff
	v_cmp_lt_u32_e32 vcc, s10, v5
                                        ; implicit-def: $vgpr4
	s_and_saveexec_b64 s[10:11], vcc
	s_xor_b64 s[10:11], exec, s[10:11]
; %bb.366:
	v_bfe_u32 v4, v3, 21, 1
	s_mov_b32 s12, 0x80fffff
	v_add3_u32 v4, v3, v4, s12
	v_lshrrev_b32_e32 v4, 21, v4
; %bb.367:
	s_andn2_saveexec_b64 s[10:11], s[10:11]
; %bb.368:
	s_mov_b32 s12, 0x43000000
	v_add_f32_e64 v4, |v3|, s12
; %bb.369:
	s_or_b64 exec, exec, s[10:11]
                                        ; implicit-def: $vgpr5
.LBB39_370:
	s_andn2_saveexec_b64 s[8:9], s[8:9]
; %bb.371:
	s_mov_b32 s10, 0x7f800000
	v_mov_b32_e32 v4, 0x7c
	v_mov_b32_e32 v6, 0x7f
	v_cmp_lt_u32_e32 vcc, s10, v5
	v_cndmask_b32_e32 v4, v4, v6, vcc
; %bb.372:
	s_or_b64 exec, exec, s[8:9]
	v_lshrrev_b32_e32 v3, 24, v3
	s_movk_i32 s8, 0x80
	v_and_or_b32 v3, v3, s8, v4
	global_store_byte v[0:1], v3, off
.LBB39_373:
	s_mov_b64 s[10:11], 0
	s_mov_b64 s[8:9], -1
.LBB39_374:
	s_andn2_b64 vcc, exec, s[10:11]
	s_cbranch_vccnz .LBB39_382
; %bb.375:
	s_cmp_gt_i32 s15, 14
	s_mov_b64 s[10:11], -1
	s_cbranch_scc0 .LBB39_379
; %bb.376:
	s_cmp_eq_u32 s15, 15
	s_mov_b64 s[0:1], -1
	s_cbranch_scc0 .LBB39_378
; %bb.377:
	v_bfe_i32 v3, v2, 0, 8
	v_cvt_f32_i32_sdwa v3, sext(v3) dst_sel:DWORD dst_unused:UNUSED_PAD src0_sel:WORD_0
	s_movk_i32 s0, 0x7fff
	s_mov_b64 s[8:9], -1
	v_bfe_u32 v4, v3, 16, 1
	v_add3_u32 v3, v3, v4, s0
	global_store_short_d16_hi v[0:1], v3, off
	s_mov_b64 s[0:1], 0
.LBB39_378:
	s_mov_b64 s[10:11], 0
.LBB39_379:
	s_and_b64 vcc, exec, s[10:11]
	s_cbranch_vccz .LBB39_382
; %bb.380:
	s_cmp_eq_u32 s15, 11
	s_mov_b64 s[0:1], -1
	s_cbranch_scc0 .LBB39_382
; %bb.381:
	v_mov_b32_e32 v3, 0
	v_cmp_ne_u16_sdwa s[0:1], v2, v3 src0_sel:BYTE_0 src1_sel:DWORD
	v_cndmask_b32_e64 v3, 0, 1, s[0:1]
	s_mov_b64 s[8:9], -1
	s_mov_b64 s[0:1], 0
	global_store_byte v[0:1], v3, off
.LBB39_382:
	s_mov_b64 s[10:11], 0
.LBB39_383:
	s_and_b64 vcc, exec, s[10:11]
	s_cbranch_vccz .LBB39_422
; %bb.384:
	s_and_b32 s10, 0xffff, s14
	s_cmp_lt_i32 s10, 5
	s_mov_b64 s[8:9], -1
	s_cbranch_scc1 .LBB39_405
; %bb.385:
	s_cmp_lt_i32 s10, 8
	s_cbranch_scc1 .LBB39_395
; %bb.386:
	s_cmp_lt_i32 s10, 9
	s_cbranch_scc1 .LBB39_392
; %bb.387:
	s_cmp_gt_i32 s10, 9
	s_cbranch_scc0 .LBB39_389
; %bb.388:
	v_bfe_i32 v3, v2, 0, 8
	v_bfe_i32 v3, v3, 0, 16
	v_cvt_f64_i32_e32 v[3:4], v3
	v_mov_b32_e32 v5, 0
	v_mov_b32_e32 v6, v5
	s_mov_b64 s[8:9], 0
	global_store_dwordx4 v[0:1], v[3:6], off
.LBB39_389:
	s_andn2_b64 vcc, exec, s[8:9]
	s_cbranch_vccnz .LBB39_391
; %bb.390:
	v_bfe_i32 v3, v2, 0, 8
	v_cvt_f32_i32_sdwa v3, sext(v3) dst_sel:DWORD dst_unused:UNUSED_PAD src0_sel:WORD_0
	v_mov_b32_e32 v4, 0
	global_store_dwordx2 v[0:1], v[3:4], off
.LBB39_391:
	s_mov_b64 s[8:9], 0
.LBB39_392:
	s_andn2_b64 vcc, exec, s[8:9]
	s_cbranch_vccnz .LBB39_394
; %bb.393:
	v_cvt_f16_i16_sdwa v3, sext(v2) dst_sel:DWORD dst_unused:UNUSED_PAD src0_sel:BYTE_0
	global_store_dword v[0:1], v3, off
.LBB39_394:
	s_mov_b64 s[8:9], 0
.LBB39_395:
	s_andn2_b64 vcc, exec, s[8:9]
	s_cbranch_vccnz .LBB39_404
; %bb.396:
	s_cmp_lt_i32 s10, 6
	s_mov_b64 s[8:9], -1
	s_cbranch_scc1 .LBB39_402
; %bb.397:
	s_cmp_gt_i32 s10, 6
	s_cbranch_scc0 .LBB39_399
; %bb.398:
	v_bfe_i32 v3, v2, 0, 8
	v_bfe_i32 v3, v3, 0, 16
	v_cvt_f64_i32_e32 v[3:4], v3
	s_mov_b64 s[8:9], 0
	global_store_dwordx2 v[0:1], v[3:4], off
.LBB39_399:
	s_andn2_b64 vcc, exec, s[8:9]
	s_cbranch_vccnz .LBB39_401
; %bb.400:
	v_bfe_i32 v3, v2, 0, 8
	v_cvt_f32_i32_sdwa v3, sext(v3) dst_sel:DWORD dst_unused:UNUSED_PAD src0_sel:WORD_0
	global_store_dword v[0:1], v3, off
.LBB39_401:
	s_mov_b64 s[8:9], 0
.LBB39_402:
	s_andn2_b64 vcc, exec, s[8:9]
	s_cbranch_vccnz .LBB39_404
; %bb.403:
	v_cvt_f16_i16_sdwa v3, sext(v2) dst_sel:DWORD dst_unused:UNUSED_PAD src0_sel:BYTE_0
	global_store_short v[0:1], v3, off
.LBB39_404:
	s_mov_b64 s[8:9], 0
.LBB39_405:
	s_andn2_b64 vcc, exec, s[8:9]
	s_cbranch_vccnz .LBB39_421
; %bb.406:
	s_cmp_lt_i32 s10, 2
	s_mov_b64 s[8:9], -1
	s_cbranch_scc1 .LBB39_416
; %bb.407:
	s_cmp_lt_i32 s10, 3
	s_cbranch_scc1 .LBB39_413
; %bb.408:
	s_cmp_gt_i32 s10, 3
	s_cbranch_scc0 .LBB39_410
; %bb.409:
	v_bfe_i32 v3, v2, 0, 8
	v_ashrrev_i32_e32 v4, 31, v3
	s_mov_b64 s[8:9], 0
	global_store_dwordx2 v[0:1], v[3:4], off
.LBB39_410:
	s_andn2_b64 vcc, exec, s[8:9]
	s_cbranch_vccnz .LBB39_412
; %bb.411:
	v_bfe_i32 v3, v2, 0, 8
	global_store_dword v[0:1], v3, off
.LBB39_412:
	s_mov_b64 s[8:9], 0
.LBB39_413:
	s_andn2_b64 vcc, exec, s[8:9]
	s_cbranch_vccnz .LBB39_415
; %bb.414:
	v_bfe_i32 v3, v2, 0, 8
	global_store_short v[0:1], v3, off
.LBB39_415:
	s_mov_b64 s[8:9], 0
.LBB39_416:
	s_andn2_b64 vcc, exec, s[8:9]
	s_cbranch_vccnz .LBB39_421
; %bb.417:
	s_cmp_gt_i32 s10, 0
	s_mov_b64 s[8:9], -1
	s_cbranch_scc0 .LBB39_419
; %bb.418:
	s_mov_b64 s[8:9], 0
	global_store_byte v[0:1], v2, off
.LBB39_419:
	s_andn2_b64 vcc, exec, s[8:9]
	s_cbranch_vccnz .LBB39_421
; %bb.420:
	global_store_byte v[0:1], v2, off
.LBB39_421:
	s_mov_b64 s[8:9], -1
.LBB39_422:
	s_andn2_b64 vcc, exec, s[8:9]
	s_cbranch_vccnz .LBB39_424
; %bb.423:
	v_add_u32_e32 v8, 0x80, v8
	s_mov_b64 s[8:9], -1
	s_branch .LBB39_533
.LBB39_424:
	s_mov_b64 s[8:9], 0
	s_branch .LBB39_532
.LBB39_425:
	s_mov_b64 s[2:3], -1
                                        ; implicit-def: $vgpr3
.LBB39_426:
	s_mov_b64 s[8:9], 0
.LBB39_427:
	s_and_b64 vcc, exec, s[8:9]
	s_cbranch_vccz .LBB39_431
; %bb.428:
	s_cmp_eq_u32 s11, 29
	s_cbranch_scc0 .LBB39_430
; %bb.429:
	global_load_dwordx2 v[3:4], v[1:2], off
	s_mov_b64 s[0:1], -1
	s_mov_b64 s[2:3], 0
	s_branch .LBB39_431
.LBB39_430:
	s_mov_b64 s[2:3], -1
                                        ; implicit-def: $vgpr3
.LBB39_431:
	s_mov_b64 s[8:9], 0
.LBB39_432:
	s_and_b64 vcc, exec, s[8:9]
	s_cbranch_vccz .LBB39_448
; %bb.433:
	s_cmp_lt_i32 s11, 27
	s_cbranch_scc1 .LBB39_436
; %bb.434:
	s_cmp_gt_i32 s11, 27
	s_cbranch_scc0 .LBB39_437
; %bb.435:
	global_load_dword v3, v[1:2], off
	s_mov_b64 s[0:1], 0
	s_branch .LBB39_438
.LBB39_436:
	s_mov_b64 s[0:1], -1
                                        ; implicit-def: $vgpr3
	s_branch .LBB39_441
.LBB39_437:
	s_mov_b64 s[0:1], -1
                                        ; implicit-def: $vgpr3
.LBB39_438:
	s_andn2_b64 vcc, exec, s[0:1]
	s_cbranch_vccnz .LBB39_440
; %bb.439:
	global_load_ushort v3, v[1:2], off
.LBB39_440:
	s_mov_b64 s[0:1], 0
.LBB39_441:
	s_andn2_b64 vcc, exec, s[0:1]
	s_cbranch_vccnz .LBB39_447
; %bb.442:
	global_load_ubyte v4, v[1:2], off
	s_movk_i32 s0, 0x7f
	s_mov_b64 s[8:9], 0
	s_waitcnt vmcnt(0)
	v_cmp_lt_i16_e32 vcc, s0, v4
	s_and_saveexec_b64 s[0:1], vcc
	s_xor_b64 s[0:1], exec, s[0:1]
	s_cbranch_execz .LBB39_459
; %bb.443:
	s_movk_i32 s8, 0x80
	v_cmp_ne_u16_e32 vcc, s8, v4
	s_and_b64 s[8:9], vcc, exec
	s_andn2_saveexec_b64 s[0:1], s[0:1]
	s_cbranch_execnz .LBB39_460
.LBB39_444:
	s_or_b64 exec, exec, s[0:1]
	v_mov_b32_e32 v3, 0
	s_and_saveexec_b64 s[0:1], s[8:9]
	s_cbranch_execz .LBB39_446
.LBB39_445:
	v_lshlrev_b32_e32 v3, 24, v4
	v_and_b32_e32 v4, 0xffff, v4
	v_and_b32_e32 v5, 7, v4
	v_ffbh_u32_e32 v7, v5
	v_min_u32_e32 v7, 32, v7
	v_subrev_u32_e32 v9, 28, v7
	v_bfe_u32 v6, v4, 3, 4
	v_lshlrev_b32_e32 v4, v9, v4
	v_sub_u32_e32 v7, 29, v7
	v_and_b32_e32 v4, 7, v4
	v_cmp_eq_u32_e32 vcc, 0, v6
	v_cndmask_b32_e32 v6, v6, v7, vcc
	v_cndmask_b32_e32 v4, v5, v4, vcc
	v_mov_b32_e32 v5, 0x3b800000
	v_lshlrev_b32_e32 v4, 20, v4
	v_and_b32_e32 v3, 0x80000000, v3
	v_lshl_add_u32 v5, v6, 23, v5
	v_or3_b32 v3, v3, v5, v4
	v_cvt_i32_f32_e32 v3, v3
.LBB39_446:
	s_or_b64 exec, exec, s[0:1]
.LBB39_447:
	s_mov_b64 s[0:1], -1
.LBB39_448:
	s_mov_b64 s[8:9], 0
.LBB39_449:
	s_and_b64 vcc, exec, s[8:9]
	s_cbranch_vccz .LBB39_482
; %bb.450:
	s_cmp_gt_i32 s11, 22
	s_cbranch_scc0 .LBB39_458
; %bb.451:
	s_cmp_lt_i32 s11, 24
	s_cbranch_scc1 .LBB39_461
; %bb.452:
	s_cmp_gt_i32 s11, 24
	s_cbranch_scc0 .LBB39_462
; %bb.453:
	global_load_ubyte v4, v[1:2], off
	s_movk_i32 s0, 0x7f
	s_mov_b64 s[8:9], 0
	s_waitcnt vmcnt(0)
	v_cmp_lt_i16_e32 vcc, s0, v4
	s_and_saveexec_b64 s[0:1], vcc
	s_xor_b64 s[0:1], exec, s[0:1]
	s_cbranch_execz .LBB39_474
; %bb.454:
	s_movk_i32 s8, 0x80
	v_cmp_ne_u16_e32 vcc, s8, v4
	s_and_b64 s[8:9], vcc, exec
	s_andn2_saveexec_b64 s[0:1], s[0:1]
	s_cbranch_execnz .LBB39_475
.LBB39_455:
	s_or_b64 exec, exec, s[0:1]
	v_mov_b32_e32 v3, 0
	s_and_saveexec_b64 s[0:1], s[8:9]
	s_cbranch_execz .LBB39_457
.LBB39_456:
	v_lshlrev_b32_e32 v3, 24, v4
	v_and_b32_e32 v4, 0xffff, v4
	v_and_b32_e32 v5, 3, v4
	v_ffbh_u32_e32 v7, v5
	v_min_u32_e32 v7, 32, v7
	v_subrev_u32_e32 v9, 29, v7
	v_bfe_u32 v6, v4, 2, 5
	v_lshlrev_b32_e32 v4, v9, v4
	v_sub_u32_e32 v7, 30, v7
	v_and_b32_e32 v4, 3, v4
	v_cmp_eq_u32_e32 vcc, 0, v6
	v_cndmask_b32_e32 v6, v6, v7, vcc
	v_cndmask_b32_e32 v4, v5, v4, vcc
	v_mov_b32_e32 v5, 0x37800000
	v_lshlrev_b32_e32 v4, 21, v4
	v_and_b32_e32 v3, 0x80000000, v3
	v_lshl_add_u32 v5, v6, 23, v5
	v_or3_b32 v3, v3, v5, v4
	v_cvt_i32_f32_e32 v3, v3
.LBB39_457:
	s_or_b64 exec, exec, s[0:1]
	s_mov_b64 s[0:1], 0
	s_branch .LBB39_463
.LBB39_458:
	s_mov_b64 s[8:9], -1
                                        ; implicit-def: $vgpr3
	s_branch .LBB39_469
.LBB39_459:
	s_andn2_saveexec_b64 s[0:1], s[0:1]
	s_cbranch_execz .LBB39_444
.LBB39_460:
	v_cmp_ne_u16_e32 vcc, 0, v4
	s_andn2_b64 s[8:9], s[8:9], exec
	s_and_b64 s[12:13], vcc, exec
	s_or_b64 s[8:9], s[8:9], s[12:13]
	s_or_b64 exec, exec, s[0:1]
	v_mov_b32_e32 v3, 0
	s_and_saveexec_b64 s[0:1], s[8:9]
	s_cbranch_execnz .LBB39_445
	s_branch .LBB39_446
.LBB39_461:
	s_mov_b64 s[0:1], -1
                                        ; implicit-def: $vgpr3
	s_branch .LBB39_466
.LBB39_462:
	s_mov_b64 s[0:1], -1
                                        ; implicit-def: $vgpr3
.LBB39_463:
	s_and_b64 vcc, exec, s[0:1]
	s_cbranch_vccz .LBB39_465
; %bb.464:
	global_load_ubyte v3, v[1:2], off
	s_mov_b32 s0, 0x7f800000
	s_waitcnt vmcnt(0)
	v_lshlrev_b32_e32 v3, 24, v3
	v_and_b32_e32 v4, 0x7f000000, v3
	v_ffbh_u32_e32 v5, v4
	v_min_u32_e32 v5, 32, v5
	v_sub_u32_e64 v5, v5, 4 clamp
	v_lshlrev_b32_e32 v7, v5, v4
	v_lshlrev_b32_e32 v5, 23, v5
	v_lshrrev_b32_e32 v7, 4, v7
	v_add_u32_e32 v6, 0x1000000, v4
	v_sub_u32_e32 v5, v7, v5
	v_ashrrev_i32_e32 v6, 8, v6
	v_add_u32_e32 v5, 0x3c000000, v5
	v_and_or_b32 v5, v6, s0, v5
	v_cmp_ne_u32_e32 vcc, 0, v4
	v_cndmask_b32_e32 v4, 0, v5, vcc
	s_brev_b32 s0, 1
	v_and_or_b32 v3, v3, s0, v4
	v_cvt_i32_f32_e32 v3, v3
.LBB39_465:
	s_mov_b64 s[0:1], 0
.LBB39_466:
	s_andn2_b64 vcc, exec, s[0:1]
	s_cbranch_vccnz .LBB39_468
; %bb.467:
	global_load_ubyte v3, v[1:2], off
	s_movk_i32 s0, 0x7f00
	s_brev_b32 s1, 16
	s_waitcnt vmcnt(0)
	v_lshlrev_b16_e32 v4, 8, v3
	v_lshlrev_b32_e32 v3, 25, v3
	v_lshrrev_b32_e32 v5, 4, v3
	v_and_or_b32 v6, v4, s0, 0.5
	v_or_b32_e32 v5, 0x70000000, v5
	v_add_f32_e32 v6, -0.5, v6
	v_mul_f32_e32 v5, 0x7800000, v5
	v_cmp_gt_u32_e32 vcc, s1, v3
	v_bfe_i32 v4, v4, 0, 16
	v_cndmask_b32_e32 v3, v5, v6, vcc
	s_brev_b32 s0, 1
	v_and_or_b32 v3, v4, s0, v3
	v_cvt_i32_f32_e32 v3, v3
.LBB39_468:
	s_mov_b64 s[8:9], 0
	s_mov_b64 s[0:1], -1
.LBB39_469:
	s_andn2_b64 vcc, exec, s[8:9]
	s_cbranch_vccnz .LBB39_482
; %bb.470:
	s_cmp_gt_i32 s11, 14
	s_cbranch_scc0 .LBB39_473
; %bb.471:
	s_cmp_eq_u32 s11, 15
	s_cbranch_scc0 .LBB39_476
; %bb.472:
	global_load_ushort v3, v[1:2], off
	s_mov_b64 s[0:1], -1
	s_mov_b64 s[2:3], 0
	s_waitcnt vmcnt(0)
	v_lshlrev_b32_e32 v3, 16, v3
	v_cvt_i32_f32_e32 v3, v3
	s_branch .LBB39_477
.LBB39_473:
	s_mov_b64 s[8:9], -1
                                        ; implicit-def: $vgpr3
	s_branch .LBB39_478
.LBB39_474:
	s_andn2_saveexec_b64 s[0:1], s[0:1]
	s_cbranch_execz .LBB39_455
.LBB39_475:
	v_cmp_ne_u16_e32 vcc, 0, v4
	s_andn2_b64 s[8:9], s[8:9], exec
	s_and_b64 s[12:13], vcc, exec
	s_or_b64 s[8:9], s[8:9], s[12:13]
	s_or_b64 exec, exec, s[0:1]
	v_mov_b32_e32 v3, 0
	s_and_saveexec_b64 s[0:1], s[8:9]
	s_cbranch_execnz .LBB39_456
	s_branch .LBB39_457
.LBB39_476:
	s_mov_b64 s[2:3], -1
                                        ; implicit-def: $vgpr3
.LBB39_477:
	s_mov_b64 s[8:9], 0
.LBB39_478:
	s_and_b64 vcc, exec, s[8:9]
	s_cbranch_vccz .LBB39_482
; %bb.479:
	s_cmp_eq_u32 s11, 11
	s_cbranch_scc0 .LBB39_481
; %bb.480:
	global_load_ubyte v3, v[1:2], off
	s_mov_b64 s[0:1], -1
	s_mov_b64 s[2:3], 0
	s_waitcnt vmcnt(0)
	v_cmp_ne_u16_e32 vcc, 0, v3
	v_cndmask_b32_e64 v3, 0, 1, vcc
	s_branch .LBB39_482
.LBB39_481:
	s_mov_b64 s[2:3], -1
                                        ; implicit-def: $vgpr3
.LBB39_482:
	s_branch .LBB39_289
.LBB39_483:
	s_and_b32 s8, 0xffff, s10
	s_cmp_lt_i32 s8, 5
	s_cbranch_scc1 .LBB39_488
; %bb.484:
	s_cmp_lt_i32 s8, 8
	s_cbranch_scc1 .LBB39_489
; %bb.485:
	;; [unrolled: 3-line block ×3, first 2 shown]
	s_cmp_gt_i32 s8, 9
	s_cbranch_scc0 .LBB39_491
; %bb.487:
	global_load_dwordx2 v[3:4], v[1:2], off
	s_mov_b64 s[0:1], 0
	s_waitcnt vmcnt(0)
	v_cvt_i32_f64_e32 v3, v[3:4]
	s_branch .LBB39_492
.LBB39_488:
	s_mov_b64 s[0:1], -1
                                        ; implicit-def: $vgpr3
	s_branch .LBB39_510
.LBB39_489:
	s_mov_b64 s[0:1], -1
                                        ; implicit-def: $vgpr3
	s_branch .LBB39_498
.LBB39_490:
	s_mov_b64 s[0:1], -1
                                        ; implicit-def: $vgpr3
	s_branch .LBB39_495
.LBB39_491:
	s_mov_b64 s[0:1], -1
                                        ; implicit-def: $vgpr3
.LBB39_492:
	s_andn2_b64 vcc, exec, s[0:1]
	s_cbranch_vccnz .LBB39_494
; %bb.493:
	global_load_dword v3, v[1:2], off
	s_waitcnt vmcnt(0)
	v_cvt_i32_f32_e32 v3, v3
.LBB39_494:
	s_mov_b64 s[0:1], 0
.LBB39_495:
	s_andn2_b64 vcc, exec, s[0:1]
	s_cbranch_vccnz .LBB39_497
; %bb.496:
	global_load_dword v3, v[1:2], off
	s_waitcnt vmcnt(0)
	v_cvt_i16_f16_e32 v3, v3
.LBB39_497:
	s_mov_b64 s[0:1], 0
.LBB39_498:
	s_andn2_b64 vcc, exec, s[0:1]
	s_cbranch_vccnz .LBB39_509
; %bb.499:
	s_cmp_lt_i32 s8, 6
	s_cbranch_scc1 .LBB39_502
; %bb.500:
	s_cmp_gt_i32 s8, 6
	s_cbranch_scc0 .LBB39_503
; %bb.501:
	global_load_dwordx2 v[3:4], v[1:2], off
	s_mov_b64 s[0:1], 0
	s_waitcnt vmcnt(0)
	v_cvt_i32_f64_e32 v3, v[3:4]
	s_branch .LBB39_504
.LBB39_502:
	s_mov_b64 s[0:1], -1
                                        ; implicit-def: $vgpr3
	s_branch .LBB39_507
.LBB39_503:
	s_mov_b64 s[0:1], -1
                                        ; implicit-def: $vgpr3
.LBB39_504:
	s_andn2_b64 vcc, exec, s[0:1]
	s_cbranch_vccnz .LBB39_506
; %bb.505:
	global_load_dword v3, v[1:2], off
	s_waitcnt vmcnt(0)
	v_cvt_i32_f32_e32 v3, v3
.LBB39_506:
	s_mov_b64 s[0:1], 0
.LBB39_507:
	s_andn2_b64 vcc, exec, s[0:1]
	s_cbranch_vccnz .LBB39_509
; %bb.508:
	global_load_ushort v3, v[1:2], off
	s_waitcnt vmcnt(0)
	v_cvt_i16_f16_e32 v3, v3
.LBB39_509:
	s_mov_b64 s[0:1], 0
.LBB39_510:
	s_andn2_b64 vcc, exec, s[0:1]
	s_cbranch_vccnz .LBB39_530
; %bb.511:
	s_cmp_lt_i32 s8, 2
	s_cbranch_scc1 .LBB39_515
; %bb.512:
	s_cmp_lt_i32 s8, 3
	s_cbranch_scc1 .LBB39_516
; %bb.513:
	s_cmp_gt_i32 s8, 3
	s_cbranch_scc0 .LBB39_517
; %bb.514:
	global_load_dwordx2 v[3:4], v[1:2], off
	s_mov_b64 s[0:1], 0
	s_branch .LBB39_518
.LBB39_515:
	s_mov_b64 s[0:1], -1
                                        ; implicit-def: $vgpr3
	s_branch .LBB39_524
.LBB39_516:
	s_mov_b64 s[0:1], -1
                                        ; implicit-def: $vgpr3
	s_branch .LBB39_521
.LBB39_517:
	s_mov_b64 s[0:1], -1
                                        ; implicit-def: $vgpr3
.LBB39_518:
	s_andn2_b64 vcc, exec, s[0:1]
	s_cbranch_vccnz .LBB39_520
; %bb.519:
	global_load_dword v3, v[1:2], off
.LBB39_520:
	s_mov_b64 s[0:1], 0
.LBB39_521:
	s_andn2_b64 vcc, exec, s[0:1]
	s_cbranch_vccnz .LBB39_523
; %bb.522:
	global_load_ushort v3, v[1:2], off
.LBB39_523:
	s_mov_b64 s[0:1], 0
.LBB39_524:
	s_andn2_b64 vcc, exec, s[0:1]
	s_cbranch_vccnz .LBB39_530
; %bb.525:
	s_cmp_gt_i32 s8, 0
	s_cbranch_scc0 .LBB39_527
; %bb.526:
	global_load_ubyte v3, v[1:2], off
	s_mov_b64 s[0:1], 0
	s_branch .LBB39_528
.LBB39_527:
	s_mov_b64 s[0:1], -1
                                        ; implicit-def: $vgpr3
.LBB39_528:
	s_andn2_b64 vcc, exec, s[0:1]
	s_cbranch_vccnz .LBB39_530
; %bb.529:
	global_load_ubyte v3, v[1:2], off
.LBB39_530:
	s_branch .LBB39_290
.LBB39_531:
	s_mov_b64 s[8:9], 0
	s_mov_b64 s[0:1], s[56:57]
.LBB39_532:
                                        ; implicit-def: $vgpr8
.LBB39_533:
	s_andn2_b64 s[10:11], s[56:57], exec
	s_and_b64 s[0:1], s[0:1], exec
	s_or_b64 s[64:65], s[10:11], s[0:1]
	s_andn2_b64 s[0:1], s[58:59], exec
	s_and_b64 s[2:3], s[2:3], exec
	s_or_b64 s[62:63], s[0:1], s[2:3]
	s_orn2_b64 s[0:1], s[8:9], exec
.LBB39_534:
	s_or_b64 exec, exec, s[66:67]
	s_mov_b64 s[2:3], 0
	s_mov_b64 s[8:9], 0
	;; [unrolled: 1-line block ×3, first 2 shown]
                                        ; implicit-def: $sgpr14
                                        ; implicit-def: $vgpr1_vgpr2
                                        ; implicit-def: $vgpr0
                                        ; implicit-def: $vgpr3
	s_and_saveexec_b64 s[66:67], s[0:1]
	s_cbranch_execz .LBB39_901
; %bb.535:
	v_cmp_gt_i32_e32 vcc, s74, v8
	s_mov_b64 s[2:3], -1
	s_mov_b64 s[70:71], s[62:63]
	s_mov_b64 s[72:73], s[64:65]
	s_and_saveexec_b64 s[68:69], vcc
	s_cbranch_execz .LBB39_805
; %bb.536:
	s_andn2_b64 vcc, exec, s[40:41]
	s_cbranch_vccnz .LBB39_541
; %bb.537:
	s_andn2_b64 vcc, exec, s[54:55]
	s_cbranch_vccnz .LBB39_542
; %bb.538:
	s_add_i32 s46, s80, 1
	s_cmp_eq_u32 s76, 2
	s_cbranch_scc1 .LBB39_543
; %bb.539:
	s_and_b32 s45, s46, 28
	v_mov_b32_e32 v2, 0
	s_mov_b32 s75, 0
	s_mov_b64 s[70:71], s[34:35]
	s_mov_b64 s[72:73], s[52:53]
	v_mov_b32_e32 v0, 0
	v_mov_b32_e32 v1, v8
.LBB39_540:                             ; =>This Inner Loop Header: Depth=1
	s_load_dwordx8 s[16:23], s[70:71], 0x4
	s_load_dwordx4 s[0:3], s[70:71], 0x24
	s_load_dwordx8 s[8:15], s[72:73], 0x0
	s_add_u32 s70, s70, 48
	s_addc_u32 s71, s71, 0
	s_waitcnt vmcnt(0) lgkmcnt(0)
	v_mul_hi_u32 v3, s17, v1
	s_add_i32 s75, s75, 4
	s_add_u32 s72, s72, 32
	s_addc_u32 s73, s73, 0
	v_add_u32_e32 v3, v1, v3
	v_lshrrev_b32_e32 v3, s18, v3
	v_mul_lo_u32 v4, v3, s16
	v_mul_hi_u32 v5, s20, v3
	s_cmp_eq_u32 s45, s75
	v_sub_u32_e32 v1, v1, v4
	v_add_u32_e32 v4, v3, v5
	v_mul_lo_u32 v5, v1, s8
	v_mul_lo_u32 v6, v1, s9
	v_lshrrev_b32_e32 v1, s21, v4
	v_mul_lo_u32 v4, v1, s19
	v_mul_hi_u32 v7, s23, v1
	v_sub_u32_e32 v3, v3, v4
	v_add_u32_e32 v4, v1, v7
	v_lshrrev_b32_e32 v4, s0, v4
	v_mul_hi_u32 v9, s2, v4
	v_mul_lo_u32 v10, v4, s22
	v_mul_lo_u32 v7, v3, s10
	;; [unrolled: 1-line block ×3, first 2 shown]
	v_sub_u32_e32 v10, v1, v10
	v_add_u32_e32 v1, v4, v9
	v_lshrrev_b32_e32 v1, s3, v1
	v_mul_lo_u32 v9, v1, s1
	v_mul_lo_u32 v11, v10, s12
	;; [unrolled: 1-line block ×3, first 2 shown]
	v_add3_u32 v0, v5, v0, v7
	v_sub_u32_e32 v4, v4, v9
	v_mul_lo_u32 v9, v4, s14
	v_mul_lo_u32 v4, v4, s15
	v_add3_u32 v2, v6, v2, v3
	v_add3_u32 v0, v11, v0, v9
	;; [unrolled: 1-line block ×3, first 2 shown]
	s_cbranch_scc0 .LBB39_540
	s_branch .LBB39_544
.LBB39_541:
	s_mov_b64 s[0:1], -1
                                        ; implicit-def: $vgpr0
                                        ; implicit-def: $vgpr2
	s_branch .LBB39_548
.LBB39_542:
	v_mov_b32_e32 v0, 0
	v_mov_b32_e32 v2, 0
	s_branch .LBB39_547
.LBB39_543:
	s_mov_b32 s45, 0
	v_mov_b32_e32 v0, 0
	v_mov_b32_e32 v2, 0
	;; [unrolled: 1-line block ×3, first 2 shown]
.LBB39_544:
	s_and_b32 s8, s46, 3
	s_cmp_eq_u32 s8, 0
	s_cbranch_scc1 .LBB39_547
; %bb.545:
	s_lshl_b32 s0, s45, 3
	s_add_u32 s0, s34, s0
	s_addc_u32 s1, s35, 0
	s_add_u32 s0, s0, 0xc4
	s_addc_u32 s1, s1, 0
	s_mul_i32 s2, s45, 12
	s_add_u32 s2, s34, s2
	s_addc_u32 s3, s35, 0
.LBB39_546:                             ; =>This Inner Loop Header: Depth=1
	s_load_dwordx2 s[10:11], s[2:3], 0x4
	s_load_dword s9, s[2:3], 0xc
	s_load_dwordx2 s[12:13], s[0:1], 0x0
	s_add_u32 s2, s2, 12
	s_addc_u32 s3, s3, 0
	s_waitcnt vmcnt(0) lgkmcnt(0)
	v_mul_hi_u32 v3, s11, v1
	s_add_u32 s0, s0, 8
	s_addc_u32 s1, s1, 0
	s_add_i32 s8, s8, -1
	v_add_u32_e32 v3, v1, v3
	v_lshrrev_b32_e32 v4, s9, v3
	v_mul_lo_u32 v3, v4, s10
	s_cmp_lg_u32 s8, 0
	v_sub_u32_e32 v3, v1, v3
	v_mad_u64_u32 v[0:1], s[10:11], v3, s12, v[0:1]
	v_mad_u64_u32 v[2:3], s[10:11], v3, s13, v[2:3]
	v_mov_b32_e32 v1, v4
	s_cbranch_scc1 .LBB39_546
.LBB39_547:
	s_mov_b64 s[0:1], 0
.LBB39_548:
	s_andn2_b64 vcc, exec, s[0:1]
	s_cbranch_vccnz .LBB39_551
; %bb.549:
	v_mul_hi_u32 v0, s29, v8
	s_andn2_b64 vcc, exec, s[50:51]
	v_add_u32_e32 v0, v8, v0
	v_lshrrev_b32_e32 v1, s30, v0
	v_mul_lo_u32 v0, v1, s28
	v_sub_u32_e32 v2, v8, v0
	v_mul_lo_u32 v0, v2, s36
	v_mul_lo_u32 v2, v2, s37
	s_cbranch_vccnz .LBB39_551
; %bb.550:
	s_waitcnt vmcnt(0)
	v_mul_hi_u32 v3, s48, v1
	v_add_u32_e32 v3, v1, v3
	v_lshrrev_b32_e32 v3, s49, v3
	v_mul_lo_u32 v3, v3, s31
	v_sub_u32_e32 v3, v1, v3
	v_mad_u64_u32 v[0:1], s[0:1], v3, s38, v[0:1]
	v_mad_u64_u32 v[2:3], s[0:1], v3, s39, v[2:3]
.LBB39_551:
	s_waitcnt vmcnt(0)
	v_mov_b32_e32 v3, s27
	s_and_b32 s10, s47, 0xff
	v_add_co_u32_e32 v1, vcc, s26, v2
	s_cmp_lt_i32 s10, 11
	v_addc_co_u32_e32 v2, vcc, 0, v3, vcc
	s_cbranch_scc1 .LBB39_558
; %bb.552:
	s_and_b32 s11, 0xffff, s10
	s_cmp_gt_i32 s11, 25
	s_cbranch_scc0 .LBB39_559
; %bb.553:
	s_cmp_gt_i32 s11, 28
	s_cbranch_scc0 .LBB39_560
; %bb.554:
	;; [unrolled: 3-line block ×4, first 2 shown]
	s_cmp_eq_u32 s11, 46
	s_mov_b64 s[8:9], 0
	s_cbranch_scc0 .LBB39_567
; %bb.557:
	global_load_dword v3, v[1:2], off
	s_mov_b64 s[0:1], -1
	s_mov_b64 s[2:3], 0
	s_waitcnt vmcnt(0)
	v_lshlrev_b32_e32 v3, 16, v3
	v_cvt_i32_f32_e32 v3, v3
	s_branch .LBB39_568
.LBB39_558:
	s_mov_b64 s[8:9], -1
	s_mov_b64 s[0:1], 0
                                        ; implicit-def: $vgpr3
	s_mov_b64 s[2:3], s[62:63]
	s_branch .LBB39_629
.LBB39_559:
	s_mov_b64 s[8:9], -1
	s_mov_b64 s[0:1], 0
	s_mov_b64 s[2:3], s[62:63]
                                        ; implicit-def: $vgpr3
	s_branch .LBB39_595
.LBB39_560:
	s_mov_b64 s[8:9], -1
	s_mov_b64 s[0:1], 0
	s_mov_b64 s[2:3], s[62:63]
                                        ; implicit-def: $vgpr3
	s_branch .LBB39_578
.LBB39_561:
	s_mov_b64 s[8:9], -1
	s_mov_b64 s[0:1], 0
	s_mov_b64 s[2:3], s[62:63]
                                        ; implicit-def: $vgpr3
	s_branch .LBB39_573
.LBB39_562:
	s_andn2_saveexec_b64 s[12:13], s[12:13]
	s_cbranch_execz .LBB39_335
.LBB39_563:
	s_mov_b32 s16, 0x46000000
	v_add_f32_e64 v4, |v3|, s16
	v_and_b32_e32 v4, 0xff, v4
	v_cmp_ne_u32_e32 vcc, 0, v4
	s_andn2_b64 s[10:11], s[10:11], exec
	s_and_b64 s[16:17], vcc, exec
	s_or_b64 s[10:11], s[10:11], s[16:17]
	s_or_b64 exec, exec, s[12:13]
	v_mov_b32_e32 v5, 0
	s_and_saveexec_b64 s[12:13], s[10:11]
	s_cbranch_execnz .LBB39_336
	s_branch .LBB39_337
.LBB39_564:
	s_mov_b64 s[8:9], -1
	s_mov_b64 s[0:1], 0
	s_mov_b64 s[2:3], s[62:63]
                                        ; implicit-def: $vgpr3
	s_branch .LBB39_568
.LBB39_565:
	s_andn2_saveexec_b64 s[12:13], s[12:13]
	s_cbranch_execz .LBB39_348
.LBB39_566:
	s_mov_b32 s16, 0x42800000
	v_add_f32_e64 v4, |v3|, s16
	v_and_b32_e32 v4, 0xff, v4
	v_cmp_ne_u32_e32 vcc, 0, v4
	s_andn2_b64 s[10:11], s[10:11], exec
	s_and_b64 s[16:17], vcc, exec
	s_or_b64 s[10:11], s[10:11], s[16:17]
	s_or_b64 exec, exec, s[12:13]
	v_mov_b32_e32 v5, 0
	s_and_saveexec_b64 s[12:13], s[10:11]
	s_cbranch_execnz .LBB39_349
	s_branch .LBB39_350
.LBB39_567:
	s_mov_b64 s[2:3], -1
                                        ; implicit-def: $vgpr3
	s_mov_b64 s[0:1], 0
.LBB39_568:
	s_and_b64 vcc, exec, s[8:9]
	s_cbranch_vccz .LBB39_572
; %bb.569:
	s_cmp_eq_u32 s11, 44
	s_cbranch_scc0 .LBB39_571
; %bb.570:
	global_load_ubyte v3, v[1:2], off
	s_mov_b64 s[0:1], -1
	s_mov_b64 s[2:3], 0
	s_waitcnt vmcnt(0)
	v_lshlrev_b32_e32 v4, 23, v3
	v_cvt_i32_f32_e32 v4, v4
	v_cmp_ne_u32_e32 vcc, 0, v3
	v_cndmask_b32_e32 v3, 0, v4, vcc
	s_branch .LBB39_572
.LBB39_571:
	s_mov_b64 s[2:3], -1
                                        ; implicit-def: $vgpr3
.LBB39_572:
	s_mov_b64 s[8:9], 0
.LBB39_573:
	s_and_b64 vcc, exec, s[8:9]
	s_cbranch_vccz .LBB39_577
; %bb.574:
	s_cmp_eq_u32 s11, 29
	s_cbranch_scc0 .LBB39_576
; %bb.575:
	global_load_dwordx2 v[3:4], v[1:2], off
	s_mov_b64 s[0:1], -1
	s_mov_b64 s[2:3], 0
	s_branch .LBB39_577
.LBB39_576:
	s_mov_b64 s[2:3], -1
                                        ; implicit-def: $vgpr3
.LBB39_577:
	s_mov_b64 s[8:9], 0
.LBB39_578:
	s_and_b64 vcc, exec, s[8:9]
	s_cbranch_vccz .LBB39_594
; %bb.579:
	s_cmp_lt_i32 s11, 27
	s_cbranch_scc1 .LBB39_582
; %bb.580:
	s_cmp_gt_i32 s11, 27
	s_cbranch_scc0 .LBB39_583
; %bb.581:
	global_load_dword v3, v[1:2], off
	s_mov_b64 s[0:1], 0
	s_branch .LBB39_584
.LBB39_582:
	s_mov_b64 s[0:1], -1
                                        ; implicit-def: $vgpr3
	s_branch .LBB39_587
.LBB39_583:
	s_mov_b64 s[0:1], -1
                                        ; implicit-def: $vgpr3
.LBB39_584:
	s_andn2_b64 vcc, exec, s[0:1]
	s_cbranch_vccnz .LBB39_586
; %bb.585:
	global_load_ushort v3, v[1:2], off
.LBB39_586:
	s_mov_b64 s[0:1], 0
.LBB39_587:
	s_andn2_b64 vcc, exec, s[0:1]
	s_cbranch_vccnz .LBB39_593
; %bb.588:
	global_load_ubyte v4, v[1:2], off
	s_movk_i32 s0, 0x7f
	s_mov_b64 s[8:9], 0
	s_waitcnt vmcnt(0)
	v_cmp_lt_i16_e32 vcc, s0, v4
	s_and_saveexec_b64 s[0:1], vcc
	s_xor_b64 s[0:1], exec, s[0:1]
	s_cbranch_execz .LBB39_605
; %bb.589:
	s_movk_i32 s8, 0x80
	v_cmp_ne_u16_e32 vcc, s8, v4
	s_and_b64 s[8:9], vcc, exec
	s_andn2_saveexec_b64 s[0:1], s[0:1]
	s_cbranch_execnz .LBB39_606
.LBB39_590:
	s_or_b64 exec, exec, s[0:1]
	v_mov_b32_e32 v3, 0
	s_and_saveexec_b64 s[0:1], s[8:9]
	s_cbranch_execz .LBB39_592
.LBB39_591:
	v_lshlrev_b32_e32 v3, 24, v4
	v_and_b32_e32 v4, 0xffff, v4
	v_and_b32_e32 v5, 7, v4
	v_ffbh_u32_e32 v7, v5
	v_min_u32_e32 v7, 32, v7
	v_subrev_u32_e32 v9, 28, v7
	v_bfe_u32 v6, v4, 3, 4
	v_lshlrev_b32_e32 v4, v9, v4
	v_sub_u32_e32 v7, 29, v7
	v_and_b32_e32 v4, 7, v4
	v_cmp_eq_u32_e32 vcc, 0, v6
	v_cndmask_b32_e32 v6, v6, v7, vcc
	v_cndmask_b32_e32 v4, v5, v4, vcc
	v_mov_b32_e32 v5, 0x3b800000
	v_lshlrev_b32_e32 v4, 20, v4
	v_and_b32_e32 v3, 0x80000000, v3
	v_lshl_add_u32 v5, v6, 23, v5
	v_or3_b32 v3, v3, v5, v4
	v_cvt_i32_f32_e32 v3, v3
.LBB39_592:
	s_or_b64 exec, exec, s[0:1]
.LBB39_593:
	s_mov_b64 s[0:1], -1
.LBB39_594:
	s_mov_b64 s[8:9], 0
.LBB39_595:
	s_and_b64 vcc, exec, s[8:9]
	s_cbranch_vccz .LBB39_628
; %bb.596:
	s_cmp_gt_i32 s11, 22
	s_cbranch_scc0 .LBB39_604
; %bb.597:
	s_cmp_lt_i32 s11, 24
	s_cbranch_scc1 .LBB39_607
; %bb.598:
	s_cmp_gt_i32 s11, 24
	s_cbranch_scc0 .LBB39_608
; %bb.599:
	global_load_ubyte v4, v[1:2], off
	s_movk_i32 s0, 0x7f
	s_mov_b64 s[8:9], 0
	s_waitcnt vmcnt(0)
	v_cmp_lt_i16_e32 vcc, s0, v4
	s_and_saveexec_b64 s[0:1], vcc
	s_xor_b64 s[0:1], exec, s[0:1]
	s_cbranch_execz .LBB39_620
; %bb.600:
	s_movk_i32 s8, 0x80
	v_cmp_ne_u16_e32 vcc, s8, v4
	s_and_b64 s[8:9], vcc, exec
	s_andn2_saveexec_b64 s[0:1], s[0:1]
	s_cbranch_execnz .LBB39_621
.LBB39_601:
	s_or_b64 exec, exec, s[0:1]
	v_mov_b32_e32 v3, 0
	s_and_saveexec_b64 s[0:1], s[8:9]
	s_cbranch_execz .LBB39_603
.LBB39_602:
	v_lshlrev_b32_e32 v3, 24, v4
	v_and_b32_e32 v4, 0xffff, v4
	v_and_b32_e32 v5, 3, v4
	v_ffbh_u32_e32 v7, v5
	v_min_u32_e32 v7, 32, v7
	v_subrev_u32_e32 v9, 29, v7
	v_bfe_u32 v6, v4, 2, 5
	v_lshlrev_b32_e32 v4, v9, v4
	v_sub_u32_e32 v7, 30, v7
	v_and_b32_e32 v4, 3, v4
	v_cmp_eq_u32_e32 vcc, 0, v6
	v_cndmask_b32_e32 v6, v6, v7, vcc
	v_cndmask_b32_e32 v4, v5, v4, vcc
	v_mov_b32_e32 v5, 0x37800000
	v_lshlrev_b32_e32 v4, 21, v4
	v_and_b32_e32 v3, 0x80000000, v3
	v_lshl_add_u32 v5, v6, 23, v5
	v_or3_b32 v3, v3, v5, v4
	v_cvt_i32_f32_e32 v3, v3
.LBB39_603:
	s_or_b64 exec, exec, s[0:1]
	s_mov_b64 s[0:1], 0
	s_branch .LBB39_609
.LBB39_604:
	s_mov_b64 s[8:9], -1
                                        ; implicit-def: $vgpr3
	s_branch .LBB39_615
.LBB39_605:
	s_andn2_saveexec_b64 s[0:1], s[0:1]
	s_cbranch_execz .LBB39_590
.LBB39_606:
	v_cmp_ne_u16_e32 vcc, 0, v4
	s_andn2_b64 s[8:9], s[8:9], exec
	s_and_b64 s[12:13], vcc, exec
	s_or_b64 s[8:9], s[8:9], s[12:13]
	s_or_b64 exec, exec, s[0:1]
	v_mov_b32_e32 v3, 0
	s_and_saveexec_b64 s[0:1], s[8:9]
	s_cbranch_execnz .LBB39_591
	s_branch .LBB39_592
.LBB39_607:
	s_mov_b64 s[0:1], -1
                                        ; implicit-def: $vgpr3
	s_branch .LBB39_612
.LBB39_608:
	s_mov_b64 s[0:1], -1
                                        ; implicit-def: $vgpr3
.LBB39_609:
	s_and_b64 vcc, exec, s[0:1]
	s_cbranch_vccz .LBB39_611
; %bb.610:
	global_load_ubyte v3, v[1:2], off
	s_mov_b32 s0, 0x7f800000
	s_waitcnt vmcnt(0)
	v_lshlrev_b32_e32 v3, 24, v3
	v_and_b32_e32 v4, 0x7f000000, v3
	v_ffbh_u32_e32 v5, v4
	v_min_u32_e32 v5, 32, v5
	v_sub_u32_e64 v5, v5, 4 clamp
	v_lshlrev_b32_e32 v7, v5, v4
	v_lshlrev_b32_e32 v5, 23, v5
	v_lshrrev_b32_e32 v7, 4, v7
	v_add_u32_e32 v6, 0x1000000, v4
	v_sub_u32_e32 v5, v7, v5
	v_ashrrev_i32_e32 v6, 8, v6
	v_add_u32_e32 v5, 0x3c000000, v5
	v_and_or_b32 v5, v6, s0, v5
	v_cmp_ne_u32_e32 vcc, 0, v4
	v_cndmask_b32_e32 v4, 0, v5, vcc
	s_brev_b32 s0, 1
	v_and_or_b32 v3, v3, s0, v4
	v_cvt_i32_f32_e32 v3, v3
.LBB39_611:
	s_mov_b64 s[0:1], 0
.LBB39_612:
	s_andn2_b64 vcc, exec, s[0:1]
	s_cbranch_vccnz .LBB39_614
; %bb.613:
	global_load_ubyte v3, v[1:2], off
	s_movk_i32 s0, 0x7f00
	s_brev_b32 s1, 16
	s_waitcnt vmcnt(0)
	v_lshlrev_b16_e32 v4, 8, v3
	v_lshlrev_b32_e32 v3, 25, v3
	v_lshrrev_b32_e32 v5, 4, v3
	v_and_or_b32 v6, v4, s0, 0.5
	v_or_b32_e32 v5, 0x70000000, v5
	v_add_f32_e32 v6, -0.5, v6
	v_mul_f32_e32 v5, 0x7800000, v5
	v_cmp_gt_u32_e32 vcc, s1, v3
	v_bfe_i32 v4, v4, 0, 16
	v_cndmask_b32_e32 v3, v5, v6, vcc
	s_brev_b32 s0, 1
	v_and_or_b32 v3, v4, s0, v3
	v_cvt_i32_f32_e32 v3, v3
.LBB39_614:
	s_mov_b64 s[8:9], 0
	s_mov_b64 s[0:1], -1
.LBB39_615:
	s_andn2_b64 vcc, exec, s[8:9]
	s_cbranch_vccnz .LBB39_628
; %bb.616:
	s_cmp_gt_i32 s11, 14
	s_cbranch_scc0 .LBB39_619
; %bb.617:
	s_cmp_eq_u32 s11, 15
	s_cbranch_scc0 .LBB39_622
; %bb.618:
	global_load_ushort v3, v[1:2], off
	s_mov_b64 s[0:1], -1
	s_mov_b64 s[2:3], 0
	s_waitcnt vmcnt(0)
	v_lshlrev_b32_e32 v3, 16, v3
	v_cvt_i32_f32_e32 v3, v3
	s_branch .LBB39_623
.LBB39_619:
	s_mov_b64 s[8:9], -1
                                        ; implicit-def: $vgpr3
	s_branch .LBB39_624
.LBB39_620:
	s_andn2_saveexec_b64 s[0:1], s[0:1]
	s_cbranch_execz .LBB39_601
.LBB39_621:
	v_cmp_ne_u16_e32 vcc, 0, v4
	s_andn2_b64 s[8:9], s[8:9], exec
	s_and_b64 s[12:13], vcc, exec
	s_or_b64 s[8:9], s[8:9], s[12:13]
	s_or_b64 exec, exec, s[0:1]
	v_mov_b32_e32 v3, 0
	s_and_saveexec_b64 s[0:1], s[8:9]
	s_cbranch_execnz .LBB39_602
	s_branch .LBB39_603
.LBB39_622:
	s_mov_b64 s[2:3], -1
                                        ; implicit-def: $vgpr3
.LBB39_623:
	s_mov_b64 s[8:9], 0
.LBB39_624:
	s_and_b64 vcc, exec, s[8:9]
	s_cbranch_vccz .LBB39_628
; %bb.625:
	s_cmp_eq_u32 s11, 11
	s_cbranch_scc0 .LBB39_627
; %bb.626:
	global_load_ubyte v3, v[1:2], off
	s_mov_b64 s[0:1], -1
	s_mov_b64 s[2:3], 0
	s_waitcnt vmcnt(0)
	v_cmp_ne_u16_e32 vcc, 0, v3
	v_cndmask_b32_e64 v3, 0, 1, vcc
	s_branch .LBB39_628
.LBB39_627:
	s_mov_b64 s[2:3], -1
                                        ; implicit-def: $vgpr3
.LBB39_628:
	s_mov_b64 s[8:9], 0
.LBB39_629:
	s_and_b64 vcc, exec, s[8:9]
	s_cbranch_vccz .LBB39_678
; %bb.630:
	s_and_b32 s8, 0xffff, s10
	s_cmp_lt_i32 s8, 5
	s_cbranch_scc1 .LBB39_635
; %bb.631:
	s_cmp_lt_i32 s8, 8
	s_cbranch_scc1 .LBB39_636
; %bb.632:
	;; [unrolled: 3-line block ×3, first 2 shown]
	s_cmp_gt_i32 s8, 9
	s_cbranch_scc0 .LBB39_638
; %bb.634:
	global_load_dwordx2 v[3:4], v[1:2], off
	s_mov_b64 s[0:1], 0
	s_waitcnt vmcnt(0)
	v_cvt_i32_f64_e32 v3, v[3:4]
	s_branch .LBB39_639
.LBB39_635:
	s_mov_b64 s[0:1], -1
                                        ; implicit-def: $vgpr3
	s_branch .LBB39_657
.LBB39_636:
	s_mov_b64 s[0:1], -1
                                        ; implicit-def: $vgpr3
	s_branch .LBB39_645
.LBB39_637:
	s_mov_b64 s[0:1], -1
                                        ; implicit-def: $vgpr3
	s_branch .LBB39_642
.LBB39_638:
	s_mov_b64 s[0:1], -1
                                        ; implicit-def: $vgpr3
.LBB39_639:
	s_andn2_b64 vcc, exec, s[0:1]
	s_cbranch_vccnz .LBB39_641
; %bb.640:
	global_load_dword v3, v[1:2], off
	s_waitcnt vmcnt(0)
	v_cvt_i32_f32_e32 v3, v3
.LBB39_641:
	s_mov_b64 s[0:1], 0
.LBB39_642:
	s_andn2_b64 vcc, exec, s[0:1]
	s_cbranch_vccnz .LBB39_644
; %bb.643:
	global_load_dword v3, v[1:2], off
	s_waitcnt vmcnt(0)
	v_cvt_i16_f16_e32 v3, v3
.LBB39_644:
	s_mov_b64 s[0:1], 0
.LBB39_645:
	s_andn2_b64 vcc, exec, s[0:1]
	s_cbranch_vccnz .LBB39_656
; %bb.646:
	s_cmp_lt_i32 s8, 6
	s_cbranch_scc1 .LBB39_649
; %bb.647:
	s_cmp_gt_i32 s8, 6
	s_cbranch_scc0 .LBB39_650
; %bb.648:
	global_load_dwordx2 v[3:4], v[1:2], off
	s_mov_b64 s[0:1], 0
	s_waitcnt vmcnt(0)
	v_cvt_i32_f64_e32 v3, v[3:4]
	s_branch .LBB39_651
.LBB39_649:
	s_mov_b64 s[0:1], -1
                                        ; implicit-def: $vgpr3
	s_branch .LBB39_654
.LBB39_650:
	s_mov_b64 s[0:1], -1
                                        ; implicit-def: $vgpr3
.LBB39_651:
	s_andn2_b64 vcc, exec, s[0:1]
	s_cbranch_vccnz .LBB39_653
; %bb.652:
	global_load_dword v3, v[1:2], off
	s_waitcnt vmcnt(0)
	v_cvt_i32_f32_e32 v3, v3
.LBB39_653:
	s_mov_b64 s[0:1], 0
.LBB39_654:
	s_andn2_b64 vcc, exec, s[0:1]
	s_cbranch_vccnz .LBB39_656
; %bb.655:
	global_load_ushort v3, v[1:2], off
	s_waitcnt vmcnt(0)
	v_cvt_i16_f16_e32 v3, v3
.LBB39_656:
	s_mov_b64 s[0:1], 0
.LBB39_657:
	s_andn2_b64 vcc, exec, s[0:1]
	s_cbranch_vccnz .LBB39_677
; %bb.658:
	s_cmp_lt_i32 s8, 2
	s_cbranch_scc1 .LBB39_662
; %bb.659:
	s_cmp_lt_i32 s8, 3
	s_cbranch_scc1 .LBB39_663
; %bb.660:
	s_cmp_gt_i32 s8, 3
	s_cbranch_scc0 .LBB39_664
; %bb.661:
	global_load_dwordx2 v[3:4], v[1:2], off
	s_mov_b64 s[0:1], 0
	s_branch .LBB39_665
.LBB39_662:
	s_mov_b64 s[0:1], -1
                                        ; implicit-def: $vgpr3
	s_branch .LBB39_671
.LBB39_663:
	s_mov_b64 s[0:1], -1
                                        ; implicit-def: $vgpr3
	s_branch .LBB39_668
.LBB39_664:
	s_mov_b64 s[0:1], -1
                                        ; implicit-def: $vgpr3
.LBB39_665:
	s_andn2_b64 vcc, exec, s[0:1]
	s_cbranch_vccnz .LBB39_667
; %bb.666:
	global_load_dword v3, v[1:2], off
.LBB39_667:
	s_mov_b64 s[0:1], 0
.LBB39_668:
	s_andn2_b64 vcc, exec, s[0:1]
	s_cbranch_vccnz .LBB39_670
; %bb.669:
	global_load_ushort v3, v[1:2], off
.LBB39_670:
	s_mov_b64 s[0:1], 0
.LBB39_671:
	s_andn2_b64 vcc, exec, s[0:1]
	s_cbranch_vccnz .LBB39_677
; %bb.672:
	s_cmp_gt_i32 s8, 0
	s_cbranch_scc0 .LBB39_674
; %bb.673:
	global_load_ubyte v3, v[1:2], off
	s_mov_b64 s[0:1], 0
	s_branch .LBB39_675
.LBB39_674:
	s_mov_b64 s[0:1], -1
                                        ; implicit-def: $vgpr3
.LBB39_675:
	s_andn2_b64 vcc, exec, s[0:1]
	s_cbranch_vccnz .LBB39_677
; %bb.676:
	global_load_ubyte v3, v[1:2], off
.LBB39_677:
	s_mov_b64 s[0:1], -1
.LBB39_678:
	s_andn2_b64 vcc, exec, s[0:1]
	s_cbranch_vccnz .LBB39_686
; %bb.679:
	v_mov_b32_e32 v1, s78
	v_mov_b32_e32 v2, s79
	s_waitcnt vmcnt(0)
	v_cmp_gt_i16_sdwa vcc, sext(v3), s77 src0_sel:BYTE_0 src1_sel:DWORD
	v_cndmask_b32_e32 v2, v1, v2, vcc
	v_mov_b32_e32 v1, s25
	s_and_b32 s14, s44, 0xff
	v_add_co_u32_e32 v0, vcc, s24, v0
	s_cmp_lt_i32 s14, 11
	v_addc_co_u32_e32 v1, vcc, 0, v1, vcc
	s_cbranch_scc1 .LBB39_687
; %bb.680:
	s_and_b32 s15, 0xffff, s14
	s_cmp_gt_i32 s15, 25
	s_cbranch_scc0 .LBB39_688
; %bb.681:
	s_cmp_gt_i32 s15, 28
	s_cbranch_scc0 .LBB39_689
; %bb.682:
	;; [unrolled: 3-line block ×4, first 2 shown]
	s_mov_b64 s[10:11], 0
	s_mov_b64 s[0:1], -1
	s_cmp_eq_u32 s15, 46
	s_mov_b64 s[8:9], 0
	s_cbranch_scc0 .LBB39_692
; %bb.685:
	v_bfe_i32 v3, v2, 0, 8
	v_cvt_f32_i32_sdwa v3, sext(v3) dst_sel:DWORD dst_unused:UNUSED_PAD src0_sel:WORD_0
	s_movk_i32 s0, 0x7fff
	s_mov_b64 s[8:9], -1
	v_bfe_u32 v4, v3, 16, 1
	v_add3_u32 v3, v3, v4, s0
	v_lshrrev_b32_e32 v3, 16, v3
	global_store_dword v[0:1], v3, off
	s_mov_b64 s[0:1], 0
	s_branch .LBB39_692
.LBB39_686:
	s_mov_b64 s[8:9], 0
	s_mov_b64 s[0:1], s[64:65]
	s_branch .LBB39_803
.LBB39_687:
	s_mov_b64 s[10:11], -1
	s_mov_b64 s[8:9], 0
	s_mov_b64 s[0:1], s[64:65]
	s_branch .LBB39_761
.LBB39_688:
	s_mov_b64 s[10:11], -1
	s_mov_b64 s[8:9], 0
	s_mov_b64 s[0:1], s[64:65]
	s_branch .LBB39_719
.LBB39_689:
	s_mov_b64 s[10:11], -1
	s_mov_b64 s[8:9], 0
	s_mov_b64 s[0:1], s[64:65]
	s_branch .LBB39_702
.LBB39_690:
	s_mov_b64 s[10:11], -1
	s_mov_b64 s[8:9], 0
	s_mov_b64 s[0:1], s[64:65]
	s_branch .LBB39_698
.LBB39_691:
	s_mov_b64 s[10:11], -1
	s_mov_b64 s[8:9], 0
	s_mov_b64 s[0:1], s[64:65]
.LBB39_692:
	s_and_b64 vcc, exec, s[10:11]
	s_cbranch_vccz .LBB39_697
; %bb.693:
	s_cmp_eq_u32 s15, 44
	s_mov_b64 s[0:1], -1
	s_cbranch_scc0 .LBB39_697
; %bb.694:
	v_bfe_i32 v3, v2, 0, 8
	v_cvt_f32_i32_sdwa v3, sext(v3) dst_sel:DWORD dst_unused:UNUSED_PAD src0_sel:WORD_0
	s_movk_i32 s0, 0xff
	v_mov_b32_e32 v5, 0xff
	v_bfe_u32 v4, v3, 23, 8
	v_cmp_ne_u32_e32 vcc, s0, v4
	s_and_saveexec_b64 s[8:9], vcc
; %bb.695:
	s_mov_b32 s0, 0x3fffff
	v_lshrrev_b32_e32 v5, 23, v3
	v_and_b32_e32 v6, 0x400000, v3
	v_and_or_b32 v3, v3, s0, v4
	v_cmp_ne_u32_e32 vcc, 0, v6
	v_cmp_ne_u32_e64 s[0:1], 0, v3
	s_and_b64 s[0:1], vcc, s[0:1]
	v_cndmask_b32_e64 v3, 0, 1, s[0:1]
	v_add_u32_e32 v5, v5, v3
; %bb.696:
	s_or_b64 exec, exec, s[8:9]
	s_mov_b64 s[8:9], -1
	s_mov_b64 s[0:1], 0
	global_store_byte v[0:1], v5, off
.LBB39_697:
	s_mov_b64 s[10:11], 0
.LBB39_698:
	s_and_b64 vcc, exec, s[10:11]
	s_cbranch_vccz .LBB39_701
; %bb.699:
	s_cmp_eq_u32 s15, 29
	s_mov_b64 s[0:1], -1
	s_cbranch_scc0 .LBB39_701
; %bb.700:
	v_bfe_i32 v3, v2, 0, 8
	v_ashrrev_i32_e32 v4, 31, v3
	global_store_dwordx2 v[0:1], v[3:4], off
	s_mov_b64 s[8:9], -1
	s_mov_b64 s[0:1], 0
.LBB39_701:
	s_mov_b64 s[10:11], 0
.LBB39_702:
	s_and_b64 vcc, exec, s[10:11]
	s_cbranch_vccz .LBB39_718
; %bb.703:
	s_cmp_lt_i32 s15, 27
	s_mov_b64 s[8:9], -1
	s_cbranch_scc1 .LBB39_709
; %bb.704:
	s_cmp_gt_i32 s15, 27
	s_cbranch_scc0 .LBB39_706
; %bb.705:
	v_bfe_i32 v3, v2, 0, 8
	s_mov_b64 s[8:9], 0
	global_store_dword v[0:1], v3, off
.LBB39_706:
	s_andn2_b64 vcc, exec, s[8:9]
	s_cbranch_vccnz .LBB39_708
; %bb.707:
	v_bfe_i32 v3, v2, 0, 8
	global_store_short v[0:1], v3, off
.LBB39_708:
	s_mov_b64 s[8:9], 0
.LBB39_709:
	s_andn2_b64 vcc, exec, s[8:9]
	s_cbranch_vccnz .LBB39_717
; %bb.710:
	v_bfe_i32 v3, v2, 0, 8
	v_cvt_f32_i32_sdwa v3, sext(v3) dst_sel:DWORD dst_unused:UNUSED_PAD src0_sel:WORD_0
	s_mov_b32 s8, 0x43800000
	v_mov_b32_e32 v5, 0x80
	v_and_b32_e32 v4, 0x7fffffff, v3
	v_cmp_gt_u32_e32 vcc, s8, v4
	s_and_saveexec_b64 s[8:9], vcc
	s_cbranch_execz .LBB39_716
; %bb.711:
	s_mov_b32 s10, 0x3bffffff
	v_cmp_lt_u32_e32 vcc, s10, v4
	s_mov_b64 s[10:11], 0
                                        ; implicit-def: $vgpr4
	s_and_saveexec_b64 s[12:13], vcc
	s_xor_b64 s[12:13], exec, s[12:13]
	s_cbranch_execz .LBB39_833
; %bb.712:
	v_bfe_u32 v4, v3, 20, 1
	s_mov_b32 s16, 0x487ffff
	v_add3_u32 v4, v3, v4, s16
	s_mov_b64 s[10:11], exec
	v_lshrrev_b32_e32 v4, 20, v4
	s_andn2_saveexec_b64 s[12:13], s[12:13]
	s_cbranch_execnz .LBB39_834
.LBB39_713:
	s_or_b64 exec, exec, s[12:13]
	v_mov_b32_e32 v5, 0
	s_and_saveexec_b64 s[12:13], s[10:11]
.LBB39_714:
	v_lshrrev_b32_e32 v3, 24, v3
	s_movk_i32 s10, 0x80
	v_and_or_b32 v5, v3, s10, v4
.LBB39_715:
	s_or_b64 exec, exec, s[12:13]
.LBB39_716:
	s_or_b64 exec, exec, s[8:9]
	global_store_byte v[0:1], v5, off
.LBB39_717:
	s_mov_b64 s[8:9], -1
.LBB39_718:
	s_mov_b64 s[10:11], 0
.LBB39_719:
	s_and_b64 vcc, exec, s[10:11]
	s_cbranch_vccz .LBB39_760
; %bb.720:
	s_cmp_gt_i32 s15, 22
	s_mov_b64 s[10:11], -1
	s_cbranch_scc0 .LBB39_752
; %bb.721:
	s_cmp_lt_i32 s15, 24
	s_mov_b64 s[8:9], -1
	s_cbranch_scc1 .LBB39_741
; %bb.722:
	s_cmp_gt_i32 s15, 24
	s_cbranch_scc0 .LBB39_730
; %bb.723:
	v_bfe_i32 v3, v2, 0, 8
	v_cvt_f32_i32_sdwa v3, sext(v3) dst_sel:DWORD dst_unused:UNUSED_PAD src0_sel:WORD_0
	s_mov_b32 s8, 0x47800000
	v_mov_b32_e32 v5, 0x80
	v_and_b32_e32 v4, 0x7fffffff, v3
	v_cmp_gt_u32_e32 vcc, s8, v4
	s_and_saveexec_b64 s[8:9], vcc
	s_cbranch_execz .LBB39_729
; %bb.724:
	s_mov_b32 s10, 0x37ffffff
	v_cmp_lt_u32_e32 vcc, s10, v4
	s_mov_b64 s[10:11], 0
                                        ; implicit-def: $vgpr4
	s_and_saveexec_b64 s[12:13], vcc
	s_xor_b64 s[12:13], exec, s[12:13]
	s_cbranch_execz .LBB39_836
; %bb.725:
	v_bfe_u32 v4, v3, 21, 1
	s_mov_b32 s16, 0x88fffff
	v_add3_u32 v4, v3, v4, s16
	s_mov_b64 s[10:11], exec
	v_lshrrev_b32_e32 v4, 21, v4
	s_andn2_saveexec_b64 s[12:13], s[12:13]
	s_cbranch_execnz .LBB39_837
.LBB39_726:
	s_or_b64 exec, exec, s[12:13]
	v_mov_b32_e32 v5, 0
	s_and_saveexec_b64 s[12:13], s[10:11]
.LBB39_727:
	v_lshrrev_b32_e32 v3, 24, v3
	s_movk_i32 s10, 0x80
	v_and_or_b32 v5, v3, s10, v4
.LBB39_728:
	s_or_b64 exec, exec, s[12:13]
.LBB39_729:
	s_or_b64 exec, exec, s[8:9]
	s_mov_b64 s[8:9], 0
	global_store_byte v[0:1], v5, off
.LBB39_730:
	s_and_b64 vcc, exec, s[8:9]
	s_cbranch_vccz .LBB39_740
; %bb.731:
	v_bfe_i32 v3, v2, 0, 8
	v_cvt_f32_i32_sdwa v3, sext(v3) dst_sel:DWORD dst_unused:UNUSED_PAD src0_sel:WORD_0
	s_mov_b32 s8, 0x43f00000
                                        ; implicit-def: $vgpr4
	v_and_b32_e32 v5, 0x7fffffff, v3
	v_cmp_gt_u32_e32 vcc, s8, v5
	s_and_saveexec_b64 s[8:9], vcc
	s_xor_b64 s[8:9], exec, s[8:9]
	s_cbranch_execz .LBB39_737
; %bb.732:
	s_mov_b32 s10, 0x3c7fffff
	v_cmp_lt_u32_e32 vcc, s10, v5
                                        ; implicit-def: $vgpr4
	s_and_saveexec_b64 s[10:11], vcc
	s_xor_b64 s[10:11], exec, s[10:11]
; %bb.733:
	v_bfe_u32 v4, v3, 20, 1
	s_mov_b32 s12, 0x407ffff
	v_add3_u32 v4, v3, v4, s12
	v_lshrrev_b32_e32 v5, 20, v4
	v_and_b32_e32 v4, 0xff00000, v4
	s_mov_b32 s12, 0x7f00000
	v_mov_b32_e32 v6, 0x7e
	v_cmp_ne_u32_e32 vcc, s12, v4
	v_cndmask_b32_e32 v4, v6, v5, vcc
; %bb.734:
	s_andn2_saveexec_b64 s[10:11], s[10:11]
; %bb.735:
	s_mov_b32 s12, 0x46800000
	v_add_f32_e64 v4, |v3|, s12
; %bb.736:
	s_or_b64 exec, exec, s[10:11]
                                        ; implicit-def: $vgpr5
.LBB39_737:
	s_andn2_saveexec_b64 s[8:9], s[8:9]
; %bb.738:
	s_mov_b32 s10, 0x7f800000
	v_mov_b32_e32 v4, 0x7e
	v_mov_b32_e32 v6, 0x7f
	v_cmp_lt_u32_e32 vcc, s10, v5
	v_cndmask_b32_e32 v4, v4, v6, vcc
; %bb.739:
	s_or_b64 exec, exec, s[8:9]
	v_lshrrev_b32_e32 v3, 24, v3
	s_movk_i32 s8, 0x80
	v_and_or_b32 v3, v3, s8, v4
	global_store_byte v[0:1], v3, off
.LBB39_740:
	s_mov_b64 s[8:9], 0
.LBB39_741:
	s_andn2_b64 vcc, exec, s[8:9]
	s_cbranch_vccnz .LBB39_751
; %bb.742:
	v_bfe_i32 v3, v2, 0, 8
	v_cvt_f32_i32_sdwa v3, sext(v3) dst_sel:DWORD dst_unused:UNUSED_PAD src0_sel:WORD_0
	s_mov_b32 s8, 0x47800000
                                        ; implicit-def: $vgpr4
	v_and_b32_e32 v5, 0x7fffffff, v3
	v_cmp_gt_u32_e32 vcc, s8, v5
	s_and_saveexec_b64 s[8:9], vcc
	s_xor_b64 s[8:9], exec, s[8:9]
	s_cbranch_execz .LBB39_748
; %bb.743:
	s_mov_b32 s10, 0x387fffff
	v_cmp_lt_u32_e32 vcc, s10, v5
                                        ; implicit-def: $vgpr4
	s_and_saveexec_b64 s[10:11], vcc
	s_xor_b64 s[10:11], exec, s[10:11]
; %bb.744:
	v_bfe_u32 v4, v3, 21, 1
	s_mov_b32 s12, 0x80fffff
	v_add3_u32 v4, v3, v4, s12
	v_lshrrev_b32_e32 v4, 21, v4
; %bb.745:
	s_andn2_saveexec_b64 s[10:11], s[10:11]
; %bb.746:
	s_mov_b32 s12, 0x43000000
	v_add_f32_e64 v4, |v3|, s12
; %bb.747:
	s_or_b64 exec, exec, s[10:11]
                                        ; implicit-def: $vgpr5
.LBB39_748:
	s_andn2_saveexec_b64 s[8:9], s[8:9]
; %bb.749:
	s_mov_b32 s10, 0x7f800000
	v_mov_b32_e32 v4, 0x7c
	v_mov_b32_e32 v6, 0x7f
	v_cmp_lt_u32_e32 vcc, s10, v5
	v_cndmask_b32_e32 v4, v4, v6, vcc
; %bb.750:
	s_or_b64 exec, exec, s[8:9]
	v_lshrrev_b32_e32 v3, 24, v3
	s_movk_i32 s8, 0x80
	v_and_or_b32 v3, v3, s8, v4
	global_store_byte v[0:1], v3, off
.LBB39_751:
	s_mov_b64 s[10:11], 0
	s_mov_b64 s[8:9], -1
.LBB39_752:
	s_andn2_b64 vcc, exec, s[10:11]
	s_cbranch_vccnz .LBB39_760
; %bb.753:
	s_cmp_gt_i32 s15, 14
	s_mov_b64 s[10:11], -1
	s_cbranch_scc0 .LBB39_757
; %bb.754:
	s_cmp_eq_u32 s15, 15
	s_mov_b64 s[0:1], -1
	s_cbranch_scc0 .LBB39_756
; %bb.755:
	v_bfe_i32 v3, v2, 0, 8
	v_cvt_f32_i32_sdwa v3, sext(v3) dst_sel:DWORD dst_unused:UNUSED_PAD src0_sel:WORD_0
	s_movk_i32 s0, 0x7fff
	s_mov_b64 s[8:9], -1
	v_bfe_u32 v4, v3, 16, 1
	v_add3_u32 v3, v3, v4, s0
	global_store_short_d16_hi v[0:1], v3, off
	s_mov_b64 s[0:1], 0
.LBB39_756:
	s_mov_b64 s[10:11], 0
.LBB39_757:
	s_and_b64 vcc, exec, s[10:11]
	s_cbranch_vccz .LBB39_760
; %bb.758:
	s_cmp_eq_u32 s15, 11
	s_mov_b64 s[0:1], -1
	s_cbranch_scc0 .LBB39_760
; %bb.759:
	v_mov_b32_e32 v3, 0
	v_cmp_ne_u16_sdwa s[0:1], v2, v3 src0_sel:BYTE_0 src1_sel:DWORD
	v_cndmask_b32_e64 v3, 0, 1, s[0:1]
	s_mov_b64 s[8:9], -1
	s_mov_b64 s[0:1], 0
	global_store_byte v[0:1], v3, off
.LBB39_760:
	s_mov_b64 s[10:11], 0
.LBB39_761:
	s_and_b64 vcc, exec, s[10:11]
	s_cbranch_vccz .LBB39_800
; %bb.762:
	s_and_b32 s10, 0xffff, s14
	s_cmp_lt_i32 s10, 5
	s_mov_b64 s[8:9], -1
	s_cbranch_scc1 .LBB39_783
; %bb.763:
	s_cmp_lt_i32 s10, 8
	s_cbranch_scc1 .LBB39_773
; %bb.764:
	s_cmp_lt_i32 s10, 9
	s_cbranch_scc1 .LBB39_770
; %bb.765:
	s_cmp_gt_i32 s10, 9
	s_cbranch_scc0 .LBB39_767
; %bb.766:
	v_bfe_i32 v3, v2, 0, 8
	v_bfe_i32 v3, v3, 0, 16
	v_cvt_f64_i32_e32 v[3:4], v3
	v_mov_b32_e32 v5, 0
	v_mov_b32_e32 v6, v5
	s_mov_b64 s[8:9], 0
	global_store_dwordx4 v[0:1], v[3:6], off
.LBB39_767:
	s_andn2_b64 vcc, exec, s[8:9]
	s_cbranch_vccnz .LBB39_769
; %bb.768:
	v_bfe_i32 v3, v2, 0, 8
	v_cvt_f32_i32_sdwa v3, sext(v3) dst_sel:DWORD dst_unused:UNUSED_PAD src0_sel:WORD_0
	v_mov_b32_e32 v4, 0
	global_store_dwordx2 v[0:1], v[3:4], off
.LBB39_769:
	s_mov_b64 s[8:9], 0
.LBB39_770:
	s_andn2_b64 vcc, exec, s[8:9]
	s_cbranch_vccnz .LBB39_772
; %bb.771:
	v_cvt_f16_i16_sdwa v3, sext(v2) dst_sel:DWORD dst_unused:UNUSED_PAD src0_sel:BYTE_0
	global_store_dword v[0:1], v3, off
.LBB39_772:
	s_mov_b64 s[8:9], 0
.LBB39_773:
	s_andn2_b64 vcc, exec, s[8:9]
	s_cbranch_vccnz .LBB39_782
; %bb.774:
	s_cmp_lt_i32 s10, 6
	s_mov_b64 s[8:9], -1
	s_cbranch_scc1 .LBB39_780
; %bb.775:
	s_cmp_gt_i32 s10, 6
	s_cbranch_scc0 .LBB39_777
; %bb.776:
	v_bfe_i32 v3, v2, 0, 8
	v_bfe_i32 v3, v3, 0, 16
	v_cvt_f64_i32_e32 v[3:4], v3
	s_mov_b64 s[8:9], 0
	global_store_dwordx2 v[0:1], v[3:4], off
.LBB39_777:
	s_andn2_b64 vcc, exec, s[8:9]
	s_cbranch_vccnz .LBB39_779
; %bb.778:
	v_bfe_i32 v3, v2, 0, 8
	v_cvt_f32_i32_sdwa v3, sext(v3) dst_sel:DWORD dst_unused:UNUSED_PAD src0_sel:WORD_0
	global_store_dword v[0:1], v3, off
.LBB39_779:
	s_mov_b64 s[8:9], 0
.LBB39_780:
	s_andn2_b64 vcc, exec, s[8:9]
	s_cbranch_vccnz .LBB39_782
; %bb.781:
	v_cvt_f16_i16_sdwa v3, sext(v2) dst_sel:DWORD dst_unused:UNUSED_PAD src0_sel:BYTE_0
	global_store_short v[0:1], v3, off
.LBB39_782:
	s_mov_b64 s[8:9], 0
.LBB39_783:
	s_andn2_b64 vcc, exec, s[8:9]
	s_cbranch_vccnz .LBB39_799
; %bb.784:
	s_cmp_lt_i32 s10, 2
	s_mov_b64 s[8:9], -1
	s_cbranch_scc1 .LBB39_794
; %bb.785:
	s_cmp_lt_i32 s10, 3
	s_cbranch_scc1 .LBB39_791
; %bb.786:
	s_cmp_gt_i32 s10, 3
	s_cbranch_scc0 .LBB39_788
; %bb.787:
	v_bfe_i32 v3, v2, 0, 8
	v_ashrrev_i32_e32 v4, 31, v3
	s_mov_b64 s[8:9], 0
	global_store_dwordx2 v[0:1], v[3:4], off
.LBB39_788:
	s_andn2_b64 vcc, exec, s[8:9]
	s_cbranch_vccnz .LBB39_790
; %bb.789:
	v_bfe_i32 v3, v2, 0, 8
	global_store_dword v[0:1], v3, off
.LBB39_790:
	s_mov_b64 s[8:9], 0
.LBB39_791:
	s_andn2_b64 vcc, exec, s[8:9]
	s_cbranch_vccnz .LBB39_793
; %bb.792:
	v_bfe_i32 v3, v2, 0, 8
	global_store_short v[0:1], v3, off
.LBB39_793:
	s_mov_b64 s[8:9], 0
.LBB39_794:
	s_andn2_b64 vcc, exec, s[8:9]
	s_cbranch_vccnz .LBB39_799
; %bb.795:
	s_cmp_gt_i32 s10, 0
	s_mov_b64 s[8:9], -1
	s_cbranch_scc0 .LBB39_797
; %bb.796:
	s_mov_b64 s[8:9], 0
	global_store_byte v[0:1], v2, off
.LBB39_797:
	s_andn2_b64 vcc, exec, s[8:9]
	s_cbranch_vccnz .LBB39_799
; %bb.798:
	global_store_byte v[0:1], v2, off
.LBB39_799:
	s_mov_b64 s[8:9], -1
.LBB39_800:
	s_andn2_b64 vcc, exec, s[8:9]
	s_cbranch_vccnz .LBB39_802
; %bb.801:
	v_add_u32_e32 v8, 0x80, v8
	s_mov_b64 s[8:9], -1
	s_branch .LBB39_804
.LBB39_802:
	s_mov_b64 s[8:9], 0
.LBB39_803:
                                        ; implicit-def: $vgpr8
.LBB39_804:
	s_andn2_b64 s[10:11], s[64:65], exec
	s_and_b64 s[0:1], s[0:1], exec
	s_or_b64 s[72:73], s[10:11], s[0:1]
	s_andn2_b64 s[0:1], s[62:63], exec
	s_and_b64 s[2:3], s[2:3], exec
	s_or_b64 s[70:71], s[0:1], s[2:3]
	s_orn2_b64 s[2:3], s[8:9], exec
.LBB39_805:
	s_or_b64 exec, exec, s[68:69]
	s_mov_b64 s[0:1], 0
	s_mov_b64 s[8:9], 0
	;; [unrolled: 1-line block ×3, first 2 shown]
                                        ; implicit-def: $sgpr14
                                        ; implicit-def: $vgpr1_vgpr2
                                        ; implicit-def: $vgpr0
                                        ; implicit-def: $vgpr3
	s_and_saveexec_b64 s[68:69], s[2:3]
	s_cbranch_execz .LBB39_900
; %bb.806:
	v_cmp_gt_i32_e32 vcc, s74, v8
	s_mov_b64 s[2:3], 0
	s_mov_b64 s[12:13], s[70:71]
                                        ; implicit-def: $sgpr14
                                        ; implicit-def: $vgpr1_vgpr2
                                        ; implicit-def: $vgpr0
                                        ; implicit-def: $vgpr3
	s_and_saveexec_b64 s[74:75], vcc
	s_cbranch_execz .LBB39_899
; %bb.807:
	s_andn2_b64 vcc, exec, s[40:41]
	s_cbranch_vccnz .LBB39_812
; %bb.808:
	s_andn2_b64 vcc, exec, s[54:55]
	s_cbranch_vccnz .LBB39_813
; %bb.809:
	s_add_i32 s80, s80, 1
	s_cmp_eq_u32 s76, 2
	s_cbranch_scc1 .LBB39_814
; %bb.810:
	s_and_b32 s45, s80, 28
	v_mov_b32_e32 v2, 0
	s_mov_b32 s46, 0
	s_mov_b64 s[54:55], s[34:35]
	v_mov_b32_e32 v0, 0
	v_mov_b32_e32 v1, v8
.LBB39_811:                             ; =>This Inner Loop Header: Depth=1
	s_load_dwordx8 s[16:23], s[54:55], 0x4
	s_load_dwordx4 s[0:3], s[54:55], 0x24
	s_load_dwordx8 s[8:15], s[52:53], 0x0
	s_add_u32 s54, s54, 48
	s_addc_u32 s55, s55, 0
	s_waitcnt vmcnt(0) lgkmcnt(0)
	v_mul_hi_u32 v3, s17, v1
	s_add_i32 s46, s46, 4
	s_add_u32 s52, s52, 32
	s_addc_u32 s53, s53, 0
	v_add_u32_e32 v3, v1, v3
	v_lshrrev_b32_e32 v3, s18, v3
	v_mul_lo_u32 v4, v3, s16
	v_mul_hi_u32 v5, s20, v3
	s_cmp_eq_u32 s45, s46
	v_sub_u32_e32 v1, v1, v4
	v_add_u32_e32 v4, v3, v5
	v_mul_lo_u32 v5, v1, s8
	v_mul_lo_u32 v6, v1, s9
	v_lshrrev_b32_e32 v1, s21, v4
	v_mul_lo_u32 v4, v1, s19
	v_mul_hi_u32 v7, s23, v1
	v_sub_u32_e32 v3, v3, v4
	v_add_u32_e32 v4, v1, v7
	v_lshrrev_b32_e32 v4, s0, v4
	v_mul_hi_u32 v9, s2, v4
	v_mul_lo_u32 v10, v4, s22
	v_mul_lo_u32 v7, v3, s10
	;; [unrolled: 1-line block ×3, first 2 shown]
	v_sub_u32_e32 v10, v1, v10
	v_add_u32_e32 v1, v4, v9
	v_lshrrev_b32_e32 v1, s3, v1
	v_mul_lo_u32 v9, v1, s1
	v_mul_lo_u32 v11, v10, s12
	;; [unrolled: 1-line block ×3, first 2 shown]
	v_add3_u32 v0, v5, v0, v7
	v_sub_u32_e32 v4, v4, v9
	v_mul_lo_u32 v9, v4, s14
	v_mul_lo_u32 v4, v4, s15
	v_add3_u32 v2, v6, v2, v3
	v_add3_u32 v0, v11, v0, v9
	;; [unrolled: 1-line block ×3, first 2 shown]
	s_cbranch_scc0 .LBB39_811
	s_branch .LBB39_815
.LBB39_812:
	s_mov_b64 s[0:1], -1
                                        ; implicit-def: $vgpr0
                                        ; implicit-def: $vgpr2
	s_branch .LBB39_819
.LBB39_813:
	v_mov_b32_e32 v0, 0
	v_mov_b32_e32 v2, 0
	s_branch .LBB39_818
.LBB39_814:
	s_mov_b32 s45, 0
	v_mov_b32_e32 v0, 0
	v_mov_b32_e32 v2, 0
	;; [unrolled: 1-line block ×3, first 2 shown]
.LBB39_815:
	s_and_b32 s8, s80, 3
	s_cmp_eq_u32 s8, 0
	s_cbranch_scc1 .LBB39_818
; %bb.816:
	s_lshl_b32 s0, s45, 3
	s_add_u32 s0, s34, s0
	s_addc_u32 s1, s35, 0
	s_add_u32 s0, s0, 0xc4
	s_addc_u32 s1, s1, 0
	s_mul_i32 s2, s45, 12
	s_add_u32 s2, s34, s2
	s_addc_u32 s3, s35, 0
.LBB39_817:                             ; =>This Inner Loop Header: Depth=1
	s_load_dwordx2 s[10:11], s[2:3], 0x4
	s_load_dword s9, s[2:3], 0xc
	s_load_dwordx2 s[12:13], s[0:1], 0x0
	s_add_u32 s2, s2, 12
	s_addc_u32 s3, s3, 0
	s_waitcnt vmcnt(0) lgkmcnt(0)
	v_mul_hi_u32 v3, s11, v1
	s_add_u32 s0, s0, 8
	s_addc_u32 s1, s1, 0
	s_add_i32 s8, s8, -1
	v_add_u32_e32 v3, v1, v3
	v_lshrrev_b32_e32 v4, s9, v3
	v_mul_lo_u32 v3, v4, s10
	s_cmp_lg_u32 s8, 0
	v_sub_u32_e32 v3, v1, v3
	v_mad_u64_u32 v[0:1], s[10:11], v3, s12, v[0:1]
	v_mad_u64_u32 v[2:3], s[10:11], v3, s13, v[2:3]
	v_mov_b32_e32 v1, v4
	s_cbranch_scc1 .LBB39_817
.LBB39_818:
	s_mov_b64 s[0:1], 0
.LBB39_819:
	s_andn2_b64 vcc, exec, s[0:1]
	s_cbranch_vccnz .LBB39_822
; %bb.820:
	v_mul_hi_u32 v0, s29, v8
	s_andn2_b64 vcc, exec, s[50:51]
	v_add_u32_e32 v0, v8, v0
	v_lshrrev_b32_e32 v1, s30, v0
	v_mul_lo_u32 v0, v1, s28
	v_sub_u32_e32 v2, v8, v0
	v_mul_lo_u32 v0, v2, s36
	v_mul_lo_u32 v2, v2, s37
	s_cbranch_vccnz .LBB39_822
; %bb.821:
	s_waitcnt vmcnt(0)
	v_mul_hi_u32 v3, s48, v1
	v_add_u32_e32 v3, v1, v3
	v_lshrrev_b32_e32 v3, s49, v3
	v_mul_lo_u32 v3, v3, s31
	v_sub_u32_e32 v3, v1, v3
	v_mad_u64_u32 v[0:1], s[0:1], v3, s38, v[0:1]
	v_mad_u64_u32 v[2:3], s[0:1], v3, s39, v[2:3]
.LBB39_822:
	s_waitcnt vmcnt(0)
	v_mov_b32_e32 v3, s27
	s_and_b32 s14, s47, 0xff
	v_add_co_u32_e32 v1, vcc, s26, v2
	s_cmp_lt_i32 s14, 11
	v_addc_co_u32_e32 v2, vcc, 0, v3, vcc
	s_cbranch_scc1 .LBB39_829
; %bb.823:
	s_and_b32 s12, 0xffff, s14
	s_cmp_gt_i32 s12, 25
	s_mov_b64 s[2:3], 0
	s_cbranch_scc0 .LBB39_830
; %bb.824:
	s_cmp_gt_i32 s12, 28
	s_cbranch_scc0 .LBB39_831
; %bb.825:
	s_cmp_gt_i32 s12, 43
	;; [unrolled: 3-line block ×3, first 2 shown]
	s_cbranch_scc0 .LBB39_835
; %bb.827:
	s_cmp_eq_u32 s12, 46
	s_mov_b64 s[10:11], 0
	s_cbranch_scc0 .LBB39_838
; %bb.828:
	global_load_dword v3, v[1:2], off
	s_mov_b64 s[0:1], 0
	s_mov_b64 s[8:9], -1
	s_waitcnt vmcnt(0)
	v_lshlrev_b32_e32 v3, 16, v3
	v_cvt_i32_f32_e32 v3, v3
	s_branch .LBB39_839
.LBB39_829:
	s_mov_b64 s[12:13], -1
	s_mov_b64 s[8:9], 0
	s_mov_b64 s[2:3], 0
	;; [unrolled: 1-line block ×3, first 2 shown]
                                        ; implicit-def: $vgpr3
	s_branch .LBB39_898
.LBB39_830:
	s_mov_b64 s[10:11], -1
	s_mov_b64 s[8:9], 0
	s_mov_b64 s[0:1], s[70:71]
                                        ; implicit-def: $vgpr3
	s_branch .LBB39_866
.LBB39_831:
	s_mov_b64 s[10:11], -1
	s_mov_b64 s[8:9], 0
	s_mov_b64 s[0:1], s[70:71]
                                        ; implicit-def: $vgpr3
	s_branch .LBB39_849
.LBB39_832:
	s_mov_b64 s[10:11], -1
	s_mov_b64 s[8:9], 0
	s_mov_b64 s[0:1], s[70:71]
                                        ; implicit-def: $vgpr3
	s_branch .LBB39_844
.LBB39_833:
	s_andn2_saveexec_b64 s[12:13], s[12:13]
	s_cbranch_execz .LBB39_713
.LBB39_834:
	s_mov_b32 s16, 0x46000000
	v_add_f32_e64 v4, |v3|, s16
	v_and_b32_e32 v4, 0xff, v4
	v_cmp_ne_u32_e32 vcc, 0, v4
	s_andn2_b64 s[10:11], s[10:11], exec
	s_and_b64 s[16:17], vcc, exec
	s_or_b64 s[10:11], s[10:11], s[16:17]
	s_or_b64 exec, exec, s[12:13]
	v_mov_b32_e32 v5, 0
	s_and_saveexec_b64 s[12:13], s[10:11]
	s_cbranch_execnz .LBB39_714
	s_branch .LBB39_715
.LBB39_835:
	s_mov_b64 s[10:11], -1
	s_mov_b64 s[8:9], 0
	s_mov_b64 s[0:1], s[70:71]
                                        ; implicit-def: $vgpr3
	s_branch .LBB39_839
.LBB39_836:
	s_andn2_saveexec_b64 s[12:13], s[12:13]
	s_cbranch_execz .LBB39_726
.LBB39_837:
	s_mov_b32 s16, 0x42800000
	v_add_f32_e64 v4, |v3|, s16
	v_and_b32_e32 v4, 0xff, v4
	v_cmp_ne_u32_e32 vcc, 0, v4
	s_andn2_b64 s[10:11], s[10:11], exec
	s_and_b64 s[16:17], vcc, exec
	s_or_b64 s[10:11], s[10:11], s[16:17]
	s_or_b64 exec, exec, s[12:13]
	v_mov_b32_e32 v5, 0
	s_and_saveexec_b64 s[12:13], s[10:11]
	s_cbranch_execnz .LBB39_727
	s_branch .LBB39_728
.LBB39_838:
	s_mov_b64 s[0:1], -1
                                        ; implicit-def: $vgpr3
	s_mov_b64 s[8:9], 0
.LBB39_839:
	s_and_b64 vcc, exec, s[10:11]
	s_cbranch_vccz .LBB39_843
; %bb.840:
	s_cmp_eq_u32 s12, 44
	s_cbranch_scc0 .LBB39_842
; %bb.841:
	global_load_ubyte v3, v[1:2], off
	s_mov_b64 s[0:1], 0
	s_mov_b64 s[8:9], -1
	s_waitcnt vmcnt(0)
	v_lshlrev_b32_e32 v4, 23, v3
	v_cvt_i32_f32_e32 v4, v4
	v_cmp_ne_u32_e32 vcc, 0, v3
	v_cndmask_b32_e32 v3, 0, v4, vcc
	s_branch .LBB39_843
.LBB39_842:
	s_mov_b64 s[0:1], -1
                                        ; implicit-def: $vgpr3
.LBB39_843:
	s_mov_b64 s[10:11], 0
.LBB39_844:
	s_and_b64 vcc, exec, s[10:11]
	s_cbranch_vccz .LBB39_848
; %bb.845:
	s_cmp_eq_u32 s12, 29
	s_cbranch_scc0 .LBB39_847
; %bb.846:
	global_load_dwordx2 v[3:4], v[1:2], off
	s_mov_b64 s[0:1], 0
	s_mov_b64 s[8:9], -1
	s_branch .LBB39_848
.LBB39_847:
	s_mov_b64 s[0:1], -1
                                        ; implicit-def: $vgpr3
.LBB39_848:
	s_mov_b64 s[10:11], 0
.LBB39_849:
	s_and_b64 vcc, exec, s[10:11]
	s_cbranch_vccz .LBB39_865
; %bb.850:
	s_cmp_lt_i32 s12, 27
	s_cbranch_scc1 .LBB39_853
; %bb.851:
	s_cmp_gt_i32 s12, 27
	s_cbranch_scc0 .LBB39_854
; %bb.852:
	global_load_dword v3, v[1:2], off
	s_mov_b64 s[8:9], 0
	s_branch .LBB39_855
.LBB39_853:
	s_mov_b64 s[8:9], -1
                                        ; implicit-def: $vgpr3
	s_branch .LBB39_858
.LBB39_854:
	s_mov_b64 s[8:9], -1
                                        ; implicit-def: $vgpr3
.LBB39_855:
	s_andn2_b64 vcc, exec, s[8:9]
	s_cbranch_vccnz .LBB39_857
; %bb.856:
	global_load_ushort v3, v[1:2], off
.LBB39_857:
	s_mov_b64 s[8:9], 0
.LBB39_858:
	s_andn2_b64 vcc, exec, s[8:9]
	s_cbranch_vccnz .LBB39_864
; %bb.859:
	global_load_ubyte v4, v[1:2], off
	s_movk_i32 s8, 0x7f
	s_mov_b64 s[10:11], 0
	s_waitcnt vmcnt(0)
	v_cmp_lt_i16_e32 vcc, s8, v4
	s_and_saveexec_b64 s[8:9], vcc
	s_xor_b64 s[8:9], exec, s[8:9]
	s_cbranch_execz .LBB39_876
; %bb.860:
	s_movk_i32 s10, 0x80
	v_cmp_ne_u16_e32 vcc, s10, v4
	s_and_b64 s[10:11], vcc, exec
	s_andn2_saveexec_b64 s[8:9], s[8:9]
	s_cbranch_execnz .LBB39_877
.LBB39_861:
	s_or_b64 exec, exec, s[8:9]
	v_mov_b32_e32 v3, 0
	s_and_saveexec_b64 s[8:9], s[10:11]
	s_cbranch_execz .LBB39_863
.LBB39_862:
	v_lshlrev_b32_e32 v3, 24, v4
	v_and_b32_e32 v4, 0xffff, v4
	v_and_b32_e32 v5, 7, v4
	v_ffbh_u32_e32 v7, v5
	v_min_u32_e32 v7, 32, v7
	v_subrev_u32_e32 v8, 28, v7
	v_bfe_u32 v6, v4, 3, 4
	v_lshlrev_b32_e32 v4, v8, v4
	v_sub_u32_e32 v7, 29, v7
	v_and_b32_e32 v4, 7, v4
	v_cmp_eq_u32_e32 vcc, 0, v6
	v_cndmask_b32_e32 v6, v6, v7, vcc
	v_cndmask_b32_e32 v4, v5, v4, vcc
	v_mov_b32_e32 v5, 0x3b800000
	v_lshlrev_b32_e32 v4, 20, v4
	v_and_b32_e32 v3, 0x80000000, v3
	v_lshl_add_u32 v5, v6, 23, v5
	v_or3_b32 v3, v3, v5, v4
	v_cvt_i32_f32_e32 v3, v3
.LBB39_863:
	s_or_b64 exec, exec, s[8:9]
.LBB39_864:
	s_mov_b64 s[8:9], -1
.LBB39_865:
	s_mov_b64 s[10:11], 0
.LBB39_866:
	s_and_b64 vcc, exec, s[10:11]
	s_cbranch_vccz .LBB39_897
; %bb.867:
	s_cmp_gt_i32 s12, 22
	s_cbranch_scc0 .LBB39_875
; %bb.868:
	s_cmp_lt_i32 s12, 24
	s_cbranch_scc1 .LBB39_878
; %bb.869:
	s_cmp_gt_i32 s12, 24
	s_cbranch_scc0 .LBB39_879
; %bb.870:
	global_load_ubyte v4, v[1:2], off
	s_movk_i32 s2, 0x7f
	s_mov_b64 s[8:9], 0
	s_waitcnt vmcnt(0)
	v_cmp_lt_i16_e32 vcc, s2, v4
	s_and_saveexec_b64 s[2:3], vcc
	s_xor_b64 s[2:3], exec, s[2:3]
	s_cbranch_execz .LBB39_891
; %bb.871:
	s_movk_i32 s8, 0x80
	v_cmp_ne_u16_e32 vcc, s8, v4
	s_and_b64 s[8:9], vcc, exec
	s_andn2_saveexec_b64 s[2:3], s[2:3]
	s_cbranch_execnz .LBB39_892
.LBB39_872:
	s_or_b64 exec, exec, s[2:3]
	v_mov_b32_e32 v3, 0
	s_and_saveexec_b64 s[2:3], s[8:9]
	s_cbranch_execz .LBB39_874
.LBB39_873:
	v_lshlrev_b32_e32 v3, 24, v4
	v_and_b32_e32 v4, 0xffff, v4
	v_and_b32_e32 v5, 3, v4
	v_ffbh_u32_e32 v7, v5
	v_min_u32_e32 v7, 32, v7
	v_subrev_u32_e32 v8, 29, v7
	v_bfe_u32 v6, v4, 2, 5
	v_lshlrev_b32_e32 v4, v8, v4
	v_sub_u32_e32 v7, 30, v7
	v_and_b32_e32 v4, 3, v4
	v_cmp_eq_u32_e32 vcc, 0, v6
	v_cndmask_b32_e32 v6, v6, v7, vcc
	v_cndmask_b32_e32 v4, v5, v4, vcc
	v_mov_b32_e32 v5, 0x37800000
	v_lshlrev_b32_e32 v4, 21, v4
	v_and_b32_e32 v3, 0x80000000, v3
	v_lshl_add_u32 v5, v6, 23, v5
	v_or3_b32 v3, v3, v5, v4
	v_cvt_i32_f32_e32 v3, v3
.LBB39_874:
	s_or_b64 exec, exec, s[2:3]
	s_mov_b64 s[2:3], 0
	s_branch .LBB39_880
.LBB39_875:
	s_mov_b64 s[2:3], -1
                                        ; implicit-def: $vgpr3
	s_branch .LBB39_886
.LBB39_876:
	s_andn2_saveexec_b64 s[8:9], s[8:9]
	s_cbranch_execz .LBB39_861
.LBB39_877:
	v_cmp_ne_u16_e32 vcc, 0, v4
	s_andn2_b64 s[10:11], s[10:11], exec
	s_and_b64 s[16:17], vcc, exec
	s_or_b64 s[10:11], s[10:11], s[16:17]
	s_or_b64 exec, exec, s[8:9]
	v_mov_b32_e32 v3, 0
	s_and_saveexec_b64 s[8:9], s[10:11]
	s_cbranch_execnz .LBB39_862
	s_branch .LBB39_863
.LBB39_878:
	s_mov_b64 s[2:3], -1
                                        ; implicit-def: $vgpr3
	s_branch .LBB39_883
.LBB39_879:
	s_mov_b64 s[2:3], -1
                                        ; implicit-def: $vgpr3
.LBB39_880:
	s_and_b64 vcc, exec, s[2:3]
	s_cbranch_vccz .LBB39_882
; %bb.881:
	global_load_ubyte v3, v[1:2], off
	s_mov_b32 s2, 0x7f800000
	s_waitcnt vmcnt(0)
	v_lshlrev_b32_e32 v3, 24, v3
	v_and_b32_e32 v4, 0x7f000000, v3
	v_ffbh_u32_e32 v5, v4
	v_min_u32_e32 v5, 32, v5
	v_sub_u32_e64 v5, v5, 4 clamp
	v_lshlrev_b32_e32 v7, v5, v4
	v_lshlrev_b32_e32 v5, 23, v5
	v_lshrrev_b32_e32 v7, 4, v7
	v_add_u32_e32 v6, 0x1000000, v4
	v_sub_u32_e32 v5, v7, v5
	v_ashrrev_i32_e32 v6, 8, v6
	v_add_u32_e32 v5, 0x3c000000, v5
	v_and_or_b32 v5, v6, s2, v5
	v_cmp_ne_u32_e32 vcc, 0, v4
	v_cndmask_b32_e32 v4, 0, v5, vcc
	s_brev_b32 s2, 1
	v_and_or_b32 v3, v3, s2, v4
	v_cvt_i32_f32_e32 v3, v3
.LBB39_882:
	s_mov_b64 s[2:3], 0
.LBB39_883:
	s_andn2_b64 vcc, exec, s[2:3]
	s_cbranch_vccnz .LBB39_885
; %bb.884:
	global_load_ubyte v3, v[1:2], off
	s_movk_i32 s2, 0x7f00
	s_brev_b32 s3, 16
	s_waitcnt vmcnt(0)
	v_lshlrev_b16_e32 v4, 8, v3
	v_lshlrev_b32_e32 v3, 25, v3
	v_lshrrev_b32_e32 v5, 4, v3
	v_and_or_b32 v6, v4, s2, 0.5
	v_or_b32_e32 v5, 0x70000000, v5
	v_add_f32_e32 v6, -0.5, v6
	v_mul_f32_e32 v5, 0x7800000, v5
	v_cmp_gt_u32_e32 vcc, s3, v3
	v_bfe_i32 v4, v4, 0, 16
	v_cndmask_b32_e32 v3, v5, v6, vcc
	s_brev_b32 s2, 1
	v_and_or_b32 v3, v4, s2, v3
	v_cvt_i32_f32_e32 v3, v3
.LBB39_885:
	s_mov_b64 s[2:3], 0
	s_mov_b64 s[8:9], -1
.LBB39_886:
	s_andn2_b64 vcc, exec, s[2:3]
	s_mov_b64 s[2:3], 0
	s_cbranch_vccnz .LBB39_897
; %bb.887:
	s_cmp_gt_i32 s12, 14
	s_cbranch_scc0 .LBB39_890
; %bb.888:
	s_cmp_eq_u32 s12, 15
	s_cbranch_scc0 .LBB39_893
; %bb.889:
	global_load_ushort v3, v[1:2], off
	s_mov_b64 s[0:1], 0
	s_mov_b64 s[8:9], -1
	s_waitcnt vmcnt(0)
	v_lshlrev_b32_e32 v3, 16, v3
	v_cvt_i32_f32_e32 v3, v3
	s_branch .LBB39_894
.LBB39_890:
	s_mov_b64 s[10:11], -1
                                        ; implicit-def: $vgpr3
	s_branch .LBB39_895
.LBB39_891:
	s_andn2_saveexec_b64 s[2:3], s[2:3]
	s_cbranch_execz .LBB39_872
.LBB39_892:
	v_cmp_ne_u16_e32 vcc, 0, v4
	s_andn2_b64 s[8:9], s[8:9], exec
	s_and_b64 s[10:11], vcc, exec
	s_or_b64 s[8:9], s[8:9], s[10:11]
	s_or_b64 exec, exec, s[2:3]
	v_mov_b32_e32 v3, 0
	s_and_saveexec_b64 s[2:3], s[8:9]
	s_cbranch_execnz .LBB39_873
	s_branch .LBB39_874
.LBB39_893:
	s_mov_b64 s[0:1], -1
                                        ; implicit-def: $vgpr3
.LBB39_894:
	s_mov_b64 s[10:11], 0
.LBB39_895:
	s_and_b64 vcc, exec, s[10:11]
	s_cbranch_vccz .LBB39_897
; %bb.896:
	s_cmp_lg_u32 s12, 11
	s_cselect_b64 s[10:11], -1, 0
	s_andn2_b64 s[0:1], s[0:1], exec
	s_and_b64 s[10:11], s[10:11], exec
	s_mov_b64 s[2:3], -1
	s_or_b64 s[0:1], s[0:1], s[10:11]
.LBB39_897:
	s_mov_b64 s[12:13], 0
.LBB39_898:
	s_and_b64 s[10:11], s[8:9], exec
	s_and_b64 s[8:9], s[12:13], exec
	s_andn2_b64 s[12:13], s[70:71], exec
	s_and_b64 s[0:1], s[0:1], exec
	s_and_b64 s[2:3], s[2:3], exec
	s_or_b64 s[12:13], s[12:13], s[0:1]
.LBB39_899:
	s_or_b64 exec, exec, s[74:75]
	s_and_b64 s[0:1], s[2:3], exec
	s_andn2_b64 s[2:3], s[70:71], exec
	s_and_b64 s[12:13], s[12:13], exec
	s_and_b64 s[10:11], s[10:11], exec
	;; [unrolled: 1-line block ×3, first 2 shown]
	s_or_b64 s[70:71], s[2:3], s[12:13]
.LBB39_900:
	s_or_b64 exec, exec, s[68:69]
	s_andn2_b64 s[2:3], s[64:65], exec
	s_and_b64 s[12:13], s[72:73], exec
	s_or_b64 s[64:65], s[2:3], s[12:13]
	s_and_b64 s[2:3], s[0:1], exec
	s_andn2_b64 s[0:1], s[62:63], exec
	s_and_b64 s[12:13], s[70:71], exec
	s_and_b64 s[10:11], s[10:11], exec
	;; [unrolled: 1-line block ×3, first 2 shown]
	s_or_b64 s[62:63], s[0:1], s[12:13]
.LBB39_901:
	s_or_b64 exec, exec, s[66:67]
	s_andn2_b64 s[0:1], s[56:57], exec
	s_and_b64 s[12:13], s[64:65], exec
	s_or_b64 s[56:57], s[0:1], s[12:13]
	s_and_b64 s[0:1], s[10:11], exec
	s_and_b64 s[10:11], s[8:9], exec
	;; [unrolled: 1-line block ×3, first 2 shown]
	s_andn2_b64 s[2:3], s[58:59], exec
	s_and_b64 s[8:9], s[62:63], exec
	s_or_b64 s[58:59], s[2:3], s[8:9]
	s_or_b64 exec, exec, s[60:61]
	s_mov_b64 s[2:3], 0
	s_and_saveexec_b64 s[8:9], s[58:59]
	s_cbranch_execz .LBB39_270
.LBB39_902:
	s_mov_b64 s[2:3], exec
	s_andn2_b64 s[64:65], s[64:65], exec
	s_trap 2
	s_or_b64 exec, exec, s[8:9]
	s_and_saveexec_b64 s[8:9], s[64:65]
	s_xor_b64 s[8:9], exec, s[8:9]
	s_cbranch_execnz .LBB39_271
.LBB39_903:
	s_or_b64 exec, exec, s[8:9]
	s_and_saveexec_b64 s[8:9], s[10:11]
	s_cbranch_execz .LBB39_949
.LBB39_904:
	s_sext_i32_i16 s10, s14
	s_cmp_lt_i32 s10, 5
	s_cbranch_scc1 .LBB39_909
; %bb.905:
	s_cmp_lt_i32 s10, 8
	s_cbranch_scc1 .LBB39_910
; %bb.906:
	;; [unrolled: 3-line block ×3, first 2 shown]
	s_cmp_gt_i32 s10, 9
	s_cbranch_scc0 .LBB39_912
; %bb.908:
	global_load_dwordx2 v[3:4], v[1:2], off
	s_mov_b64 s[10:11], 0
	s_waitcnt vmcnt(0)
	v_cvt_i32_f64_e32 v3, v[3:4]
	s_branch .LBB39_913
.LBB39_909:
                                        ; implicit-def: $vgpr3
	s_branch .LBB39_930
.LBB39_910:
                                        ; implicit-def: $vgpr3
	s_branch .LBB39_919
.LBB39_911:
	s_mov_b64 s[10:11], -1
                                        ; implicit-def: $vgpr3
	s_branch .LBB39_916
.LBB39_912:
	s_mov_b64 s[10:11], -1
                                        ; implicit-def: $vgpr3
.LBB39_913:
	s_andn2_b64 vcc, exec, s[10:11]
	s_cbranch_vccnz .LBB39_915
; %bb.914:
	global_load_dword v3, v[1:2], off
	s_waitcnt vmcnt(0)
	v_cvt_i32_f32_e32 v3, v3
.LBB39_915:
	s_mov_b64 s[10:11], 0
.LBB39_916:
	s_andn2_b64 vcc, exec, s[10:11]
	s_cbranch_vccnz .LBB39_918
; %bb.917:
	global_load_dword v3, v[1:2], off
	s_waitcnt vmcnt(0)
	v_cvt_i16_f16_e32 v3, v3
.LBB39_918:
	s_cbranch_execnz .LBB39_929
.LBB39_919:
	s_sext_i32_i16 s10, s14
	s_cmp_lt_i32 s10, 6
	s_cbranch_scc1 .LBB39_922
; %bb.920:
	s_cmp_gt_i32 s10, 6
	s_cbranch_scc0 .LBB39_923
; %bb.921:
	global_load_dwordx2 v[3:4], v[1:2], off
	s_mov_b64 s[10:11], 0
	s_waitcnt vmcnt(0)
	v_cvt_i32_f64_e32 v3, v[3:4]
	s_branch .LBB39_924
.LBB39_922:
	s_mov_b64 s[10:11], -1
                                        ; implicit-def: $vgpr3
	s_branch .LBB39_927
.LBB39_923:
	s_mov_b64 s[10:11], -1
                                        ; implicit-def: $vgpr3
.LBB39_924:
	s_andn2_b64 vcc, exec, s[10:11]
	s_cbranch_vccnz .LBB39_926
; %bb.925:
	global_load_dword v3, v[1:2], off
	s_waitcnt vmcnt(0)
	v_cvt_i32_f32_e32 v3, v3
.LBB39_926:
	s_mov_b64 s[10:11], 0
.LBB39_927:
	s_andn2_b64 vcc, exec, s[10:11]
	s_cbranch_vccnz .LBB39_929
; %bb.928:
	global_load_ushort v3, v[1:2], off
	s_waitcnt vmcnt(0)
	v_cvt_i16_f16_e32 v3, v3
.LBB39_929:
	s_cbranch_execnz .LBB39_948
.LBB39_930:
	s_sext_i32_i16 s10, s14
	s_cmp_lt_i32 s10, 2
	s_cbranch_scc1 .LBB39_934
; %bb.931:
	s_cmp_lt_i32 s10, 3
	s_cbranch_scc1 .LBB39_935
; %bb.932:
	s_cmp_gt_i32 s10, 3
	s_cbranch_scc0 .LBB39_936
; %bb.933:
	global_load_dwordx2 v[3:4], v[1:2], off
	s_mov_b64 s[10:11], 0
	s_branch .LBB39_937
.LBB39_934:
                                        ; implicit-def: $vgpr3
	s_branch .LBB39_943
.LBB39_935:
	s_mov_b64 s[10:11], -1
                                        ; implicit-def: $vgpr3
	s_branch .LBB39_940
.LBB39_936:
	s_mov_b64 s[10:11], -1
                                        ; implicit-def: $vgpr3
.LBB39_937:
	s_andn2_b64 vcc, exec, s[10:11]
	s_cbranch_vccnz .LBB39_939
; %bb.938:
	global_load_dword v3, v[1:2], off
.LBB39_939:
	s_mov_b64 s[10:11], 0
.LBB39_940:
	s_andn2_b64 vcc, exec, s[10:11]
	s_cbranch_vccnz .LBB39_942
; %bb.941:
	global_load_ushort v3, v[1:2], off
.LBB39_942:
	s_cbranch_execnz .LBB39_948
.LBB39_943:
	s_sext_i32_i16 s10, s14
	s_cmp_gt_i32 s10, 0
	s_cbranch_scc0 .LBB39_945
; %bb.944:
	global_load_ubyte v3, v[1:2], off
	s_mov_b64 s[10:11], 0
	s_branch .LBB39_946
.LBB39_945:
	s_mov_b64 s[10:11], -1
                                        ; implicit-def: $vgpr3
.LBB39_946:
	s_andn2_b64 vcc, exec, s[10:11]
	s_cbranch_vccnz .LBB39_948
; %bb.947:
	global_load_ubyte v3, v[1:2], off
.LBB39_948:
	s_or_b64 s[0:1], s[0:1], exec
.LBB39_949:
	s_or_b64 exec, exec, s[8:9]
	s_mov_b64 s[12:13], 0
	s_mov_b64 s[10:11], 0
                                        ; implicit-def: $sgpr18
                                        ; implicit-def: $vgpr1_vgpr2
                                        ; implicit-def: $vgpr4
	s_and_saveexec_b64 s[8:9], s[0:1]
	s_cbranch_execz .LBB39_957
; %bb.950:
	v_mov_b32_e32 v1, s78
	v_mov_b32_e32 v2, s79
	s_waitcnt vmcnt(0)
	v_cmp_gt_i16_sdwa vcc, sext(v3), s77 src0_sel:BYTE_0 src1_sel:DWORD
	v_cndmask_b32_e32 v4, v1, v2, vcc
	v_mov_b32_e32 v2, s25
	s_and_b32 s18, s44, 0xff
	v_add_co_u32_e32 v1, vcc, s24, v0
	s_cmp_lt_i32 s18, 11
	v_addc_co_u32_e32 v2, vcc, 0, v2, vcc
	s_cbranch_scc1 .LBB39_960
; %bb.951:
	s_and_b32 s19, 0xffff, s18
	s_mov_b64 s[12:13], -1
	s_cmp_gt_i32 s19, 25
	s_mov_b64 s[0:1], s[56:57]
	s_cbranch_scc0 .LBB39_988
; %bb.952:
	s_mov_b64 s[10:11], -1
	s_cmp_gt_i32 s19, 28
	s_mov_b64 s[0:1], s[56:57]
	s_cbranch_scc0 .LBB39_972
; %bb.953:
	s_cmp_gt_i32 s19, 43
	s_mov_b64 s[0:1], s[56:57]
	s_cbranch_scc0 .LBB39_968
; %bb.954:
	;; [unrolled: 4-line block ×3, first 2 shown]
	s_cmp_eq_u32 s19, 46
	s_mov_b64 s[0:1], -1
	s_cbranch_scc0 .LBB39_961
; %bb.956:
	v_bfe_i32 v0, v4, 0, 8
	v_cvt_f32_i32_sdwa v0, sext(v0) dst_sel:DWORD dst_unused:UNUSED_PAD src0_sel:WORD_0
	s_movk_i32 s0, 0x7fff
	s_mov_b64 s[10:11], 0
	v_bfe_u32 v3, v0, 16, 1
	v_add3_u32 v0, v0, v3, s0
	v_lshrrev_b32_e32 v0, 16, v0
	global_store_dword v[1:2], v0, off
	s_mov_b64 s[0:1], 0
	s_branch .LBB39_962
.LBB39_957:
	s_or_b64 exec, exec, s[8:9]
	s_and_saveexec_b64 s[0:1], s[56:57]
	s_cbranch_execnz .LBB39_1030
.LBB39_958:
	s_or_b64 exec, exec, s[0:1]
	s_and_saveexec_b64 s[0:1], s[12:13]
	s_xor_b64 s[0:1], exec, s[0:1]
	s_cbranch_execz .LBB39_1031
.LBB39_959:
	v_mov_b32_e32 v0, 0
	s_waitcnt vmcnt(0)
	v_cmp_ne_u16_sdwa s[8:9], v4, v0 src0_sel:BYTE_0 src1_sel:DWORD
	v_cndmask_b32_e64 v0, 0, 1, s[8:9]
	global_store_byte v[1:2], v0, off
	s_or_b64 exec, exec, s[0:1]
	s_and_saveexec_b64 s[0:1], s[10:11]
	s_xor_b64 s[0:1], exec, s[0:1]
	s_cbranch_execz .LBB39_1069
	s_branch .LBB39_1032
.LBB39_960:
	s_mov_b64 s[10:11], -1
	s_mov_b64 s[0:1], s[56:57]
	s_branch .LBB39_1029
.LBB39_961:
	s_mov_b64 s[10:11], 0
.LBB39_962:
	s_and_b64 vcc, exec, s[10:11]
	s_cbranch_vccz .LBB39_967
; %bb.963:
	s_cmp_eq_u32 s19, 44
	s_mov_b64 s[0:1], -1
	s_cbranch_scc0 .LBB39_967
; %bb.964:
	v_bfe_i32 v0, v4, 0, 8
	v_cvt_f32_i32_sdwa v0, sext(v0) dst_sel:DWORD dst_unused:UNUSED_PAD src0_sel:WORD_0
	s_movk_i32 s0, 0xff
	v_mov_b32_e32 v5, 0xff
	v_bfe_u32 v3, v0, 23, 8
	v_cmp_ne_u32_e32 vcc, s0, v3
	s_and_saveexec_b64 s[10:11], vcc
; %bb.965:
	s_mov_b32 s0, 0x3fffff
	v_lshrrev_b32_e32 v5, 23, v0
	v_and_b32_e32 v6, 0x400000, v0
	v_and_or_b32 v0, v0, s0, v3
	v_cmp_ne_u32_e32 vcc, 0, v6
	v_cmp_ne_u32_e64 s[0:1], 0, v0
	s_and_b64 s[0:1], vcc, s[0:1]
	v_cndmask_b32_e64 v0, 0, 1, s[0:1]
	v_add_u32_e32 v5, v5, v0
; %bb.966:
	s_or_b64 exec, exec, s[10:11]
	s_mov_b64 s[0:1], 0
	global_store_byte v[1:2], v5, off
.LBB39_967:
	s_mov_b64 s[10:11], 0
.LBB39_968:
	s_and_b64 vcc, exec, s[10:11]
	s_cbranch_vccz .LBB39_971
; %bb.969:
	s_cmp_eq_u32 s19, 29
	s_mov_b64 s[0:1], -1
	s_cbranch_scc0 .LBB39_971
; %bb.970:
	v_bfe_i32 v5, v4, 0, 8
	v_ashrrev_i32_e32 v6, 31, v5
	global_store_dwordx2 v[1:2], v[5:6], off
	s_mov_b64 s[0:1], 0
.LBB39_971:
	s_mov_b64 s[10:11], 0
.LBB39_972:
	s_and_b64 vcc, exec, s[10:11]
	s_cbranch_vccz .LBB39_987
; %bb.973:
	s_cmp_lt_i32 s19, 27
	s_mov_b64 s[10:11], -1
	s_cbranch_scc1 .LBB39_979
; %bb.974:
	s_cmp_gt_i32 s19, 27
	s_cbranch_scc0 .LBB39_976
; %bb.975:
	v_bfe_i32 v0, v4, 0, 8
	s_mov_b64 s[10:11], 0
	global_store_dword v[1:2], v0, off
.LBB39_976:
	s_andn2_b64 vcc, exec, s[10:11]
	s_cbranch_vccnz .LBB39_978
; %bb.977:
	v_bfe_i32 v0, v4, 0, 8
	global_store_short v[1:2], v0, off
.LBB39_978:
	s_mov_b64 s[10:11], 0
.LBB39_979:
	s_andn2_b64 vcc, exec, s[10:11]
	s_cbranch_vccnz .LBB39_987
; %bb.980:
	v_bfe_i32 v0, v4, 0, 8
	v_cvt_f32_i32_sdwa v0, sext(v0) dst_sel:DWORD dst_unused:UNUSED_PAD src0_sel:WORD_0
	s_mov_b32 s10, 0x43800000
	v_mov_b32_e32 v5, 0x80
	v_and_b32_e32 v3, 0x7fffffff, v0
	v_cmp_gt_u32_e32 vcc, s10, v3
	s_and_saveexec_b64 s[10:11], vcc
	s_cbranch_execz .LBB39_986
; %bb.981:
	s_mov_b32 s12, 0x3bffffff
	v_cmp_lt_u32_e32 vcc, s12, v3
	s_mov_b64 s[12:13], 0
                                        ; implicit-def: $vgpr3
	s_and_saveexec_b64 s[14:15], vcc
	s_xor_b64 s[14:15], exec, s[14:15]
	s_cbranch_execz .LBB39_1140
; %bb.982:
	v_bfe_u32 v3, v0, 20, 1
	s_mov_b32 s16, 0x487ffff
	v_add3_u32 v3, v0, v3, s16
	s_mov_b64 s[12:13], exec
	v_lshrrev_b32_e32 v3, 20, v3
	s_andn2_saveexec_b64 s[14:15], s[14:15]
	s_cbranch_execnz .LBB39_1141
.LBB39_983:
	s_or_b64 exec, exec, s[14:15]
	v_mov_b32_e32 v5, 0
	s_and_saveexec_b64 s[14:15], s[12:13]
.LBB39_984:
	v_lshrrev_b32_e32 v0, 24, v0
	s_movk_i32 s12, 0x80
	v_and_or_b32 v5, v0, s12, v3
.LBB39_985:
	s_or_b64 exec, exec, s[14:15]
.LBB39_986:
	s_or_b64 exec, exec, s[10:11]
	global_store_byte v[1:2], v5, off
.LBB39_987:
	s_mov_b64 s[12:13], 0
.LBB39_988:
	s_mov_b64 s[10:11], 0
	s_and_b64 vcc, exec, s[12:13]
	s_cbranch_vccz .LBB39_1028
; %bb.989:
	s_cmp_gt_i32 s19, 22
	s_mov_b64 s[12:13], -1
	s_cbranch_scc0 .LBB39_1021
; %bb.990:
	s_cmp_lt_i32 s19, 24
	s_cbranch_scc1 .LBB39_1010
; %bb.991:
	s_cmp_gt_i32 s19, 24
	s_cbranch_scc0 .LBB39_999
; %bb.992:
	v_bfe_i32 v0, v4, 0, 8
	v_cvt_f32_i32_sdwa v0, sext(v0) dst_sel:DWORD dst_unused:UNUSED_PAD src0_sel:WORD_0
	s_mov_b32 s12, 0x47800000
	v_mov_b32_e32 v5, 0x80
	v_and_b32_e32 v3, 0x7fffffff, v0
	v_cmp_gt_u32_e32 vcc, s12, v3
	s_and_saveexec_b64 s[12:13], vcc
	s_cbranch_execz .LBB39_998
; %bb.993:
	s_mov_b32 s14, 0x37ffffff
	v_cmp_lt_u32_e32 vcc, s14, v3
	s_mov_b64 s[14:15], 0
                                        ; implicit-def: $vgpr3
	s_and_saveexec_b64 s[16:17], vcc
	s_xor_b64 s[16:17], exec, s[16:17]
	s_cbranch_execz .LBB39_1260
; %bb.994:
	v_bfe_u32 v3, v0, 21, 1
	s_mov_b32 s20, 0x88fffff
	v_add3_u32 v3, v0, v3, s20
	s_mov_b64 s[14:15], exec
	v_lshrrev_b32_e32 v3, 21, v3
	s_andn2_saveexec_b64 s[16:17], s[16:17]
	s_cbranch_execnz .LBB39_1261
.LBB39_995:
	s_or_b64 exec, exec, s[16:17]
	v_mov_b32_e32 v5, 0
	s_and_saveexec_b64 s[16:17], s[14:15]
.LBB39_996:
	v_lshrrev_b32_e32 v0, 24, v0
	s_movk_i32 s14, 0x80
	v_and_or_b32 v5, v0, s14, v3
.LBB39_997:
	s_or_b64 exec, exec, s[16:17]
.LBB39_998:
	s_or_b64 exec, exec, s[12:13]
	s_mov_b64 s[12:13], 0
	global_store_byte v[1:2], v5, off
.LBB39_999:
	s_and_b64 vcc, exec, s[12:13]
	s_cbranch_vccz .LBB39_1009
; %bb.1000:
	v_bfe_i32 v0, v4, 0, 8
	v_cvt_f32_i32_sdwa v0, sext(v0) dst_sel:DWORD dst_unused:UNUSED_PAD src0_sel:WORD_0
	s_mov_b32 s12, 0x43f00000
                                        ; implicit-def: $vgpr3
	v_and_b32_e32 v5, 0x7fffffff, v0
	v_cmp_gt_u32_e32 vcc, s12, v5
	s_and_saveexec_b64 s[12:13], vcc
	s_xor_b64 s[12:13], exec, s[12:13]
	s_cbranch_execz .LBB39_1006
; %bb.1001:
	s_mov_b32 s14, 0x3c7fffff
	v_cmp_lt_u32_e32 vcc, s14, v5
                                        ; implicit-def: $vgpr3
	s_and_saveexec_b64 s[14:15], vcc
	s_xor_b64 s[14:15], exec, s[14:15]
; %bb.1002:
	v_bfe_u32 v3, v0, 20, 1
	s_mov_b32 s16, 0x407ffff
	v_add3_u32 v3, v0, v3, s16
	v_lshrrev_b32_e32 v5, 20, v3
	v_and_b32_e32 v3, 0xff00000, v3
	s_mov_b32 s16, 0x7f00000
	v_mov_b32_e32 v6, 0x7e
	v_cmp_ne_u32_e32 vcc, s16, v3
	v_cndmask_b32_e32 v3, v6, v5, vcc
; %bb.1003:
	s_andn2_saveexec_b64 s[14:15], s[14:15]
; %bb.1004:
	s_mov_b32 s16, 0x46800000
	v_add_f32_e64 v3, |v0|, s16
; %bb.1005:
	s_or_b64 exec, exec, s[14:15]
                                        ; implicit-def: $vgpr5
.LBB39_1006:
	s_andn2_saveexec_b64 s[12:13], s[12:13]
; %bb.1007:
	s_mov_b32 s14, 0x7f800000
	v_mov_b32_e32 v3, 0x7e
	v_mov_b32_e32 v6, 0x7f
	v_cmp_lt_u32_e32 vcc, s14, v5
	v_cndmask_b32_e32 v3, v3, v6, vcc
; %bb.1008:
	s_or_b64 exec, exec, s[12:13]
	v_lshrrev_b32_e32 v0, 24, v0
	s_movk_i32 s12, 0x80
	v_and_or_b32 v0, v0, s12, v3
	global_store_byte v[1:2], v0, off
.LBB39_1009:
	s_mov_b64 s[12:13], 0
.LBB39_1010:
	s_andn2_b64 vcc, exec, s[12:13]
	s_cbranch_vccnz .LBB39_1020
; %bb.1011:
	v_bfe_i32 v0, v4, 0, 8
	v_cvt_f32_i32_sdwa v0, sext(v0) dst_sel:DWORD dst_unused:UNUSED_PAD src0_sel:WORD_0
	s_mov_b32 s12, 0x47800000
                                        ; implicit-def: $vgpr3
	v_and_b32_e32 v5, 0x7fffffff, v0
	v_cmp_gt_u32_e32 vcc, s12, v5
	s_and_saveexec_b64 s[12:13], vcc
	s_xor_b64 s[12:13], exec, s[12:13]
	s_cbranch_execz .LBB39_1017
; %bb.1012:
	s_mov_b32 s14, 0x387fffff
	v_cmp_lt_u32_e32 vcc, s14, v5
                                        ; implicit-def: $vgpr3
	s_and_saveexec_b64 s[14:15], vcc
	s_xor_b64 s[14:15], exec, s[14:15]
; %bb.1013:
	v_bfe_u32 v3, v0, 21, 1
	s_mov_b32 s16, 0x80fffff
	v_add3_u32 v3, v0, v3, s16
	v_lshrrev_b32_e32 v3, 21, v3
; %bb.1014:
	s_andn2_saveexec_b64 s[14:15], s[14:15]
; %bb.1015:
	s_mov_b32 s16, 0x43000000
	v_add_f32_e64 v3, |v0|, s16
; %bb.1016:
	s_or_b64 exec, exec, s[14:15]
                                        ; implicit-def: $vgpr5
.LBB39_1017:
	s_andn2_saveexec_b64 s[12:13], s[12:13]
; %bb.1018:
	s_mov_b32 s14, 0x7f800000
	v_mov_b32_e32 v3, 0x7c
	v_mov_b32_e32 v6, 0x7f
	v_cmp_lt_u32_e32 vcc, s14, v5
	v_cndmask_b32_e32 v3, v3, v6, vcc
; %bb.1019:
	s_or_b64 exec, exec, s[12:13]
	v_lshrrev_b32_e32 v0, 24, v0
	s_movk_i32 s12, 0x80
	v_and_or_b32 v0, v0, s12, v3
	global_store_byte v[1:2], v0, off
.LBB39_1020:
	s_mov_b64 s[12:13], 0
.LBB39_1021:
	s_andn2_b64 vcc, exec, s[12:13]
	s_mov_b64 s[12:13], 0
	s_cbranch_vccnz .LBB39_1029
; %bb.1022:
	s_cmp_gt_i32 s19, 14
	s_mov_b64 s[14:15], -1
	s_cbranch_scc0 .LBB39_1026
; %bb.1023:
	s_cmp_eq_u32 s19, 15
	s_mov_b64 s[0:1], -1
	s_cbranch_scc0 .LBB39_1025
; %bb.1024:
	v_bfe_i32 v0, v4, 0, 8
	v_cvt_f32_i32_sdwa v0, sext(v0) dst_sel:DWORD dst_unused:UNUSED_PAD src0_sel:WORD_0
	s_movk_i32 s0, 0x7fff
	v_bfe_u32 v3, v0, 16, 1
	v_add3_u32 v0, v0, v3, s0
	global_store_short_d16_hi v[1:2], v0, off
	s_mov_b64 s[0:1], 0
.LBB39_1025:
	s_mov_b64 s[14:15], 0
.LBB39_1026:
	s_and_b64 vcc, exec, s[14:15]
	s_cbranch_vccz .LBB39_1029
; %bb.1027:
	s_cmp_lg_u32 s19, 11
	s_cselect_b64 s[14:15], -1, 0
	s_andn2_b64 s[0:1], s[0:1], exec
	s_and_b64 s[14:15], s[14:15], exec
	s_mov_b64 s[12:13], -1
	s_or_b64 s[0:1], s[0:1], s[14:15]
	s_branch .LBB39_1029
.LBB39_1028:
	s_mov_b64 s[12:13], 0
.LBB39_1029:
	s_andn2_b64 s[14:15], s[56:57], exec
	s_and_b64 s[0:1], s[0:1], exec
	s_and_b64 s[10:11], s[10:11], exec
	;; [unrolled: 1-line block ×3, first 2 shown]
	s_or_b64 s[56:57], s[14:15], s[0:1]
	s_or_b64 exec, exec, s[8:9]
	s_and_saveexec_b64 s[0:1], s[56:57]
	s_cbranch_execz .LBB39_958
.LBB39_1030:
	s_or_b64 s[2:3], s[2:3], exec
	s_andn2_b64 s[12:13], s[12:13], exec
	s_trap 2
	s_or_b64 exec, exec, s[0:1]
	s_and_saveexec_b64 s[0:1], s[12:13]
	s_xor_b64 s[0:1], exec, s[0:1]
	s_cbranch_execnz .LBB39_959
.LBB39_1031:
	s_or_b64 exec, exec, s[0:1]
	s_and_saveexec_b64 s[0:1], s[10:11]
	s_xor_b64 s[0:1], exec, s[0:1]
	s_cbranch_execz .LBB39_1069
.LBB39_1032:
	s_sext_i32_i16 s10, s18
	s_cmp_lt_i32 s10, 5
	s_mov_b64 s[8:9], -1
	s_cbranch_scc1 .LBB39_1053
; %bb.1033:
	s_cmp_lt_i32 s10, 8
	s_cbranch_scc1 .LBB39_1043
; %bb.1034:
	s_cmp_lt_i32 s10, 9
	s_cbranch_scc1 .LBB39_1040
; %bb.1035:
	s_cmp_gt_i32 s10, 9
	s_cbranch_scc0 .LBB39_1037
; %bb.1036:
	s_waitcnt vmcnt(0)
	v_bfe_i32 v0, v4, 0, 8
	v_bfe_i32 v0, v0, 0, 16
	v_cvt_f64_i32_e32 v[5:6], v0
	v_mov_b32_e32 v7, 0
	v_mov_b32_e32 v8, v7
	s_mov_b64 s[8:9], 0
	global_store_dwordx4 v[1:2], v[5:8], off
.LBB39_1037:
	s_andn2_b64 vcc, exec, s[8:9]
	s_cbranch_vccnz .LBB39_1039
; %bb.1038:
	s_waitcnt vmcnt(0)
	v_bfe_i32 v0, v4, 0, 8
	v_cvt_f32_i32_sdwa v5, sext(v0) dst_sel:DWORD dst_unused:UNUSED_PAD src0_sel:WORD_0
	v_mov_b32_e32 v6, 0
	global_store_dwordx2 v[1:2], v[5:6], off
.LBB39_1039:
	s_mov_b64 s[8:9], 0
.LBB39_1040:
	s_andn2_b64 vcc, exec, s[8:9]
	s_cbranch_vccnz .LBB39_1042
; %bb.1041:
	s_waitcnt vmcnt(0)
	v_cvt_f16_i16_sdwa v0, sext(v4) dst_sel:DWORD dst_unused:UNUSED_PAD src0_sel:BYTE_0
	global_store_dword v[1:2], v0, off
.LBB39_1042:
	s_mov_b64 s[8:9], 0
.LBB39_1043:
	s_andn2_b64 vcc, exec, s[8:9]
	s_cbranch_vccnz .LBB39_1052
; %bb.1044:
	s_sext_i32_i16 s10, s18
	s_cmp_lt_i32 s10, 6
	s_mov_b64 s[8:9], -1
	s_cbranch_scc1 .LBB39_1050
; %bb.1045:
	s_cmp_gt_i32 s10, 6
	s_cbranch_scc0 .LBB39_1047
; %bb.1046:
	s_waitcnt vmcnt(0)
	v_bfe_i32 v0, v4, 0, 8
	v_bfe_i32 v0, v0, 0, 16
	v_cvt_f64_i32_e32 v[5:6], v0
	s_mov_b64 s[8:9], 0
	global_store_dwordx2 v[1:2], v[5:6], off
.LBB39_1047:
	s_andn2_b64 vcc, exec, s[8:9]
	s_cbranch_vccnz .LBB39_1049
; %bb.1048:
	s_waitcnt vmcnt(0)
	v_bfe_i32 v0, v4, 0, 8
	v_cvt_f32_i32_sdwa v0, sext(v0) dst_sel:DWORD dst_unused:UNUSED_PAD src0_sel:WORD_0
	global_store_dword v[1:2], v0, off
.LBB39_1049:
	s_mov_b64 s[8:9], 0
.LBB39_1050:
	s_andn2_b64 vcc, exec, s[8:9]
	s_cbranch_vccnz .LBB39_1052
; %bb.1051:
	s_waitcnt vmcnt(0)
	v_cvt_f16_i16_sdwa v0, sext(v4) dst_sel:DWORD dst_unused:UNUSED_PAD src0_sel:BYTE_0
	global_store_short v[1:2], v0, off
.LBB39_1052:
	s_mov_b64 s[8:9], 0
.LBB39_1053:
	s_andn2_b64 vcc, exec, s[8:9]
	s_cbranch_vccnz .LBB39_1069
; %bb.1054:
	s_sext_i32_i16 s10, s18
	s_cmp_lt_i32 s10, 2
	s_mov_b64 s[8:9], -1
	s_cbranch_scc1 .LBB39_1064
; %bb.1055:
	s_cmp_lt_i32 s10, 3
	s_cbranch_scc1 .LBB39_1061
; %bb.1056:
	s_cmp_gt_i32 s10, 3
	s_cbranch_scc0 .LBB39_1058
; %bb.1057:
	s_waitcnt vmcnt(0)
	v_bfe_i32 v5, v4, 0, 8
	v_ashrrev_i32_e32 v6, 31, v5
	s_mov_b64 s[8:9], 0
	global_store_dwordx2 v[1:2], v[5:6], off
.LBB39_1058:
	s_andn2_b64 vcc, exec, s[8:9]
	s_cbranch_vccnz .LBB39_1060
; %bb.1059:
	s_waitcnt vmcnt(0)
	v_bfe_i32 v0, v4, 0, 8
	global_store_dword v[1:2], v0, off
.LBB39_1060:
	s_mov_b64 s[8:9], 0
.LBB39_1061:
	s_andn2_b64 vcc, exec, s[8:9]
	s_cbranch_vccnz .LBB39_1063
; %bb.1062:
	s_waitcnt vmcnt(0)
	v_bfe_i32 v0, v4, 0, 8
	global_store_short v[1:2], v0, off
.LBB39_1063:
	s_mov_b64 s[8:9], 0
.LBB39_1064:
	s_andn2_b64 vcc, exec, s[8:9]
	s_cbranch_vccnz .LBB39_1069
; %bb.1065:
	s_sext_i32_i16 s8, s18
	s_cmp_gt_i32 s8, 0
	s_mov_b64 s[8:9], -1
	s_cbranch_scc0 .LBB39_1067
; %bb.1066:
	s_mov_b64 s[8:9], 0
	s_waitcnt vmcnt(0)
	global_store_byte v[1:2], v4, off
.LBB39_1067:
	s_andn2_b64 vcc, exec, s[8:9]
	s_cbranch_vccnz .LBB39_1069
; %bb.1068:
	s_waitcnt vmcnt(0)
	global_store_byte v[1:2], v4, off
.LBB39_1069:
	s_or_b64 exec, exec, s[0:1]
	s_and_b64 s[28:29], s[2:3], exec
                                        ; implicit-def: $vgpr15
                                        ; implicit-def: $vgpr8
.LBB39_1070:
	s_or_saveexec_b64 s[30:31], s[42:43]
	s_mov_b64 s[0:1], 0
                                        ; implicit-def: $vgpr0_vgpr1
                                        ; implicit-def: $sgpr14
                                        ; implicit-def: $vgpr2
	s_xor_b64 exec, exec, s[30:31]
	s_cbranch_execz .LBB39_2057
; %bb.1071:
	v_cndmask_b32_e64 v0, 0, 1, s[40:41]
	v_cmp_ne_u32_e64 s[0:1], 1, v0
	s_andn2_b64 vcc, exec, s[40:41]
	s_cbranch_vccnz .LBB39_1077
; %bb.1072:
	s_cmp_lg_u32 s33, 0
	s_mov_b32 s36, 0
	s_cbranch_scc0 .LBB39_1078
; %bb.1073:
	s_min_u32 s37, s76, 15
	s_add_i32 s37, s37, 1
	s_cmp_eq_u32 s76, 2
	s_cbranch_scc1 .LBB39_1079
; %bb.1074:
	s_and_b32 s36, s37, 28
	s_add_u32 s2, s34, 0xc4
	s_addc_u32 s3, s35, 0
	v_mov_b32_e32 v13, 0
	s_mov_b32 s38, 0
	s_mov_b64 s[6:7], s[34:35]
	v_mov_b32_e32 v6, 0
	v_mov_b32_e32 v0, v8
.LBB39_1075:                            ; =>This Inner Loop Header: Depth=1
	s_load_dwordx8 s[16:23], s[6:7], 0x4
	s_load_dwordx4 s[24:27], s[6:7], 0x24
	s_load_dwordx8 s[8:15], s[2:3], 0x0
	s_add_u32 s6, s6, 48
	s_addc_u32 s7, s7, 0
	s_waitcnt lgkmcnt(0)
	v_mul_hi_u32 v1, s17, v0
	s_add_i32 s38, s38, 4
	s_add_u32 s2, s2, 32
	s_addc_u32 s3, s3, 0
	v_add_u32_e32 v1, v0, v1
	v_lshrrev_b32_e32 v1, s18, v1
	v_mul_lo_u32 v2, v1, s16
	s_waitcnt vmcnt(0)
	v_mul_hi_u32 v3, s20, v1
	s_cmp_lg_u32 s36, s38
	v_sub_u32_e32 v0, v0, v2
	v_add_u32_e32 v2, v1, v3
	v_mul_lo_u32 v3, v0, s8
	v_mul_lo_u32 v4, v0, s9
	v_lshrrev_b32_e32 v0, s21, v2
	v_mul_lo_u32 v2, v0, s19
	v_mul_hi_u32 v5, s23, v0
	v_sub_u32_e32 v1, v1, v2
	v_add_u32_e32 v2, v0, v5
	v_lshrrev_b32_e32 v2, s24, v2
	v_mul_hi_u32 v7, s26, v2
	v_mul_lo_u32 v9, v2, s22
	v_mul_lo_u32 v5, v1, s10
	;; [unrolled: 1-line block ×3, first 2 shown]
	v_sub_u32_e32 v9, v0, v9
	v_add_u32_e32 v0, v2, v7
	v_lshrrev_b32_e32 v0, s27, v0
	v_mul_lo_u32 v7, v0, s25
	v_mul_lo_u32 v10, v9, s12
	v_mul_lo_u32 v9, v9, s13
	v_add3_u32 v3, v3, v6, v5
	v_sub_u32_e32 v2, v2, v7
	v_mul_lo_u32 v7, v2, s14
	v_mul_lo_u32 v2, v2, s15
	v_add3_u32 v1, v4, v13, v1
	v_add3_u32 v6, v10, v3, v7
	;; [unrolled: 1-line block ×3, first 2 shown]
	s_cbranch_scc1 .LBB39_1075
; %bb.1076:
	s_and_b32 s8, s37, 3
	s_cmp_eq_u32 s8, 0
	s_cbranch_scc0 .LBB39_1080
	s_branch .LBB39_1082
.LBB39_1077:
                                        ; implicit-def: $vgpr6
                                        ; implicit-def: $vgpr13
	s_branch .LBB39_1083
.LBB39_1078:
	v_mov_b32_e32 v6, 0
	v_mov_b32_e32 v13, 0
	s_branch .LBB39_1082
.LBB39_1079:
	v_mov_b32_e32 v6, 0
	v_mov_b32_e32 v13, 0
	;; [unrolled: 1-line block ×3, first 2 shown]
	s_and_b32 s8, s37, 3
	s_cmp_eq_u32 s8, 0
	s_cbranch_scc1 .LBB39_1082
.LBB39_1080:
	s_lshl_b32 s2, s36, 3
	s_add_u32 s2, s34, s2
	s_addc_u32 s3, s35, 0
	s_add_u32 s2, s2, 0xc4
	s_addc_u32 s3, s3, 0
	s_mul_i32 s6, s36, 12
	s_add_u32 s6, s34, s6
	s_addc_u32 s7, s35, 0
.LBB39_1081:                            ; =>This Inner Loop Header: Depth=1
	s_load_dwordx2 s[10:11], s[6:7], 0x4
	s_load_dword s9, s[6:7], 0xc
	s_load_dwordx2 s[12:13], s[2:3], 0x0
	s_add_u32 s6, s6, 12
	s_addc_u32 s7, s7, 0
	s_waitcnt lgkmcnt(0)
	v_mul_hi_u32 v1, s11, v0
	s_add_u32 s2, s2, 8
	s_addc_u32 s3, s3, 0
	s_add_i32 s8, s8, -1
	v_add_u32_e32 v1, v0, v1
	v_lshrrev_b32_e32 v1, s9, v1
	v_mul_lo_u32 v2, v1, s10
	s_cmp_lg_u32 s8, 0
	v_sub_u32_e32 v0, v0, v2
	v_mad_u64_u32 v[6:7], s[10:11], v0, s12, v[6:7]
	v_mad_u64_u32 v[13:14], s[10:11], v0, s13, v[13:14]
	v_mov_b32_e32 v0, v1
	s_cbranch_scc1 .LBB39_1081
.LBB39_1082:
	s_cbranch_execnz .LBB39_1085
.LBB39_1083:
	s_load_dwordx4 s[8:11], s[34:35], 0x4
	s_load_dwordx2 s[2:3], s[34:35], 0xc4
	s_cmp_lt_u32 s33, 2
	s_waitcnt lgkmcnt(0)
	v_mul_hi_u32 v0, s9, v8
	v_add_u32_e32 v0, v8, v0
	v_lshrrev_b32_e32 v0, s10, v0
	v_mul_lo_u32 v1, v0, s8
	v_sub_u32_e32 v1, v8, v1
	v_mul_lo_u32 v6, v1, s2
	v_mul_lo_u32 v13, v1, s3
	s_cbranch_scc1 .LBB39_1085
; %bb.1084:
	s_load_dwordx4 s[8:11], s[34:35], 0x10
	s_load_dwordx2 s[2:3], s[34:35], 0xcc
	s_waitcnt lgkmcnt(0)
	v_mul_hi_u32 v1, s9, v0
	v_add_u32_e32 v1, v0, v1
	v_lshrrev_b32_e32 v1, s10, v1
	v_mul_lo_u32 v1, v1, s8
	v_sub_u32_e32 v0, v0, v1
	v_mad_u64_u32 v[6:7], s[6:7], v0, s2, v[6:7]
	v_mad_u64_u32 v[13:14], s[2:3], v0, s3, v[13:14]
.LBB39_1085:
	s_and_b64 vcc, exec, s[0:1]
	v_add_u32_e32 v0, 0x80, v8
	s_cbranch_vccnz .LBB39_1091
; %bb.1086:
	s_cmp_lg_u32 s33, 0
	s_mov_b32 s36, 0
	s_cbranch_scc0 .LBB39_1092
; %bb.1087:
	s_min_u32 s37, s76, 15
	s_add_i32 s37, s37, 1
	s_cmp_eq_u32 s76, 2
	s_cbranch_scc1 .LBB39_1093
; %bb.1088:
	s_and_b32 s36, s37, 28
	s_add_u32 s2, s34, 0xc4
	s_addc_u32 s3, s35, 0
	v_mov_b32_e32 v11, 0
	s_mov_b32 s38, 0
	s_mov_b64 s[6:7], s[34:35]
	s_waitcnt vmcnt(0)
	v_mov_b32_e32 v4, 0
	v_mov_b32_e32 v1, v0
.LBB39_1089:                            ; =>This Inner Loop Header: Depth=1
	s_load_dwordx8 s[16:23], s[6:7], 0x4
	s_load_dwordx4 s[24:27], s[6:7], 0x24
	s_load_dwordx8 s[8:15], s[2:3], 0x0
	s_add_u32 s6, s6, 48
	s_addc_u32 s7, s7, 0
	s_waitcnt lgkmcnt(0)
	v_mul_hi_u32 v2, s17, v1
	s_add_i32 s38, s38, 4
	s_add_u32 s2, s2, 32
	s_addc_u32 s3, s3, 0
	v_add_u32_e32 v2, v1, v2
	v_lshrrev_b32_e32 v2, s18, v2
	v_mul_lo_u32 v3, v2, s16
	v_mul_hi_u32 v5, s20, v2
	s_cmp_lg_u32 s36, s38
	v_sub_u32_e32 v1, v1, v3
	v_add_u32_e32 v3, v2, v5
	v_mul_lo_u32 v5, v1, s8
	v_mul_lo_u32 v7, v1, s9
	v_lshrrev_b32_e32 v1, s21, v3
	v_mul_lo_u32 v3, v1, s19
	v_mul_hi_u32 v9, s23, v1
	v_sub_u32_e32 v2, v2, v3
	v_add_u32_e32 v3, v1, v9
	v_lshrrev_b32_e32 v3, s24, v3
	v_mul_hi_u32 v10, s26, v3
	v_mul_lo_u32 v12, v3, s22
	v_mul_lo_u32 v9, v2, s10
	;; [unrolled: 1-line block ×3, first 2 shown]
	v_sub_u32_e32 v12, v1, v12
	v_add_u32_e32 v1, v3, v10
	v_lshrrev_b32_e32 v1, s27, v1
	v_mul_lo_u32 v10, v1, s25
	v_mul_lo_u32 v14, v12, s12
	;; [unrolled: 1-line block ×3, first 2 shown]
	v_add3_u32 v4, v5, v4, v9
	v_sub_u32_e32 v3, v3, v10
	v_mul_lo_u32 v10, v3, s14
	v_mul_lo_u32 v3, v3, s15
	v_add3_u32 v2, v7, v11, v2
	v_add3_u32 v4, v14, v4, v10
	;; [unrolled: 1-line block ×3, first 2 shown]
	s_cbranch_scc1 .LBB39_1089
; %bb.1090:
	s_and_b32 s8, s37, 3
	s_cmp_eq_u32 s8, 0
	s_cbranch_scc0 .LBB39_1094
	s_branch .LBB39_1096
.LBB39_1091:
                                        ; implicit-def: $vgpr4
                                        ; implicit-def: $vgpr11
	s_branch .LBB39_1097
.LBB39_1092:
	s_waitcnt vmcnt(0)
	v_mov_b32_e32 v4, 0
	v_mov_b32_e32 v11, 0
	s_branch .LBB39_1096
.LBB39_1093:
	s_waitcnt vmcnt(0)
	v_mov_b32_e32 v4, 0
	v_mov_b32_e32 v11, 0
	;; [unrolled: 1-line block ×3, first 2 shown]
	s_and_b32 s8, s37, 3
	s_cmp_eq_u32 s8, 0
	s_cbranch_scc1 .LBB39_1096
.LBB39_1094:
	s_lshl_b32 s2, s36, 3
	s_add_u32 s2, s34, s2
	s_addc_u32 s3, s35, 0
	s_add_u32 s2, s2, 0xc4
	s_addc_u32 s3, s3, 0
	s_mul_i32 s6, s36, 12
	s_add_u32 s6, s34, s6
	s_addc_u32 s7, s35, 0
.LBB39_1095:                            ; =>This Inner Loop Header: Depth=1
	s_load_dwordx2 s[10:11], s[6:7], 0x4
	s_load_dword s9, s[6:7], 0xc
	s_load_dwordx2 s[12:13], s[2:3], 0x0
	s_add_u32 s6, s6, 12
	s_addc_u32 s7, s7, 0
	s_waitcnt lgkmcnt(0)
	v_mul_hi_u32 v2, s11, v1
	s_add_u32 s2, s2, 8
	s_addc_u32 s3, s3, 0
	s_add_i32 s8, s8, -1
	v_add_u32_e32 v2, v1, v2
	v_lshrrev_b32_e32 v2, s9, v2
	v_mul_lo_u32 v3, v2, s10
	s_cmp_lg_u32 s8, 0
	v_sub_u32_e32 v1, v1, v3
	v_mad_u64_u32 v[4:5], s[10:11], v1, s12, v[4:5]
	v_mad_u64_u32 v[11:12], s[10:11], v1, s13, v[11:12]
	v_mov_b32_e32 v1, v2
	s_cbranch_scc1 .LBB39_1095
.LBB39_1096:
	s_cbranch_execnz .LBB39_1099
.LBB39_1097:
	s_load_dwordx4 s[8:11], s[34:35], 0x4
	s_load_dwordx2 s[2:3], s[34:35], 0xc4
	s_cmp_lt_u32 s33, 2
	s_waitcnt lgkmcnt(0)
	v_mul_hi_u32 v1, s9, v0
	v_add_u32_e32 v1, v0, v1
	v_lshrrev_b32_e32 v1, s10, v1
	v_mul_lo_u32 v2, v1, s8
	v_sub_u32_e32 v0, v0, v2
	s_waitcnt vmcnt(0)
	v_mul_lo_u32 v4, v0, s2
	v_mul_lo_u32 v11, v0, s3
	s_cbranch_scc1 .LBB39_1099
; %bb.1098:
	s_load_dwordx4 s[8:11], s[34:35], 0x10
	s_load_dwordx2 s[2:3], s[34:35], 0xcc
	s_waitcnt lgkmcnt(0)
	v_mul_hi_u32 v0, s9, v1
	v_add_u32_e32 v0, v1, v0
	v_lshrrev_b32_e32 v0, s10, v0
	v_mul_lo_u32 v0, v0, s8
	v_sub_u32_e32 v0, v1, v0
	v_mad_u64_u32 v[4:5], s[6:7], v0, s2, v[4:5]
	v_mad_u64_u32 v[11:12], s[2:3], v0, s3, v[11:12]
.LBB39_1099:
	s_and_b64 vcc, exec, s[0:1]
	v_add_u32_e32 v0, 0x100, v8
	s_cbranch_vccnz .LBB39_1105
; %bb.1100:
	s_cmp_lg_u32 s33, 0
	s_mov_b32 s36, 0
	s_cbranch_scc0 .LBB39_1106
; %bb.1101:
	s_min_u32 s37, s76, 15
	s_add_i32 s37, s37, 1
	s_cmp_eq_u32 s76, 2
	s_cbranch_scc1 .LBB39_1107
; %bb.1102:
	s_and_b32 s36, s37, 28
	s_add_u32 s2, s34, 0xc4
	s_addc_u32 s3, s35, 0
	v_mov_b32_e32 v9, 0
	s_mov_b32 s38, 0
	s_mov_b64 s[6:7], s[34:35]
	v_mov_b32_e32 v2, 0
	v_mov_b32_e32 v1, v0
.LBB39_1103:                            ; =>This Inner Loop Header: Depth=1
	s_load_dwordx8 s[16:23], s[6:7], 0x4
	s_load_dwordx4 s[24:27], s[6:7], 0x24
	s_load_dwordx8 s[8:15], s[2:3], 0x0
	s_add_u32 s6, s6, 48
	s_addc_u32 s7, s7, 0
	s_waitcnt vmcnt(0) lgkmcnt(0)
	v_mul_hi_u32 v3, s17, v1
	s_add_i32 s38, s38, 4
	s_add_u32 s2, s2, 32
	s_addc_u32 s3, s3, 0
	v_add_u32_e32 v3, v1, v3
	v_lshrrev_b32_e32 v3, s18, v3
	v_mul_lo_u32 v5, v3, s16
	v_mul_hi_u32 v7, s20, v3
	s_cmp_lg_u32 s36, s38
	v_sub_u32_e32 v1, v1, v5
	v_add_u32_e32 v5, v3, v7
	v_mul_lo_u32 v7, v1, s8
	v_mul_lo_u32 v8, v1, s9
	v_lshrrev_b32_e32 v1, s21, v5
	v_mul_lo_u32 v5, v1, s19
	v_mul_hi_u32 v10, s23, v1
	v_sub_u32_e32 v3, v3, v5
	v_add_u32_e32 v5, v1, v10
	v_lshrrev_b32_e32 v5, s24, v5
	v_mul_hi_u32 v12, s26, v5
	v_mul_lo_u32 v14, v5, s22
	v_mul_lo_u32 v10, v3, s10
	v_mul_lo_u32 v3, v3, s11
	v_sub_u32_e32 v14, v1, v14
	v_add_u32_e32 v1, v5, v12
	v_lshrrev_b32_e32 v1, s27, v1
	v_mul_lo_u32 v12, v1, s25
	v_mul_lo_u32 v16, v14, s12
	;; [unrolled: 1-line block ×3, first 2 shown]
	v_add3_u32 v2, v7, v2, v10
	v_sub_u32_e32 v5, v5, v12
	v_mul_lo_u32 v12, v5, s14
	v_mul_lo_u32 v5, v5, s15
	v_add3_u32 v3, v8, v9, v3
	v_add3_u32 v2, v16, v2, v12
	v_add3_u32 v9, v14, v3, v5
	s_cbranch_scc1 .LBB39_1103
; %bb.1104:
	s_and_b32 s8, s37, 3
	s_cmp_eq_u32 s8, 0
	s_cbranch_scc0 .LBB39_1108
	s_branch .LBB39_1110
.LBB39_1105:
                                        ; implicit-def: $vgpr2
                                        ; implicit-def: $vgpr9
	s_branch .LBB39_1111
.LBB39_1106:
	v_mov_b32_e32 v2, 0
	v_mov_b32_e32 v9, 0
	s_branch .LBB39_1110
.LBB39_1107:
	v_mov_b32_e32 v2, 0
	v_mov_b32_e32 v9, 0
	;; [unrolled: 1-line block ×3, first 2 shown]
	s_and_b32 s8, s37, 3
	s_cmp_eq_u32 s8, 0
	s_cbranch_scc1 .LBB39_1110
.LBB39_1108:
	s_lshl_b32 s2, s36, 3
	s_add_u32 s2, s34, s2
	s_addc_u32 s3, s35, 0
	s_add_u32 s2, s2, 0xc4
	s_addc_u32 s3, s3, 0
	s_mul_i32 s6, s36, 12
	s_add_u32 s6, s34, s6
	s_addc_u32 s7, s35, 0
.LBB39_1109:                            ; =>This Inner Loop Header: Depth=1
	s_load_dwordx2 s[10:11], s[6:7], 0x4
	s_load_dword s9, s[6:7], 0xc
	s_load_dwordx2 s[12:13], s[2:3], 0x0
	s_add_u32 s6, s6, 12
	s_addc_u32 s7, s7, 0
	s_waitcnt vmcnt(0) lgkmcnt(0)
	v_mul_hi_u32 v3, s11, v1
	s_add_u32 s2, s2, 8
	s_addc_u32 s3, s3, 0
	s_add_i32 s8, s8, -1
	v_add_u32_e32 v3, v1, v3
	v_lshrrev_b32_e32 v5, s9, v3
	v_mul_lo_u32 v3, v5, s10
	s_cmp_lg_u32 s8, 0
	v_sub_u32_e32 v1, v1, v3
	v_mad_u64_u32 v[2:3], s[10:11], v1, s12, v[2:3]
	v_mad_u64_u32 v[9:10], s[10:11], v1, s13, v[9:10]
	v_mov_b32_e32 v1, v5
	s_cbranch_scc1 .LBB39_1109
.LBB39_1110:
	s_cbranch_execnz .LBB39_1113
.LBB39_1111:
	s_load_dwordx4 s[8:11], s[34:35], 0x4
	s_load_dwordx2 s[2:3], s[34:35], 0xc4
	s_cmp_lt_u32 s33, 2
	s_waitcnt lgkmcnt(0)
	v_mul_hi_u32 v1, s9, v0
	v_add_u32_e32 v1, v0, v1
	v_lshrrev_b32_e32 v1, s10, v1
	v_mul_lo_u32 v2, v1, s8
	v_sub_u32_e32 v0, v0, v2
	v_mul_lo_u32 v2, v0, s2
	v_mul_lo_u32 v9, v0, s3
	s_cbranch_scc1 .LBB39_1113
; %bb.1112:
	s_load_dwordx4 s[8:11], s[34:35], 0x10
	s_load_dwordx2 s[2:3], s[34:35], 0xcc
	s_waitcnt lgkmcnt(0)
	v_mul_hi_u32 v0, s9, v1
	v_add_u32_e32 v0, v1, v0
	v_lshrrev_b32_e32 v0, s10, v0
	v_mul_lo_u32 v0, v0, s8
	v_sub_u32_e32 v0, v1, v0
	s_waitcnt vmcnt(0)
	v_mad_u64_u32 v[2:3], s[6:7], v0, s2, v[2:3]
	v_mad_u64_u32 v[9:10], s[2:3], v0, s3, v[9:10]
.LBB39_1113:
	s_and_b64 vcc, exec, s[0:1]
	s_cbranch_vccnz .LBB39_1119
; %bb.1114:
	s_cmp_lg_u32 s33, 0
	s_mov_b32 s26, 0
	s_cbranch_scc0 .LBB39_1120
; %bb.1115:
	s_min_u32 s27, s76, 15
	s_add_i32 s27, s27, 1
	s_cmp_eq_u32 s76, 2
	s_cbranch_scc1 .LBB39_1121
; %bb.1116:
	s_and_b32 s26, s27, 28
	s_add_u32 s6, s34, 0xc4
	s_addc_u32 s7, s35, 0
	v_mov_b32_e32 v7, 0
	s_mov_b32 s36, 0
	s_mov_b64 s[24:25], s[34:35]
	v_mov_b32_e32 v0, 0
	v_mov_b32_e32 v1, v15
.LBB39_1117:                            ; =>This Inner Loop Header: Depth=1
	s_load_dwordx8 s[16:23], s[24:25], 0x4
	s_load_dwordx4 s[0:3], s[24:25], 0x24
	s_load_dwordx8 s[8:15], s[6:7], 0x0
	s_add_u32 s24, s24, 48
	s_addc_u32 s25, s25, 0
	s_waitcnt vmcnt(0) lgkmcnt(0)
	v_mul_hi_u32 v3, s17, v1
	s_add_i32 s36, s36, 4
	s_add_u32 s6, s6, 32
	s_addc_u32 s7, s7, 0
	v_add_u32_e32 v3, v1, v3
	v_lshrrev_b32_e32 v3, s18, v3
	v_mul_lo_u32 v5, v3, s16
	v_mul_hi_u32 v8, s20, v3
	s_cmp_lg_u32 s26, s36
	v_sub_u32_e32 v1, v1, v5
	v_add_u32_e32 v5, v3, v8
	v_mul_lo_u32 v8, v1, s8
	v_mul_lo_u32 v10, v1, s9
	v_lshrrev_b32_e32 v1, s21, v5
	v_mul_lo_u32 v5, v1, s19
	v_mul_hi_u32 v12, s23, v1
	v_sub_u32_e32 v3, v3, v5
	v_add_u32_e32 v5, v1, v12
	v_lshrrev_b32_e32 v5, s0, v5
	v_mul_hi_u32 v14, s2, v5
	v_mul_lo_u32 v16, v5, s22
	v_mul_lo_u32 v12, v3, s10
	;; [unrolled: 1-line block ×3, first 2 shown]
	v_sub_u32_e32 v16, v1, v16
	v_add_u32_e32 v1, v5, v14
	v_lshrrev_b32_e32 v1, s3, v1
	v_mul_lo_u32 v14, v1, s1
	v_mul_lo_u32 v17, v16, s12
	;; [unrolled: 1-line block ×3, first 2 shown]
	v_add3_u32 v0, v8, v0, v12
	v_sub_u32_e32 v5, v5, v14
	v_mul_lo_u32 v14, v5, s14
	v_mul_lo_u32 v5, v5, s15
	v_add3_u32 v3, v10, v7, v3
	v_add3_u32 v0, v17, v0, v14
	;; [unrolled: 1-line block ×3, first 2 shown]
	s_cbranch_scc1 .LBB39_1117
; %bb.1118:
	s_and_b32 s6, s27, 3
	s_cmp_eq_u32 s6, 0
	s_cbranch_scc0 .LBB39_1122
	s_branch .LBB39_1124
.LBB39_1119:
                                        ; implicit-def: $vgpr0
                                        ; implicit-def: $vgpr7
	s_branch .LBB39_1125
.LBB39_1120:
	v_mov_b32_e32 v0, 0
	v_mov_b32_e32 v7, 0
	s_branch .LBB39_1124
.LBB39_1121:
	v_mov_b32_e32 v0, 0
	v_mov_b32_e32 v7, 0
	;; [unrolled: 1-line block ×3, first 2 shown]
	s_and_b32 s6, s27, 3
	s_cmp_eq_u32 s6, 0
	s_cbranch_scc1 .LBB39_1124
.LBB39_1122:
	s_lshl_b32 s0, s26, 3
	s_add_u32 s0, s34, s0
	s_addc_u32 s1, s35, 0
	s_add_u32 s0, s0, 0xc4
	s_addc_u32 s1, s1, 0
	s_mul_i32 s2, s26, 12
	s_add_u32 s2, s34, s2
	s_addc_u32 s3, s35, 0
.LBB39_1123:                            ; =>This Inner Loop Header: Depth=1
	s_load_dwordx2 s[8:9], s[2:3], 0x4
	s_load_dword s7, s[2:3], 0xc
	s_load_dwordx2 s[10:11], s[0:1], 0x0
	s_add_u32 s2, s2, 12
	s_addc_u32 s3, s3, 0
	s_waitcnt vmcnt(0) lgkmcnt(0)
	v_mul_hi_u32 v3, s9, v1
	s_add_u32 s0, s0, 8
	s_addc_u32 s1, s1, 0
	s_add_i32 s6, s6, -1
	v_add_u32_e32 v3, v1, v3
	v_lshrrev_b32_e32 v3, s7, v3
	v_mul_lo_u32 v5, v3, s8
	s_cmp_lg_u32 s6, 0
	v_sub_u32_e32 v5, v1, v5
	v_mad_u64_u32 v[0:1], s[8:9], v5, s10, v[0:1]
	v_mad_u64_u32 v[7:8], s[8:9], v5, s11, v[7:8]
	v_mov_b32_e32 v1, v3
	s_cbranch_scc1 .LBB39_1123
.LBB39_1124:
	s_cbranch_execnz .LBB39_1127
.LBB39_1125:
	s_load_dwordx4 s[0:3], s[34:35], 0x4
	s_load_dwordx2 s[6:7], s[34:35], 0xc4
	s_cmp_lt_u32 s33, 2
	s_waitcnt lgkmcnt(0)
	v_mul_hi_u32 v0, s1, v15
	v_add_u32_e32 v0, v15, v0
	v_lshrrev_b32_e32 v1, s2, v0
	v_mul_lo_u32 v0, v1, s0
	s_waitcnt vmcnt(0)
	v_sub_u32_e32 v3, v15, v0
	v_mul_lo_u32 v0, v3, s6
	v_mul_lo_u32 v7, v3, s7
	s_cbranch_scc1 .LBB39_1127
; %bb.1126:
	s_load_dwordx4 s[0:3], s[34:35], 0x10
	s_load_dwordx2 s[6:7], s[34:35], 0xcc
	s_waitcnt lgkmcnt(0)
	v_mul_hi_u32 v3, s1, v1
	v_add_u32_e32 v3, v1, v3
	v_lshrrev_b32_e32 v3, s2, v3
	v_mul_lo_u32 v3, v3, s0
	v_sub_u32_e32 v3, v1, v3
	v_mad_u64_u32 v[0:1], s[0:1], v3, s6, v[0:1]
	v_mad_u64_u32 v[7:8], s[0:1], v3, s7, v[7:8]
.LBB39_1127:
	s_load_dword s0, s[34:35], 0x15c
	s_load_dwordx4 s[8:11], s[34:35], 0x148
	s_waitcnt lgkmcnt(0)
	s_and_b32 s14, s0, 0xff
	v_mov_b32_e32 v1, s11
	v_add_co_u32_e32 v15, vcc, s10, v13
	s_cmp_lt_i32 s14, 11
	v_addc_co_u32_e32 v16, vcc, 0, v1, vcc
	s_cbranch_scc1 .LBB39_1134
; %bb.1128:
	s_and_b32 s15, 0xffff, s14
	s_cmp_gt_i32 s15, 25
	s_mov_b64 s[6:7], 0
	s_cbranch_scc0 .LBB39_1136
; %bb.1129:
	s_cmp_gt_i32 s15, 28
	s_cbranch_scc0 .LBB39_1137
; %bb.1130:
	s_cmp_gt_i32 s15, 43
	;; [unrolled: 3-line block ×3, first 2 shown]
	s_cbranch_scc0 .LBB39_1139
; %bb.1132:
	s_cmp_eq_u32 s15, 46
	s_mov_b64 s[2:3], 0
	s_cbranch_scc0 .LBB39_1142
; %bb.1133:
	global_load_dword v1, v[15:16], off
	s_mov_b64 s[0:1], 0
	s_mov_b64 s[12:13], -1
	s_waitcnt vmcnt(0)
	v_lshlrev_b32_e32 v1, 16, v1
	v_cvt_i32_f32_e32 v13, v1
	s_branch .LBB39_1143
.LBB39_1134:
	s_mov_b64 s[12:13], 0
                                        ; implicit-def: $vgpr13
	s_mov_b64 s[2:3], s[28:29]
	s_cbranch_execnz .LBB39_1201
.LBB39_1135:
	s_andn2_b64 vcc, exec, s[12:13]
	s_cbranch_vccz .LBB39_1246
	s_branch .LBB39_2055
.LBB39_1136:
	s_mov_b64 s[12:13], 0
	s_mov_b64 s[0:1], 0
                                        ; implicit-def: $vgpr13
	s_cbranch_execnz .LBB39_1168
	s_branch .LBB39_1197
.LBB39_1137:
	s_mov_b64 s[12:13], 0
	s_mov_b64 s[0:1], 0
                                        ; implicit-def: $vgpr13
	s_cbranch_execz .LBB39_1167
	s_branch .LBB39_1152
.LBB39_1138:
	s_mov_b64 s[12:13], 0
	s_mov_b64 s[0:1], 0
                                        ; implicit-def: $vgpr13
	s_cbranch_execnz .LBB39_1148
	s_branch .LBB39_1151
.LBB39_1139:
	s_mov_b64 s[2:3], -1
	s_mov_b64 s[12:13], 0
	s_mov_b64 s[0:1], 0
                                        ; implicit-def: $vgpr13
	s_branch .LBB39_1143
.LBB39_1140:
	s_andn2_saveexec_b64 s[14:15], s[14:15]
	s_cbranch_execz .LBB39_983
.LBB39_1141:
	s_mov_b32 s16, 0x46000000
	v_add_f32_e64 v3, |v0|, s16
	v_and_b32_e32 v3, 0xff, v3
	v_cmp_ne_u32_e32 vcc, 0, v3
	s_andn2_b64 s[12:13], s[12:13], exec
	s_and_b64 s[16:17], vcc, exec
	s_or_b64 s[12:13], s[12:13], s[16:17]
	s_or_b64 exec, exec, s[14:15]
	v_mov_b32_e32 v5, 0
	s_and_saveexec_b64 s[14:15], s[12:13]
	s_cbranch_execnz .LBB39_984
	s_branch .LBB39_985
.LBB39_1142:
	s_mov_b64 s[0:1], -1
                                        ; implicit-def: $vgpr13
	s_mov_b64 s[12:13], 0
.LBB39_1143:
	s_and_b64 vcc, exec, s[2:3]
	s_cbranch_vccz .LBB39_1146
; %bb.1144:
	s_cmp_eq_u32 s15, 44
	s_cbranch_scc0 .LBB39_1147
; %bb.1145:
	global_load_ubyte v1, v[15:16], off
	s_mov_b64 s[0:1], 0
	s_mov_b64 s[12:13], -1
	s_waitcnt vmcnt(0)
	v_lshlrev_b32_e32 v3, 23, v1
	v_cvt_i32_f32_e32 v3, v3
	v_cmp_ne_u32_e32 vcc, 0, v1
	v_cndmask_b32_e32 v13, 0, v3, vcc
.LBB39_1146:
	s_branch .LBB39_1151
.LBB39_1147:
	s_mov_b64 s[0:1], -1
                                        ; implicit-def: $vgpr13
	s_branch .LBB39_1151
.LBB39_1148:
	s_cmp_eq_u32 s15, 29
	s_cbranch_scc0 .LBB39_1150
; %bb.1149:
	global_load_dwordx2 v[13:14], v[15:16], off
	s_mov_b64 s[0:1], 0
	s_mov_b64 s[12:13], -1
	s_branch .LBB39_1151
.LBB39_1150:
	s_mov_b64 s[0:1], -1
                                        ; implicit-def: $vgpr13
.LBB39_1151:
	s_branch .LBB39_1167
.LBB39_1152:
	s_cmp_lt_i32 s15, 27
	s_cbranch_scc1 .LBB39_1155
; %bb.1153:
	s_cmp_gt_i32 s15, 27
	s_cbranch_scc0 .LBB39_1156
; %bb.1154:
	global_load_dword v13, v[15:16], off
	s_mov_b64 s[2:3], 0
	s_branch .LBB39_1157
.LBB39_1155:
	s_mov_b64 s[2:3], -1
                                        ; implicit-def: $vgpr13
	s_branch .LBB39_1160
.LBB39_1156:
	s_mov_b64 s[2:3], -1
                                        ; implicit-def: $vgpr13
.LBB39_1157:
	s_andn2_b64 vcc, exec, s[2:3]
	s_cbranch_vccnz .LBB39_1159
; %bb.1158:
	global_load_ushort v13, v[15:16], off
.LBB39_1159:
	s_mov_b64 s[2:3], 0
.LBB39_1160:
	s_andn2_b64 vcc, exec, s[2:3]
	s_cbranch_vccnz .LBB39_1166
; %bb.1161:
	global_load_ubyte v1, v[15:16], off
	s_movk_i32 s2, 0x7f
	s_mov_b64 s[12:13], 0
	s_waitcnt vmcnt(0)
	v_cmp_lt_i16_e32 vcc, s2, v1
	s_and_saveexec_b64 s[2:3], vcc
	s_xor_b64 s[2:3], exec, s[2:3]
	s_cbranch_execz .LBB39_1177
; %bb.1162:
	s_movk_i32 s12, 0x80
	v_cmp_ne_u16_e32 vcc, s12, v1
	s_and_b64 s[12:13], vcc, exec
	s_andn2_saveexec_b64 s[2:3], s[2:3]
	s_cbranch_execnz .LBB39_1178
.LBB39_1163:
	s_or_b64 exec, exec, s[2:3]
	v_mov_b32_e32 v13, 0
	s_and_saveexec_b64 s[2:3], s[12:13]
	s_cbranch_execz .LBB39_1165
.LBB39_1164:
	v_lshlrev_b32_e32 v3, 24, v1
	v_and_b32_e32 v1, 0xffff, v1
	v_and_b32_e32 v5, 7, v1
	v_ffbh_u32_e32 v10, v5
	v_min_u32_e32 v10, 32, v10
	v_subrev_u32_e32 v12, 28, v10
	v_bfe_u32 v8, v1, 3, 4
	v_lshlrev_b32_e32 v1, v12, v1
	v_sub_u32_e32 v10, 29, v10
	v_and_b32_e32 v1, 7, v1
	v_cmp_eq_u32_e32 vcc, 0, v8
	v_cndmask_b32_e32 v8, v8, v10, vcc
	v_cndmask_b32_e32 v1, v5, v1, vcc
	v_mov_b32_e32 v5, 0x3b800000
	v_lshlrev_b32_e32 v1, 20, v1
	v_and_b32_e32 v3, 0x80000000, v3
	v_lshl_add_u32 v5, v8, 23, v5
	v_or3_b32 v1, v3, v5, v1
	v_cvt_i32_f32_e32 v13, v1
.LBB39_1165:
	s_or_b64 exec, exec, s[2:3]
.LBB39_1166:
	s_mov_b64 s[12:13], -1
.LBB39_1167:
	s_branch .LBB39_1197
.LBB39_1168:
	s_cmp_gt_i32 s15, 22
	s_cbranch_scc0 .LBB39_1176
; %bb.1169:
	s_cmp_lt_i32 s15, 24
	s_cbranch_scc1 .LBB39_1179
; %bb.1170:
	s_cmp_gt_i32 s15, 24
	s_cbranch_scc0 .LBB39_1180
; %bb.1171:
	global_load_ubyte v1, v[15:16], off
	s_movk_i32 s2, 0x7f
	s_waitcnt vmcnt(0)
	v_cmp_lt_i16_e32 vcc, s2, v1
	s_and_saveexec_b64 s[2:3], vcc
	s_xor_b64 s[2:3], exec, s[2:3]
	s_cbranch_execz .LBB39_1191
; %bb.1172:
	s_movk_i32 s6, 0x80
	v_cmp_ne_u16_e32 vcc, s6, v1
	s_and_b64 s[6:7], vcc, exec
	s_andn2_saveexec_b64 s[2:3], s[2:3]
	s_cbranch_execnz .LBB39_1192
.LBB39_1173:
	s_or_b64 exec, exec, s[2:3]
	v_mov_b32_e32 v13, 0
	s_and_saveexec_b64 s[2:3], s[6:7]
	s_cbranch_execz .LBB39_1175
.LBB39_1174:
	v_lshlrev_b32_e32 v3, 24, v1
	v_and_b32_e32 v1, 0xffff, v1
	v_and_b32_e32 v5, 3, v1
	v_ffbh_u32_e32 v10, v5
	v_min_u32_e32 v10, 32, v10
	v_subrev_u32_e32 v12, 29, v10
	v_bfe_u32 v8, v1, 2, 5
	v_lshlrev_b32_e32 v1, v12, v1
	v_sub_u32_e32 v10, 30, v10
	v_and_b32_e32 v1, 3, v1
	v_cmp_eq_u32_e32 vcc, 0, v8
	v_cndmask_b32_e32 v8, v8, v10, vcc
	v_cndmask_b32_e32 v1, v5, v1, vcc
	v_mov_b32_e32 v5, 0x37800000
	v_lshlrev_b32_e32 v1, 21, v1
	v_and_b32_e32 v3, 0x80000000, v3
	v_lshl_add_u32 v5, v8, 23, v5
	v_or3_b32 v1, v3, v5, v1
	v_cvt_i32_f32_e32 v13, v1
.LBB39_1175:
	s_or_b64 exec, exec, s[2:3]
	s_mov_b64 s[2:3], 0
	s_branch .LBB39_1181
.LBB39_1176:
                                        ; implicit-def: $vgpr13
	s_mov_b64 s[6:7], 0
	s_branch .LBB39_1187
.LBB39_1177:
	s_andn2_saveexec_b64 s[2:3], s[2:3]
	s_cbranch_execz .LBB39_1163
.LBB39_1178:
	v_cmp_ne_u16_e32 vcc, 0, v1
	s_andn2_b64 s[12:13], s[12:13], exec
	s_and_b64 s[16:17], vcc, exec
	s_or_b64 s[12:13], s[12:13], s[16:17]
	s_or_b64 exec, exec, s[2:3]
	v_mov_b32_e32 v13, 0
	s_and_saveexec_b64 s[2:3], s[12:13]
	s_cbranch_execnz .LBB39_1164
	s_branch .LBB39_1165
.LBB39_1179:
	s_mov_b64 s[2:3], -1
                                        ; implicit-def: $vgpr13
	s_branch .LBB39_1184
.LBB39_1180:
	s_mov_b64 s[2:3], -1
                                        ; implicit-def: $vgpr13
.LBB39_1181:
	s_and_b64 vcc, exec, s[2:3]
	s_cbranch_vccz .LBB39_1183
; %bb.1182:
	global_load_ubyte v1, v[15:16], off
	s_mov_b32 s2, 0x7f800000
	s_waitcnt vmcnt(0)
	v_lshlrev_b32_e32 v1, 24, v1
	v_and_b32_e32 v3, 0x7f000000, v1
	v_ffbh_u32_e32 v5, v3
	v_min_u32_e32 v5, 32, v5
	v_sub_u32_e64 v5, v5, 4 clamp
	v_lshlrev_b32_e32 v10, v5, v3
	v_lshlrev_b32_e32 v5, 23, v5
	v_lshrrev_b32_e32 v10, 4, v10
	v_add_u32_e32 v8, 0x1000000, v3
	v_sub_u32_e32 v5, v10, v5
	v_ashrrev_i32_e32 v8, 8, v8
	v_add_u32_e32 v5, 0x3c000000, v5
	v_and_or_b32 v5, v8, s2, v5
	v_cmp_ne_u32_e32 vcc, 0, v3
	v_cndmask_b32_e32 v3, 0, v5, vcc
	s_brev_b32 s2, 1
	v_and_or_b32 v1, v1, s2, v3
	v_cvt_i32_f32_e32 v13, v1
.LBB39_1183:
	s_mov_b64 s[2:3], 0
.LBB39_1184:
	s_andn2_b64 vcc, exec, s[2:3]
	s_cbranch_vccnz .LBB39_1186
; %bb.1185:
	global_load_ubyte v1, v[15:16], off
	s_movk_i32 s2, 0x7f00
	s_brev_b32 s3, 16
	s_waitcnt vmcnt(0)
	v_lshlrev_b16_e32 v3, 8, v1
	v_lshlrev_b32_e32 v1, 25, v1
	v_lshrrev_b32_e32 v5, 4, v1
	v_and_or_b32 v8, v3, s2, 0.5
	v_or_b32_e32 v5, 0x70000000, v5
	v_add_f32_e32 v8, -0.5, v8
	v_mul_f32_e32 v5, 0x7800000, v5
	v_cmp_gt_u32_e32 vcc, s3, v1
	v_bfe_i32 v3, v3, 0, 16
	v_cndmask_b32_e32 v1, v5, v8, vcc
	s_brev_b32 s2, 1
	v_and_or_b32 v1, v3, s2, v1
	v_cvt_i32_f32_e32 v13, v1
.LBB39_1186:
	s_mov_b64 s[12:13], -1
	s_mov_b64 s[6:7], 0
	s_cbranch_execnz .LBB39_1197
.LBB39_1187:
	s_cmp_gt_i32 s15, 14
	s_cbranch_scc0 .LBB39_1190
; %bb.1188:
	s_cmp_eq_u32 s15, 15
	s_cbranch_scc0 .LBB39_1193
; %bb.1189:
	global_load_ushort v1, v[15:16], off
	s_mov_b64 s[0:1], 0
	s_mov_b64 s[12:13], -1
	s_waitcnt vmcnt(0)
	v_lshlrev_b32_e32 v1, 16, v1
	v_cvt_i32_f32_e32 v13, v1
	s_branch .LBB39_1194
.LBB39_1190:
	s_mov_b64 s[2:3], -1
                                        ; implicit-def: $vgpr13
	s_branch .LBB39_1195
.LBB39_1191:
	s_andn2_saveexec_b64 s[2:3], s[2:3]
	s_cbranch_execz .LBB39_1173
.LBB39_1192:
	v_cmp_ne_u16_e32 vcc, 0, v1
	s_andn2_b64 s[6:7], s[6:7], exec
	s_and_b64 s[12:13], vcc, exec
	s_or_b64 s[6:7], s[6:7], s[12:13]
	s_or_b64 exec, exec, s[2:3]
	v_mov_b32_e32 v13, 0
	s_and_saveexec_b64 s[2:3], s[6:7]
	s_cbranch_execnz .LBB39_1174
	s_branch .LBB39_1175
.LBB39_1193:
	s_mov_b64 s[0:1], -1
                                        ; implicit-def: $vgpr13
.LBB39_1194:
	s_mov_b64 s[2:3], 0
.LBB39_1195:
	s_and_b64 vcc, exec, s[2:3]
	s_cbranch_vccz .LBB39_1197
; %bb.1196:
	s_cmp_lg_u32 s15, 11
	s_mov_b64 s[6:7], -1
	s_cselect_b64 s[0:1], -1, 0
.LBB39_1197:
	s_and_b64 vcc, exec, s[0:1]
	s_mov_b64 s[2:3], s[28:29]
	s_cbranch_vccnz .LBB39_1258
; %bb.1198:
	s_andn2_b64 vcc, exec, s[6:7]
	s_cbranch_vccnz .LBB39_1200
.LBB39_1199:
	global_load_ubyte v1, v[15:16], off
	s_mov_b64 s[12:13], -1
	s_waitcnt vmcnt(0)
	v_cmp_ne_u16_e32 vcc, 0, v1
	v_cndmask_b32_e64 v13, 0, 1, vcc
.LBB39_1200:
	s_branch .LBB39_1135
.LBB39_1201:
	s_and_b32 s6, 0xffff, s14
	s_cmp_lt_i32 s6, 5
	s_cbranch_scc1 .LBB39_1206
; %bb.1202:
	s_cmp_lt_i32 s6, 8
	s_cbranch_scc1 .LBB39_1207
; %bb.1203:
	;; [unrolled: 3-line block ×3, first 2 shown]
	s_cmp_gt_i32 s6, 9
	s_cbranch_scc0 .LBB39_1209
; %bb.1205:
	global_load_dwordx2 v[12:13], v[15:16], off
	s_mov_b64 s[0:1], 0
	s_waitcnt vmcnt(0)
	v_cvt_i32_f64_e32 v13, v[12:13]
	s_branch .LBB39_1210
.LBB39_1206:
                                        ; implicit-def: $vgpr13
	s_branch .LBB39_1227
.LBB39_1207:
                                        ; implicit-def: $vgpr13
	s_branch .LBB39_1216
.LBB39_1208:
	s_mov_b64 s[0:1], -1
                                        ; implicit-def: $vgpr13
	s_branch .LBB39_1213
.LBB39_1209:
	s_mov_b64 s[0:1], -1
                                        ; implicit-def: $vgpr13
.LBB39_1210:
	s_andn2_b64 vcc, exec, s[0:1]
	s_cbranch_vccnz .LBB39_1212
; %bb.1211:
	global_load_dword v1, v[15:16], off
	s_waitcnt vmcnt(0)
	v_cvt_i32_f32_e32 v13, v1
.LBB39_1212:
	s_mov_b64 s[0:1], 0
.LBB39_1213:
	s_andn2_b64 vcc, exec, s[0:1]
	s_cbranch_vccnz .LBB39_1215
; %bb.1214:
	global_load_dword v1, v[15:16], off
	s_waitcnt vmcnt(0)
	v_cvt_i16_f16_e32 v13, v1
.LBB39_1215:
	s_cbranch_execnz .LBB39_1226
.LBB39_1216:
	s_cmp_lt_i32 s6, 6
	s_cbranch_scc1 .LBB39_1219
; %bb.1217:
	s_cmp_gt_i32 s6, 6
	s_cbranch_scc0 .LBB39_1220
; %bb.1218:
	global_load_dwordx2 v[12:13], v[15:16], off
	s_mov_b64 s[0:1], 0
	s_waitcnt vmcnt(0)
	v_cvt_i32_f64_e32 v13, v[12:13]
	s_branch .LBB39_1221
.LBB39_1219:
	s_mov_b64 s[0:1], -1
                                        ; implicit-def: $vgpr13
	s_branch .LBB39_1224
.LBB39_1220:
	s_mov_b64 s[0:1], -1
                                        ; implicit-def: $vgpr13
.LBB39_1221:
	s_andn2_b64 vcc, exec, s[0:1]
	s_cbranch_vccnz .LBB39_1223
; %bb.1222:
	global_load_dword v1, v[15:16], off
	s_waitcnt vmcnt(0)
	v_cvt_i32_f32_e32 v13, v1
.LBB39_1223:
	s_mov_b64 s[0:1], 0
.LBB39_1224:
	s_andn2_b64 vcc, exec, s[0:1]
	s_cbranch_vccnz .LBB39_1226
; %bb.1225:
	global_load_ushort v1, v[15:16], off
	s_waitcnt vmcnt(0)
	v_cvt_i16_f16_e32 v13, v1
.LBB39_1226:
	s_cbranch_execnz .LBB39_1245
.LBB39_1227:
	s_cmp_lt_i32 s6, 2
	s_cbranch_scc1 .LBB39_1231
; %bb.1228:
	s_cmp_lt_i32 s6, 3
	s_cbranch_scc1 .LBB39_1232
; %bb.1229:
	s_cmp_gt_i32 s6, 3
	s_cbranch_scc0 .LBB39_1233
; %bb.1230:
	global_load_dwordx2 v[13:14], v[15:16], off
	s_mov_b64 s[0:1], 0
	s_branch .LBB39_1234
.LBB39_1231:
                                        ; implicit-def: $vgpr13
	s_branch .LBB39_1240
.LBB39_1232:
	s_mov_b64 s[0:1], -1
                                        ; implicit-def: $vgpr13
	s_branch .LBB39_1237
.LBB39_1233:
	s_mov_b64 s[0:1], -1
                                        ; implicit-def: $vgpr13
.LBB39_1234:
	s_andn2_b64 vcc, exec, s[0:1]
	s_cbranch_vccnz .LBB39_1236
; %bb.1235:
	global_load_dword v13, v[15:16], off
.LBB39_1236:
	s_mov_b64 s[0:1], 0
.LBB39_1237:
	s_andn2_b64 vcc, exec, s[0:1]
	s_cbranch_vccnz .LBB39_1239
; %bb.1238:
	global_load_ushort v13, v[15:16], off
.LBB39_1239:
	s_cbranch_execnz .LBB39_1245
.LBB39_1240:
	s_cmp_gt_i32 s6, 0
	s_cbranch_scc0 .LBB39_1242
; %bb.1241:
	global_load_ubyte v13, v[15:16], off
	s_mov_b64 s[0:1], 0
	s_branch .LBB39_1243
.LBB39_1242:
	s_mov_b64 s[0:1], -1
                                        ; implicit-def: $vgpr13
.LBB39_1243:
	s_andn2_b64 vcc, exec, s[0:1]
	s_cbranch_vccnz .LBB39_1245
; %bb.1244:
	global_load_ubyte v13, v[15:16], off
.LBB39_1245:
.LBB39_1246:
	v_mov_b32_e32 v1, s11
	s_and_b32 s16, 0xffff, s14
	s_waitcnt vmcnt(0)
	v_add_co_u32_e32 v14, vcc, s10, v11
	s_cmp_lt_i32 s16, 11
	v_addc_co_u32_e32 v15, vcc, 0, v1, vcc
	s_cbranch_scc1 .LBB39_1253
; %bb.1247:
	s_cmp_gt_i32 s16, 25
	s_mov_b64 s[6:7], 0
	s_cbranch_scc0 .LBB39_1255
; %bb.1248:
	s_cmp_gt_i32 s16, 28
	s_cbranch_scc0 .LBB39_1256
; %bb.1249:
	s_cmp_gt_i32 s16, 43
	;; [unrolled: 3-line block ×3, first 2 shown]
	s_cbranch_scc0 .LBB39_1259
; %bb.1251:
	s_cmp_eq_u32 s16, 46
	s_mov_b64 s[14:15], 0
	s_cbranch_scc0 .LBB39_1262
; %bb.1252:
	global_load_dword v1, v[14:15], off
	s_mov_b64 s[0:1], 0
	s_mov_b64 s[12:13], -1
	s_waitcnt vmcnt(0)
	v_lshlrev_b32_e32 v1, 16, v1
	v_cvt_i32_f32_e32 v11, v1
	s_branch .LBB39_1263
.LBB39_1253:
	s_mov_b64 s[12:13], 0
                                        ; implicit-def: $vgpr11
	s_cbranch_execnz .LBB39_1324
.LBB39_1254:
	s_andn2_b64 vcc, exec, s[12:13]
	s_cbranch_vccnz .LBB39_2055
	s_branch .LBB39_1371
.LBB39_1255:
	s_mov_b64 s[12:13], 0
	s_mov_b64 s[0:1], 0
                                        ; implicit-def: $vgpr11
	s_cbranch_execnz .LBB39_1290
	s_branch .LBB39_1320
.LBB39_1256:
	s_mov_b64 s[14:15], -1
	s_mov_b64 s[12:13], 0
	s_mov_b64 s[0:1], 0
                                        ; implicit-def: $vgpr11
	s_branch .LBB39_1273
.LBB39_1257:
	s_mov_b64 s[14:15], -1
	s_mov_b64 s[12:13], 0
	s_mov_b64 s[0:1], 0
                                        ; implicit-def: $vgpr11
	s_branch .LBB39_1268
.LBB39_1258:
	s_or_b64 s[2:3], s[28:29], exec
	s_trap 2
	s_cbranch_execz .LBB39_1199
	s_branch .LBB39_1200
.LBB39_1259:
	s_mov_b64 s[14:15], -1
	s_mov_b64 s[12:13], 0
	s_mov_b64 s[0:1], 0
                                        ; implicit-def: $vgpr11
	s_branch .LBB39_1263
.LBB39_1260:
	s_andn2_saveexec_b64 s[16:17], s[16:17]
	s_cbranch_execz .LBB39_995
.LBB39_1261:
	s_mov_b32 s20, 0x42800000
	v_add_f32_e64 v3, |v0|, s20
	v_and_b32_e32 v3, 0xff, v3
	v_cmp_ne_u32_e32 vcc, 0, v3
	s_andn2_b64 s[14:15], s[14:15], exec
	s_and_b64 s[20:21], vcc, exec
	s_or_b64 s[14:15], s[14:15], s[20:21]
	s_or_b64 exec, exec, s[16:17]
	v_mov_b32_e32 v5, 0
	s_and_saveexec_b64 s[16:17], s[14:15]
	s_cbranch_execnz .LBB39_996
	s_branch .LBB39_997
.LBB39_1262:
	s_mov_b64 s[0:1], -1
                                        ; implicit-def: $vgpr11
	s_mov_b64 s[12:13], 0
.LBB39_1263:
	s_and_b64 vcc, exec, s[14:15]
	s_cbranch_vccz .LBB39_1267
; %bb.1264:
	s_cmp_eq_u32 s16, 44
	s_cbranch_scc0 .LBB39_1266
; %bb.1265:
	global_load_ubyte v1, v[14:15], off
	s_mov_b64 s[0:1], 0
	s_mov_b64 s[12:13], -1
	s_waitcnt vmcnt(0)
	v_lshlrev_b32_e32 v3, 23, v1
	v_cvt_i32_f32_e32 v3, v3
	v_cmp_ne_u32_e32 vcc, 0, v1
	v_cndmask_b32_e32 v11, 0, v3, vcc
	s_branch .LBB39_1267
.LBB39_1266:
	s_mov_b64 s[0:1], -1
                                        ; implicit-def: $vgpr11
.LBB39_1267:
	s_mov_b64 s[14:15], 0
.LBB39_1268:
	s_and_b64 vcc, exec, s[14:15]
	s_cbranch_vccz .LBB39_1272
; %bb.1269:
	s_cmp_eq_u32 s16, 29
	s_cbranch_scc0 .LBB39_1271
; %bb.1270:
	global_load_dwordx2 v[11:12], v[14:15], off
	s_mov_b64 s[0:1], 0
	s_mov_b64 s[12:13], -1
	s_branch .LBB39_1272
.LBB39_1271:
	s_mov_b64 s[0:1], -1
                                        ; implicit-def: $vgpr11
.LBB39_1272:
	s_mov_b64 s[14:15], 0
.LBB39_1273:
	s_and_b64 vcc, exec, s[14:15]
	s_cbranch_vccz .LBB39_1289
; %bb.1274:
	s_cmp_lt_i32 s16, 27
	s_cbranch_scc1 .LBB39_1277
; %bb.1275:
	s_cmp_gt_i32 s16, 27
	s_cbranch_scc0 .LBB39_1278
; %bb.1276:
	global_load_dword v11, v[14:15], off
	s_mov_b64 s[12:13], 0
	s_branch .LBB39_1279
.LBB39_1277:
	s_mov_b64 s[12:13], -1
                                        ; implicit-def: $vgpr11
	s_branch .LBB39_1282
.LBB39_1278:
	s_mov_b64 s[12:13], -1
                                        ; implicit-def: $vgpr11
.LBB39_1279:
	s_andn2_b64 vcc, exec, s[12:13]
	s_cbranch_vccnz .LBB39_1281
; %bb.1280:
	global_load_ushort v11, v[14:15], off
.LBB39_1281:
	s_mov_b64 s[12:13], 0
.LBB39_1282:
	s_andn2_b64 vcc, exec, s[12:13]
	s_cbranch_vccnz .LBB39_1288
; %bb.1283:
	global_load_ubyte v1, v[14:15], off
	s_movk_i32 s12, 0x7f
	s_mov_b64 s[14:15], 0
	s_waitcnt vmcnt(0)
	v_cmp_lt_i16_e32 vcc, s12, v1
	s_and_saveexec_b64 s[12:13], vcc
	s_xor_b64 s[12:13], exec, s[12:13]
	s_cbranch_execz .LBB39_1299
; %bb.1284:
	s_movk_i32 s14, 0x80
	v_cmp_ne_u16_e32 vcc, s14, v1
	s_and_b64 s[14:15], vcc, exec
	s_andn2_saveexec_b64 s[12:13], s[12:13]
	s_cbranch_execnz .LBB39_1300
.LBB39_1285:
	s_or_b64 exec, exec, s[12:13]
	v_mov_b32_e32 v11, 0
	s_and_saveexec_b64 s[12:13], s[14:15]
	s_cbranch_execz .LBB39_1287
.LBB39_1286:
	v_lshlrev_b32_e32 v3, 24, v1
	v_and_b32_e32 v1, 0xffff, v1
	v_and_b32_e32 v5, 7, v1
	v_ffbh_u32_e32 v10, v5
	v_min_u32_e32 v10, 32, v10
	v_subrev_u32_e32 v11, 28, v10
	v_bfe_u32 v8, v1, 3, 4
	v_lshlrev_b32_e32 v1, v11, v1
	v_sub_u32_e32 v10, 29, v10
	v_and_b32_e32 v1, 7, v1
	v_cmp_eq_u32_e32 vcc, 0, v8
	v_cndmask_b32_e32 v8, v8, v10, vcc
	v_cndmask_b32_e32 v1, v5, v1, vcc
	v_mov_b32_e32 v5, 0x3b800000
	v_lshlrev_b32_e32 v1, 20, v1
	v_and_b32_e32 v3, 0x80000000, v3
	v_lshl_add_u32 v5, v8, 23, v5
	v_or3_b32 v1, v3, v5, v1
	v_cvt_i32_f32_e32 v11, v1
.LBB39_1287:
	s_or_b64 exec, exec, s[12:13]
.LBB39_1288:
	s_mov_b64 s[12:13], -1
.LBB39_1289:
	s_branch .LBB39_1320
.LBB39_1290:
	s_cmp_gt_i32 s16, 22
	s_cbranch_scc0 .LBB39_1298
; %bb.1291:
	s_cmp_lt_i32 s16, 24
	s_cbranch_scc1 .LBB39_1301
; %bb.1292:
	s_cmp_gt_i32 s16, 24
	s_cbranch_scc0 .LBB39_1302
; %bb.1293:
	global_load_ubyte v1, v[14:15], off
	s_movk_i32 s6, 0x7f
	s_mov_b64 s[12:13], 0
	s_waitcnt vmcnt(0)
	v_cmp_lt_i16_e32 vcc, s6, v1
	s_and_saveexec_b64 s[6:7], vcc
	s_xor_b64 s[6:7], exec, s[6:7]
	s_cbranch_execz .LBB39_1314
; %bb.1294:
	s_movk_i32 s12, 0x80
	v_cmp_ne_u16_e32 vcc, s12, v1
	s_and_b64 s[12:13], vcc, exec
	s_andn2_saveexec_b64 s[6:7], s[6:7]
	s_cbranch_execnz .LBB39_1315
.LBB39_1295:
	s_or_b64 exec, exec, s[6:7]
	v_mov_b32_e32 v11, 0
	s_and_saveexec_b64 s[6:7], s[12:13]
	s_cbranch_execz .LBB39_1297
.LBB39_1296:
	v_lshlrev_b32_e32 v3, 24, v1
	v_and_b32_e32 v1, 0xffff, v1
	v_and_b32_e32 v5, 3, v1
	v_ffbh_u32_e32 v10, v5
	v_min_u32_e32 v10, 32, v10
	v_subrev_u32_e32 v11, 29, v10
	v_bfe_u32 v8, v1, 2, 5
	v_lshlrev_b32_e32 v1, v11, v1
	v_sub_u32_e32 v10, 30, v10
	v_and_b32_e32 v1, 3, v1
	v_cmp_eq_u32_e32 vcc, 0, v8
	v_cndmask_b32_e32 v8, v8, v10, vcc
	v_cndmask_b32_e32 v1, v5, v1, vcc
	v_mov_b32_e32 v5, 0x37800000
	v_lshlrev_b32_e32 v1, 21, v1
	v_and_b32_e32 v3, 0x80000000, v3
	v_lshl_add_u32 v5, v8, 23, v5
	v_or3_b32 v1, v3, v5, v1
	v_cvt_i32_f32_e32 v11, v1
.LBB39_1297:
	s_or_b64 exec, exec, s[6:7]
	s_mov_b64 s[6:7], 0
	s_branch .LBB39_1303
.LBB39_1298:
	s_mov_b64 s[6:7], -1
                                        ; implicit-def: $vgpr11
	s_branch .LBB39_1309
.LBB39_1299:
	s_andn2_saveexec_b64 s[12:13], s[12:13]
	s_cbranch_execz .LBB39_1285
.LBB39_1300:
	v_cmp_ne_u16_e32 vcc, 0, v1
	s_andn2_b64 s[14:15], s[14:15], exec
	s_and_b64 s[18:19], vcc, exec
	s_or_b64 s[14:15], s[14:15], s[18:19]
	s_or_b64 exec, exec, s[12:13]
	v_mov_b32_e32 v11, 0
	s_and_saveexec_b64 s[12:13], s[14:15]
	s_cbranch_execnz .LBB39_1286
	s_branch .LBB39_1287
.LBB39_1301:
	s_mov_b64 s[6:7], -1
                                        ; implicit-def: $vgpr11
	s_branch .LBB39_1306
.LBB39_1302:
	s_mov_b64 s[6:7], -1
                                        ; implicit-def: $vgpr11
.LBB39_1303:
	s_and_b64 vcc, exec, s[6:7]
	s_cbranch_vccz .LBB39_1305
; %bb.1304:
	global_load_ubyte v1, v[14:15], off
	s_mov_b32 s6, 0x7f800000
	s_waitcnt vmcnt(0)
	v_lshlrev_b32_e32 v1, 24, v1
	v_and_b32_e32 v3, 0x7f000000, v1
	v_ffbh_u32_e32 v5, v3
	v_min_u32_e32 v5, 32, v5
	v_sub_u32_e64 v5, v5, 4 clamp
	v_lshlrev_b32_e32 v10, v5, v3
	v_lshlrev_b32_e32 v5, 23, v5
	v_lshrrev_b32_e32 v10, 4, v10
	v_add_u32_e32 v8, 0x1000000, v3
	v_sub_u32_e32 v5, v10, v5
	v_ashrrev_i32_e32 v8, 8, v8
	v_add_u32_e32 v5, 0x3c000000, v5
	v_and_or_b32 v5, v8, s6, v5
	v_cmp_ne_u32_e32 vcc, 0, v3
	v_cndmask_b32_e32 v3, 0, v5, vcc
	s_brev_b32 s6, 1
	v_and_or_b32 v1, v1, s6, v3
	v_cvt_i32_f32_e32 v11, v1
.LBB39_1305:
	s_mov_b64 s[6:7], 0
.LBB39_1306:
	s_andn2_b64 vcc, exec, s[6:7]
	s_cbranch_vccnz .LBB39_1308
; %bb.1307:
	global_load_ubyte v1, v[14:15], off
	s_movk_i32 s6, 0x7f00
	s_brev_b32 s7, 16
	s_waitcnt vmcnt(0)
	v_lshlrev_b16_e32 v3, 8, v1
	v_lshlrev_b32_e32 v1, 25, v1
	v_lshrrev_b32_e32 v5, 4, v1
	v_and_or_b32 v8, v3, s6, 0.5
	v_or_b32_e32 v5, 0x70000000, v5
	v_add_f32_e32 v8, -0.5, v8
	v_mul_f32_e32 v5, 0x7800000, v5
	v_cmp_gt_u32_e32 vcc, s7, v1
	v_bfe_i32 v3, v3, 0, 16
	v_cndmask_b32_e32 v1, v5, v8, vcc
	s_brev_b32 s6, 1
	v_and_or_b32 v1, v3, s6, v1
	v_cvt_i32_f32_e32 v11, v1
.LBB39_1308:
	s_mov_b64 s[6:7], 0
	s_mov_b64 s[12:13], -1
.LBB39_1309:
	s_andn2_b64 vcc, exec, s[6:7]
	s_mov_b64 s[6:7], 0
	s_cbranch_vccnz .LBB39_1320
; %bb.1310:
	s_cmp_gt_i32 s16, 14
	s_cbranch_scc0 .LBB39_1313
; %bb.1311:
	s_cmp_eq_u32 s16, 15
	s_cbranch_scc0 .LBB39_1316
; %bb.1312:
	global_load_ushort v1, v[14:15], off
	s_mov_b64 s[0:1], 0
	s_mov_b64 s[12:13], -1
	s_waitcnt vmcnt(0)
	v_lshlrev_b32_e32 v1, 16, v1
	v_cvt_i32_f32_e32 v11, v1
	s_branch .LBB39_1317
.LBB39_1313:
	s_mov_b64 s[14:15], -1
                                        ; implicit-def: $vgpr11
	s_branch .LBB39_1318
.LBB39_1314:
	s_andn2_saveexec_b64 s[6:7], s[6:7]
	s_cbranch_execz .LBB39_1295
.LBB39_1315:
	v_cmp_ne_u16_e32 vcc, 0, v1
	s_andn2_b64 s[12:13], s[12:13], exec
	s_and_b64 s[14:15], vcc, exec
	s_or_b64 s[12:13], s[12:13], s[14:15]
	s_or_b64 exec, exec, s[6:7]
	v_mov_b32_e32 v11, 0
	s_and_saveexec_b64 s[6:7], s[12:13]
	s_cbranch_execnz .LBB39_1296
	s_branch .LBB39_1297
.LBB39_1316:
	s_mov_b64 s[0:1], -1
                                        ; implicit-def: $vgpr11
.LBB39_1317:
	s_mov_b64 s[14:15], 0
.LBB39_1318:
	s_and_b64 vcc, exec, s[14:15]
	s_cbranch_vccz .LBB39_1320
; %bb.1319:
	s_cmp_lg_u32 s16, 11
	s_mov_b64 s[6:7], -1
	s_cselect_b64 s[0:1], -1, 0
.LBB39_1320:
	s_and_b64 vcc, exec, s[0:1]
	s_cbranch_vccnz .LBB39_1383
; %bb.1321:
	s_andn2_b64 vcc, exec, s[6:7]
	s_cbranch_vccnz .LBB39_1323
.LBB39_1322:
	global_load_ubyte v1, v[14:15], off
	s_mov_b64 s[12:13], -1
	s_waitcnt vmcnt(0)
	v_cmp_ne_u16_e32 vcc, 0, v1
	v_cndmask_b32_e64 v11, 0, 1, vcc
.LBB39_1323:
	s_branch .LBB39_1254
.LBB39_1324:
	s_cmp_lt_i32 s16, 5
	s_cbranch_scc1 .LBB39_1329
; %bb.1325:
	s_cmp_lt_i32 s16, 8
	s_cbranch_scc1 .LBB39_1330
; %bb.1326:
	;; [unrolled: 3-line block ×3, first 2 shown]
	s_cmp_gt_i32 s16, 9
	s_cbranch_scc0 .LBB39_1332
; %bb.1328:
	global_load_dwordx2 v[10:11], v[14:15], off
	s_mov_b64 s[0:1], 0
	s_waitcnt vmcnt(0)
	v_cvt_i32_f64_e32 v11, v[10:11]
	s_branch .LBB39_1333
.LBB39_1329:
                                        ; implicit-def: $vgpr11
	s_branch .LBB39_1351
.LBB39_1330:
	s_mov_b64 s[0:1], -1
                                        ; implicit-def: $vgpr11
	s_branch .LBB39_1339
.LBB39_1331:
	s_mov_b64 s[0:1], -1
                                        ; implicit-def: $vgpr11
	s_branch .LBB39_1336
.LBB39_1332:
	s_mov_b64 s[0:1], -1
                                        ; implicit-def: $vgpr11
.LBB39_1333:
	s_andn2_b64 vcc, exec, s[0:1]
	s_cbranch_vccnz .LBB39_1335
; %bb.1334:
	global_load_dword v1, v[14:15], off
	s_waitcnt vmcnt(0)
	v_cvt_i32_f32_e32 v11, v1
.LBB39_1335:
	s_mov_b64 s[0:1], 0
.LBB39_1336:
	s_andn2_b64 vcc, exec, s[0:1]
	s_cbranch_vccnz .LBB39_1338
; %bb.1337:
	global_load_dword v1, v[14:15], off
	s_waitcnt vmcnt(0)
	v_cvt_i16_f16_e32 v11, v1
.LBB39_1338:
	s_mov_b64 s[0:1], 0
.LBB39_1339:
	s_andn2_b64 vcc, exec, s[0:1]
	s_cbranch_vccnz .LBB39_1350
; %bb.1340:
	s_cmp_lt_i32 s16, 6
	s_cbranch_scc1 .LBB39_1343
; %bb.1341:
	s_cmp_gt_i32 s16, 6
	s_cbranch_scc0 .LBB39_1344
; %bb.1342:
	global_load_dwordx2 v[10:11], v[14:15], off
	s_mov_b64 s[0:1], 0
	s_waitcnt vmcnt(0)
	v_cvt_i32_f64_e32 v11, v[10:11]
	s_branch .LBB39_1345
.LBB39_1343:
	s_mov_b64 s[0:1], -1
                                        ; implicit-def: $vgpr11
	s_branch .LBB39_1348
.LBB39_1344:
	s_mov_b64 s[0:1], -1
                                        ; implicit-def: $vgpr11
.LBB39_1345:
	s_andn2_b64 vcc, exec, s[0:1]
	s_cbranch_vccnz .LBB39_1347
; %bb.1346:
	global_load_dword v1, v[14:15], off
	s_waitcnt vmcnt(0)
	v_cvt_i32_f32_e32 v11, v1
.LBB39_1347:
	s_mov_b64 s[0:1], 0
.LBB39_1348:
	s_andn2_b64 vcc, exec, s[0:1]
	s_cbranch_vccnz .LBB39_1350
; %bb.1349:
	global_load_ushort v1, v[14:15], off
	s_waitcnt vmcnt(0)
	v_cvt_i16_f16_e32 v11, v1
.LBB39_1350:
	s_cbranch_execnz .LBB39_1370
.LBB39_1351:
	s_cmp_lt_i32 s16, 2
	s_cbranch_scc1 .LBB39_1355
; %bb.1352:
	s_cmp_lt_i32 s16, 3
	s_cbranch_scc1 .LBB39_1356
; %bb.1353:
	s_cmp_gt_i32 s16, 3
	s_cbranch_scc0 .LBB39_1357
; %bb.1354:
	global_load_dwordx2 v[11:12], v[14:15], off
	s_mov_b64 s[0:1], 0
	s_branch .LBB39_1358
.LBB39_1355:
	s_mov_b64 s[0:1], -1
                                        ; implicit-def: $vgpr11
	s_branch .LBB39_1364
.LBB39_1356:
	s_mov_b64 s[0:1], -1
                                        ; implicit-def: $vgpr11
	s_branch .LBB39_1361
.LBB39_1357:
	s_mov_b64 s[0:1], -1
                                        ; implicit-def: $vgpr11
.LBB39_1358:
	s_andn2_b64 vcc, exec, s[0:1]
	s_cbranch_vccnz .LBB39_1360
; %bb.1359:
	global_load_dword v11, v[14:15], off
.LBB39_1360:
	s_mov_b64 s[0:1], 0
.LBB39_1361:
	s_andn2_b64 vcc, exec, s[0:1]
	s_cbranch_vccnz .LBB39_1363
; %bb.1362:
	global_load_ushort v11, v[14:15], off
.LBB39_1363:
	s_mov_b64 s[0:1], 0
.LBB39_1364:
	s_andn2_b64 vcc, exec, s[0:1]
	s_cbranch_vccnz .LBB39_1370
; %bb.1365:
	s_cmp_gt_i32 s16, 0
	s_cbranch_scc0 .LBB39_1367
; %bb.1366:
	global_load_ubyte v11, v[14:15], off
	s_mov_b64 s[0:1], 0
	s_branch .LBB39_1368
.LBB39_1367:
	s_mov_b64 s[0:1], -1
                                        ; implicit-def: $vgpr11
.LBB39_1368:
	s_andn2_b64 vcc, exec, s[0:1]
	s_cbranch_vccnz .LBB39_1370
; %bb.1369:
	global_load_ubyte v11, v[14:15], off
.LBB39_1370:
.LBB39_1371:
	v_mov_b32_e32 v1, s11
	v_add_co_u32_e32 v14, vcc, s10, v9
	s_cmp_lt_i32 s16, 11
	v_addc_co_u32_e32 v15, vcc, 0, v1, vcc
	s_cbranch_scc1 .LBB39_1378
; %bb.1372:
	s_cmp_gt_i32 s16, 25
	s_mov_b64 s[6:7], 0
	s_cbranch_scc0 .LBB39_1380
; %bb.1373:
	s_cmp_gt_i32 s16, 28
	s_cbranch_scc0 .LBB39_1381
; %bb.1374:
	s_cmp_gt_i32 s16, 43
	;; [unrolled: 3-line block ×3, first 2 shown]
	s_cbranch_scc0 .LBB39_1384
; %bb.1376:
	s_cmp_eq_u32 s16, 46
	s_mov_b64 s[14:15], 0
	s_cbranch_scc0 .LBB39_1385
; %bb.1377:
	global_load_dword v1, v[14:15], off
	s_mov_b64 s[0:1], 0
	s_mov_b64 s[12:13], -1
	s_waitcnt vmcnt(0)
	v_lshlrev_b32_e32 v1, 16, v1
	v_cvt_i32_f32_e32 v9, v1
	s_branch .LBB39_1386
.LBB39_1378:
	s_mov_b64 s[12:13], 0
                                        ; implicit-def: $vgpr9
	s_cbranch_execnz .LBB39_1448
.LBB39_1379:
	s_andn2_b64 vcc, exec, s[12:13]
	s_cbranch_vccnz .LBB39_2055
	s_branch .LBB39_1496
.LBB39_1380:
	s_mov_b64 s[14:15], -1
	s_mov_b64 s[12:13], 0
	s_mov_b64 s[0:1], 0
                                        ; implicit-def: $vgpr9
	s_branch .LBB39_1413
.LBB39_1381:
	s_mov_b64 s[14:15], -1
	s_mov_b64 s[12:13], 0
	s_mov_b64 s[0:1], 0
                                        ; implicit-def: $vgpr9
	s_branch .LBB39_1396
.LBB39_1382:
	s_mov_b64 s[14:15], -1
	s_mov_b64 s[12:13], 0
	s_mov_b64 s[0:1], 0
                                        ; implicit-def: $vgpr9
	s_branch .LBB39_1391
.LBB39_1383:
	s_trap 2
	s_or_b64 s[2:3], s[2:3], exec
	s_cbranch_execz .LBB39_1322
	s_branch .LBB39_1323
.LBB39_1384:
	s_mov_b64 s[14:15], -1
	s_mov_b64 s[12:13], 0
	s_mov_b64 s[0:1], 0
                                        ; implicit-def: $vgpr9
	s_branch .LBB39_1386
.LBB39_1385:
	s_mov_b64 s[0:1], -1
                                        ; implicit-def: $vgpr9
	s_mov_b64 s[12:13], 0
.LBB39_1386:
	s_and_b64 vcc, exec, s[14:15]
	s_cbranch_vccz .LBB39_1390
; %bb.1387:
	s_cmp_eq_u32 s16, 44
	s_cbranch_scc0 .LBB39_1389
; %bb.1388:
	global_load_ubyte v1, v[14:15], off
	s_mov_b64 s[0:1], 0
	s_mov_b64 s[12:13], -1
	s_waitcnt vmcnt(0)
	v_lshlrev_b32_e32 v3, 23, v1
	v_cvt_i32_f32_e32 v3, v3
	v_cmp_ne_u32_e32 vcc, 0, v1
	v_cndmask_b32_e32 v9, 0, v3, vcc
	s_branch .LBB39_1390
.LBB39_1389:
	s_mov_b64 s[0:1], -1
                                        ; implicit-def: $vgpr9
.LBB39_1390:
	s_mov_b64 s[14:15], 0
.LBB39_1391:
	s_and_b64 vcc, exec, s[14:15]
	s_cbranch_vccz .LBB39_1395
; %bb.1392:
	s_cmp_eq_u32 s16, 29
	s_cbranch_scc0 .LBB39_1394
; %bb.1393:
	global_load_dwordx2 v[9:10], v[14:15], off
	s_mov_b64 s[0:1], 0
	s_mov_b64 s[12:13], -1
	s_branch .LBB39_1395
.LBB39_1394:
	s_mov_b64 s[0:1], -1
                                        ; implicit-def: $vgpr9
.LBB39_1395:
	s_mov_b64 s[14:15], 0
.LBB39_1396:
	s_and_b64 vcc, exec, s[14:15]
	s_cbranch_vccz .LBB39_1412
; %bb.1397:
	s_cmp_lt_i32 s16, 27
	s_cbranch_scc1 .LBB39_1400
; %bb.1398:
	s_cmp_gt_i32 s16, 27
	s_cbranch_scc0 .LBB39_1401
; %bb.1399:
	global_load_dword v9, v[14:15], off
	s_mov_b64 s[12:13], 0
	s_branch .LBB39_1402
.LBB39_1400:
	s_mov_b64 s[12:13], -1
                                        ; implicit-def: $vgpr9
	s_branch .LBB39_1405
.LBB39_1401:
	s_mov_b64 s[12:13], -1
                                        ; implicit-def: $vgpr9
.LBB39_1402:
	s_andn2_b64 vcc, exec, s[12:13]
	s_cbranch_vccnz .LBB39_1404
; %bb.1403:
	global_load_ushort v9, v[14:15], off
.LBB39_1404:
	s_mov_b64 s[12:13], 0
.LBB39_1405:
	s_andn2_b64 vcc, exec, s[12:13]
	s_cbranch_vccnz .LBB39_1411
; %bb.1406:
	global_load_ubyte v1, v[14:15], off
	s_movk_i32 s12, 0x7f
	s_mov_b64 s[14:15], 0
	s_waitcnt vmcnt(0)
	v_cmp_lt_i16_e32 vcc, s12, v1
	s_and_saveexec_b64 s[12:13], vcc
	s_xor_b64 s[12:13], exec, s[12:13]
	s_cbranch_execz .LBB39_1423
; %bb.1407:
	s_movk_i32 s14, 0x80
	v_cmp_ne_u16_e32 vcc, s14, v1
	s_and_b64 s[14:15], vcc, exec
	s_andn2_saveexec_b64 s[12:13], s[12:13]
	s_cbranch_execnz .LBB39_1424
.LBB39_1408:
	s_or_b64 exec, exec, s[12:13]
	v_mov_b32_e32 v9, 0
	s_and_saveexec_b64 s[12:13], s[14:15]
	s_cbranch_execz .LBB39_1410
.LBB39_1409:
	v_lshlrev_b32_e32 v3, 24, v1
	v_and_b32_e32 v1, 0xffff, v1
	v_and_b32_e32 v5, 7, v1
	v_ffbh_u32_e32 v9, v5
	v_min_u32_e32 v9, 32, v9
	v_subrev_u32_e32 v10, 28, v9
	v_bfe_u32 v8, v1, 3, 4
	v_lshlrev_b32_e32 v1, v10, v1
	v_sub_u32_e32 v9, 29, v9
	v_and_b32_e32 v1, 7, v1
	v_cmp_eq_u32_e32 vcc, 0, v8
	v_cndmask_b32_e32 v8, v8, v9, vcc
	v_cndmask_b32_e32 v1, v5, v1, vcc
	v_mov_b32_e32 v5, 0x3b800000
	v_lshlrev_b32_e32 v1, 20, v1
	v_and_b32_e32 v3, 0x80000000, v3
	v_lshl_add_u32 v5, v8, 23, v5
	v_or3_b32 v1, v3, v5, v1
	v_cvt_i32_f32_e32 v9, v1
.LBB39_1410:
	s_or_b64 exec, exec, s[12:13]
.LBB39_1411:
	s_mov_b64 s[12:13], -1
.LBB39_1412:
	s_mov_b64 s[14:15], 0
.LBB39_1413:
	s_and_b64 vcc, exec, s[14:15]
	s_cbranch_vccz .LBB39_1444
; %bb.1414:
	s_cmp_gt_i32 s16, 22
	s_cbranch_scc0 .LBB39_1422
; %bb.1415:
	s_cmp_lt_i32 s16, 24
	s_cbranch_scc1 .LBB39_1425
; %bb.1416:
	s_cmp_gt_i32 s16, 24
	s_cbranch_scc0 .LBB39_1426
; %bb.1417:
	global_load_ubyte v1, v[14:15], off
	s_movk_i32 s6, 0x7f
	s_mov_b64 s[12:13], 0
	s_waitcnt vmcnt(0)
	v_cmp_lt_i16_e32 vcc, s6, v1
	s_and_saveexec_b64 s[6:7], vcc
	s_xor_b64 s[6:7], exec, s[6:7]
	s_cbranch_execz .LBB39_1438
; %bb.1418:
	s_movk_i32 s12, 0x80
	v_cmp_ne_u16_e32 vcc, s12, v1
	s_and_b64 s[12:13], vcc, exec
	s_andn2_saveexec_b64 s[6:7], s[6:7]
	s_cbranch_execnz .LBB39_1439
.LBB39_1419:
	s_or_b64 exec, exec, s[6:7]
	v_mov_b32_e32 v9, 0
	s_and_saveexec_b64 s[6:7], s[12:13]
	s_cbranch_execz .LBB39_1421
.LBB39_1420:
	v_lshlrev_b32_e32 v3, 24, v1
	v_and_b32_e32 v1, 0xffff, v1
	v_and_b32_e32 v5, 3, v1
	v_ffbh_u32_e32 v9, v5
	v_min_u32_e32 v9, 32, v9
	v_subrev_u32_e32 v10, 29, v9
	v_bfe_u32 v8, v1, 2, 5
	v_lshlrev_b32_e32 v1, v10, v1
	v_sub_u32_e32 v9, 30, v9
	v_and_b32_e32 v1, 3, v1
	v_cmp_eq_u32_e32 vcc, 0, v8
	v_cndmask_b32_e32 v8, v8, v9, vcc
	v_cndmask_b32_e32 v1, v5, v1, vcc
	v_mov_b32_e32 v5, 0x37800000
	v_lshlrev_b32_e32 v1, 21, v1
	v_and_b32_e32 v3, 0x80000000, v3
	v_lshl_add_u32 v5, v8, 23, v5
	v_or3_b32 v1, v3, v5, v1
	v_cvt_i32_f32_e32 v9, v1
.LBB39_1421:
	s_or_b64 exec, exec, s[6:7]
	s_mov_b64 s[6:7], 0
	s_branch .LBB39_1427
.LBB39_1422:
	s_mov_b64 s[6:7], -1
                                        ; implicit-def: $vgpr9
	s_branch .LBB39_1433
.LBB39_1423:
	s_andn2_saveexec_b64 s[12:13], s[12:13]
	s_cbranch_execz .LBB39_1408
.LBB39_1424:
	v_cmp_ne_u16_e32 vcc, 0, v1
	s_andn2_b64 s[14:15], s[14:15], exec
	s_and_b64 s[18:19], vcc, exec
	s_or_b64 s[14:15], s[14:15], s[18:19]
	s_or_b64 exec, exec, s[12:13]
	v_mov_b32_e32 v9, 0
	s_and_saveexec_b64 s[12:13], s[14:15]
	s_cbranch_execnz .LBB39_1409
	s_branch .LBB39_1410
.LBB39_1425:
	s_mov_b64 s[6:7], -1
                                        ; implicit-def: $vgpr9
	s_branch .LBB39_1430
.LBB39_1426:
	s_mov_b64 s[6:7], -1
                                        ; implicit-def: $vgpr9
.LBB39_1427:
	s_and_b64 vcc, exec, s[6:7]
	s_cbranch_vccz .LBB39_1429
; %bb.1428:
	global_load_ubyte v1, v[14:15], off
	s_mov_b32 s6, 0x7f800000
	s_waitcnt vmcnt(0)
	v_lshlrev_b32_e32 v1, 24, v1
	v_and_b32_e32 v3, 0x7f000000, v1
	v_ffbh_u32_e32 v5, v3
	v_min_u32_e32 v5, 32, v5
	v_sub_u32_e64 v5, v5, 4 clamp
	v_lshlrev_b32_e32 v9, v5, v3
	v_lshlrev_b32_e32 v5, 23, v5
	v_lshrrev_b32_e32 v9, 4, v9
	v_add_u32_e32 v8, 0x1000000, v3
	v_sub_u32_e32 v5, v9, v5
	v_ashrrev_i32_e32 v8, 8, v8
	v_add_u32_e32 v5, 0x3c000000, v5
	v_and_or_b32 v5, v8, s6, v5
	v_cmp_ne_u32_e32 vcc, 0, v3
	v_cndmask_b32_e32 v3, 0, v5, vcc
	s_brev_b32 s6, 1
	v_and_or_b32 v1, v1, s6, v3
	v_cvt_i32_f32_e32 v9, v1
.LBB39_1429:
	s_mov_b64 s[6:7], 0
.LBB39_1430:
	s_andn2_b64 vcc, exec, s[6:7]
	s_cbranch_vccnz .LBB39_1432
; %bb.1431:
	global_load_ubyte v1, v[14:15], off
	s_movk_i32 s6, 0x7f00
	s_brev_b32 s7, 16
	s_waitcnt vmcnt(0)
	v_lshlrev_b16_e32 v3, 8, v1
	v_lshlrev_b32_e32 v1, 25, v1
	v_lshrrev_b32_e32 v5, 4, v1
	v_and_or_b32 v8, v3, s6, 0.5
	v_or_b32_e32 v5, 0x70000000, v5
	v_add_f32_e32 v8, -0.5, v8
	v_mul_f32_e32 v5, 0x7800000, v5
	v_cmp_gt_u32_e32 vcc, s7, v1
	v_bfe_i32 v3, v3, 0, 16
	v_cndmask_b32_e32 v1, v5, v8, vcc
	s_brev_b32 s6, 1
	v_and_or_b32 v1, v3, s6, v1
	v_cvt_i32_f32_e32 v9, v1
.LBB39_1432:
	s_mov_b64 s[6:7], 0
	s_mov_b64 s[12:13], -1
.LBB39_1433:
	s_andn2_b64 vcc, exec, s[6:7]
	s_mov_b64 s[6:7], 0
	s_cbranch_vccnz .LBB39_1444
; %bb.1434:
	s_cmp_gt_i32 s16, 14
	s_cbranch_scc0 .LBB39_1437
; %bb.1435:
	s_cmp_eq_u32 s16, 15
	s_cbranch_scc0 .LBB39_1440
; %bb.1436:
	global_load_ushort v1, v[14:15], off
	s_mov_b64 s[0:1], 0
	s_mov_b64 s[12:13], -1
	s_waitcnt vmcnt(0)
	v_lshlrev_b32_e32 v1, 16, v1
	v_cvt_i32_f32_e32 v9, v1
	s_branch .LBB39_1441
.LBB39_1437:
	s_mov_b64 s[14:15], -1
                                        ; implicit-def: $vgpr9
	s_branch .LBB39_1442
.LBB39_1438:
	s_andn2_saveexec_b64 s[6:7], s[6:7]
	s_cbranch_execz .LBB39_1419
.LBB39_1439:
	v_cmp_ne_u16_e32 vcc, 0, v1
	s_andn2_b64 s[12:13], s[12:13], exec
	s_and_b64 s[14:15], vcc, exec
	s_or_b64 s[12:13], s[12:13], s[14:15]
	s_or_b64 exec, exec, s[6:7]
	v_mov_b32_e32 v9, 0
	s_and_saveexec_b64 s[6:7], s[12:13]
	s_cbranch_execnz .LBB39_1420
	s_branch .LBB39_1421
.LBB39_1440:
	s_mov_b64 s[0:1], -1
                                        ; implicit-def: $vgpr9
.LBB39_1441:
	s_mov_b64 s[14:15], 0
.LBB39_1442:
	s_and_b64 vcc, exec, s[14:15]
	s_cbranch_vccz .LBB39_1444
; %bb.1443:
	s_cmp_lg_u32 s16, 11
	s_mov_b64 s[6:7], -1
	s_cselect_b64 s[0:1], -1, 0
.LBB39_1444:
	s_and_b64 vcc, exec, s[0:1]
	s_cbranch_vccnz .LBB39_1507
; %bb.1445:
	s_andn2_b64 vcc, exec, s[6:7]
	s_cbranch_vccnz .LBB39_1447
.LBB39_1446:
	global_load_ubyte v1, v[14:15], off
	s_mov_b64 s[12:13], -1
	s_waitcnt vmcnt(0)
	v_cmp_ne_u16_e32 vcc, 0, v1
	v_cndmask_b32_e64 v9, 0, 1, vcc
.LBB39_1447:
	s_branch .LBB39_1379
.LBB39_1448:
	s_cmp_lt_i32 s16, 5
	s_cbranch_scc1 .LBB39_1453
; %bb.1449:
	s_cmp_lt_i32 s16, 8
	s_cbranch_scc1 .LBB39_1454
; %bb.1450:
	;; [unrolled: 3-line block ×3, first 2 shown]
	s_cmp_gt_i32 s16, 9
	s_cbranch_scc0 .LBB39_1456
; %bb.1452:
	global_load_dwordx2 v[8:9], v[14:15], off
	s_mov_b64 s[0:1], 0
	s_waitcnt vmcnt(0)
	v_cvt_i32_f64_e32 v9, v[8:9]
	s_branch .LBB39_1457
.LBB39_1453:
	s_mov_b64 s[0:1], -1
                                        ; implicit-def: $vgpr9
	s_branch .LBB39_1475
.LBB39_1454:
	s_mov_b64 s[0:1], -1
                                        ; implicit-def: $vgpr9
	s_branch .LBB39_1463
.LBB39_1455:
	s_mov_b64 s[0:1], -1
                                        ; implicit-def: $vgpr9
	s_branch .LBB39_1460
.LBB39_1456:
	s_mov_b64 s[0:1], -1
                                        ; implicit-def: $vgpr9
.LBB39_1457:
	s_andn2_b64 vcc, exec, s[0:1]
	s_cbranch_vccnz .LBB39_1459
; %bb.1458:
	global_load_dword v1, v[14:15], off
	s_waitcnt vmcnt(0)
	v_cvt_i32_f32_e32 v9, v1
.LBB39_1459:
	s_mov_b64 s[0:1], 0
.LBB39_1460:
	s_andn2_b64 vcc, exec, s[0:1]
	s_cbranch_vccnz .LBB39_1462
; %bb.1461:
	global_load_dword v1, v[14:15], off
	s_waitcnt vmcnt(0)
	v_cvt_i16_f16_e32 v9, v1
.LBB39_1462:
	s_mov_b64 s[0:1], 0
.LBB39_1463:
	s_andn2_b64 vcc, exec, s[0:1]
	s_cbranch_vccnz .LBB39_1474
; %bb.1464:
	s_cmp_lt_i32 s16, 6
	s_cbranch_scc1 .LBB39_1467
; %bb.1465:
	s_cmp_gt_i32 s16, 6
	s_cbranch_scc0 .LBB39_1468
; %bb.1466:
	global_load_dwordx2 v[8:9], v[14:15], off
	s_mov_b64 s[0:1], 0
	s_waitcnt vmcnt(0)
	v_cvt_i32_f64_e32 v9, v[8:9]
	s_branch .LBB39_1469
.LBB39_1467:
	s_mov_b64 s[0:1], -1
                                        ; implicit-def: $vgpr9
	s_branch .LBB39_1472
.LBB39_1468:
	s_mov_b64 s[0:1], -1
                                        ; implicit-def: $vgpr9
.LBB39_1469:
	s_andn2_b64 vcc, exec, s[0:1]
	s_cbranch_vccnz .LBB39_1471
; %bb.1470:
	global_load_dword v1, v[14:15], off
	s_waitcnt vmcnt(0)
	v_cvt_i32_f32_e32 v9, v1
.LBB39_1471:
	s_mov_b64 s[0:1], 0
.LBB39_1472:
	s_andn2_b64 vcc, exec, s[0:1]
	s_cbranch_vccnz .LBB39_1474
; %bb.1473:
	global_load_ushort v1, v[14:15], off
	s_waitcnt vmcnt(0)
	v_cvt_i16_f16_e32 v9, v1
.LBB39_1474:
	s_mov_b64 s[0:1], 0
.LBB39_1475:
	s_andn2_b64 vcc, exec, s[0:1]
	s_cbranch_vccnz .LBB39_1495
; %bb.1476:
	s_cmp_lt_i32 s16, 2
	s_cbranch_scc1 .LBB39_1480
; %bb.1477:
	s_cmp_lt_i32 s16, 3
	s_cbranch_scc1 .LBB39_1481
; %bb.1478:
	s_cmp_gt_i32 s16, 3
	s_cbranch_scc0 .LBB39_1482
; %bb.1479:
	global_load_dwordx2 v[9:10], v[14:15], off
	s_mov_b64 s[0:1], 0
	s_branch .LBB39_1483
.LBB39_1480:
	s_mov_b64 s[0:1], -1
                                        ; implicit-def: $vgpr9
	s_branch .LBB39_1489
.LBB39_1481:
	s_mov_b64 s[0:1], -1
                                        ; implicit-def: $vgpr9
	s_branch .LBB39_1486
.LBB39_1482:
	s_mov_b64 s[0:1], -1
                                        ; implicit-def: $vgpr9
.LBB39_1483:
	s_andn2_b64 vcc, exec, s[0:1]
	s_cbranch_vccnz .LBB39_1485
; %bb.1484:
	global_load_dword v9, v[14:15], off
.LBB39_1485:
	s_mov_b64 s[0:1], 0
.LBB39_1486:
	s_andn2_b64 vcc, exec, s[0:1]
	s_cbranch_vccnz .LBB39_1488
; %bb.1487:
	global_load_ushort v9, v[14:15], off
.LBB39_1488:
	s_mov_b64 s[0:1], 0
.LBB39_1489:
	s_andn2_b64 vcc, exec, s[0:1]
	s_cbranch_vccnz .LBB39_1495
; %bb.1490:
	s_cmp_gt_i32 s16, 0
	s_cbranch_scc0 .LBB39_1492
; %bb.1491:
	global_load_ubyte v9, v[14:15], off
	s_mov_b64 s[0:1], 0
	s_branch .LBB39_1493
.LBB39_1492:
	s_mov_b64 s[0:1], -1
                                        ; implicit-def: $vgpr9
.LBB39_1493:
	s_andn2_b64 vcc, exec, s[0:1]
	s_cbranch_vccnz .LBB39_1495
; %bb.1494:
	global_load_ubyte v9, v[14:15], off
.LBB39_1495:
.LBB39_1496:
	v_mov_b32_e32 v1, s11
	v_add_co_u32_e32 v14, vcc, s10, v7
	s_cmp_lt_i32 s16, 11
	v_addc_co_u32_e32 v15, vcc, 0, v1, vcc
	s_cbranch_scc1 .LBB39_1503
; %bb.1497:
	s_cmp_gt_i32 s16, 25
	s_mov_b64 s[6:7], 0
	s_cbranch_scc0 .LBB39_1504
; %bb.1498:
	s_cmp_gt_i32 s16, 28
	s_cbranch_scc0 .LBB39_1505
; %bb.1499:
	s_cmp_gt_i32 s16, 43
	;; [unrolled: 3-line block ×3, first 2 shown]
	s_cbranch_scc0 .LBB39_1508
; %bb.1501:
	s_cmp_eq_u32 s16, 46
	s_mov_b64 s[12:13], 0
	s_cbranch_scc0 .LBB39_1509
; %bb.1502:
	global_load_dword v1, v[14:15], off
	s_mov_b64 s[0:1], 0
	s_mov_b64 s[10:11], -1
	s_waitcnt vmcnt(0)
	v_lshlrev_b32_e32 v1, 16, v1
	v_cvt_i32_f32_e32 v7, v1
	s_branch .LBB39_1510
.LBB39_1503:
	s_mov_b64 s[0:1], -1
	s_mov_b64 s[10:11], 0
                                        ; implicit-def: $vgpr7
	s_branch .LBB39_1572
.LBB39_1504:
	s_mov_b64 s[12:13], -1
	s_mov_b64 s[10:11], 0
	s_mov_b64 s[0:1], 0
                                        ; implicit-def: $vgpr7
	s_branch .LBB39_1537
.LBB39_1505:
	s_mov_b64 s[12:13], -1
	s_mov_b64 s[10:11], 0
	s_mov_b64 s[0:1], 0
                                        ; implicit-def: $vgpr7
	s_branch .LBB39_1520
.LBB39_1506:
	s_mov_b64 s[12:13], -1
	s_mov_b64 s[10:11], 0
	s_mov_b64 s[0:1], 0
                                        ; implicit-def: $vgpr7
	s_branch .LBB39_1515
.LBB39_1507:
	s_trap 2
	s_or_b64 s[2:3], s[2:3], exec
	s_cbranch_execz .LBB39_1446
	s_branch .LBB39_1447
.LBB39_1508:
	s_mov_b64 s[12:13], -1
	s_mov_b64 s[10:11], 0
	s_mov_b64 s[0:1], 0
                                        ; implicit-def: $vgpr7
	s_branch .LBB39_1510
.LBB39_1509:
	s_mov_b64 s[0:1], -1
                                        ; implicit-def: $vgpr7
	s_mov_b64 s[10:11], 0
.LBB39_1510:
	s_and_b64 vcc, exec, s[12:13]
	s_cbranch_vccz .LBB39_1514
; %bb.1511:
	s_cmp_eq_u32 s16, 44
	s_cbranch_scc0 .LBB39_1513
; %bb.1512:
	global_load_ubyte v1, v[14:15], off
	s_mov_b64 s[0:1], 0
	s_mov_b64 s[10:11], -1
	s_waitcnt vmcnt(0)
	v_lshlrev_b32_e32 v3, 23, v1
	v_cvt_i32_f32_e32 v3, v3
	v_cmp_ne_u32_e32 vcc, 0, v1
	v_cndmask_b32_e32 v7, 0, v3, vcc
	s_branch .LBB39_1514
.LBB39_1513:
	s_mov_b64 s[0:1], -1
                                        ; implicit-def: $vgpr7
.LBB39_1514:
	s_mov_b64 s[12:13], 0
.LBB39_1515:
	s_and_b64 vcc, exec, s[12:13]
	s_cbranch_vccz .LBB39_1519
; %bb.1516:
	s_cmp_eq_u32 s16, 29
	s_cbranch_scc0 .LBB39_1518
; %bb.1517:
	global_load_dwordx2 v[7:8], v[14:15], off
	s_mov_b64 s[0:1], 0
	s_mov_b64 s[10:11], -1
	s_branch .LBB39_1519
.LBB39_1518:
	s_mov_b64 s[0:1], -1
                                        ; implicit-def: $vgpr7
.LBB39_1519:
	s_mov_b64 s[12:13], 0
.LBB39_1520:
	s_and_b64 vcc, exec, s[12:13]
	s_cbranch_vccz .LBB39_1536
; %bb.1521:
	s_cmp_lt_i32 s16, 27
	s_cbranch_scc1 .LBB39_1524
; %bb.1522:
	s_cmp_gt_i32 s16, 27
	s_cbranch_scc0 .LBB39_1525
; %bb.1523:
	global_load_dword v7, v[14:15], off
	s_mov_b64 s[10:11], 0
	s_branch .LBB39_1526
.LBB39_1524:
	s_mov_b64 s[10:11], -1
                                        ; implicit-def: $vgpr7
	s_branch .LBB39_1529
.LBB39_1525:
	s_mov_b64 s[10:11], -1
                                        ; implicit-def: $vgpr7
.LBB39_1526:
	s_andn2_b64 vcc, exec, s[10:11]
	s_cbranch_vccnz .LBB39_1528
; %bb.1527:
	global_load_ushort v7, v[14:15], off
.LBB39_1528:
	s_mov_b64 s[10:11], 0
.LBB39_1529:
	s_andn2_b64 vcc, exec, s[10:11]
	s_cbranch_vccnz .LBB39_1535
; %bb.1530:
	global_load_ubyte v1, v[14:15], off
	s_movk_i32 s10, 0x7f
	s_mov_b64 s[12:13], 0
	s_waitcnt vmcnt(0)
	v_cmp_lt_i16_e32 vcc, s10, v1
	s_and_saveexec_b64 s[10:11], vcc
	s_xor_b64 s[10:11], exec, s[10:11]
	s_cbranch_execz .LBB39_1547
; %bb.1531:
	s_movk_i32 s12, 0x80
	v_cmp_ne_u16_e32 vcc, s12, v1
	s_and_b64 s[12:13], vcc, exec
	s_andn2_saveexec_b64 s[10:11], s[10:11]
	s_cbranch_execnz .LBB39_1548
.LBB39_1532:
	s_or_b64 exec, exec, s[10:11]
	v_mov_b32_e32 v7, 0
	s_and_saveexec_b64 s[10:11], s[12:13]
	s_cbranch_execz .LBB39_1534
.LBB39_1533:
	v_lshlrev_b32_e32 v3, 24, v1
	v_and_b32_e32 v1, 0xffff, v1
	v_and_b32_e32 v5, 7, v1
	v_ffbh_u32_e32 v8, v5
	v_min_u32_e32 v8, 32, v8
	v_subrev_u32_e32 v10, 28, v8
	v_bfe_u32 v7, v1, 3, 4
	v_lshlrev_b32_e32 v1, v10, v1
	v_sub_u32_e32 v8, 29, v8
	v_and_b32_e32 v1, 7, v1
	v_cmp_eq_u32_e32 vcc, 0, v7
	v_cndmask_b32_e32 v7, v7, v8, vcc
	v_cndmask_b32_e32 v1, v5, v1, vcc
	v_mov_b32_e32 v5, 0x3b800000
	v_lshlrev_b32_e32 v1, 20, v1
	v_and_b32_e32 v3, 0x80000000, v3
	v_lshl_add_u32 v5, v7, 23, v5
	v_or3_b32 v1, v3, v5, v1
	v_cvt_i32_f32_e32 v7, v1
.LBB39_1534:
	s_or_b64 exec, exec, s[10:11]
.LBB39_1535:
	s_mov_b64 s[10:11], -1
.LBB39_1536:
	s_mov_b64 s[12:13], 0
.LBB39_1537:
	s_and_b64 vcc, exec, s[12:13]
	s_cbranch_vccz .LBB39_1568
; %bb.1538:
	s_cmp_gt_i32 s16, 22
	s_cbranch_scc0 .LBB39_1546
; %bb.1539:
	s_cmp_lt_i32 s16, 24
	s_cbranch_scc1 .LBB39_1549
; %bb.1540:
	s_cmp_gt_i32 s16, 24
	s_cbranch_scc0 .LBB39_1550
; %bb.1541:
	global_load_ubyte v1, v[14:15], off
	s_movk_i32 s6, 0x7f
	s_mov_b64 s[10:11], 0
	s_waitcnt vmcnt(0)
	v_cmp_lt_i16_e32 vcc, s6, v1
	s_and_saveexec_b64 s[6:7], vcc
	s_xor_b64 s[6:7], exec, s[6:7]
	s_cbranch_execz .LBB39_1562
; %bb.1542:
	s_movk_i32 s10, 0x80
	v_cmp_ne_u16_e32 vcc, s10, v1
	s_and_b64 s[10:11], vcc, exec
	s_andn2_saveexec_b64 s[6:7], s[6:7]
	s_cbranch_execnz .LBB39_1563
.LBB39_1543:
	s_or_b64 exec, exec, s[6:7]
	v_mov_b32_e32 v7, 0
	s_and_saveexec_b64 s[6:7], s[10:11]
	s_cbranch_execz .LBB39_1545
.LBB39_1544:
	v_lshlrev_b32_e32 v3, 24, v1
	v_and_b32_e32 v1, 0xffff, v1
	v_and_b32_e32 v5, 3, v1
	v_ffbh_u32_e32 v8, v5
	v_min_u32_e32 v8, 32, v8
	v_subrev_u32_e32 v10, 29, v8
	v_bfe_u32 v7, v1, 2, 5
	v_lshlrev_b32_e32 v1, v10, v1
	v_sub_u32_e32 v8, 30, v8
	v_and_b32_e32 v1, 3, v1
	v_cmp_eq_u32_e32 vcc, 0, v7
	v_cndmask_b32_e32 v7, v7, v8, vcc
	v_cndmask_b32_e32 v1, v5, v1, vcc
	v_mov_b32_e32 v5, 0x37800000
	v_lshlrev_b32_e32 v1, 21, v1
	v_and_b32_e32 v3, 0x80000000, v3
	v_lshl_add_u32 v5, v7, 23, v5
	v_or3_b32 v1, v3, v5, v1
	v_cvt_i32_f32_e32 v7, v1
.LBB39_1545:
	s_or_b64 exec, exec, s[6:7]
	s_mov_b64 s[6:7], 0
	s_branch .LBB39_1551
.LBB39_1546:
	s_mov_b64 s[6:7], -1
                                        ; implicit-def: $vgpr7
	s_branch .LBB39_1557
.LBB39_1547:
	s_andn2_saveexec_b64 s[10:11], s[10:11]
	s_cbranch_execz .LBB39_1532
.LBB39_1548:
	v_cmp_ne_u16_e32 vcc, 0, v1
	s_andn2_b64 s[12:13], s[12:13], exec
	s_and_b64 s[14:15], vcc, exec
	s_or_b64 s[12:13], s[12:13], s[14:15]
	s_or_b64 exec, exec, s[10:11]
	v_mov_b32_e32 v7, 0
	s_and_saveexec_b64 s[10:11], s[12:13]
	s_cbranch_execnz .LBB39_1533
	s_branch .LBB39_1534
.LBB39_1549:
	s_mov_b64 s[6:7], -1
                                        ; implicit-def: $vgpr7
	s_branch .LBB39_1554
.LBB39_1550:
	s_mov_b64 s[6:7], -1
                                        ; implicit-def: $vgpr7
.LBB39_1551:
	s_and_b64 vcc, exec, s[6:7]
	s_cbranch_vccz .LBB39_1553
; %bb.1552:
	global_load_ubyte v1, v[14:15], off
	s_mov_b32 s6, 0x7f800000
	s_waitcnt vmcnt(0)
	v_lshlrev_b32_e32 v1, 24, v1
	v_and_b32_e32 v3, 0x7f000000, v1
	v_ffbh_u32_e32 v5, v3
	v_min_u32_e32 v5, 32, v5
	v_sub_u32_e64 v5, v5, 4 clamp
	v_lshlrev_b32_e32 v8, v5, v3
	v_lshlrev_b32_e32 v5, 23, v5
	v_lshrrev_b32_e32 v8, 4, v8
	v_add_u32_e32 v7, 0x1000000, v3
	v_sub_u32_e32 v5, v8, v5
	v_ashrrev_i32_e32 v7, 8, v7
	v_add_u32_e32 v5, 0x3c000000, v5
	v_and_or_b32 v5, v7, s6, v5
	v_cmp_ne_u32_e32 vcc, 0, v3
	v_cndmask_b32_e32 v3, 0, v5, vcc
	s_brev_b32 s6, 1
	v_and_or_b32 v1, v1, s6, v3
	v_cvt_i32_f32_e32 v7, v1
.LBB39_1553:
	s_mov_b64 s[6:7], 0
.LBB39_1554:
	s_andn2_b64 vcc, exec, s[6:7]
	s_cbranch_vccnz .LBB39_1556
; %bb.1555:
	global_load_ubyte v1, v[14:15], off
	s_movk_i32 s6, 0x7f00
	s_brev_b32 s7, 16
	s_waitcnt vmcnt(0)
	v_lshlrev_b16_e32 v3, 8, v1
	v_lshlrev_b32_e32 v1, 25, v1
	v_lshrrev_b32_e32 v5, 4, v1
	v_and_or_b32 v7, v3, s6, 0.5
	v_or_b32_e32 v5, 0x70000000, v5
	v_add_f32_e32 v7, -0.5, v7
	v_mul_f32_e32 v5, 0x7800000, v5
	v_cmp_gt_u32_e32 vcc, s7, v1
	v_bfe_i32 v3, v3, 0, 16
	v_cndmask_b32_e32 v1, v5, v7, vcc
	s_brev_b32 s6, 1
	v_and_or_b32 v1, v3, s6, v1
	v_cvt_i32_f32_e32 v7, v1
.LBB39_1556:
	s_mov_b64 s[6:7], 0
	s_mov_b64 s[10:11], -1
.LBB39_1557:
	s_andn2_b64 vcc, exec, s[6:7]
	s_mov_b64 s[6:7], 0
	s_cbranch_vccnz .LBB39_1568
; %bb.1558:
	s_cmp_gt_i32 s16, 14
	s_cbranch_scc0 .LBB39_1561
; %bb.1559:
	s_cmp_eq_u32 s16, 15
	s_cbranch_scc0 .LBB39_1564
; %bb.1560:
	global_load_ushort v1, v[14:15], off
	s_mov_b64 s[0:1], 0
	s_mov_b64 s[10:11], -1
	s_waitcnt vmcnt(0)
	v_lshlrev_b32_e32 v1, 16, v1
	v_cvt_i32_f32_e32 v7, v1
	s_branch .LBB39_1565
.LBB39_1561:
	s_mov_b64 s[12:13], -1
                                        ; implicit-def: $vgpr7
	s_branch .LBB39_1566
.LBB39_1562:
	s_andn2_saveexec_b64 s[6:7], s[6:7]
	s_cbranch_execz .LBB39_1543
.LBB39_1563:
	v_cmp_ne_u16_e32 vcc, 0, v1
	s_andn2_b64 s[10:11], s[10:11], exec
	s_and_b64 s[12:13], vcc, exec
	s_or_b64 s[10:11], s[10:11], s[12:13]
	s_or_b64 exec, exec, s[6:7]
	v_mov_b32_e32 v7, 0
	s_and_saveexec_b64 s[6:7], s[10:11]
	s_cbranch_execnz .LBB39_1544
	s_branch .LBB39_1545
.LBB39_1564:
	s_mov_b64 s[0:1], -1
                                        ; implicit-def: $vgpr7
.LBB39_1565:
	s_mov_b64 s[12:13], 0
.LBB39_1566:
	s_and_b64 vcc, exec, s[12:13]
	s_cbranch_vccz .LBB39_1568
; %bb.1567:
	s_cmp_lg_u32 s16, 11
	s_mov_b64 s[6:7], -1
	s_cselect_b64 s[0:1], -1, 0
.LBB39_1568:
	s_and_b64 vcc, exec, s[0:1]
	s_cbranch_vccnz .LBB39_2101
; %bb.1569:
	s_andn2_b64 vcc, exec, s[6:7]
	s_cbranch_vccnz .LBB39_1571
.LBB39_1570:
	global_load_ubyte v1, v[14:15], off
	s_mov_b64 s[10:11], -1
	s_waitcnt vmcnt(0)
	v_cmp_ne_u16_e32 vcc, 0, v1
	v_cndmask_b32_e64 v7, 0, 1, vcc
.LBB39_1571:
	s_mov_b64 s[0:1], 0
.LBB39_1572:
	s_and_b64 vcc, exec, s[0:1]
	s_cbranch_vccz .LBB39_1621
; %bb.1573:
	s_cmp_lt_i32 s16, 5
	s_cbranch_scc1 .LBB39_1578
; %bb.1574:
	s_cmp_lt_i32 s16, 8
	s_cbranch_scc1 .LBB39_1579
	;; [unrolled: 3-line block ×3, first 2 shown]
; %bb.1576:
	s_cmp_gt_i32 s16, 9
	s_cbranch_scc0 .LBB39_1581
; %bb.1577:
	global_load_dwordx2 v[7:8], v[14:15], off
	s_mov_b64 s[0:1], 0
	s_waitcnt vmcnt(0)
	v_cvt_i32_f64_e32 v7, v[7:8]
	s_branch .LBB39_1582
.LBB39_1578:
	s_mov_b64 s[0:1], -1
                                        ; implicit-def: $vgpr7
	s_branch .LBB39_1600
.LBB39_1579:
	s_mov_b64 s[0:1], -1
                                        ; implicit-def: $vgpr7
	s_branch .LBB39_1588
.LBB39_1580:
	s_mov_b64 s[0:1], -1
                                        ; implicit-def: $vgpr7
	s_branch .LBB39_1585
.LBB39_1581:
	s_mov_b64 s[0:1], -1
                                        ; implicit-def: $vgpr7
.LBB39_1582:
	s_andn2_b64 vcc, exec, s[0:1]
	s_cbranch_vccnz .LBB39_1584
; %bb.1583:
	global_load_dword v1, v[14:15], off
	s_waitcnt vmcnt(0)
	v_cvt_i32_f32_e32 v7, v1
.LBB39_1584:
	s_mov_b64 s[0:1], 0
.LBB39_1585:
	s_andn2_b64 vcc, exec, s[0:1]
	s_cbranch_vccnz .LBB39_1587
; %bb.1586:
	global_load_dword v1, v[14:15], off
	s_waitcnt vmcnt(0)
	v_cvt_i16_f16_e32 v7, v1
.LBB39_1587:
	s_mov_b64 s[0:1], 0
.LBB39_1588:
	s_andn2_b64 vcc, exec, s[0:1]
	s_cbranch_vccnz .LBB39_1599
; %bb.1589:
	s_cmp_lt_i32 s16, 6
	s_cbranch_scc1 .LBB39_1592
; %bb.1590:
	s_cmp_gt_i32 s16, 6
	s_cbranch_scc0 .LBB39_1593
; %bb.1591:
	global_load_dwordx2 v[7:8], v[14:15], off
	s_mov_b64 s[0:1], 0
	s_waitcnt vmcnt(0)
	v_cvt_i32_f64_e32 v7, v[7:8]
	s_branch .LBB39_1594
.LBB39_1592:
	s_mov_b64 s[0:1], -1
                                        ; implicit-def: $vgpr7
	s_branch .LBB39_1597
.LBB39_1593:
	s_mov_b64 s[0:1], -1
                                        ; implicit-def: $vgpr7
.LBB39_1594:
	s_andn2_b64 vcc, exec, s[0:1]
	s_cbranch_vccnz .LBB39_1596
; %bb.1595:
	global_load_dword v1, v[14:15], off
	s_waitcnt vmcnt(0)
	v_cvt_i32_f32_e32 v7, v1
.LBB39_1596:
	s_mov_b64 s[0:1], 0
.LBB39_1597:
	s_andn2_b64 vcc, exec, s[0:1]
	s_cbranch_vccnz .LBB39_1599
; %bb.1598:
	global_load_ushort v1, v[14:15], off
	s_waitcnt vmcnt(0)
	v_cvt_i16_f16_e32 v7, v1
.LBB39_1599:
	s_mov_b64 s[0:1], 0
.LBB39_1600:
	s_andn2_b64 vcc, exec, s[0:1]
	s_cbranch_vccnz .LBB39_1620
; %bb.1601:
	s_cmp_lt_i32 s16, 2
	s_cbranch_scc1 .LBB39_1605
; %bb.1602:
	s_cmp_lt_i32 s16, 3
	s_cbranch_scc1 .LBB39_1606
; %bb.1603:
	s_cmp_gt_i32 s16, 3
	s_cbranch_scc0 .LBB39_1607
; %bb.1604:
	global_load_dwordx2 v[7:8], v[14:15], off
	s_mov_b64 s[0:1], 0
	s_branch .LBB39_1608
.LBB39_1605:
	s_mov_b64 s[0:1], -1
                                        ; implicit-def: $vgpr7
	s_branch .LBB39_1614
.LBB39_1606:
	s_mov_b64 s[0:1], -1
                                        ; implicit-def: $vgpr7
	s_branch .LBB39_1611
.LBB39_1607:
	s_mov_b64 s[0:1], -1
                                        ; implicit-def: $vgpr7
.LBB39_1608:
	s_andn2_b64 vcc, exec, s[0:1]
	s_cbranch_vccnz .LBB39_1610
; %bb.1609:
	global_load_dword v7, v[14:15], off
.LBB39_1610:
	s_mov_b64 s[0:1], 0
.LBB39_1611:
	s_andn2_b64 vcc, exec, s[0:1]
	s_cbranch_vccnz .LBB39_1613
; %bb.1612:
	global_load_ushort v7, v[14:15], off
.LBB39_1613:
	s_mov_b64 s[0:1], 0
.LBB39_1614:
	s_andn2_b64 vcc, exec, s[0:1]
	s_cbranch_vccnz .LBB39_1620
; %bb.1615:
	s_cmp_gt_i32 s16, 0
	s_cbranch_scc0 .LBB39_1617
; %bb.1616:
	global_load_ubyte v7, v[14:15], off
	s_mov_b64 s[0:1], 0
	s_branch .LBB39_1618
.LBB39_1617:
	s_mov_b64 s[0:1], -1
                                        ; implicit-def: $vgpr7
.LBB39_1618:
	s_andn2_b64 vcc, exec, s[0:1]
	s_cbranch_vccnz .LBB39_1620
; %bb.1619:
	global_load_ubyte v7, v[14:15], off
.LBB39_1620:
	s_mov_b64 s[10:11], -1
.LBB39_1621:
	s_andn2_b64 vcc, exec, s[10:11]
	s_cbranch_vccnz .LBB39_2055
; %bb.1622:
	s_load_dword s0, s[34:35], 0x158
	s_load_dword s1, s[4:5], 0x160
	s_waitcnt lgkmcnt(0)
	s_lshr_b32 s15, s0, 16
	s_lshr_b32 s17, s0, 8
	s_bfe_i32 s16, s0, 0x80000
	v_mov_b32_e32 v1, s17
	v_mov_b32_e32 v3, s15
	v_cmp_gt_i16_sdwa vcc, sext(v13), s16 src0_sel:BYTE_0 src1_sel:DWORD
	s_lshr_b32 s14, s1, 24
	v_cndmask_b32_e32 v1, v1, v3, vcc
	v_mov_b32_e32 v3, s9
	v_add_co_u32_e32 v5, vcc, s8, v6
	s_cmp_lt_i32 s14, 11
	v_addc_co_u32_e32 v6, vcc, 0, v3, vcc
	s_cbranch_scc1 .LBB39_1700
; %bb.1623:
	s_and_b32 s18, 0xffff, s14
	s_mov_b64 s[10:11], -1
	s_mov_b64 s[4:5], 0
	s_cmp_gt_i32 s18, 25
	s_mov_b64 s[6:7], 0
	s_mov_b64 s[0:1], 0
	s_cbranch_scc0 .LBB39_1656
; %bb.1624:
	s_cmp_gt_i32 s18, 28
	s_cbranch_scc0 .LBB39_1639
; %bb.1625:
	s_cmp_gt_i32 s18, 43
	;; [unrolled: 3-line block ×3, first 2 shown]
	s_cbranch_scc0 .LBB39_1629
; %bb.1627:
	s_mov_b64 s[0:1], -1
	s_mov_b64 s[10:11], 0
	s_cmp_eq_u32 s18, 46
	s_cbranch_scc0 .LBB39_1629
; %bb.1628:
	v_bfe_i32 v3, v1, 0, 8
	v_cvt_f32_i32_sdwa v3, sext(v3) dst_sel:DWORD dst_unused:UNUSED_PAD src0_sel:WORD_0
	s_movk_i32 s6, 0x7fff
	s_mov_b64 s[0:1], 0
	s_waitcnt vmcnt(0)
	v_bfe_u32 v8, v3, 16, 1
	v_add3_u32 v3, v3, v8, s6
	v_lshrrev_b32_e32 v3, 16, v3
	global_store_dword v[5:6], v3, off
	s_mov_b64 s[6:7], -1
.LBB39_1629:
	s_and_b64 vcc, exec, s[10:11]
	s_cbranch_vccz .LBB39_1634
; %bb.1630:
	s_cmp_eq_u32 s18, 44
	s_mov_b64 s[0:1], -1
	s_cbranch_scc0 .LBB39_1634
; %bb.1631:
	v_bfe_i32 v3, v1, 0, 8
	v_cvt_f32_i32_sdwa v3, sext(v3) dst_sel:DWORD dst_unused:UNUSED_PAD src0_sel:WORD_0
	s_movk_i32 s0, 0xff
	s_waitcnt vmcnt(0)
	v_mov_b32_e32 v10, 0xff
	v_bfe_u32 v8, v3, 23, 8
	v_cmp_ne_u32_e32 vcc, s0, v8
	s_and_saveexec_b64 s[6:7], vcc
; %bb.1632:
	s_mov_b32 s0, 0x3fffff
	v_lshrrev_b32_e32 v10, 23, v3
	v_and_b32_e32 v12, 0x400000, v3
	v_and_or_b32 v3, v3, s0, v8
	v_cmp_ne_u32_e32 vcc, 0, v12
	v_cmp_ne_u32_e64 s[0:1], 0, v3
	s_and_b64 s[0:1], vcc, s[0:1]
	v_cndmask_b32_e64 v3, 0, 1, s[0:1]
	v_add_u32_e32 v10, v10, v3
; %bb.1633:
	s_or_b64 exec, exec, s[6:7]
	s_mov_b64 s[0:1], 0
	s_mov_b64 s[6:7], -1
	global_store_byte v[5:6], v10, off
.LBB39_1634:
	s_mov_b64 s[10:11], 0
.LBB39_1635:
	s_and_b64 vcc, exec, s[10:11]
	s_cbranch_vccz .LBB39_1638
; %bb.1636:
	s_cmp_eq_u32 s18, 29
	s_mov_b64 s[0:1], -1
	s_cbranch_scc0 .LBB39_1638
; %bb.1637:
	s_waitcnt vmcnt(0)
	v_bfe_i32 v12, v1, 0, 8
	v_ashrrev_i32_e32 v13, 31, v12
	global_store_dwordx2 v[5:6], v[12:13], off
	s_mov_b64 s[0:1], 0
	s_mov_b64 s[6:7], -1
.LBB39_1638:
	s_mov_b64 s[10:11], 0
.LBB39_1639:
	s_and_b64 vcc, exec, s[10:11]
	s_cbranch_vccz .LBB39_1655
; %bb.1640:
	s_cmp_lt_i32 s18, 27
	s_mov_b64 s[6:7], -1
	s_cbranch_scc1 .LBB39_1646
; %bb.1641:
	s_cmp_gt_i32 s18, 27
	s_cbranch_scc0 .LBB39_1643
; %bb.1642:
	v_bfe_i32 v3, v1, 0, 8
	s_mov_b64 s[6:7], 0
	global_store_dword v[5:6], v3, off
.LBB39_1643:
	s_andn2_b64 vcc, exec, s[6:7]
	s_cbranch_vccnz .LBB39_1645
; %bb.1644:
	v_bfe_i32 v3, v1, 0, 8
	global_store_short v[5:6], v3, off
.LBB39_1645:
	s_mov_b64 s[6:7], 0
.LBB39_1646:
	s_andn2_b64 vcc, exec, s[6:7]
	s_cbranch_vccnz .LBB39_1654
; %bb.1647:
	v_bfe_i32 v3, v1, 0, 8
	v_cvt_f32_i32_sdwa v3, sext(v3) dst_sel:DWORD dst_unused:UNUSED_PAD src0_sel:WORD_0
	s_mov_b32 s6, 0x43800000
	s_waitcnt vmcnt(0)
	v_mov_b32_e32 v10, 0x80
	v_and_b32_e32 v8, 0x7fffffff, v3
	v_cmp_gt_u32_e32 vcc, s6, v8
	s_and_saveexec_b64 s[6:7], vcc
	s_cbranch_execz .LBB39_1653
; %bb.1648:
	s_mov_b32 s10, 0x3bffffff
	v_cmp_lt_u32_e32 vcc, s10, v8
	s_mov_b64 s[10:11], 0
                                        ; implicit-def: $vgpr8
	s_and_saveexec_b64 s[12:13], vcc
	s_xor_b64 s[12:13], exec, s[12:13]
	s_cbranch_execz .LBB39_2102
; %bb.1649:
	v_bfe_u32 v8, v3, 20, 1
	s_mov_b32 s19, 0x487ffff
	v_add3_u32 v8, v3, v8, s19
	s_mov_b64 s[10:11], exec
	v_lshrrev_b32_e32 v8, 20, v8
	s_andn2_saveexec_b64 s[12:13], s[12:13]
	s_cbranch_execnz .LBB39_2103
.LBB39_1650:
	s_or_b64 exec, exec, s[12:13]
	v_mov_b32_e32 v10, 0
	s_and_saveexec_b64 s[12:13], s[10:11]
.LBB39_1651:
	v_lshrrev_b32_e32 v3, 24, v3
	s_movk_i32 s10, 0x80
	v_and_or_b32 v10, v3, s10, v8
.LBB39_1652:
	s_or_b64 exec, exec, s[12:13]
.LBB39_1653:
	s_or_b64 exec, exec, s[6:7]
	global_store_byte v[5:6], v10, off
.LBB39_1654:
	s_mov_b64 s[6:7], -1
.LBB39_1655:
	s_mov_b64 s[10:11], 0
.LBB39_1656:
	s_and_b64 vcc, exec, s[10:11]
	s_cbranch_vccz .LBB39_1696
; %bb.1657:
	s_cmp_gt_i32 s18, 22
	s_mov_b64 s[4:5], -1
	s_cbranch_scc0 .LBB39_1689
; %bb.1658:
	s_cmp_lt_i32 s18, 24
	s_cbranch_scc1 .LBB39_1678
; %bb.1659:
	s_cmp_gt_i32 s18, 24
	s_cbranch_scc0 .LBB39_1667
; %bb.1660:
	v_bfe_i32 v3, v1, 0, 8
	v_cvt_f32_i32_sdwa v3, sext(v3) dst_sel:DWORD dst_unused:UNUSED_PAD src0_sel:WORD_0
	s_mov_b32 s4, 0x47800000
	s_waitcnt vmcnt(0)
	v_mov_b32_e32 v10, 0x80
	v_and_b32_e32 v8, 0x7fffffff, v3
	v_cmp_gt_u32_e32 vcc, s4, v8
	s_and_saveexec_b64 s[4:5], vcc
	s_cbranch_execz .LBB39_1666
; %bb.1661:
	s_mov_b32 s6, 0x37ffffff
	v_cmp_lt_u32_e32 vcc, s6, v8
	s_mov_b64 s[6:7], 0
                                        ; implicit-def: $vgpr8
	s_and_saveexec_b64 s[10:11], vcc
	s_xor_b64 s[10:11], exec, s[10:11]
	s_cbranch_execz .LBB39_2105
; %bb.1662:
	v_bfe_u32 v8, v3, 21, 1
	s_mov_b32 s12, 0x88fffff
	v_add3_u32 v8, v3, v8, s12
	s_mov_b64 s[6:7], exec
	v_lshrrev_b32_e32 v8, 21, v8
	s_andn2_saveexec_b64 s[10:11], s[10:11]
	s_cbranch_execnz .LBB39_2106
.LBB39_1663:
	s_or_b64 exec, exec, s[10:11]
	v_mov_b32_e32 v10, 0
	s_and_saveexec_b64 s[10:11], s[6:7]
.LBB39_1664:
	v_lshrrev_b32_e32 v3, 24, v3
	s_movk_i32 s6, 0x80
	v_and_or_b32 v10, v3, s6, v8
.LBB39_1665:
	s_or_b64 exec, exec, s[10:11]
.LBB39_1666:
	s_or_b64 exec, exec, s[4:5]
	s_mov_b64 s[4:5], 0
	global_store_byte v[5:6], v10, off
.LBB39_1667:
	s_and_b64 vcc, exec, s[4:5]
	s_cbranch_vccz .LBB39_1677
; %bb.1668:
	v_bfe_i32 v3, v1, 0, 8
	v_cvt_f32_i32_sdwa v3, sext(v3) dst_sel:DWORD dst_unused:UNUSED_PAD src0_sel:WORD_0
	s_mov_b32 s4, 0x43f00000
                                        ; implicit-def: $vgpr8
	s_waitcnt vmcnt(0)
	v_and_b32_e32 v10, 0x7fffffff, v3
	v_cmp_gt_u32_e32 vcc, s4, v10
	s_and_saveexec_b64 s[4:5], vcc
	s_xor_b64 s[4:5], exec, s[4:5]
	s_cbranch_execz .LBB39_1674
; %bb.1669:
	s_mov_b32 s6, 0x3c7fffff
	v_cmp_lt_u32_e32 vcc, s6, v10
                                        ; implicit-def: $vgpr8
	s_and_saveexec_b64 s[6:7], vcc
	s_xor_b64 s[6:7], exec, s[6:7]
; %bb.1670:
	v_bfe_u32 v8, v3, 20, 1
	s_mov_b32 s10, 0x407ffff
	v_add3_u32 v8, v3, v8, s10
	v_lshrrev_b32_e32 v10, 20, v8
	v_and_b32_e32 v8, 0xff00000, v8
	s_mov_b32 s10, 0x7f00000
	v_mov_b32_e32 v12, 0x7e
	v_cmp_ne_u32_e32 vcc, s10, v8
	v_cndmask_b32_e32 v8, v12, v10, vcc
; %bb.1671:
	s_andn2_saveexec_b64 s[6:7], s[6:7]
; %bb.1672:
	s_mov_b32 s10, 0x46800000
	v_add_f32_e64 v8, |v3|, s10
; %bb.1673:
	s_or_b64 exec, exec, s[6:7]
                                        ; implicit-def: $vgpr10
.LBB39_1674:
	s_andn2_saveexec_b64 s[4:5], s[4:5]
; %bb.1675:
	s_mov_b32 s6, 0x7f800000
	v_mov_b32_e32 v8, 0x7e
	v_mov_b32_e32 v12, 0x7f
	v_cmp_lt_u32_e32 vcc, s6, v10
	v_cndmask_b32_e32 v8, v8, v12, vcc
; %bb.1676:
	s_or_b64 exec, exec, s[4:5]
	v_lshrrev_b32_e32 v3, 24, v3
	s_movk_i32 s4, 0x80
	v_and_or_b32 v3, v3, s4, v8
	global_store_byte v[5:6], v3, off
.LBB39_1677:
	s_mov_b64 s[4:5], 0
.LBB39_1678:
	s_andn2_b64 vcc, exec, s[4:5]
	s_cbranch_vccnz .LBB39_1688
; %bb.1679:
	v_bfe_i32 v3, v1, 0, 8
	v_cvt_f32_i32_sdwa v3, sext(v3) dst_sel:DWORD dst_unused:UNUSED_PAD src0_sel:WORD_0
	s_mov_b32 s4, 0x47800000
                                        ; implicit-def: $vgpr8
	s_waitcnt vmcnt(0)
	v_and_b32_e32 v10, 0x7fffffff, v3
	v_cmp_gt_u32_e32 vcc, s4, v10
	s_and_saveexec_b64 s[4:5], vcc
	s_xor_b64 s[4:5], exec, s[4:5]
	s_cbranch_execz .LBB39_1685
; %bb.1680:
	s_mov_b32 s6, 0x387fffff
	v_cmp_lt_u32_e32 vcc, s6, v10
                                        ; implicit-def: $vgpr8
	s_and_saveexec_b64 s[6:7], vcc
	s_xor_b64 s[6:7], exec, s[6:7]
; %bb.1681:
	v_bfe_u32 v8, v3, 21, 1
	s_mov_b32 s10, 0x80fffff
	v_add3_u32 v8, v3, v8, s10
	v_lshrrev_b32_e32 v8, 21, v8
; %bb.1682:
	s_andn2_saveexec_b64 s[6:7], s[6:7]
; %bb.1683:
	s_mov_b32 s10, 0x43000000
	v_add_f32_e64 v8, |v3|, s10
; %bb.1684:
	s_or_b64 exec, exec, s[6:7]
                                        ; implicit-def: $vgpr10
.LBB39_1685:
	s_andn2_saveexec_b64 s[4:5], s[4:5]
; %bb.1686:
	s_mov_b32 s6, 0x7f800000
	v_mov_b32_e32 v8, 0x7c
	v_mov_b32_e32 v12, 0x7f
	v_cmp_lt_u32_e32 vcc, s6, v10
	v_cndmask_b32_e32 v8, v8, v12, vcc
; %bb.1687:
	s_or_b64 exec, exec, s[4:5]
	v_lshrrev_b32_e32 v3, 24, v3
	s_movk_i32 s4, 0x80
	v_and_or_b32 v3, v3, s4, v8
	global_store_byte v[5:6], v3, off
.LBB39_1688:
	s_mov_b64 s[4:5], 0
	s_mov_b64 s[6:7], -1
.LBB39_1689:
	s_andn2_b64 vcc, exec, s[4:5]
	s_mov_b64 s[4:5], 0
	s_cbranch_vccnz .LBB39_1696
; %bb.1690:
	s_cmp_gt_i32 s18, 14
	s_mov_b64 s[10:11], -1
	s_cbranch_scc0 .LBB39_1694
; %bb.1691:
	s_cmp_eq_u32 s18, 15
	s_mov_b64 s[0:1], -1
	s_cbranch_scc0 .LBB39_1693
; %bb.1692:
	v_bfe_i32 v3, v1, 0, 8
	v_cvt_f32_i32_sdwa v3, sext(v3) dst_sel:DWORD dst_unused:UNUSED_PAD src0_sel:WORD_0
	s_movk_i32 s4, 0x7fff
	s_mov_b64 s[0:1], 0
	s_mov_b64 s[6:7], -1
	s_waitcnt vmcnt(0)
	v_bfe_u32 v8, v3, 16, 1
	v_add3_u32 v3, v3, v8, s4
	global_store_short_d16_hi v[5:6], v3, off
.LBB39_1693:
	s_mov_b64 s[10:11], 0
.LBB39_1694:
	s_mov_b64 s[4:5], 0
	s_and_b64 vcc, exec, s[10:11]
	s_cbranch_vccz .LBB39_1696
; %bb.1695:
	s_cmp_lg_u32 s18, 11
	s_mov_b64 s[4:5], -1
	s_cselect_b64 s[0:1], -1, 0
.LBB39_1696:
	s_and_b64 vcc, exec, s[0:1]
	s_cbranch_vccnz .LBB39_2104
; %bb.1697:
	s_andn2_b64 vcc, exec, s[4:5]
	s_cbranch_vccnz .LBB39_1699
.LBB39_1698:
	v_mov_b32_e32 v3, 0
	v_cmp_ne_u16_sdwa s[0:1], v1, v3 src0_sel:BYTE_0 src1_sel:DWORD
	v_cndmask_b32_e64 v3, 0, 1, s[0:1]
	s_mov_b64 s[6:7], -1
	global_store_byte v[5:6], v3, off
.LBB39_1699:
	s_mov_b64 s[0:1], 0
	s_branch .LBB39_1701
.LBB39_1700:
	s_mov_b64 s[0:1], -1
	s_mov_b64 s[6:7], 0
.LBB39_1701:
	s_and_b64 vcc, exec, s[0:1]
	s_cbranch_vccz .LBB39_1740
; %bb.1702:
	s_and_b32 s4, 0xffff, s14
	s_cmp_lt_i32 s4, 5
	s_mov_b64 s[0:1], -1
	s_cbranch_scc1 .LBB39_1723
; %bb.1703:
	s_cmp_lt_i32 s4, 8
	s_cbranch_scc1 .LBB39_1713
; %bb.1704:
	s_cmp_lt_i32 s4, 9
	s_cbranch_scc1 .LBB39_1710
; %bb.1705:
	s_cmp_gt_i32 s4, 9
	s_cbranch_scc0 .LBB39_1707
; %bb.1706:
	v_bfe_i32 v3, v1, 0, 8
	v_bfe_i32 v3, v3, 0, 16
	s_waitcnt vmcnt(0)
	v_cvt_f64_i32_e32 v[12:13], v3
	v_mov_b32_e32 v14, 0
	v_mov_b32_e32 v15, v14
	s_mov_b64 s[0:1], 0
	global_store_dwordx4 v[5:6], v[12:15], off
.LBB39_1707:
	s_andn2_b64 vcc, exec, s[0:1]
	s_cbranch_vccnz .LBB39_1709
; %bb.1708:
	v_bfe_i32 v3, v1, 0, 8
	s_waitcnt vmcnt(0)
	v_cvt_f32_i32_sdwa v12, sext(v3) dst_sel:DWORD dst_unused:UNUSED_PAD src0_sel:WORD_0
	v_mov_b32_e32 v13, 0
	global_store_dwordx2 v[5:6], v[12:13], off
.LBB39_1709:
	s_mov_b64 s[0:1], 0
.LBB39_1710:
	s_andn2_b64 vcc, exec, s[0:1]
	s_cbranch_vccnz .LBB39_1712
; %bb.1711:
	v_cvt_f16_i16_sdwa v3, sext(v1) dst_sel:DWORD dst_unused:UNUSED_PAD src0_sel:BYTE_0
	global_store_dword v[5:6], v3, off
.LBB39_1712:
	s_mov_b64 s[0:1], 0
.LBB39_1713:
	s_andn2_b64 vcc, exec, s[0:1]
	s_cbranch_vccnz .LBB39_1722
; %bb.1714:
	s_cmp_lt_i32 s4, 6
	s_mov_b64 s[0:1], -1
	s_cbranch_scc1 .LBB39_1720
; %bb.1715:
	s_cmp_gt_i32 s4, 6
	s_cbranch_scc0 .LBB39_1717
; %bb.1716:
	v_bfe_i32 v3, v1, 0, 8
	v_bfe_i32 v3, v3, 0, 16
	s_waitcnt vmcnt(0)
	v_cvt_f64_i32_e32 v[12:13], v3
	s_mov_b64 s[0:1], 0
	global_store_dwordx2 v[5:6], v[12:13], off
.LBB39_1717:
	s_andn2_b64 vcc, exec, s[0:1]
	s_cbranch_vccnz .LBB39_1719
; %bb.1718:
	v_bfe_i32 v3, v1, 0, 8
	v_cvt_f32_i32_sdwa v3, sext(v3) dst_sel:DWORD dst_unused:UNUSED_PAD src0_sel:WORD_0
	global_store_dword v[5:6], v3, off
.LBB39_1719:
	s_mov_b64 s[0:1], 0
.LBB39_1720:
	s_andn2_b64 vcc, exec, s[0:1]
	s_cbranch_vccnz .LBB39_1722
; %bb.1721:
	v_cvt_f16_i16_sdwa v3, sext(v1) dst_sel:DWORD dst_unused:UNUSED_PAD src0_sel:BYTE_0
	global_store_short v[5:6], v3, off
.LBB39_1722:
	s_mov_b64 s[0:1], 0
.LBB39_1723:
	s_andn2_b64 vcc, exec, s[0:1]
	s_cbranch_vccnz .LBB39_1739
; %bb.1724:
	s_cmp_lt_i32 s4, 2
	s_mov_b64 s[0:1], -1
	s_cbranch_scc1 .LBB39_1734
; %bb.1725:
	s_cmp_lt_i32 s4, 3
	s_cbranch_scc1 .LBB39_1731
; %bb.1726:
	s_cmp_gt_i32 s4, 3
	s_cbranch_scc0 .LBB39_1728
; %bb.1727:
	s_waitcnt vmcnt(0)
	v_bfe_i32 v12, v1, 0, 8
	v_ashrrev_i32_e32 v13, 31, v12
	global_store_dwordx2 v[5:6], v[12:13], off
	s_mov_b64 s[0:1], 0
.LBB39_1728:
	s_andn2_b64 vcc, exec, s[0:1]
	s_cbranch_vccnz .LBB39_1730
; %bb.1729:
	v_bfe_i32 v3, v1, 0, 8
	global_store_dword v[5:6], v3, off
.LBB39_1730:
	s_mov_b64 s[0:1], 0
.LBB39_1731:
	s_andn2_b64 vcc, exec, s[0:1]
	s_cbranch_vccnz .LBB39_1733
; %bb.1732:
	v_bfe_i32 v3, v1, 0, 8
	global_store_short v[5:6], v3, off
.LBB39_1733:
	s_mov_b64 s[0:1], 0
.LBB39_1734:
	s_andn2_b64 vcc, exec, s[0:1]
	s_cbranch_vccnz .LBB39_1739
; %bb.1735:
	s_cmp_gt_i32 s4, 0
	s_mov_b64 s[0:1], -1
	s_cbranch_scc0 .LBB39_1737
; %bb.1736:
	global_store_byte v[5:6], v1, off
	s_mov_b64 s[0:1], 0
.LBB39_1737:
	s_andn2_b64 vcc, exec, s[0:1]
	s_cbranch_vccnz .LBB39_1739
; %bb.1738:
	global_store_byte v[5:6], v1, off
.LBB39_1739:
	s_mov_b64 s[6:7], -1
.LBB39_1740:
	s_andn2_b64 vcc, exec, s[6:7]
	s_cbranch_vccnz .LBB39_2055
; %bb.1741:
	v_mov_b32_e32 v1, s17
	v_mov_b32_e32 v3, s15
	s_waitcnt vmcnt(0)
	v_cmp_gt_i16_sdwa vcc, sext(v11), s16 src0_sel:BYTE_0 src1_sel:DWORD
	v_cndmask_b32_e32 v1, v1, v3, vcc
	v_mov_b32_e32 v5, s9
	s_and_b32 s18, 0xffff, s14
	v_add_co_u32_e32 v3, vcc, s8, v4
	s_cmp_lt_i32 s18, 11
	v_addc_co_u32_e32 v4, vcc, 0, v5, vcc
	s_cbranch_scc1 .LBB39_1819
; %bb.1742:
	s_mov_b64 s[10:11], -1
	s_mov_b64 s[4:5], 0
	s_cmp_gt_i32 s18, 25
	s_mov_b64 s[6:7], 0
	s_mov_b64 s[0:1], 0
	s_cbranch_scc0 .LBB39_1775
; %bb.1743:
	s_cmp_gt_i32 s18, 28
	s_cbranch_scc0 .LBB39_1758
; %bb.1744:
	s_cmp_gt_i32 s18, 43
	s_cbranch_scc0 .LBB39_1754
; %bb.1745:
	s_cmp_gt_i32 s18, 45
	s_cbranch_scc0 .LBB39_1748
; %bb.1746:
	s_mov_b64 s[0:1], -1
	s_mov_b64 s[10:11], 0
	s_cmp_eq_u32 s18, 46
	s_cbranch_scc0 .LBB39_1748
; %bb.1747:
	v_bfe_i32 v5, v1, 0, 8
	v_cvt_f32_i32_sdwa v5, sext(v5) dst_sel:DWORD dst_unused:UNUSED_PAD src0_sel:WORD_0
	s_movk_i32 s6, 0x7fff
	s_mov_b64 s[0:1], 0
	v_bfe_u32 v6, v5, 16, 1
	v_add3_u32 v5, v5, v6, s6
	v_lshrrev_b32_e32 v5, 16, v5
	global_store_dword v[3:4], v5, off
	s_mov_b64 s[6:7], -1
.LBB39_1748:
	s_and_b64 vcc, exec, s[10:11]
	s_cbranch_vccz .LBB39_1753
; %bb.1749:
	s_cmp_eq_u32 s18, 44
	s_mov_b64 s[0:1], -1
	s_cbranch_scc0 .LBB39_1753
; %bb.1750:
	v_bfe_i32 v5, v1, 0, 8
	v_cvt_f32_i32_sdwa v5, sext(v5) dst_sel:DWORD dst_unused:UNUSED_PAD src0_sel:WORD_0
	s_movk_i32 s0, 0xff
	v_mov_b32_e32 v8, 0xff
	v_bfe_u32 v6, v5, 23, 8
	v_cmp_ne_u32_e32 vcc, s0, v6
	s_and_saveexec_b64 s[6:7], vcc
; %bb.1751:
	s_mov_b32 s0, 0x3fffff
	v_lshrrev_b32_e32 v8, 23, v5
	v_and_b32_e32 v10, 0x400000, v5
	v_and_or_b32 v5, v5, s0, v6
	v_cmp_ne_u32_e32 vcc, 0, v10
	v_cmp_ne_u32_e64 s[0:1], 0, v5
	s_and_b64 s[0:1], vcc, s[0:1]
	v_cndmask_b32_e64 v5, 0, 1, s[0:1]
	v_add_u32_e32 v8, v8, v5
; %bb.1752:
	s_or_b64 exec, exec, s[6:7]
	s_mov_b64 s[0:1], 0
	s_mov_b64 s[6:7], -1
	global_store_byte v[3:4], v8, off
.LBB39_1753:
	s_mov_b64 s[10:11], 0
.LBB39_1754:
	s_and_b64 vcc, exec, s[10:11]
	s_cbranch_vccz .LBB39_1757
; %bb.1755:
	s_cmp_eq_u32 s18, 29
	s_mov_b64 s[0:1], -1
	s_cbranch_scc0 .LBB39_1757
; %bb.1756:
	v_bfe_i32 v5, v1, 0, 8
	v_ashrrev_i32_e32 v6, 31, v5
	global_store_dwordx2 v[3:4], v[5:6], off
	s_mov_b64 s[0:1], 0
	s_mov_b64 s[6:7], -1
.LBB39_1757:
	s_mov_b64 s[10:11], 0
.LBB39_1758:
	s_and_b64 vcc, exec, s[10:11]
	s_cbranch_vccz .LBB39_1774
; %bb.1759:
	s_cmp_lt_i32 s18, 27
	s_mov_b64 s[6:7], -1
	s_cbranch_scc1 .LBB39_1765
; %bb.1760:
	s_cmp_gt_i32 s18, 27
	s_cbranch_scc0 .LBB39_1762
; %bb.1761:
	v_bfe_i32 v5, v1, 0, 8
	s_mov_b64 s[6:7], 0
	global_store_dword v[3:4], v5, off
.LBB39_1762:
	s_andn2_b64 vcc, exec, s[6:7]
	s_cbranch_vccnz .LBB39_1764
; %bb.1763:
	v_bfe_i32 v5, v1, 0, 8
	global_store_short v[3:4], v5, off
.LBB39_1764:
	s_mov_b64 s[6:7], 0
.LBB39_1765:
	s_andn2_b64 vcc, exec, s[6:7]
	s_cbranch_vccnz .LBB39_1773
; %bb.1766:
	v_bfe_i32 v5, v1, 0, 8
	v_cvt_f32_i32_sdwa v5, sext(v5) dst_sel:DWORD dst_unused:UNUSED_PAD src0_sel:WORD_0
	s_mov_b32 s6, 0x43800000
	v_mov_b32_e32 v8, 0x80
	v_and_b32_e32 v6, 0x7fffffff, v5
	v_cmp_gt_u32_e32 vcc, s6, v6
	s_and_saveexec_b64 s[6:7], vcc
	s_cbranch_execz .LBB39_1772
; %bb.1767:
	s_mov_b32 s10, 0x3bffffff
	v_cmp_lt_u32_e32 vcc, s10, v6
	s_mov_b64 s[10:11], 0
                                        ; implicit-def: $vgpr6
	s_and_saveexec_b64 s[12:13], vcc
	s_xor_b64 s[12:13], exec, s[12:13]
	s_cbranch_execz .LBB39_2107
; %bb.1768:
	v_bfe_u32 v6, v5, 20, 1
	s_mov_b32 s19, 0x487ffff
	v_add3_u32 v6, v5, v6, s19
	s_mov_b64 s[10:11], exec
	v_lshrrev_b32_e32 v6, 20, v6
	s_andn2_saveexec_b64 s[12:13], s[12:13]
	s_cbranch_execnz .LBB39_2108
.LBB39_1769:
	s_or_b64 exec, exec, s[12:13]
	v_mov_b32_e32 v8, 0
	s_and_saveexec_b64 s[12:13], s[10:11]
.LBB39_1770:
	v_lshrrev_b32_e32 v5, 24, v5
	s_movk_i32 s10, 0x80
	v_and_or_b32 v8, v5, s10, v6
.LBB39_1771:
	s_or_b64 exec, exec, s[12:13]
.LBB39_1772:
	s_or_b64 exec, exec, s[6:7]
	global_store_byte v[3:4], v8, off
.LBB39_1773:
	s_mov_b64 s[6:7], -1
.LBB39_1774:
	s_mov_b64 s[10:11], 0
.LBB39_1775:
	s_and_b64 vcc, exec, s[10:11]
	s_cbranch_vccz .LBB39_1815
; %bb.1776:
	s_cmp_gt_i32 s18, 22
	s_mov_b64 s[4:5], -1
	s_cbranch_scc0 .LBB39_1808
; %bb.1777:
	s_cmp_lt_i32 s18, 24
	s_cbranch_scc1 .LBB39_1797
; %bb.1778:
	s_cmp_gt_i32 s18, 24
	s_cbranch_scc0 .LBB39_1786
; %bb.1779:
	v_bfe_i32 v5, v1, 0, 8
	v_cvt_f32_i32_sdwa v5, sext(v5) dst_sel:DWORD dst_unused:UNUSED_PAD src0_sel:WORD_0
	s_mov_b32 s4, 0x47800000
	v_mov_b32_e32 v8, 0x80
	v_and_b32_e32 v6, 0x7fffffff, v5
	v_cmp_gt_u32_e32 vcc, s4, v6
	s_and_saveexec_b64 s[4:5], vcc
	s_cbranch_execz .LBB39_1785
; %bb.1780:
	s_mov_b32 s6, 0x37ffffff
	v_cmp_lt_u32_e32 vcc, s6, v6
	s_mov_b64 s[6:7], 0
                                        ; implicit-def: $vgpr6
	s_and_saveexec_b64 s[10:11], vcc
	s_xor_b64 s[10:11], exec, s[10:11]
	s_cbranch_execz .LBB39_2110
; %bb.1781:
	v_bfe_u32 v6, v5, 21, 1
	s_mov_b32 s12, 0x88fffff
	v_add3_u32 v6, v5, v6, s12
	s_mov_b64 s[6:7], exec
	v_lshrrev_b32_e32 v6, 21, v6
	s_andn2_saveexec_b64 s[10:11], s[10:11]
	s_cbranch_execnz .LBB39_2111
.LBB39_1782:
	s_or_b64 exec, exec, s[10:11]
	v_mov_b32_e32 v8, 0
	s_and_saveexec_b64 s[10:11], s[6:7]
.LBB39_1783:
	v_lshrrev_b32_e32 v5, 24, v5
	s_movk_i32 s6, 0x80
	v_and_or_b32 v8, v5, s6, v6
.LBB39_1784:
	s_or_b64 exec, exec, s[10:11]
.LBB39_1785:
	s_or_b64 exec, exec, s[4:5]
	s_mov_b64 s[4:5], 0
	global_store_byte v[3:4], v8, off
.LBB39_1786:
	s_and_b64 vcc, exec, s[4:5]
	s_cbranch_vccz .LBB39_1796
; %bb.1787:
	v_bfe_i32 v5, v1, 0, 8
	v_cvt_f32_i32_sdwa v5, sext(v5) dst_sel:DWORD dst_unused:UNUSED_PAD src0_sel:WORD_0
	s_mov_b32 s4, 0x43f00000
                                        ; implicit-def: $vgpr6
	v_and_b32_e32 v8, 0x7fffffff, v5
	v_cmp_gt_u32_e32 vcc, s4, v8
	s_and_saveexec_b64 s[4:5], vcc
	s_xor_b64 s[4:5], exec, s[4:5]
	s_cbranch_execz .LBB39_1793
; %bb.1788:
	s_mov_b32 s6, 0x3c7fffff
	v_cmp_lt_u32_e32 vcc, s6, v8
                                        ; implicit-def: $vgpr6
	s_and_saveexec_b64 s[6:7], vcc
	s_xor_b64 s[6:7], exec, s[6:7]
; %bb.1789:
	v_bfe_u32 v6, v5, 20, 1
	s_mov_b32 s10, 0x407ffff
	v_add3_u32 v6, v5, v6, s10
	v_lshrrev_b32_e32 v8, 20, v6
	v_and_b32_e32 v6, 0xff00000, v6
	s_mov_b32 s10, 0x7f00000
	v_mov_b32_e32 v10, 0x7e
	v_cmp_ne_u32_e32 vcc, s10, v6
	v_cndmask_b32_e32 v6, v10, v8, vcc
; %bb.1790:
	s_andn2_saveexec_b64 s[6:7], s[6:7]
; %bb.1791:
	s_mov_b32 s10, 0x46800000
	v_add_f32_e64 v6, |v5|, s10
; %bb.1792:
	s_or_b64 exec, exec, s[6:7]
                                        ; implicit-def: $vgpr8
.LBB39_1793:
	s_andn2_saveexec_b64 s[4:5], s[4:5]
; %bb.1794:
	s_mov_b32 s6, 0x7f800000
	v_mov_b32_e32 v6, 0x7e
	v_mov_b32_e32 v10, 0x7f
	v_cmp_lt_u32_e32 vcc, s6, v8
	v_cndmask_b32_e32 v6, v6, v10, vcc
; %bb.1795:
	s_or_b64 exec, exec, s[4:5]
	v_lshrrev_b32_e32 v5, 24, v5
	s_movk_i32 s4, 0x80
	v_and_or_b32 v5, v5, s4, v6
	global_store_byte v[3:4], v5, off
.LBB39_1796:
	s_mov_b64 s[4:5], 0
.LBB39_1797:
	s_andn2_b64 vcc, exec, s[4:5]
	s_cbranch_vccnz .LBB39_1807
; %bb.1798:
	v_bfe_i32 v5, v1, 0, 8
	v_cvt_f32_i32_sdwa v5, sext(v5) dst_sel:DWORD dst_unused:UNUSED_PAD src0_sel:WORD_0
	s_mov_b32 s4, 0x47800000
                                        ; implicit-def: $vgpr6
	v_and_b32_e32 v8, 0x7fffffff, v5
	v_cmp_gt_u32_e32 vcc, s4, v8
	s_and_saveexec_b64 s[4:5], vcc
	s_xor_b64 s[4:5], exec, s[4:5]
	s_cbranch_execz .LBB39_1804
; %bb.1799:
	s_mov_b32 s6, 0x387fffff
	v_cmp_lt_u32_e32 vcc, s6, v8
                                        ; implicit-def: $vgpr6
	s_and_saveexec_b64 s[6:7], vcc
	s_xor_b64 s[6:7], exec, s[6:7]
; %bb.1800:
	v_bfe_u32 v6, v5, 21, 1
	s_mov_b32 s10, 0x80fffff
	v_add3_u32 v6, v5, v6, s10
	v_lshrrev_b32_e32 v6, 21, v6
; %bb.1801:
	s_andn2_saveexec_b64 s[6:7], s[6:7]
; %bb.1802:
	s_mov_b32 s10, 0x43000000
	v_add_f32_e64 v6, |v5|, s10
; %bb.1803:
	s_or_b64 exec, exec, s[6:7]
                                        ; implicit-def: $vgpr8
.LBB39_1804:
	s_andn2_saveexec_b64 s[4:5], s[4:5]
; %bb.1805:
	s_mov_b32 s6, 0x7f800000
	v_mov_b32_e32 v6, 0x7c
	v_mov_b32_e32 v10, 0x7f
	v_cmp_lt_u32_e32 vcc, s6, v8
	v_cndmask_b32_e32 v6, v6, v10, vcc
; %bb.1806:
	s_or_b64 exec, exec, s[4:5]
	v_lshrrev_b32_e32 v5, 24, v5
	s_movk_i32 s4, 0x80
	v_and_or_b32 v5, v5, s4, v6
	global_store_byte v[3:4], v5, off
.LBB39_1807:
	s_mov_b64 s[4:5], 0
	s_mov_b64 s[6:7], -1
.LBB39_1808:
	s_andn2_b64 vcc, exec, s[4:5]
	s_mov_b64 s[4:5], 0
	s_cbranch_vccnz .LBB39_1815
; %bb.1809:
	s_cmp_gt_i32 s18, 14
	s_mov_b64 s[10:11], -1
	s_cbranch_scc0 .LBB39_1813
; %bb.1810:
	s_cmp_eq_u32 s18, 15
	s_mov_b64 s[0:1], -1
	s_cbranch_scc0 .LBB39_1812
; %bb.1811:
	v_bfe_i32 v5, v1, 0, 8
	v_cvt_f32_i32_sdwa v5, sext(v5) dst_sel:DWORD dst_unused:UNUSED_PAD src0_sel:WORD_0
	s_movk_i32 s4, 0x7fff
	s_mov_b64 s[0:1], 0
	s_mov_b64 s[6:7], -1
	v_bfe_u32 v6, v5, 16, 1
	v_add3_u32 v5, v5, v6, s4
	global_store_short_d16_hi v[3:4], v5, off
.LBB39_1812:
	s_mov_b64 s[10:11], 0
.LBB39_1813:
	s_mov_b64 s[4:5], 0
	s_and_b64 vcc, exec, s[10:11]
	s_cbranch_vccz .LBB39_1815
; %bb.1814:
	s_cmp_lg_u32 s18, 11
	s_mov_b64 s[4:5], -1
	s_cselect_b64 s[0:1], -1, 0
.LBB39_1815:
	s_and_b64 vcc, exec, s[0:1]
	s_cbranch_vccnz .LBB39_2109
; %bb.1816:
	s_andn2_b64 vcc, exec, s[4:5]
	s_cbranch_vccnz .LBB39_1818
.LBB39_1817:
	v_mov_b32_e32 v5, 0
	v_cmp_ne_u16_sdwa s[0:1], v1, v5 src0_sel:BYTE_0 src1_sel:DWORD
	v_cndmask_b32_e64 v5, 0, 1, s[0:1]
	s_mov_b64 s[6:7], -1
	global_store_byte v[3:4], v5, off
.LBB39_1818:
	s_mov_b64 s[0:1], 0
	s_branch .LBB39_1820
.LBB39_1819:
	s_mov_b64 s[0:1], -1
	s_mov_b64 s[6:7], 0
.LBB39_1820:
	s_and_b64 vcc, exec, s[0:1]
	s_cbranch_vccz .LBB39_1859
; %bb.1821:
	s_cmp_lt_i32 s18, 5
	s_mov_b64 s[0:1], -1
	s_cbranch_scc1 .LBB39_1842
; %bb.1822:
	s_cmp_lt_i32 s18, 8
	s_cbranch_scc1 .LBB39_1832
; %bb.1823:
	s_cmp_lt_i32 s18, 9
	s_cbranch_scc1 .LBB39_1829
; %bb.1824:
	s_cmp_gt_i32 s18, 9
	s_cbranch_scc0 .LBB39_1826
; %bb.1825:
	v_bfe_i32 v5, v1, 0, 8
	v_bfe_i32 v5, v5, 0, 16
	v_cvt_f64_i32_e32 v[10:11], v5
	v_mov_b32_e32 v12, 0
	v_mov_b32_e32 v13, v12
	s_mov_b64 s[0:1], 0
	global_store_dwordx4 v[3:4], v[10:13], off
.LBB39_1826:
	s_andn2_b64 vcc, exec, s[0:1]
	s_cbranch_vccnz .LBB39_1828
; %bb.1827:
	v_bfe_i32 v5, v1, 0, 8
	v_cvt_f32_i32_sdwa v5, sext(v5) dst_sel:DWORD dst_unused:UNUSED_PAD src0_sel:WORD_0
	v_mov_b32_e32 v6, 0
	global_store_dwordx2 v[3:4], v[5:6], off
.LBB39_1828:
	s_mov_b64 s[0:1], 0
.LBB39_1829:
	s_andn2_b64 vcc, exec, s[0:1]
	s_cbranch_vccnz .LBB39_1831
; %bb.1830:
	v_cvt_f16_i16_sdwa v5, sext(v1) dst_sel:DWORD dst_unused:UNUSED_PAD src0_sel:BYTE_0
	global_store_dword v[3:4], v5, off
.LBB39_1831:
	s_mov_b64 s[0:1], 0
.LBB39_1832:
	s_andn2_b64 vcc, exec, s[0:1]
	s_cbranch_vccnz .LBB39_1841
; %bb.1833:
	s_cmp_lt_i32 s18, 6
	s_mov_b64 s[0:1], -1
	s_cbranch_scc1 .LBB39_1839
; %bb.1834:
	s_cmp_gt_i32 s18, 6
	s_cbranch_scc0 .LBB39_1836
; %bb.1835:
	v_bfe_i32 v5, v1, 0, 8
	v_bfe_i32 v5, v5, 0, 16
	v_cvt_f64_i32_e32 v[5:6], v5
	s_mov_b64 s[0:1], 0
	global_store_dwordx2 v[3:4], v[5:6], off
.LBB39_1836:
	s_andn2_b64 vcc, exec, s[0:1]
	s_cbranch_vccnz .LBB39_1838
; %bb.1837:
	v_bfe_i32 v5, v1, 0, 8
	v_cvt_f32_i32_sdwa v5, sext(v5) dst_sel:DWORD dst_unused:UNUSED_PAD src0_sel:WORD_0
	global_store_dword v[3:4], v5, off
.LBB39_1838:
	s_mov_b64 s[0:1], 0
.LBB39_1839:
	s_andn2_b64 vcc, exec, s[0:1]
	s_cbranch_vccnz .LBB39_1841
; %bb.1840:
	v_cvt_f16_i16_sdwa v5, sext(v1) dst_sel:DWORD dst_unused:UNUSED_PAD src0_sel:BYTE_0
	global_store_short v[3:4], v5, off
.LBB39_1841:
	s_mov_b64 s[0:1], 0
.LBB39_1842:
	s_andn2_b64 vcc, exec, s[0:1]
	s_cbranch_vccnz .LBB39_1858
; %bb.1843:
	s_cmp_lt_i32 s18, 2
	s_mov_b64 s[0:1], -1
	s_cbranch_scc1 .LBB39_1853
; %bb.1844:
	s_cmp_lt_i32 s18, 3
	s_cbranch_scc1 .LBB39_1850
; %bb.1845:
	s_cmp_gt_i32 s18, 3
	s_cbranch_scc0 .LBB39_1847
; %bb.1846:
	v_bfe_i32 v5, v1, 0, 8
	v_ashrrev_i32_e32 v6, 31, v5
	global_store_dwordx2 v[3:4], v[5:6], off
	s_mov_b64 s[0:1], 0
.LBB39_1847:
	s_andn2_b64 vcc, exec, s[0:1]
	s_cbranch_vccnz .LBB39_1849
; %bb.1848:
	v_bfe_i32 v5, v1, 0, 8
	global_store_dword v[3:4], v5, off
.LBB39_1849:
	s_mov_b64 s[0:1], 0
.LBB39_1850:
	s_andn2_b64 vcc, exec, s[0:1]
	s_cbranch_vccnz .LBB39_1852
; %bb.1851:
	v_bfe_i32 v5, v1, 0, 8
	global_store_short v[3:4], v5, off
.LBB39_1852:
	s_mov_b64 s[0:1], 0
.LBB39_1853:
	s_andn2_b64 vcc, exec, s[0:1]
	s_cbranch_vccnz .LBB39_1858
; %bb.1854:
	s_cmp_gt_i32 s18, 0
	s_mov_b64 s[0:1], -1
	s_cbranch_scc0 .LBB39_1856
; %bb.1855:
	global_store_byte v[3:4], v1, off
	s_mov_b64 s[0:1], 0
.LBB39_1856:
	s_andn2_b64 vcc, exec, s[0:1]
	s_cbranch_vccnz .LBB39_1858
; %bb.1857:
	global_store_byte v[3:4], v1, off
.LBB39_1858:
	s_mov_b64 s[6:7], -1
.LBB39_1859:
	s_andn2_b64 vcc, exec, s[6:7]
	s_cbranch_vccnz .LBB39_2055
; %bb.1860:
	v_mov_b32_e32 v1, s17
	v_mov_b32_e32 v3, s15
	v_cmp_gt_i16_sdwa vcc, sext(v9), s16 src0_sel:BYTE_0 src1_sel:DWORD
	v_cndmask_b32_e32 v3, v1, v3, vcc
	v_mov_b32_e32 v4, s9
	v_add_co_u32_e32 v1, vcc, s8, v2
	s_cmp_lt_i32 s18, 11
	v_addc_co_u32_e32 v2, vcc, 0, v4, vcc
	s_cbranch_scc1 .LBB39_1938
; %bb.1861:
	s_mov_b64 s[10:11], -1
	s_mov_b64 s[4:5], 0
	s_cmp_gt_i32 s18, 25
	s_mov_b64 s[6:7], 0
	s_mov_b64 s[0:1], 0
	s_cbranch_scc0 .LBB39_1894
; %bb.1862:
	s_cmp_gt_i32 s18, 28
	s_cbranch_scc0 .LBB39_1877
; %bb.1863:
	s_cmp_gt_i32 s18, 43
	;; [unrolled: 3-line block ×3, first 2 shown]
	s_cbranch_scc0 .LBB39_1867
; %bb.1865:
	s_mov_b64 s[0:1], -1
	s_mov_b64 s[10:11], 0
	s_cmp_eq_u32 s18, 46
	s_cbranch_scc0 .LBB39_1867
; %bb.1866:
	v_bfe_i32 v4, v3, 0, 8
	v_cvt_f32_i32_sdwa v4, sext(v4) dst_sel:DWORD dst_unused:UNUSED_PAD src0_sel:WORD_0
	s_movk_i32 s6, 0x7fff
	s_mov_b64 s[0:1], 0
	v_bfe_u32 v5, v4, 16, 1
	v_add3_u32 v4, v4, v5, s6
	v_lshrrev_b32_e32 v4, 16, v4
	global_store_dword v[1:2], v4, off
	s_mov_b64 s[6:7], -1
.LBB39_1867:
	s_and_b64 vcc, exec, s[10:11]
	s_cbranch_vccz .LBB39_1872
; %bb.1868:
	s_cmp_eq_u32 s18, 44
	s_mov_b64 s[0:1], -1
	s_cbranch_scc0 .LBB39_1872
; %bb.1869:
	v_bfe_i32 v4, v3, 0, 8
	v_cvt_f32_i32_sdwa v4, sext(v4) dst_sel:DWORD dst_unused:UNUSED_PAD src0_sel:WORD_0
	s_movk_i32 s0, 0xff
	v_mov_b32_e32 v6, 0xff
	v_bfe_u32 v5, v4, 23, 8
	v_cmp_ne_u32_e32 vcc, s0, v5
	s_and_saveexec_b64 s[6:7], vcc
; %bb.1870:
	s_mov_b32 s0, 0x3fffff
	v_lshrrev_b32_e32 v6, 23, v4
	v_and_b32_e32 v8, 0x400000, v4
	v_and_or_b32 v4, v4, s0, v5
	v_cmp_ne_u32_e32 vcc, 0, v8
	v_cmp_ne_u32_e64 s[0:1], 0, v4
	s_and_b64 s[0:1], vcc, s[0:1]
	v_cndmask_b32_e64 v4, 0, 1, s[0:1]
	v_add_u32_e32 v6, v6, v4
; %bb.1871:
	s_or_b64 exec, exec, s[6:7]
	s_mov_b64 s[0:1], 0
	s_mov_b64 s[6:7], -1
	global_store_byte v[1:2], v6, off
.LBB39_1872:
	s_mov_b64 s[10:11], 0
.LBB39_1873:
	s_and_b64 vcc, exec, s[10:11]
	s_cbranch_vccz .LBB39_1876
; %bb.1874:
	s_cmp_eq_u32 s18, 29
	s_mov_b64 s[0:1], -1
	s_cbranch_scc0 .LBB39_1876
; %bb.1875:
	v_bfe_i32 v4, v3, 0, 8
	v_ashrrev_i32_e32 v5, 31, v4
	global_store_dwordx2 v[1:2], v[4:5], off
	s_mov_b64 s[0:1], 0
	s_mov_b64 s[6:7], -1
.LBB39_1876:
	s_mov_b64 s[10:11], 0
.LBB39_1877:
	s_and_b64 vcc, exec, s[10:11]
	s_cbranch_vccz .LBB39_1893
; %bb.1878:
	s_cmp_lt_i32 s18, 27
	s_mov_b64 s[6:7], -1
	s_cbranch_scc1 .LBB39_1884
; %bb.1879:
	s_cmp_gt_i32 s18, 27
	s_cbranch_scc0 .LBB39_1881
; %bb.1880:
	v_bfe_i32 v4, v3, 0, 8
	s_mov_b64 s[6:7], 0
	global_store_dword v[1:2], v4, off
.LBB39_1881:
	s_andn2_b64 vcc, exec, s[6:7]
	s_cbranch_vccnz .LBB39_1883
; %bb.1882:
	v_bfe_i32 v4, v3, 0, 8
	global_store_short v[1:2], v4, off
.LBB39_1883:
	s_mov_b64 s[6:7], 0
.LBB39_1884:
	s_andn2_b64 vcc, exec, s[6:7]
	s_cbranch_vccnz .LBB39_1892
; %bb.1885:
	v_bfe_i32 v4, v3, 0, 8
	v_cvt_f32_i32_sdwa v4, sext(v4) dst_sel:DWORD dst_unused:UNUSED_PAD src0_sel:WORD_0
	s_mov_b32 s6, 0x43800000
	v_mov_b32_e32 v6, 0x80
	v_and_b32_e32 v5, 0x7fffffff, v4
	v_cmp_gt_u32_e32 vcc, s6, v5
	s_and_saveexec_b64 s[6:7], vcc
	s_cbranch_execz .LBB39_1891
; %bb.1886:
	s_mov_b32 s10, 0x3bffffff
	v_cmp_lt_u32_e32 vcc, s10, v5
	s_mov_b64 s[10:11], 0
                                        ; implicit-def: $vgpr5
	s_and_saveexec_b64 s[12:13], vcc
	s_xor_b64 s[12:13], exec, s[12:13]
	s_cbranch_execz .LBB39_2112
; %bb.1887:
	v_bfe_u32 v5, v4, 20, 1
	s_mov_b32 s19, 0x487ffff
	v_add3_u32 v5, v4, v5, s19
	s_mov_b64 s[10:11], exec
	v_lshrrev_b32_e32 v5, 20, v5
	s_andn2_saveexec_b64 s[12:13], s[12:13]
	s_cbranch_execnz .LBB39_2113
.LBB39_1888:
	s_or_b64 exec, exec, s[12:13]
	v_mov_b32_e32 v6, 0
	s_and_saveexec_b64 s[12:13], s[10:11]
.LBB39_1889:
	v_lshrrev_b32_e32 v4, 24, v4
	s_movk_i32 s10, 0x80
	v_and_or_b32 v6, v4, s10, v5
.LBB39_1890:
	s_or_b64 exec, exec, s[12:13]
.LBB39_1891:
	s_or_b64 exec, exec, s[6:7]
	global_store_byte v[1:2], v6, off
.LBB39_1892:
	s_mov_b64 s[6:7], -1
.LBB39_1893:
	s_mov_b64 s[10:11], 0
.LBB39_1894:
	s_and_b64 vcc, exec, s[10:11]
	s_cbranch_vccz .LBB39_1934
; %bb.1895:
	s_cmp_gt_i32 s18, 22
	s_mov_b64 s[4:5], -1
	s_cbranch_scc0 .LBB39_1927
; %bb.1896:
	s_cmp_lt_i32 s18, 24
	s_cbranch_scc1 .LBB39_1916
; %bb.1897:
	s_cmp_gt_i32 s18, 24
	s_cbranch_scc0 .LBB39_1905
; %bb.1898:
	v_bfe_i32 v4, v3, 0, 8
	v_cvt_f32_i32_sdwa v4, sext(v4) dst_sel:DWORD dst_unused:UNUSED_PAD src0_sel:WORD_0
	s_mov_b32 s4, 0x47800000
	v_mov_b32_e32 v6, 0x80
	v_and_b32_e32 v5, 0x7fffffff, v4
	v_cmp_gt_u32_e32 vcc, s4, v5
	s_and_saveexec_b64 s[4:5], vcc
	s_cbranch_execz .LBB39_1904
; %bb.1899:
	s_mov_b32 s6, 0x37ffffff
	v_cmp_lt_u32_e32 vcc, s6, v5
	s_mov_b64 s[6:7], 0
                                        ; implicit-def: $vgpr5
	s_and_saveexec_b64 s[10:11], vcc
	s_xor_b64 s[10:11], exec, s[10:11]
	s_cbranch_execz .LBB39_2115
; %bb.1900:
	v_bfe_u32 v5, v4, 21, 1
	s_mov_b32 s12, 0x88fffff
	v_add3_u32 v5, v4, v5, s12
	s_mov_b64 s[6:7], exec
	v_lshrrev_b32_e32 v5, 21, v5
	s_andn2_saveexec_b64 s[10:11], s[10:11]
	s_cbranch_execnz .LBB39_2116
.LBB39_1901:
	s_or_b64 exec, exec, s[10:11]
	v_mov_b32_e32 v6, 0
	s_and_saveexec_b64 s[10:11], s[6:7]
.LBB39_1902:
	v_lshrrev_b32_e32 v4, 24, v4
	s_movk_i32 s6, 0x80
	v_and_or_b32 v6, v4, s6, v5
.LBB39_1903:
	s_or_b64 exec, exec, s[10:11]
.LBB39_1904:
	s_or_b64 exec, exec, s[4:5]
	s_mov_b64 s[4:5], 0
	global_store_byte v[1:2], v6, off
.LBB39_1905:
	s_and_b64 vcc, exec, s[4:5]
	s_cbranch_vccz .LBB39_1915
; %bb.1906:
	v_bfe_i32 v4, v3, 0, 8
	v_cvt_f32_i32_sdwa v4, sext(v4) dst_sel:DWORD dst_unused:UNUSED_PAD src0_sel:WORD_0
	s_mov_b32 s4, 0x43f00000
                                        ; implicit-def: $vgpr5
	v_and_b32_e32 v6, 0x7fffffff, v4
	v_cmp_gt_u32_e32 vcc, s4, v6
	s_and_saveexec_b64 s[4:5], vcc
	s_xor_b64 s[4:5], exec, s[4:5]
	s_cbranch_execz .LBB39_1912
; %bb.1907:
	s_mov_b32 s6, 0x3c7fffff
	v_cmp_lt_u32_e32 vcc, s6, v6
                                        ; implicit-def: $vgpr5
	s_and_saveexec_b64 s[6:7], vcc
	s_xor_b64 s[6:7], exec, s[6:7]
; %bb.1908:
	v_bfe_u32 v5, v4, 20, 1
	s_mov_b32 s10, 0x407ffff
	v_add3_u32 v5, v4, v5, s10
	v_lshrrev_b32_e32 v6, 20, v5
	v_and_b32_e32 v5, 0xff00000, v5
	s_mov_b32 s10, 0x7f00000
	v_mov_b32_e32 v8, 0x7e
	v_cmp_ne_u32_e32 vcc, s10, v5
	v_cndmask_b32_e32 v5, v8, v6, vcc
; %bb.1909:
	s_andn2_saveexec_b64 s[6:7], s[6:7]
; %bb.1910:
	s_mov_b32 s10, 0x46800000
	v_add_f32_e64 v5, |v4|, s10
; %bb.1911:
	s_or_b64 exec, exec, s[6:7]
                                        ; implicit-def: $vgpr6
.LBB39_1912:
	s_andn2_saveexec_b64 s[4:5], s[4:5]
; %bb.1913:
	s_mov_b32 s6, 0x7f800000
	v_mov_b32_e32 v5, 0x7e
	v_mov_b32_e32 v8, 0x7f
	v_cmp_lt_u32_e32 vcc, s6, v6
	v_cndmask_b32_e32 v5, v5, v8, vcc
; %bb.1914:
	s_or_b64 exec, exec, s[4:5]
	v_lshrrev_b32_e32 v4, 24, v4
	s_movk_i32 s4, 0x80
	v_and_or_b32 v4, v4, s4, v5
	global_store_byte v[1:2], v4, off
.LBB39_1915:
	s_mov_b64 s[4:5], 0
.LBB39_1916:
	s_andn2_b64 vcc, exec, s[4:5]
	s_cbranch_vccnz .LBB39_1926
; %bb.1917:
	v_bfe_i32 v4, v3, 0, 8
	v_cvt_f32_i32_sdwa v4, sext(v4) dst_sel:DWORD dst_unused:UNUSED_PAD src0_sel:WORD_0
	s_mov_b32 s4, 0x47800000
                                        ; implicit-def: $vgpr5
	v_and_b32_e32 v6, 0x7fffffff, v4
	v_cmp_gt_u32_e32 vcc, s4, v6
	s_and_saveexec_b64 s[4:5], vcc
	s_xor_b64 s[4:5], exec, s[4:5]
	s_cbranch_execz .LBB39_1923
; %bb.1918:
	s_mov_b32 s6, 0x387fffff
	v_cmp_lt_u32_e32 vcc, s6, v6
                                        ; implicit-def: $vgpr5
	s_and_saveexec_b64 s[6:7], vcc
	s_xor_b64 s[6:7], exec, s[6:7]
; %bb.1919:
	v_bfe_u32 v5, v4, 21, 1
	s_mov_b32 s10, 0x80fffff
	v_add3_u32 v5, v4, v5, s10
	v_lshrrev_b32_e32 v5, 21, v5
; %bb.1920:
	s_andn2_saveexec_b64 s[6:7], s[6:7]
; %bb.1921:
	s_mov_b32 s10, 0x43000000
	v_add_f32_e64 v5, |v4|, s10
; %bb.1922:
	s_or_b64 exec, exec, s[6:7]
                                        ; implicit-def: $vgpr6
.LBB39_1923:
	s_andn2_saveexec_b64 s[4:5], s[4:5]
; %bb.1924:
	s_mov_b32 s6, 0x7f800000
	v_mov_b32_e32 v5, 0x7c
	v_mov_b32_e32 v8, 0x7f
	v_cmp_lt_u32_e32 vcc, s6, v6
	v_cndmask_b32_e32 v5, v5, v8, vcc
; %bb.1925:
	s_or_b64 exec, exec, s[4:5]
	v_lshrrev_b32_e32 v4, 24, v4
	s_movk_i32 s4, 0x80
	v_and_or_b32 v4, v4, s4, v5
	global_store_byte v[1:2], v4, off
.LBB39_1926:
	s_mov_b64 s[4:5], 0
	s_mov_b64 s[6:7], -1
.LBB39_1927:
	s_andn2_b64 vcc, exec, s[4:5]
	s_mov_b64 s[4:5], 0
	s_cbranch_vccnz .LBB39_1934
; %bb.1928:
	s_cmp_gt_i32 s18, 14
	s_mov_b64 s[10:11], -1
	s_cbranch_scc0 .LBB39_1932
; %bb.1929:
	s_cmp_eq_u32 s18, 15
	s_mov_b64 s[0:1], -1
	s_cbranch_scc0 .LBB39_1931
; %bb.1930:
	v_bfe_i32 v4, v3, 0, 8
	v_cvt_f32_i32_sdwa v4, sext(v4) dst_sel:DWORD dst_unused:UNUSED_PAD src0_sel:WORD_0
	s_movk_i32 s4, 0x7fff
	s_mov_b64 s[0:1], 0
	s_mov_b64 s[6:7], -1
	v_bfe_u32 v5, v4, 16, 1
	v_add3_u32 v4, v4, v5, s4
	global_store_short_d16_hi v[1:2], v4, off
.LBB39_1931:
	s_mov_b64 s[10:11], 0
.LBB39_1932:
	s_mov_b64 s[4:5], 0
	s_and_b64 vcc, exec, s[10:11]
	s_cbranch_vccz .LBB39_1934
; %bb.1933:
	s_cmp_lg_u32 s18, 11
	s_mov_b64 s[4:5], -1
	s_cselect_b64 s[0:1], -1, 0
.LBB39_1934:
	s_and_b64 vcc, exec, s[0:1]
	s_cbranch_vccnz .LBB39_2114
; %bb.1935:
	s_andn2_b64 vcc, exec, s[4:5]
	s_cbranch_vccnz .LBB39_1937
.LBB39_1936:
	v_mov_b32_e32 v4, 0
	v_cmp_ne_u16_sdwa s[0:1], v3, v4 src0_sel:BYTE_0 src1_sel:DWORD
	v_cndmask_b32_e64 v4, 0, 1, s[0:1]
	s_mov_b64 s[6:7], -1
	global_store_byte v[1:2], v4, off
.LBB39_1937:
	s_mov_b64 s[0:1], 0
	s_branch .LBB39_1939
.LBB39_1938:
	s_mov_b64 s[0:1], -1
	s_mov_b64 s[6:7], 0
.LBB39_1939:
	s_and_b64 vcc, exec, s[0:1]
	s_cbranch_vccz .LBB39_1978
; %bb.1940:
	s_cmp_lt_i32 s18, 5
	s_mov_b64 s[0:1], -1
	s_cbranch_scc1 .LBB39_1961
; %bb.1941:
	s_cmp_lt_i32 s18, 8
	s_cbranch_scc1 .LBB39_1951
; %bb.1942:
	s_cmp_lt_i32 s18, 9
	s_cbranch_scc1 .LBB39_1948
; %bb.1943:
	s_cmp_gt_i32 s18, 9
	s_cbranch_scc0 .LBB39_1945
; %bb.1944:
	v_bfe_i32 v4, v3, 0, 8
	v_bfe_i32 v4, v4, 0, 16
	v_cvt_f64_i32_e32 v[8:9], v4
	v_mov_b32_e32 v10, 0
	v_mov_b32_e32 v11, v10
	s_mov_b64 s[0:1], 0
	global_store_dwordx4 v[1:2], v[8:11], off
.LBB39_1945:
	s_andn2_b64 vcc, exec, s[0:1]
	s_cbranch_vccnz .LBB39_1947
; %bb.1946:
	v_bfe_i32 v4, v3, 0, 8
	v_cvt_f32_i32_sdwa v4, sext(v4) dst_sel:DWORD dst_unused:UNUSED_PAD src0_sel:WORD_0
	v_mov_b32_e32 v5, 0
	global_store_dwordx2 v[1:2], v[4:5], off
.LBB39_1947:
	s_mov_b64 s[0:1], 0
.LBB39_1948:
	s_andn2_b64 vcc, exec, s[0:1]
	s_cbranch_vccnz .LBB39_1950
; %bb.1949:
	v_cvt_f16_i16_sdwa v4, sext(v3) dst_sel:DWORD dst_unused:UNUSED_PAD src0_sel:BYTE_0
	global_store_dword v[1:2], v4, off
.LBB39_1950:
	s_mov_b64 s[0:1], 0
.LBB39_1951:
	s_andn2_b64 vcc, exec, s[0:1]
	s_cbranch_vccnz .LBB39_1960
; %bb.1952:
	s_cmp_lt_i32 s18, 6
	s_mov_b64 s[0:1], -1
	s_cbranch_scc1 .LBB39_1958
; %bb.1953:
	s_cmp_gt_i32 s18, 6
	s_cbranch_scc0 .LBB39_1955
; %bb.1954:
	v_bfe_i32 v4, v3, 0, 8
	v_bfe_i32 v4, v4, 0, 16
	v_cvt_f64_i32_e32 v[4:5], v4
	s_mov_b64 s[0:1], 0
	global_store_dwordx2 v[1:2], v[4:5], off
.LBB39_1955:
	s_andn2_b64 vcc, exec, s[0:1]
	s_cbranch_vccnz .LBB39_1957
; %bb.1956:
	v_bfe_i32 v4, v3, 0, 8
	v_cvt_f32_i32_sdwa v4, sext(v4) dst_sel:DWORD dst_unused:UNUSED_PAD src0_sel:WORD_0
	global_store_dword v[1:2], v4, off
.LBB39_1957:
	s_mov_b64 s[0:1], 0
.LBB39_1958:
	s_andn2_b64 vcc, exec, s[0:1]
	s_cbranch_vccnz .LBB39_1960
; %bb.1959:
	v_cvt_f16_i16_sdwa v4, sext(v3) dst_sel:DWORD dst_unused:UNUSED_PAD src0_sel:BYTE_0
	global_store_short v[1:2], v4, off
.LBB39_1960:
	s_mov_b64 s[0:1], 0
.LBB39_1961:
	s_andn2_b64 vcc, exec, s[0:1]
	s_cbranch_vccnz .LBB39_1977
; %bb.1962:
	s_cmp_lt_i32 s18, 2
	s_mov_b64 s[0:1], -1
	s_cbranch_scc1 .LBB39_1972
; %bb.1963:
	s_cmp_lt_i32 s18, 3
	s_cbranch_scc1 .LBB39_1969
; %bb.1964:
	s_cmp_gt_i32 s18, 3
	s_cbranch_scc0 .LBB39_1966
; %bb.1965:
	v_bfe_i32 v4, v3, 0, 8
	v_ashrrev_i32_e32 v5, 31, v4
	global_store_dwordx2 v[1:2], v[4:5], off
	s_mov_b64 s[0:1], 0
.LBB39_1966:
	s_andn2_b64 vcc, exec, s[0:1]
	s_cbranch_vccnz .LBB39_1968
; %bb.1967:
	v_bfe_i32 v4, v3, 0, 8
	global_store_dword v[1:2], v4, off
.LBB39_1968:
	s_mov_b64 s[0:1], 0
.LBB39_1969:
	s_andn2_b64 vcc, exec, s[0:1]
	s_cbranch_vccnz .LBB39_1971
; %bb.1970:
	v_bfe_i32 v4, v3, 0, 8
	global_store_short v[1:2], v4, off
.LBB39_1971:
	s_mov_b64 s[0:1], 0
.LBB39_1972:
	s_andn2_b64 vcc, exec, s[0:1]
	s_cbranch_vccnz .LBB39_1977
; %bb.1973:
	s_cmp_gt_i32 s18, 0
	s_mov_b64 s[0:1], -1
	s_cbranch_scc0 .LBB39_1975
; %bb.1974:
	global_store_byte v[1:2], v3, off
	s_mov_b64 s[0:1], 0
.LBB39_1975:
	s_andn2_b64 vcc, exec, s[0:1]
	s_cbranch_vccnz .LBB39_1977
; %bb.1976:
	global_store_byte v[1:2], v3, off
.LBB39_1977:
	s_mov_b64 s[6:7], -1
.LBB39_1978:
	s_andn2_b64 vcc, exec, s[6:7]
	s_cbranch_vccnz .LBB39_2055
; %bb.1979:
	v_mov_b32_e32 v1, s17
	v_mov_b32_e32 v2, s15
	v_cmp_gt_i16_sdwa vcc, sext(v7), s16 src0_sel:BYTE_0 src1_sel:DWORD
	v_cndmask_b32_e32 v2, v1, v2, vcc
	v_mov_b32_e32 v1, s9
	v_add_co_u32_e32 v0, vcc, s8, v0
	s_cmp_lt_i32 s18, 11
	v_addc_co_u32_e32 v1, vcc, 0, v1, vcc
	s_cbranch_scc1 .LBB39_2100
; %bb.1980:
	s_mov_b64 s[6:7], -1
	s_mov_b64 s[4:5], 0
	s_cmp_gt_i32 s18, 25
	s_mov_b64 s[0:1], 0
	s_cbranch_scc0 .LBB39_2013
; %bb.1981:
	s_cmp_gt_i32 s18, 28
	s_cbranch_scc0 .LBB39_1997
; %bb.1982:
	s_cmp_gt_i32 s18, 43
	;; [unrolled: 3-line block ×3, first 2 shown]
	s_cbranch_scc0 .LBB39_1987
; %bb.1984:
	s_cmp_eq_u32 s18, 46
	s_mov_b64 s[0:1], -1
	s_cbranch_scc0 .LBB39_1986
; %bb.1985:
	v_bfe_i32 v3, v2, 0, 8
	v_cvt_f32_i32_sdwa v3, sext(v3) dst_sel:DWORD dst_unused:UNUSED_PAD src0_sel:WORD_0
	s_movk_i32 s0, 0x7fff
	v_bfe_u32 v4, v3, 16, 1
	v_add3_u32 v3, v3, v4, s0
	v_lshrrev_b32_e32 v3, 16, v3
	global_store_dword v[0:1], v3, off
	s_mov_b64 s[0:1], 0
.LBB39_1986:
	s_mov_b64 s[6:7], 0
.LBB39_1987:
	s_and_b64 vcc, exec, s[6:7]
	s_cbranch_vccz .LBB39_1992
; %bb.1988:
	s_cmp_eq_u32 s18, 44
	s_mov_b64 s[0:1], -1
	s_cbranch_scc0 .LBB39_1992
; %bb.1989:
	v_bfe_i32 v3, v2, 0, 8
	v_cvt_f32_i32_sdwa v3, sext(v3) dst_sel:DWORD dst_unused:UNUSED_PAD src0_sel:WORD_0
	s_movk_i32 s0, 0xff
	v_mov_b32_e32 v5, 0xff
	v_bfe_u32 v4, v3, 23, 8
	v_cmp_ne_u32_e32 vcc, s0, v4
	s_and_saveexec_b64 s[6:7], vcc
; %bb.1990:
	s_mov_b32 s0, 0x3fffff
	v_lshrrev_b32_e32 v5, 23, v3
	v_and_b32_e32 v6, 0x400000, v3
	v_and_or_b32 v3, v3, s0, v4
	v_cmp_ne_u32_e32 vcc, 0, v6
	v_cmp_ne_u32_e64 s[0:1], 0, v3
	s_and_b64 s[0:1], vcc, s[0:1]
	v_cndmask_b32_e64 v3, 0, 1, s[0:1]
	v_add_u32_e32 v5, v5, v3
; %bb.1991:
	s_or_b64 exec, exec, s[6:7]
	s_mov_b64 s[0:1], 0
	global_store_byte v[0:1], v5, off
.LBB39_1992:
	s_mov_b64 s[6:7], 0
.LBB39_1993:
	s_and_b64 vcc, exec, s[6:7]
	s_cbranch_vccz .LBB39_1996
; %bb.1994:
	s_cmp_eq_u32 s18, 29
	s_mov_b64 s[0:1], -1
	s_cbranch_scc0 .LBB39_1996
; %bb.1995:
	v_bfe_i32 v3, v2, 0, 8
	v_ashrrev_i32_e32 v4, 31, v3
	global_store_dwordx2 v[0:1], v[3:4], off
	s_mov_b64 s[0:1], 0
.LBB39_1996:
	s_mov_b64 s[6:7], 0
.LBB39_1997:
	s_and_b64 vcc, exec, s[6:7]
	s_cbranch_vccz .LBB39_2012
; %bb.1998:
	s_cmp_lt_i32 s18, 27
	s_mov_b64 s[6:7], -1
	s_cbranch_scc1 .LBB39_2004
; %bb.1999:
	s_cmp_gt_i32 s18, 27
	s_cbranch_scc0 .LBB39_2001
; %bb.2000:
	v_bfe_i32 v3, v2, 0, 8
	global_store_dword v[0:1], v3, off
	s_mov_b64 s[6:7], 0
.LBB39_2001:
	s_andn2_b64 vcc, exec, s[6:7]
	s_cbranch_vccnz .LBB39_2003
; %bb.2002:
	v_bfe_i32 v3, v2, 0, 8
	global_store_short v[0:1], v3, off
.LBB39_2003:
	s_mov_b64 s[6:7], 0
.LBB39_2004:
	s_andn2_b64 vcc, exec, s[6:7]
	s_cbranch_vccnz .LBB39_2012
; %bb.2005:
	v_bfe_i32 v3, v2, 0, 8
	v_cvt_f32_i32_sdwa v3, sext(v3) dst_sel:DWORD dst_unused:UNUSED_PAD src0_sel:WORD_0
	s_mov_b32 s6, 0x43800000
	v_mov_b32_e32 v5, 0x80
	v_and_b32_e32 v4, 0x7fffffff, v3
	v_cmp_gt_u32_e32 vcc, s6, v4
	s_and_saveexec_b64 s[6:7], vcc
	s_cbranch_execz .LBB39_2011
; %bb.2006:
	s_mov_b32 s8, 0x3bffffff
	v_cmp_lt_u32_e32 vcc, s8, v4
	s_mov_b64 s[8:9], 0
                                        ; implicit-def: $vgpr4
	s_and_saveexec_b64 s[10:11], vcc
	s_xor_b64 s[10:11], exec, s[10:11]
	s_cbranch_execz .LBB39_2117
; %bb.2007:
	v_bfe_u32 v4, v3, 20, 1
	s_mov_b32 s12, 0x487ffff
	v_add3_u32 v4, v3, v4, s12
	s_mov_b64 s[8:9], exec
	v_lshrrev_b32_e32 v4, 20, v4
	s_andn2_saveexec_b64 s[10:11], s[10:11]
	s_cbranch_execnz .LBB39_2118
.LBB39_2008:
	s_or_b64 exec, exec, s[10:11]
	v_mov_b32_e32 v5, 0
	s_and_saveexec_b64 s[10:11], s[8:9]
.LBB39_2009:
	v_lshrrev_b32_e32 v3, 24, v3
	s_movk_i32 s8, 0x80
	v_and_or_b32 v5, v3, s8, v4
.LBB39_2010:
	s_or_b64 exec, exec, s[10:11]
.LBB39_2011:
	s_or_b64 exec, exec, s[6:7]
	global_store_byte v[0:1], v5, off
.LBB39_2012:
	s_mov_b64 s[6:7], 0
.LBB39_2013:
	s_and_b64 vcc, exec, s[6:7]
	s_cbranch_vccz .LBB39_2053
; %bb.2014:
	s_cmp_gt_i32 s18, 22
	s_mov_b64 s[4:5], -1
	s_cbranch_scc0 .LBB39_2046
; %bb.2015:
	s_cmp_lt_i32 s18, 24
	s_cbranch_scc1 .LBB39_2035
; %bb.2016:
	s_cmp_gt_i32 s18, 24
	s_cbranch_scc0 .LBB39_2024
; %bb.2017:
	v_bfe_i32 v3, v2, 0, 8
	v_cvt_f32_i32_sdwa v3, sext(v3) dst_sel:DWORD dst_unused:UNUSED_PAD src0_sel:WORD_0
	s_mov_b32 s4, 0x47800000
	v_mov_b32_e32 v5, 0x80
	v_and_b32_e32 v4, 0x7fffffff, v3
	v_cmp_gt_u32_e32 vcc, s4, v4
	s_and_saveexec_b64 s[4:5], vcc
	s_cbranch_execz .LBB39_2023
; %bb.2018:
	s_mov_b32 s6, 0x37ffffff
	v_cmp_lt_u32_e32 vcc, s6, v4
	s_mov_b64 s[6:7], 0
                                        ; implicit-def: $vgpr4
	s_and_saveexec_b64 s[8:9], vcc
	s_xor_b64 s[8:9], exec, s[8:9]
	s_cbranch_execz .LBB39_2120
; %bb.2019:
	v_bfe_u32 v4, v3, 21, 1
	s_mov_b32 s10, 0x88fffff
	v_add3_u32 v4, v3, v4, s10
	s_mov_b64 s[6:7], exec
	v_lshrrev_b32_e32 v4, 21, v4
	s_andn2_saveexec_b64 s[8:9], s[8:9]
	s_cbranch_execnz .LBB39_2121
.LBB39_2020:
	s_or_b64 exec, exec, s[8:9]
	v_mov_b32_e32 v5, 0
	s_and_saveexec_b64 s[8:9], s[6:7]
.LBB39_2021:
	v_lshrrev_b32_e32 v3, 24, v3
	s_movk_i32 s6, 0x80
	v_and_or_b32 v5, v3, s6, v4
.LBB39_2022:
	s_or_b64 exec, exec, s[8:9]
.LBB39_2023:
	s_or_b64 exec, exec, s[4:5]
	s_mov_b64 s[4:5], 0
	global_store_byte v[0:1], v5, off
.LBB39_2024:
	s_and_b64 vcc, exec, s[4:5]
	s_cbranch_vccz .LBB39_2034
; %bb.2025:
	v_bfe_i32 v3, v2, 0, 8
	v_cvt_f32_i32_sdwa v3, sext(v3) dst_sel:DWORD dst_unused:UNUSED_PAD src0_sel:WORD_0
	s_mov_b32 s4, 0x43f00000
                                        ; implicit-def: $vgpr4
	v_and_b32_e32 v5, 0x7fffffff, v3
	v_cmp_gt_u32_e32 vcc, s4, v5
	s_and_saveexec_b64 s[4:5], vcc
	s_xor_b64 s[4:5], exec, s[4:5]
	s_cbranch_execz .LBB39_2031
; %bb.2026:
	s_mov_b32 s6, 0x3c7fffff
	v_cmp_lt_u32_e32 vcc, s6, v5
                                        ; implicit-def: $vgpr4
	s_and_saveexec_b64 s[6:7], vcc
	s_xor_b64 s[6:7], exec, s[6:7]
; %bb.2027:
	v_bfe_u32 v4, v3, 20, 1
	s_mov_b32 s8, 0x407ffff
	v_add3_u32 v4, v3, v4, s8
	v_lshrrev_b32_e32 v5, 20, v4
	v_and_b32_e32 v4, 0xff00000, v4
	s_mov_b32 s8, 0x7f00000
	v_mov_b32_e32 v6, 0x7e
	v_cmp_ne_u32_e32 vcc, s8, v4
	v_cndmask_b32_e32 v4, v6, v5, vcc
; %bb.2028:
	s_andn2_saveexec_b64 s[6:7], s[6:7]
; %bb.2029:
	s_mov_b32 s8, 0x46800000
	v_add_f32_e64 v4, |v3|, s8
; %bb.2030:
	s_or_b64 exec, exec, s[6:7]
                                        ; implicit-def: $vgpr5
.LBB39_2031:
	s_andn2_saveexec_b64 s[4:5], s[4:5]
; %bb.2032:
	s_mov_b32 s6, 0x7f800000
	v_mov_b32_e32 v4, 0x7e
	v_mov_b32_e32 v6, 0x7f
	v_cmp_lt_u32_e32 vcc, s6, v5
	v_cndmask_b32_e32 v4, v4, v6, vcc
; %bb.2033:
	s_or_b64 exec, exec, s[4:5]
	v_lshrrev_b32_e32 v3, 24, v3
	s_movk_i32 s4, 0x80
	v_and_or_b32 v3, v3, s4, v4
	global_store_byte v[0:1], v3, off
.LBB39_2034:
	s_mov_b64 s[4:5], 0
.LBB39_2035:
	s_andn2_b64 vcc, exec, s[4:5]
	s_cbranch_vccnz .LBB39_2045
; %bb.2036:
	v_bfe_i32 v3, v2, 0, 8
	v_cvt_f32_i32_sdwa v3, sext(v3) dst_sel:DWORD dst_unused:UNUSED_PAD src0_sel:WORD_0
	s_mov_b32 s4, 0x47800000
                                        ; implicit-def: $vgpr4
	v_and_b32_e32 v5, 0x7fffffff, v3
	v_cmp_gt_u32_e32 vcc, s4, v5
	s_and_saveexec_b64 s[4:5], vcc
	s_xor_b64 s[4:5], exec, s[4:5]
	s_cbranch_execz .LBB39_2042
; %bb.2037:
	s_mov_b32 s6, 0x387fffff
	v_cmp_lt_u32_e32 vcc, s6, v5
                                        ; implicit-def: $vgpr4
	s_and_saveexec_b64 s[6:7], vcc
	s_xor_b64 s[6:7], exec, s[6:7]
; %bb.2038:
	v_bfe_u32 v4, v3, 21, 1
	s_mov_b32 s8, 0x80fffff
	v_add3_u32 v4, v3, v4, s8
	v_lshrrev_b32_e32 v4, 21, v4
; %bb.2039:
	s_andn2_saveexec_b64 s[6:7], s[6:7]
; %bb.2040:
	s_mov_b32 s8, 0x43000000
	v_add_f32_e64 v4, |v3|, s8
; %bb.2041:
	s_or_b64 exec, exec, s[6:7]
                                        ; implicit-def: $vgpr5
.LBB39_2042:
	s_andn2_saveexec_b64 s[4:5], s[4:5]
; %bb.2043:
	s_mov_b32 s6, 0x7f800000
	v_mov_b32_e32 v4, 0x7c
	v_mov_b32_e32 v6, 0x7f
	v_cmp_lt_u32_e32 vcc, s6, v5
	v_cndmask_b32_e32 v4, v4, v6, vcc
; %bb.2044:
	s_or_b64 exec, exec, s[4:5]
	v_lshrrev_b32_e32 v3, 24, v3
	s_movk_i32 s4, 0x80
	v_and_or_b32 v3, v3, s4, v4
	global_store_byte v[0:1], v3, off
.LBB39_2045:
	s_mov_b64 s[4:5], 0
.LBB39_2046:
	s_andn2_b64 vcc, exec, s[4:5]
	s_mov_b64 s[4:5], 0
	s_cbranch_vccnz .LBB39_2053
; %bb.2047:
	s_cmp_gt_i32 s18, 14
	s_mov_b64 s[6:7], -1
	s_cbranch_scc0 .LBB39_2051
; %bb.2048:
	s_cmp_eq_u32 s18, 15
	s_mov_b64 s[0:1], -1
	s_cbranch_scc0 .LBB39_2050
; %bb.2049:
	v_bfe_i32 v3, v2, 0, 8
	v_cvt_f32_i32_sdwa v3, sext(v3) dst_sel:DWORD dst_unused:UNUSED_PAD src0_sel:WORD_0
	s_movk_i32 s0, 0x7fff
	v_bfe_u32 v4, v3, 16, 1
	v_add3_u32 v3, v3, v4, s0
	global_store_short_d16_hi v[0:1], v3, off
	s_mov_b64 s[0:1], 0
.LBB39_2050:
	s_mov_b64 s[6:7], 0
.LBB39_2051:
	s_and_b64 vcc, exec, s[6:7]
	s_cbranch_vccz .LBB39_2053
; %bb.2052:
	s_cmp_lg_u32 s18, 11
	s_mov_b64 s[4:5], -1
	s_cselect_b64 s[0:1], -1, 0
.LBB39_2053:
	s_and_b64 vcc, exec, s[0:1]
	s_cbranch_vccnz .LBB39_2119
.LBB39_2054:
	s_mov_b64 s[0:1], 0
	s_branch .LBB39_2056
.LBB39_2055:
	s_mov_b64 s[0:1], 0
	s_mov_b64 s[4:5], 0
                                        ; implicit-def: $vgpr0_vgpr1
                                        ; implicit-def: $sgpr14
                                        ; implicit-def: $vgpr2
.LBB39_2056:
	s_and_b64 s[6:7], s[4:5], exec
	s_andn2_b64 s[4:5], s[28:29], exec
	s_and_b64 s[2:3], s[2:3], exec
	s_and_b64 s[0:1], s[0:1], exec
	s_or_b64 s[28:29], s[4:5], s[2:3]
.LBB39_2057:
	s_or_b64 exec, exec, s[30:31]
	s_and_saveexec_b64 s[2:3], s[28:29]
	s_cbranch_execz .LBB39_2060
; %bb.2058:
	; divergent unreachable
	s_or_b64 exec, exec, s[2:3]
	s_and_saveexec_b64 s[2:3], s[6:7]
	s_xor_b64 s[2:3], exec, s[2:3]
	s_cbranch_execnz .LBB39_2061
.LBB39_2059:
	s_or_b64 exec, exec, s[2:3]
	s_and_saveexec_b64 s[2:3], s[0:1]
	s_cbranch_execnz .LBB39_2062
	s_branch .LBB39_2099
.LBB39_2060:
	s_or_b64 exec, exec, s[2:3]
	s_and_saveexec_b64 s[2:3], s[6:7]
	s_xor_b64 s[2:3], exec, s[2:3]
	s_cbranch_execz .LBB39_2059
.LBB39_2061:
	s_waitcnt vmcnt(0)
	v_mov_b32_e32 v3, 0
	v_cmp_ne_u16_sdwa s[4:5], v2, v3 src0_sel:BYTE_0 src1_sel:DWORD
	v_cndmask_b32_e64 v3, 0, 1, s[4:5]
	global_store_byte v[0:1], v3, off
	s_or_b64 exec, exec, s[2:3]
	s_and_saveexec_b64 s[2:3], s[0:1]
	s_cbranch_execz .LBB39_2099
.LBB39_2062:
	s_sext_i32_i16 s2, s14
	s_cmp_lt_i32 s2, 5
	s_mov_b64 s[0:1], -1
	s_cbranch_scc1 .LBB39_2083
; %bb.2063:
	s_cmp_lt_i32 s2, 8
	s_cbranch_scc1 .LBB39_2073
; %bb.2064:
	s_cmp_lt_i32 s2, 9
	s_cbranch_scc1 .LBB39_2070
; %bb.2065:
	s_cmp_gt_i32 s2, 9
	s_cbranch_scc0 .LBB39_2067
; %bb.2066:
	s_waitcnt vmcnt(0)
	v_bfe_i32 v3, v2, 0, 8
	v_bfe_i32 v3, v3, 0, 16
	v_cvt_f64_i32_e32 v[3:4], v3
	v_mov_b32_e32 v5, 0
	v_mov_b32_e32 v6, v5
	s_mov_b64 s[0:1], 0
	global_store_dwordx4 v[0:1], v[3:6], off
.LBB39_2067:
	s_andn2_b64 vcc, exec, s[0:1]
	s_cbranch_vccnz .LBB39_2069
; %bb.2068:
	s_waitcnt vmcnt(0)
	v_bfe_i32 v3, v2, 0, 8
	v_cvt_f32_i32_sdwa v3, sext(v3) dst_sel:DWORD dst_unused:UNUSED_PAD src0_sel:WORD_0
	v_mov_b32_e32 v4, 0
	global_store_dwordx2 v[0:1], v[3:4], off
.LBB39_2069:
	s_mov_b64 s[0:1], 0
.LBB39_2070:
	s_andn2_b64 vcc, exec, s[0:1]
	s_cbranch_vccnz .LBB39_2072
; %bb.2071:
	s_waitcnt vmcnt(0)
	v_cvt_f16_i16_sdwa v3, sext(v2) dst_sel:DWORD dst_unused:UNUSED_PAD src0_sel:BYTE_0
	global_store_dword v[0:1], v3, off
.LBB39_2072:
	s_mov_b64 s[0:1], 0
.LBB39_2073:
	s_andn2_b64 vcc, exec, s[0:1]
	s_cbranch_vccnz .LBB39_2082
; %bb.2074:
	s_sext_i32_i16 s2, s14
	s_cmp_lt_i32 s2, 6
	s_mov_b64 s[0:1], -1
	s_cbranch_scc1 .LBB39_2080
; %bb.2075:
	s_cmp_gt_i32 s2, 6
	s_cbranch_scc0 .LBB39_2077
; %bb.2076:
	s_waitcnt vmcnt(0)
	v_bfe_i32 v3, v2, 0, 8
	v_bfe_i32 v3, v3, 0, 16
	v_cvt_f64_i32_e32 v[3:4], v3
	s_mov_b64 s[0:1], 0
	global_store_dwordx2 v[0:1], v[3:4], off
.LBB39_2077:
	s_andn2_b64 vcc, exec, s[0:1]
	s_cbranch_vccnz .LBB39_2079
; %bb.2078:
	s_waitcnt vmcnt(0)
	v_bfe_i32 v3, v2, 0, 8
	v_cvt_f32_i32_sdwa v3, sext(v3) dst_sel:DWORD dst_unused:UNUSED_PAD src0_sel:WORD_0
	global_store_dword v[0:1], v3, off
.LBB39_2079:
	s_mov_b64 s[0:1], 0
.LBB39_2080:
	s_andn2_b64 vcc, exec, s[0:1]
	s_cbranch_vccnz .LBB39_2082
; %bb.2081:
	s_waitcnt vmcnt(0)
	v_cvt_f16_i16_sdwa v3, sext(v2) dst_sel:DWORD dst_unused:UNUSED_PAD src0_sel:BYTE_0
	global_store_short v[0:1], v3, off
.LBB39_2082:
	s_mov_b64 s[0:1], 0
.LBB39_2083:
	s_andn2_b64 vcc, exec, s[0:1]
	s_cbranch_vccnz .LBB39_2099
; %bb.2084:
	s_sext_i32_i16 s2, s14
	s_cmp_lt_i32 s2, 2
	s_mov_b64 s[0:1], -1
	s_cbranch_scc1 .LBB39_2094
; %bb.2085:
	s_cmp_lt_i32 s2, 3
	s_cbranch_scc1 .LBB39_2091
; %bb.2086:
	s_cmp_gt_i32 s2, 3
	s_cbranch_scc0 .LBB39_2088
; %bb.2087:
	s_waitcnt vmcnt(0)
	v_bfe_i32 v3, v2, 0, 8
	v_ashrrev_i32_e32 v4, 31, v3
	global_store_dwordx2 v[0:1], v[3:4], off
	s_mov_b64 s[0:1], 0
.LBB39_2088:
	s_andn2_b64 vcc, exec, s[0:1]
	s_cbranch_vccnz .LBB39_2090
; %bb.2089:
	s_waitcnt vmcnt(0)
	v_bfe_i32 v3, v2, 0, 8
	global_store_dword v[0:1], v3, off
.LBB39_2090:
	s_mov_b64 s[0:1], 0
.LBB39_2091:
	s_andn2_b64 vcc, exec, s[0:1]
	s_cbranch_vccnz .LBB39_2093
; %bb.2092:
	s_waitcnt vmcnt(0)
	v_bfe_i32 v3, v2, 0, 8
	global_store_short v[0:1], v3, off
.LBB39_2093:
	s_mov_b64 s[0:1], 0
.LBB39_2094:
	s_andn2_b64 vcc, exec, s[0:1]
	s_cbranch_vccnz .LBB39_2099
; %bb.2095:
	s_sext_i32_i16 s0, s14
	s_cmp_gt_i32 s0, 0
	s_mov_b64 s[0:1], -1
	s_cbranch_scc0 .LBB39_2097
; %bb.2096:
	global_store_byte v[0:1], v2, off
	s_mov_b64 s[0:1], 0
.LBB39_2097:
	s_andn2_b64 vcc, exec, s[0:1]
	s_cbranch_vccnz .LBB39_2099
; %bb.2098:
	global_store_byte v[0:1], v2, off
	s_endpgm
.LBB39_2099:
	s_endpgm
.LBB39_2100:
	s_mov_b64 s[4:5], 0
	s_mov_b64 s[0:1], -1
	s_branch .LBB39_2056
.LBB39_2101:
	s_trap 2
	s_or_b64 s[2:3], s[2:3], exec
	s_cbranch_execz .LBB39_1570
	s_branch .LBB39_1571
.LBB39_2102:
	s_andn2_saveexec_b64 s[12:13], s[12:13]
	s_cbranch_execz .LBB39_1650
.LBB39_2103:
	s_mov_b32 s19, 0x46000000
	v_add_f32_e64 v8, |v3|, s19
	v_and_b32_e32 v8, 0xff, v8
	v_cmp_ne_u32_e32 vcc, 0, v8
	s_andn2_b64 s[10:11], s[10:11], exec
	s_and_b64 s[20:21], vcc, exec
	s_or_b64 s[10:11], s[10:11], s[20:21]
	s_or_b64 exec, exec, s[12:13]
	v_mov_b32_e32 v10, 0
	s_and_saveexec_b64 s[12:13], s[10:11]
	s_cbranch_execnz .LBB39_1651
	s_branch .LBB39_1652
.LBB39_2104:
	s_trap 2
	s_or_b64 s[2:3], s[2:3], exec
	s_cbranch_execz .LBB39_1698
	s_branch .LBB39_1699
.LBB39_2105:
	s_andn2_saveexec_b64 s[10:11], s[10:11]
	s_cbranch_execz .LBB39_1663
.LBB39_2106:
	s_mov_b32 s12, 0x42800000
	v_add_f32_e64 v8, |v3|, s12
	v_and_b32_e32 v8, 0xff, v8
	v_cmp_ne_u32_e32 vcc, 0, v8
	s_andn2_b64 s[6:7], s[6:7], exec
	s_and_b64 s[12:13], vcc, exec
	s_or_b64 s[6:7], s[6:7], s[12:13]
	s_or_b64 exec, exec, s[10:11]
	v_mov_b32_e32 v10, 0
	s_and_saveexec_b64 s[10:11], s[6:7]
	s_cbranch_execnz .LBB39_1664
	s_branch .LBB39_1665
.LBB39_2107:
	s_andn2_saveexec_b64 s[12:13], s[12:13]
	s_cbranch_execz .LBB39_1769
.LBB39_2108:
	s_mov_b32 s19, 0x46000000
	v_add_f32_e64 v6, |v5|, s19
	v_and_b32_e32 v6, 0xff, v6
	v_cmp_ne_u32_e32 vcc, 0, v6
	s_andn2_b64 s[10:11], s[10:11], exec
	s_and_b64 s[20:21], vcc, exec
	s_or_b64 s[10:11], s[10:11], s[20:21]
	s_or_b64 exec, exec, s[12:13]
	v_mov_b32_e32 v8, 0
	s_and_saveexec_b64 s[12:13], s[10:11]
	s_cbranch_execnz .LBB39_1770
	s_branch .LBB39_1771
.LBB39_2109:
	s_trap 2
	s_or_b64 s[2:3], s[2:3], exec
	s_cbranch_execz .LBB39_1817
	s_branch .LBB39_1818
.LBB39_2110:
	s_andn2_saveexec_b64 s[10:11], s[10:11]
	s_cbranch_execz .LBB39_1782
.LBB39_2111:
	s_mov_b32 s12, 0x42800000
	v_add_f32_e64 v6, |v5|, s12
	v_and_b32_e32 v6, 0xff, v6
	v_cmp_ne_u32_e32 vcc, 0, v6
	s_andn2_b64 s[6:7], s[6:7], exec
	s_and_b64 s[12:13], vcc, exec
	s_or_b64 s[6:7], s[6:7], s[12:13]
	s_or_b64 exec, exec, s[10:11]
	v_mov_b32_e32 v8, 0
	s_and_saveexec_b64 s[10:11], s[6:7]
	s_cbranch_execnz .LBB39_1783
	s_branch .LBB39_1784
.LBB39_2112:
	s_andn2_saveexec_b64 s[12:13], s[12:13]
	s_cbranch_execz .LBB39_1888
.LBB39_2113:
	s_mov_b32 s19, 0x46000000
	v_add_f32_e64 v5, |v4|, s19
	v_and_b32_e32 v5, 0xff, v5
	v_cmp_ne_u32_e32 vcc, 0, v5
	s_andn2_b64 s[10:11], s[10:11], exec
	s_and_b64 s[20:21], vcc, exec
	s_or_b64 s[10:11], s[10:11], s[20:21]
	s_or_b64 exec, exec, s[12:13]
	v_mov_b32_e32 v6, 0
	s_and_saveexec_b64 s[12:13], s[10:11]
	s_cbranch_execnz .LBB39_1889
	s_branch .LBB39_1890
.LBB39_2114:
	s_trap 2
	s_or_b64 s[2:3], s[2:3], exec
	s_cbranch_execz .LBB39_1936
	s_branch .LBB39_1937
.LBB39_2115:
	s_andn2_saveexec_b64 s[10:11], s[10:11]
	s_cbranch_execz .LBB39_1901
.LBB39_2116:
	s_mov_b32 s12, 0x42800000
	v_add_f32_e64 v5, |v4|, s12
	v_and_b32_e32 v5, 0xff, v5
	v_cmp_ne_u32_e32 vcc, 0, v5
	s_andn2_b64 s[6:7], s[6:7], exec
	s_and_b64 s[12:13], vcc, exec
	s_or_b64 s[6:7], s[6:7], s[12:13]
	s_or_b64 exec, exec, s[10:11]
	v_mov_b32_e32 v6, 0
	s_and_saveexec_b64 s[10:11], s[6:7]
	s_cbranch_execnz .LBB39_1902
	s_branch .LBB39_1903
.LBB39_2117:
	s_andn2_saveexec_b64 s[10:11], s[10:11]
	s_cbranch_execz .LBB39_2008
.LBB39_2118:
	s_mov_b32 s12, 0x46000000
	v_add_f32_e64 v4, |v3|, s12
	v_and_b32_e32 v4, 0xff, v4
	v_cmp_ne_u32_e32 vcc, 0, v4
	s_andn2_b64 s[8:9], s[8:9], exec
	s_and_b64 s[12:13], vcc, exec
	s_or_b64 s[8:9], s[8:9], s[12:13]
	s_or_b64 exec, exec, s[10:11]
	v_mov_b32_e32 v5, 0
	s_and_saveexec_b64 s[10:11], s[8:9]
	s_cbranch_execnz .LBB39_2009
	s_branch .LBB39_2010
.LBB39_2119:
	s_mov_b64 s[4:5], 0
	s_or_b64 s[2:3], s[2:3], exec
	s_trap 2
	s_branch .LBB39_2054
.LBB39_2120:
	s_andn2_saveexec_b64 s[8:9], s[8:9]
	s_cbranch_execz .LBB39_2020
.LBB39_2121:
	s_mov_b32 s10, 0x42800000
	v_add_f32_e64 v4, |v3|, s10
	v_and_b32_e32 v4, 0xff, v4
	v_cmp_ne_u32_e32 vcc, 0, v4
	s_andn2_b64 s[6:7], s[6:7], exec
	s_and_b64 s[10:11], vcc, exec
	s_or_b64 s[6:7], s[6:7], s[10:11]
	s_or_b64 exec, exec, s[8:9]
	v_mov_b32_e32 v5, 0
	s_and_saveexec_b64 s[8:9], s[6:7]
	s_cbranch_execnz .LBB39_2021
	s_branch .LBB39_2022
	.section	.rodata,"a",@progbits
	.p2align	6, 0x0
	.amdhsa_kernel _ZN2at6native32elementwise_kernel_manual_unrollILi128ELi4EZNS0_15gpu_kernel_implINS0_13BUnaryFunctorIaaaZNS0_12_GLOBAL__N_121threshold_kernel_implIaEEvRNS_18TensorIteratorBaseET_S8_EUlaaE_EEEEvS7_RKS8_EUlibE0_EEviT1_
		.amdhsa_group_segment_fixed_size 0
		.amdhsa_private_segment_fixed_size 0
		.amdhsa_kernarg_size 360
		.amdhsa_user_sgpr_count 6
		.amdhsa_user_sgpr_private_segment_buffer 1
		.amdhsa_user_sgpr_dispatch_ptr 0
		.amdhsa_user_sgpr_queue_ptr 0
		.amdhsa_user_sgpr_kernarg_segment_ptr 1
		.amdhsa_user_sgpr_dispatch_id 0
		.amdhsa_user_sgpr_flat_scratch_init 0
		.amdhsa_user_sgpr_private_segment_size 0
		.amdhsa_uses_dynamic_stack 0
		.amdhsa_system_sgpr_private_segment_wavefront_offset 0
		.amdhsa_system_sgpr_workgroup_id_x 1
		.amdhsa_system_sgpr_workgroup_id_y 0
		.amdhsa_system_sgpr_workgroup_id_z 0
		.amdhsa_system_sgpr_workgroup_info 0
		.amdhsa_system_vgpr_workitem_id 0
		.amdhsa_next_free_vgpr 18
		.amdhsa_next_free_sgpr 81
		.amdhsa_reserve_vcc 1
		.amdhsa_reserve_flat_scratch 0
		.amdhsa_float_round_mode_32 0
		.amdhsa_float_round_mode_16_64 0
		.amdhsa_float_denorm_mode_32 3
		.amdhsa_float_denorm_mode_16_64 3
		.amdhsa_dx10_clamp 1
		.amdhsa_ieee_mode 1
		.amdhsa_fp16_overflow 0
		.amdhsa_exception_fp_ieee_invalid_op 0
		.amdhsa_exception_fp_denorm_src 0
		.amdhsa_exception_fp_ieee_div_zero 0
		.amdhsa_exception_fp_ieee_overflow 0
		.amdhsa_exception_fp_ieee_underflow 0
		.amdhsa_exception_fp_ieee_inexact 0
		.amdhsa_exception_int_div_zero 0
	.end_amdhsa_kernel
	.section	.text._ZN2at6native32elementwise_kernel_manual_unrollILi128ELi4EZNS0_15gpu_kernel_implINS0_13BUnaryFunctorIaaaZNS0_12_GLOBAL__N_121threshold_kernel_implIaEEvRNS_18TensorIteratorBaseET_S8_EUlaaE_EEEEvS7_RKS8_EUlibE0_EEviT1_,"axG",@progbits,_ZN2at6native32elementwise_kernel_manual_unrollILi128ELi4EZNS0_15gpu_kernel_implINS0_13BUnaryFunctorIaaaZNS0_12_GLOBAL__N_121threshold_kernel_implIaEEvRNS_18TensorIteratorBaseET_S8_EUlaaE_EEEEvS7_RKS8_EUlibE0_EEviT1_,comdat
.Lfunc_end39:
	.size	_ZN2at6native32elementwise_kernel_manual_unrollILi128ELi4EZNS0_15gpu_kernel_implINS0_13BUnaryFunctorIaaaZNS0_12_GLOBAL__N_121threshold_kernel_implIaEEvRNS_18TensorIteratorBaseET_S8_EUlaaE_EEEEvS7_RKS8_EUlibE0_EEviT1_, .Lfunc_end39-_ZN2at6native32elementwise_kernel_manual_unrollILi128ELi4EZNS0_15gpu_kernel_implINS0_13BUnaryFunctorIaaaZNS0_12_GLOBAL__N_121threshold_kernel_implIaEEvRNS_18TensorIteratorBaseET_S8_EUlaaE_EEEEvS7_RKS8_EUlibE0_EEviT1_
                                        ; -- End function
	.set _ZN2at6native32elementwise_kernel_manual_unrollILi128ELi4EZNS0_15gpu_kernel_implINS0_13BUnaryFunctorIaaaZNS0_12_GLOBAL__N_121threshold_kernel_implIaEEvRNS_18TensorIteratorBaseET_S8_EUlaaE_EEEEvS7_RKS8_EUlibE0_EEviT1_.num_vgpr, 18
	.set _ZN2at6native32elementwise_kernel_manual_unrollILi128ELi4EZNS0_15gpu_kernel_implINS0_13BUnaryFunctorIaaaZNS0_12_GLOBAL__N_121threshold_kernel_implIaEEvRNS_18TensorIteratorBaseET_S8_EUlaaE_EEEEvS7_RKS8_EUlibE0_EEviT1_.num_agpr, 0
	.set _ZN2at6native32elementwise_kernel_manual_unrollILi128ELi4EZNS0_15gpu_kernel_implINS0_13BUnaryFunctorIaaaZNS0_12_GLOBAL__N_121threshold_kernel_implIaEEvRNS_18TensorIteratorBaseET_S8_EUlaaE_EEEEvS7_RKS8_EUlibE0_EEviT1_.numbered_sgpr, 81
	.set _ZN2at6native32elementwise_kernel_manual_unrollILi128ELi4EZNS0_15gpu_kernel_implINS0_13BUnaryFunctorIaaaZNS0_12_GLOBAL__N_121threshold_kernel_implIaEEvRNS_18TensorIteratorBaseET_S8_EUlaaE_EEEEvS7_RKS8_EUlibE0_EEviT1_.num_named_barrier, 0
	.set _ZN2at6native32elementwise_kernel_manual_unrollILi128ELi4EZNS0_15gpu_kernel_implINS0_13BUnaryFunctorIaaaZNS0_12_GLOBAL__N_121threshold_kernel_implIaEEvRNS_18TensorIteratorBaseET_S8_EUlaaE_EEEEvS7_RKS8_EUlibE0_EEviT1_.private_seg_size, 0
	.set _ZN2at6native32elementwise_kernel_manual_unrollILi128ELi4EZNS0_15gpu_kernel_implINS0_13BUnaryFunctorIaaaZNS0_12_GLOBAL__N_121threshold_kernel_implIaEEvRNS_18TensorIteratorBaseET_S8_EUlaaE_EEEEvS7_RKS8_EUlibE0_EEviT1_.uses_vcc, 1
	.set _ZN2at6native32elementwise_kernel_manual_unrollILi128ELi4EZNS0_15gpu_kernel_implINS0_13BUnaryFunctorIaaaZNS0_12_GLOBAL__N_121threshold_kernel_implIaEEvRNS_18TensorIteratorBaseET_S8_EUlaaE_EEEEvS7_RKS8_EUlibE0_EEviT1_.uses_flat_scratch, 0
	.set _ZN2at6native32elementwise_kernel_manual_unrollILi128ELi4EZNS0_15gpu_kernel_implINS0_13BUnaryFunctorIaaaZNS0_12_GLOBAL__N_121threshold_kernel_implIaEEvRNS_18TensorIteratorBaseET_S8_EUlaaE_EEEEvS7_RKS8_EUlibE0_EEviT1_.has_dyn_sized_stack, 0
	.set _ZN2at6native32elementwise_kernel_manual_unrollILi128ELi4EZNS0_15gpu_kernel_implINS0_13BUnaryFunctorIaaaZNS0_12_GLOBAL__N_121threshold_kernel_implIaEEvRNS_18TensorIteratorBaseET_S8_EUlaaE_EEEEvS7_RKS8_EUlibE0_EEviT1_.has_recursion, 0
	.set _ZN2at6native32elementwise_kernel_manual_unrollILi128ELi4EZNS0_15gpu_kernel_implINS0_13BUnaryFunctorIaaaZNS0_12_GLOBAL__N_121threshold_kernel_implIaEEvRNS_18TensorIteratorBaseET_S8_EUlaaE_EEEEvS7_RKS8_EUlibE0_EEviT1_.has_indirect_call, 0
	.section	.AMDGPU.csdata,"",@progbits
; Kernel info:
; codeLenInByte = 36296
; TotalNumSgprs: 85
; NumVgprs: 18
; ScratchSize: 0
; MemoryBound: 1
; FloatMode: 240
; IeeeMode: 1
; LDSByteSize: 0 bytes/workgroup (compile time only)
; SGPRBlocks: 10
; VGPRBlocks: 4
; NumSGPRsForWavesPerEU: 85
; NumVGPRsForWavesPerEU: 18
; Occupancy: 9
; WaveLimiterHint : 1
; COMPUTE_PGM_RSRC2:SCRATCH_EN: 0
; COMPUTE_PGM_RSRC2:USER_SGPR: 6
; COMPUTE_PGM_RSRC2:TRAP_HANDLER: 0
; COMPUTE_PGM_RSRC2:TGID_X_EN: 1
; COMPUTE_PGM_RSRC2:TGID_Y_EN: 0
; COMPUTE_PGM_RSRC2:TGID_Z_EN: 0
; COMPUTE_PGM_RSRC2:TIDIG_COMP_CNT: 0
	.section	.text._ZN2at6native29vectorized_elementwise_kernelILi16ENS0_13BinaryFunctorIaaaZNS0_12_GLOBAL__N_121threshold_kernel_implIaEEvRNS_18TensorIteratorBaseET_S7_EUlaaE_EESt5arrayIPcLm3EEEEviT0_T1_,"axG",@progbits,_ZN2at6native29vectorized_elementwise_kernelILi16ENS0_13BinaryFunctorIaaaZNS0_12_GLOBAL__N_121threshold_kernel_implIaEEvRNS_18TensorIteratorBaseET_S7_EUlaaE_EESt5arrayIPcLm3EEEEviT0_T1_,comdat
	.globl	_ZN2at6native29vectorized_elementwise_kernelILi16ENS0_13BinaryFunctorIaaaZNS0_12_GLOBAL__N_121threshold_kernel_implIaEEvRNS_18TensorIteratorBaseET_S7_EUlaaE_EESt5arrayIPcLm3EEEEviT0_T1_ ; -- Begin function _ZN2at6native29vectorized_elementwise_kernelILi16ENS0_13BinaryFunctorIaaaZNS0_12_GLOBAL__N_121threshold_kernel_implIaEEvRNS_18TensorIteratorBaseET_S7_EUlaaE_EESt5arrayIPcLm3EEEEviT0_T1_
	.p2align	8
	.type	_ZN2at6native29vectorized_elementwise_kernelILi16ENS0_13BinaryFunctorIaaaZNS0_12_GLOBAL__N_121threshold_kernel_implIaEEvRNS_18TensorIteratorBaseET_S7_EUlaaE_EESt5arrayIPcLm3EEEEviT0_T1_,@function
_ZN2at6native29vectorized_elementwise_kernelILi16ENS0_13BinaryFunctorIaaaZNS0_12_GLOBAL__N_121threshold_kernel_implIaEEvRNS_18TensorIteratorBaseET_S7_EUlaaE_EESt5arrayIPcLm3EEEEviT0_T1_: ; @_ZN2at6native29vectorized_elementwise_kernelILi16ENS0_13BinaryFunctorIaaaZNS0_12_GLOBAL__N_121threshold_kernel_implIaEEvRNS_18TensorIteratorBaseET_S7_EUlaaE_EESt5arrayIPcLm3EEEEviT0_T1_
; %bb.0:
	v_mov_b32_e32 v1, 0
	global_load_ushort v5, v1, s[4:5] offset:4
	s_load_dword s0, s[4:5], 0x0
	s_load_dwordx4 s[8:11], s[4:5], 0x8
	s_load_dwordx2 s[12:13], s[4:5], 0x18
	s_lshl_b32 s33, s6, 12
	s_waitcnt lgkmcnt(0)
	s_sub_i32 s38, s0, s33
	s_cmpk_gt_i32 s38, 0xfff
	s_mov_b64 s[0:1], -1
	s_cbranch_scc0 .LBB40_2
; %bb.1:
	s_ashr_i32 s2, s33, 31
	s_add_u32 s0, s10, s33
	s_addc_u32 s1, s11, s2
	v_lshlrev_b32_e32 v10, 4, v0
	global_load_dwordx4 v[1:4], v10, s[0:1]
	s_add_u32 s0, s12, s33
	s_addc_u32 s1, s13, s2
	global_load_dwordx4 v[6:9], v10, s[0:1]
	v_mov_b32_e32 v11, 8
	s_waitcnt vmcnt(2)
	v_lshrrev_b32_sdwa v11, v11, v5 dst_sel:DWORD dst_unused:UNUSED_PAD src0_sel:DWORD src1_sel:WORD_0
	s_add_u32 s6, s8, s33
	s_addc_u32 s7, s9, s2
	s_waitcnt vmcnt(1)
	v_lshrrev_b32_e32 v12, 8, v1
	v_cmp_gt_i16_sdwa vcc, sext(v2), sext(v5) src0_sel:BYTE_0 src1_sel:BYTE_0
	v_cmp_gt_i16_sdwa s[4:5], sext(v1), sext(v5) src0_sel:BYTE_0 src1_sel:BYTE_0
	v_lshrrev_b32_e32 v13, 16, v1
	v_lshrrev_b32_e32 v14, 24, v1
	v_lshrrev_b32_e32 v15, 8, v2
	v_lshrrev_b32_e32 v16, 16, v2
	v_lshrrev_b32_e32 v17, 24, v2
	v_lshrrev_b32_e32 v18, 8, v3
	v_lshrrev_b32_e32 v19, 16, v3
	v_lshrrev_b32_e32 v20, 24, v3
	v_lshrrev_b32_e32 v21, 8, v4
	v_lshrrev_b32_e32 v22, 16, v4
	v_lshrrev_b32_e32 v23, 24, v4
	v_cmp_gt_i16_sdwa s[0:1], sext(v3), sext(v5) src0_sel:BYTE_0 src1_sel:BYTE_0
	v_cmp_gt_i16_sdwa s[2:3], sext(v4), sext(v5) src0_sel:BYTE_0 src1_sel:BYTE_0
	s_waitcnt vmcnt(0)
	v_lshrrev_b32_e32 v2, 8, v6
	v_lshrrev_b32_e32 v3, 16, v6
	;; [unrolled: 1-line block ×3, first 2 shown]
	v_cndmask_b32_e64 v1, v11, v6, s[4:5]
	v_cndmask_b32_e32 v6, v11, v7, vcc
	v_cmp_gt_i16_sdwa vcc, sext(v12), sext(v5) src0_sel:BYTE_0 src1_sel:BYTE_0
	v_cndmask_b32_e32 v2, v11, v2, vcc
	v_cmp_gt_i16_sdwa vcc, sext(v13), sext(v5) src0_sel:BYTE_0 src1_sel:BYTE_0
	;; [unrolled: 2-line block ×3, first 2 shown]
	v_lshrrev_b32_e32 v24, 8, v7
	v_cndmask_b32_e32 v4, v11, v4, vcc
	v_cmp_gt_i16_sdwa vcc, sext(v15), sext(v5) src0_sel:BYTE_0 src1_sel:BYTE_0
	v_lshrrev_b32_e32 v25, 16, v7
	v_lshrrev_b32_e32 v26, 24, v7
	;; [unrolled: 1-line block ×8, first 2 shown]
	v_cndmask_b32_e64 v7, v11, v8, s[0:1]
	v_cndmask_b32_e64 v8, v11, v9, s[2:3]
	v_cndmask_b32_e32 v9, v11, v24, vcc
	v_cmp_gt_i16_sdwa vcc, sext(v16), sext(v5) src0_sel:BYTE_0 src1_sel:BYTE_0
	v_cndmask_b32_e32 v12, v11, v25, vcc
	v_cmp_gt_i16_sdwa vcc, sext(v17), sext(v5) src0_sel:BYTE_0 src1_sel:BYTE_0
	;; [unrolled: 2-line block ×8, first 2 shown]
	v_cndmask_b32_e32 v11, v11, v32, vcc
	v_lshlrev_b16_e32 v17, 8, v17
	v_lshlrev_b16_e32 v11, 8, v11
	v_lshlrev_b16_e32 v14, 8, v14
	v_lshlrev_b16_e32 v16, 8, v16
	v_lshlrev_b16_e32 v9, 8, v9
	v_lshlrev_b16_e32 v13, 8, v13
	v_lshlrev_b16_e32 v2, 8, v2
	v_lshlrev_b16_e32 v4, 8, v4
	v_or_b32_sdwa v8, v8, v17 dst_sel:DWORD dst_unused:UNUSED_PAD src0_sel:BYTE_0 src1_sel:DWORD
	v_or_b32_sdwa v11, v18, v11 dst_sel:WORD_1 dst_unused:UNUSED_PAD src0_sel:BYTE_0 src1_sel:DWORD
	v_or_b32_sdwa v7, v7, v14 dst_sel:DWORD dst_unused:UNUSED_PAD src0_sel:BYTE_0 src1_sel:DWORD
	v_or_b32_sdwa v14, v15, v16 dst_sel:WORD_1 dst_unused:UNUSED_PAD src0_sel:BYTE_0 src1_sel:DWORD
	;; [unrolled: 2-line block ×4, first 2 shown]
	v_or_b32_sdwa v4, v8, v11 dst_sel:DWORD dst_unused:UNUSED_PAD src0_sel:WORD_0 src1_sel:DWORD
	v_or_b32_sdwa v3, v7, v14 dst_sel:DWORD dst_unused:UNUSED_PAD src0_sel:WORD_0 src1_sel:DWORD
	;; [unrolled: 1-line block ×4, first 2 shown]
	global_store_dwordx4 v10, v[1:4], s[6:7]
	s_mov_b64 s[0:1], 0
.LBB40_2:
	s_andn2_b64 vcc, exec, s[0:1]
	s_cbranch_vccnz .LBB40_54
; %bb.3:
	v_cmp_gt_i32_e64 s[0:1], s38, v0
	v_cmp_le_i32_e32 vcc, s38, v0
                                        ; implicit-def: $vgpr6
	s_and_saveexec_b64 s[2:3], vcc
	s_xor_b64 s[2:3], exec, s[2:3]
; %bb.4:
	v_or_b32_e32 v6, 0x100, v0
; %bb.5:
	s_or_saveexec_b64 s[2:3], s[2:3]
	v_mov_b32_e32 v39, 0
	v_or_b32_e32 v7, s33, v0
	v_mov_b32_e32 v38, 0
	v_mov_b32_e32 v37, 0
	;; [unrolled: 1-line block ×31, first 2 shown]
	s_xor_b64 exec, exec, s[2:3]
	s_cbranch_execz .LBB40_37
; %bb.6:
	global_load_ubyte v8, v7, s[10:11]
	global_load_ubyte v10, v7, s[12:13]
	v_or_b32_e32 v6, 0x100, v0
	v_cmp_gt_u32_e32 vcc, s38, v6
	v_mov_b32_e32 v9, 0
	v_mov_b32_e32 v11, 0
	;; [unrolled: 1-line block ×30, first 2 shown]
	s_and_saveexec_b64 s[4:5], vcc
	s_cbranch_execz .LBB40_36
; %bb.7:
	v_add_u32_e32 v3, s33, v0
	global_load_ubyte v11, v3, s[10:11] offset:256
	global_load_ubyte v9, v3, s[12:13] offset:256
	v_or_b32_e32 v1, 0x200, v0
	v_mov_b32_e32 v12, 0
	v_cmp_gt_u32_e32 vcc, s38, v1
	v_mov_b32_e32 v17, 0
	v_mov_b32_e32 v13, 0
	;; [unrolled: 1-line block ×27, first 2 shown]
	s_and_saveexec_b64 s[6:7], vcc
	s_cbranch_execz .LBB40_35
; %bb.8:
	v_mov_b32_e32 v2, s11
	v_add_co_u32_e32 v1, vcc, s10, v3
	v_addc_co_u32_e32 v2, vcc, 0, v2, vcc
	v_mov_b32_e32 v4, s13
	v_add_co_u32_e32 v3, vcc, s12, v3
	v_addc_co_u32_e32 v4, vcc, 0, v4, vcc
	global_load_ubyte v17, v[1:2], off offset:512
	global_load_ubyte v12, v[3:4], off offset:512
	v_or_b32_e32 v13, 0x300, v0
	v_cmp_gt_u32_e32 vcc, s38, v13
	v_mov_b32_e32 v13, 0
	v_mov_b32_e32 v15, 0
	;; [unrolled: 1-line block ×26, first 2 shown]
	s_and_saveexec_b64 s[10:11], vcc
	s_cbranch_execz .LBB40_34
; %bb.9:
	global_load_ubyte v15, v[1:2], off offset:768
	global_load_ubyte v13, v[3:4], off offset:768
	v_or_b32_e32 v14, 0x400, v0
	v_cmp_gt_u32_e32 vcc, s38, v14
	v_mov_b32_e32 v16, 0
	v_mov_b32_e32 v18, 0
	;; [unrolled: 1-line block ×24, first 2 shown]
	s_and_saveexec_b64 s[12:13], vcc
	s_cbranch_execz .LBB40_33
; %bb.10:
	global_load_ubyte v18, v[1:2], off offset:1024
	global_load_ubyte v16, v[3:4], off offset:1024
	v_or_b32_e32 v14, 0x500, v0
	v_cmp_gt_u32_e32 vcc, s38, v14
	v_mov_b32_e32 v19, 0
	v_mov_b32_e32 v23, 0
	;; [unrolled: 1-line block ×22, first 2 shown]
	s_and_saveexec_b64 s[14:15], vcc
	s_cbranch_execz .LBB40_32
; %bb.11:
	global_load_ubyte v23, v[1:2], off offset:1280
	global_load_ubyte v19, v[3:4], off offset:1280
	v_or_b32_e32 v14, 0x600, v0
	v_cmp_gt_u32_e32 vcc, s38, v14
	v_mov_b32_e32 v21, 0
	v_mov_b32_e32 v24, 0
	;; [unrolled: 1-line block ×20, first 2 shown]
	s_and_saveexec_b64 s[16:17], vcc
	s_cbranch_execz .LBB40_31
; %bb.12:
	global_load_ubyte v24, v[1:2], off offset:1536
	global_load_ubyte v21, v[3:4], off offset:1536
	v_or_b32_e32 v14, 0x700, v0
	v_cmp_gt_u32_e32 vcc, s38, v14
	v_mov_b32_e32 v14, 0
	v_mov_b32_e32 v20, 0
	;; [unrolled: 1-line block ×18, first 2 shown]
	s_and_saveexec_b64 s[18:19], vcc
	s_cbranch_execz .LBB40_30
; %bb.13:
	global_load_ubyte v20, v[1:2], off offset:1792
	global_load_ubyte v14, v[3:4], off offset:1792
	v_or_b32_e32 v22, 0x800, v0
	v_cmp_gt_u32_e32 vcc, s38, v22
	v_mov_b32_e32 v22, 0
	v_mov_b32_e32 v25, 0
	;; [unrolled: 1-line block ×16, first 2 shown]
	s_and_saveexec_b64 s[20:21], vcc
	s_cbranch_execz .LBB40_29
; %bb.14:
	global_load_ubyte v25, v[1:2], off offset:2048
	global_load_ubyte v22, v[3:4], off offset:2048
	v_or_b32_e32 v26, 0x900, v0
	v_cmp_gt_u32_e32 vcc, s38, v26
	v_mov_b32_e32 v26, 0
	v_mov_b32_e32 v27, 0
	;; [unrolled: 1-line block ×14, first 2 shown]
	s_and_saveexec_b64 s[22:23], vcc
	s_cbranch_execz .LBB40_28
; %bb.15:
	global_load_ubyte v27, v[1:2], off offset:2304
	global_load_ubyte v26, v[3:4], off offset:2304
	v_or_b32_e32 v28, 0xa00, v0
	v_cmp_gt_u32_e32 vcc, s38, v28
	v_mov_b32_e32 v28, 0
	v_mov_b32_e32 v29, 0
	v_mov_b32_e32 v30, 0
	v_mov_b32_e32 v31, 0
	v_mov_b32_e32 v32, 0
	v_mov_b32_e32 v33, 0
	v_mov_b32_e32 v34, 0
	v_mov_b32_e32 v35, 0
	v_mov_b32_e32 v36, 0
	v_mov_b32_e32 v37, 0
	v_mov_b32_e32 v38, 0
	v_mov_b32_e32 v39, 0
	s_and_saveexec_b64 s[24:25], vcc
	s_cbranch_execz .LBB40_27
; %bb.16:
	global_load_ubyte v29, v[1:2], off offset:2560
	global_load_ubyte v28, v[3:4], off offset:2560
	v_or_b32_e32 v30, 0xb00, v0
	v_cmp_gt_u32_e32 vcc, s38, v30
	v_mov_b32_e32 v30, 0
	v_mov_b32_e32 v31, 0
	v_mov_b32_e32 v32, 0
	v_mov_b32_e32 v33, 0
	v_mov_b32_e32 v34, 0
	v_mov_b32_e32 v35, 0
	v_mov_b32_e32 v36, 0
	v_mov_b32_e32 v37, 0
	v_mov_b32_e32 v38, 0
	v_mov_b32_e32 v39, 0
	s_and_saveexec_b64 s[26:27], vcc
	s_cbranch_execz .LBB40_26
; %bb.17:
	global_load_ubyte v31, v[1:2], off offset:2816
	global_load_ubyte v30, v[3:4], off offset:2816
	v_or_b32_e32 v32, 0xc00, v0
	v_cmp_gt_u32_e32 vcc, s38, v32
	v_mov_b32_e32 v32, 0
	v_mov_b32_e32 v33, 0
	;; [unrolled: 1-line block ×8, first 2 shown]
	s_and_saveexec_b64 s[28:29], vcc
	s_cbranch_execz .LBB40_25
; %bb.18:
	global_load_ubyte v33, v[1:2], off offset:3072
	global_load_ubyte v32, v[3:4], off offset:3072
	v_or_b32_e32 v34, 0xd00, v0
	v_cmp_gt_u32_e32 vcc, s38, v34
	v_mov_b32_e32 v34, 0
	v_mov_b32_e32 v35, 0
	;; [unrolled: 1-line block ×6, first 2 shown]
	s_and_saveexec_b64 s[30:31], vcc
	s_cbranch_execz .LBB40_24
; %bb.19:
	global_load_ubyte v35, v[1:2], off offset:3328
	global_load_ubyte v34, v[3:4], off offset:3328
	v_or_b32_e32 v36, 0xe00, v0
	v_cmp_gt_u32_e32 vcc, s38, v36
	v_mov_b32_e32 v36, 0
	v_mov_b32_e32 v37, 0
	;; [unrolled: 1-line block ×4, first 2 shown]
	s_and_saveexec_b64 s[34:35], vcc
	s_cbranch_execz .LBB40_23
; %bb.20:
	global_load_ubyte v37, v[1:2], off offset:3584
	global_load_ubyte v36, v[3:4], off offset:3584
	v_or_b32_e32 v38, 0xf00, v0
	v_cmp_gt_u32_e32 vcc, s38, v38
	v_mov_b32_e32 v38, 0
	v_mov_b32_e32 v39, 0
	s_and_saveexec_b64 s[36:37], vcc
	s_cbranch_execz .LBB40_22
; %bb.21:
	global_load_ubyte v39, v[1:2], off offset:3840
	global_load_ubyte v38, v[3:4], off offset:3840
.LBB40_22:
	s_or_b64 exec, exec, s[36:37]
.LBB40_23:
	s_or_b64 exec, exec, s[34:35]
.LBB40_24:
	s_or_b64 exec, exec, s[30:31]
.LBB40_25:
	s_or_b64 exec, exec, s[28:29]
.LBB40_26:
	s_or_b64 exec, exec, s[26:27]
.LBB40_27:
	s_or_b64 exec, exec, s[24:25]
.LBB40_28:
	s_or_b64 exec, exec, s[22:23]
.LBB40_29:
	s_or_b64 exec, exec, s[20:21]
.LBB40_30:
	s_or_b64 exec, exec, s[18:19]
.LBB40_31:
	s_or_b64 exec, exec, s[16:17]
.LBB40_32:
	s_or_b64 exec, exec, s[14:15]
.LBB40_33:
	s_or_b64 exec, exec, s[12:13]
.LBB40_34:
	s_or_b64 exec, exec, s[10:11]
.LBB40_35:
	s_or_b64 exec, exec, s[6:7]
.LBB40_36:
	s_or_b64 exec, exec, s[4:5]
.LBB40_37:
	s_or_b64 exec, exec, s[2:3]
	v_mov_b32_e32 v1, 8
	s_waitcnt vmcnt(0)
	v_lshrrev_b32_sdwa v1, v1, v5 dst_sel:DWORD dst_unused:UNUSED_PAD src0_sel:DWORD src1_sel:WORD_0
	v_cmp_gt_i16_sdwa vcc, sext(v8), sext(v5) src0_sel:BYTE_0 src1_sel:BYTE_0
	s_mov_b32 s2, 0xffff
	v_cndmask_b32_e32 v2, v1, v10, vcc
	v_cmp_gt_i16_sdwa vcc, sext(v11), sext(v5) src0_sel:BYTE_0 src1_sel:BYTE_0
	v_and_b32_sdwa v2, s2, v2 dst_sel:DWORD dst_unused:UNUSED_PAD src0_sel:DWORD src1_sel:BYTE_0
	v_cndmask_b32_e32 v3, v1, v9, vcc
	v_cndmask_b32_e64 v2, 0, v2, s[0:1]
	v_lshlrev_b16_e32 v3, 8, v3
	v_or_b32_e32 v3, v2, v3
	v_and_b32_e32 v3, 0xffff, v3
	v_cmp_gt_i32_e32 vcc, s38, v6
	v_cndmask_b32_e32 v2, v2, v3, vcc
	v_cmp_gt_i16_sdwa vcc, sext(v17), sext(v5) src0_sel:BYTE_0 src1_sel:BYTE_0
	v_cndmask_b32_e32 v4, v1, v12, vcc
	s_mov_b32 s4, 0xc0c0304
	v_or_b32_e32 v3, 0x200, v0
	v_perm_b32 v4, v4, v2, s4
	v_lshl_or_b32 v4, v4, 16, v2
	v_cmp_gt_i32_e32 vcc, s38, v3
	v_cndmask_b32_e32 v2, v2, v4, vcc
	v_cmp_gt_i16_sdwa vcc, sext(v15), sext(v5) src0_sel:BYTE_0 src1_sel:BYTE_0
	s_movk_i32 s3, 0xff
	v_cndmask_b32_e32 v8, v1, v13, vcc
	v_and_b32_sdwa v3, v2, s3 dst_sel:DWORD dst_unused:UNUSED_PAD src0_sel:WORD_1 src1_sel:DWORD
	v_lshlrev_b16_e32 v8, 8, v8
	v_or_b32_e32 v4, 0x300, v0
	v_or_b32_sdwa v3, v3, v8 dst_sel:WORD_1 dst_unused:UNUSED_PAD src0_sel:DWORD src1_sel:DWORD
	v_and_or_b32 v3, v2, s2, v3
	v_cmp_gt_i32_e32 vcc, s38, v4
	v_cndmask_b32_e32 v4, v2, v3, vcc
	v_cmp_gt_i16_sdwa vcc, sext(v18), sext(v5) src0_sel:BYTE_0 src1_sel:BYTE_0
	v_cndmask_b32_e32 v2, v1, v16, vcc
	s_mov_b32 s5, 0x3020104
	v_or_b32_e32 v3, 0x400, v0
	v_perm_b32 v2, v2, 0, s5
	v_cmp_gt_i32_e32 vcc, s38, v3
	v_cndmask_b32_e32 v2, 0, v2, vcc
	v_cmp_gt_i16_sdwa vcc, sext(v23), sext(v5) src0_sel:BYTE_0 src1_sel:BYTE_0
	v_cndmask_b32_e32 v3, v1, v19, vcc
	v_lshlrev_b16_e32 v3, 8, v3
	v_or_b32_sdwa v3, v2, v3 dst_sel:DWORD dst_unused:UNUSED_PAD src0_sel:BYTE_0 src1_sel:DWORD
	v_and_b32_e32 v3, 0xffff, v3
	s_mov_b32 s6, 0xffff0000
	v_or_b32_e32 v8, 0x500, v0
	v_and_or_b32 v3, v2, s6, v3
	v_cmp_gt_i32_e32 vcc, s38, v8
	v_cndmask_b32_e32 v2, v2, v3, vcc
	v_cmp_gt_i16_sdwa vcc, sext(v24), sext(v5) src0_sel:BYTE_0 src1_sel:BYTE_0
	v_or_b32_e32 v3, 0x600, v0
	v_cndmask_b32_e32 v8, v1, v21, vcc
	s_mov_b32 s7, 0x7000504
	v_perm_b32 v8, v2, v8, s7
	v_cmp_gt_i32_e32 vcc, s38, v3
	v_cndmask_b32_e32 v2, v2, v8, vcc
	v_cmp_gt_i16_sdwa vcc, sext(v20), sext(v5) src0_sel:BYTE_0 src1_sel:BYTE_0
	v_cndmask_b32_e32 v9, v1, v14, vcc
	v_and_b32_sdwa v3, v2, s3 dst_sel:DWORD dst_unused:UNUSED_PAD src0_sel:WORD_1 src1_sel:DWORD
	v_lshlrev_b16_e32 v9, 8, v9
	v_or_b32_e32 v8, 0x700, v0
	v_or_b32_sdwa v3, v3, v9 dst_sel:WORD_1 dst_unused:UNUSED_PAD src0_sel:DWORD src1_sel:DWORD
	v_and_or_b32 v3, v2, s2, v3
	v_cmp_gt_i32_e32 vcc, s38, v8
	v_cndmask_b32_e32 v3, v2, v3, vcc
	v_cmp_gt_i16_sdwa vcc, sext(v25), sext(v5) src0_sel:BYTE_0 src1_sel:BYTE_0
	v_or_b32_e32 v2, 0x800, v0
	v_cndmask_b32_e32 v8, v1, v22, vcc
	v_and_b32_sdwa v8, s2, v8 dst_sel:DWORD dst_unused:UNUSED_PAD src0_sel:DWORD src1_sel:BYTE_0
	v_cmp_gt_i32_e32 vcc, s38, v2
	v_cndmask_b32_e32 v2, 0, v8, vcc
	v_cmp_gt_i16_sdwa vcc, sext(v27), sext(v5) src0_sel:BYTE_0 src1_sel:BYTE_0
	v_cndmask_b32_e32 v9, v1, v26, vcc
	v_lshlrev_b16_e32 v9, 8, v9
	v_or_b32_e32 v8, 0x900, v0
	v_or_b32_e32 v9, v2, v9
	v_and_b32_e32 v9, 0xffff, v9
	v_cmp_gt_i32_e32 vcc, s38, v8
	v_cndmask_b32_e32 v2, v2, v9, vcc
	v_cmp_gt_i16_sdwa vcc, sext(v29), sext(v5) src0_sel:BYTE_0 src1_sel:BYTE_0
	v_cndmask_b32_e32 v9, v1, v28, vcc
	v_or_b32_e32 v8, 0xa00, v0
	v_perm_b32 v9, v9, v2, s4
	v_lshl_or_b32 v9, v9, 16, v2
	v_cmp_gt_i32_e32 vcc, s38, v8
	v_cndmask_b32_e32 v2, v2, v9, vcc
	v_cmp_gt_i16_sdwa vcc, sext(v31), sext(v5) src0_sel:BYTE_0 src1_sel:BYTE_0
	v_cndmask_b32_e32 v10, v1, v30, vcc
	v_and_b32_sdwa v8, v2, s3 dst_sel:DWORD dst_unused:UNUSED_PAD src0_sel:WORD_1 src1_sel:DWORD
	v_lshlrev_b16_e32 v10, 8, v10
	v_or_b32_e32 v9, 0xb00, v0
	v_or_b32_sdwa v8, v8, v10 dst_sel:WORD_1 dst_unused:UNUSED_PAD src0_sel:DWORD src1_sel:DWORD
	v_and_or_b32 v8, v2, s2, v8
	v_cmp_gt_i32_e32 vcc, s38, v9
	v_cndmask_b32_e32 v2, v2, v8, vcc
	v_cmp_gt_i16_sdwa vcc, sext(v33), sext(v5) src0_sel:BYTE_0 src1_sel:BYTE_0
	v_cndmask_b32_e32 v8, v1, v32, vcc
	v_or_b32_e32 v9, 0xc00, v0
	v_perm_b32 v8, v8, 0, s5
	v_cmp_gt_i32_e32 vcc, s38, v9
	v_cndmask_b32_e32 v8, 0, v8, vcc
	v_cmp_gt_i16_sdwa vcc, sext(v35), sext(v5) src0_sel:BYTE_0 src1_sel:BYTE_0
	v_cndmask_b32_e32 v9, v1, v34, vcc
	v_lshlrev_b16_e32 v9, 8, v9
	v_or_b32_sdwa v9, v8, v9 dst_sel:DWORD dst_unused:UNUSED_PAD src0_sel:BYTE_0 src1_sel:DWORD
	v_and_b32_e32 v9, 0xffff, v9
	v_or_b32_e32 v10, 0xd00, v0
	v_and_or_b32 v9, v8, s6, v9
	v_cmp_gt_i32_e32 vcc, s38, v10
	v_cndmask_b32_e32 v8, v8, v9, vcc
	v_cmp_gt_i16_sdwa vcc, sext(v37), sext(v5) src0_sel:BYTE_0 src1_sel:BYTE_0
	v_or_b32_e32 v9, 0xe00, v0
	v_cndmask_b32_e32 v10, v1, v36, vcc
	v_perm_b32 v10, v8, v10, s7
	v_cmp_gt_i32_e32 vcc, s38, v9
	v_cndmask_b32_e32 v8, v8, v10, vcc
	v_cmp_gt_i16_sdwa vcc, sext(v39), sext(v5) src0_sel:BYTE_0 src1_sel:BYTE_0
	v_and_b32_sdwa v9, v8, s3 dst_sel:DWORD dst_unused:UNUSED_PAD src0_sel:WORD_1 src1_sel:DWORD
	v_cndmask_b32_sdwa v1, v1, v38, vcc dst_sel:BYTE_1 dst_unused:UNUSED_PAD src0_sel:DWORD src1_sel:DWORD
	v_or_b32_e32 v10, 0xf00, v0
	v_or_b32_sdwa v1, v9, v1 dst_sel:WORD_1 dst_unused:UNUSED_PAD src0_sel:DWORD src1_sel:DWORD
	v_and_or_b32 v1, v8, s2, v1
	v_cmp_gt_i32_e32 vcc, s38, v10
	v_cndmask_b32_e32 v1, v8, v1, vcc
	s_and_saveexec_b64 s[2:3], s[0:1]
	s_cbranch_execnz .LBB40_55
; %bb.38:
	s_or_b64 exec, exec, s[2:3]
	v_cmp_gt_i32_e32 vcc, s38, v0
	s_and_saveexec_b64 s[0:1], vcc
	s_cbranch_execnz .LBB40_56
.LBB40_39:
	s_or_b64 exec, exec, s[0:1]
	v_cmp_gt_i32_e32 vcc, s38, v0
	s_and_saveexec_b64 s[0:1], vcc
	s_cbranch_execnz .LBB40_57
.LBB40_40:
	s_or_b64 exec, exec, s[0:1]
	v_cmp_gt_i32_e32 vcc, s38, v0
	s_and_saveexec_b64 s[0:1], vcc
	s_cbranch_execnz .LBB40_58
.LBB40_41:
	s_or_b64 exec, exec, s[0:1]
	v_cmp_gt_i32_e32 vcc, s38, v0
	s_and_saveexec_b64 s[0:1], vcc
	s_cbranch_execnz .LBB40_59
.LBB40_42:
	s_or_b64 exec, exec, s[0:1]
	v_cmp_gt_i32_e32 vcc, s38, v0
	s_and_saveexec_b64 s[0:1], vcc
	s_cbranch_execnz .LBB40_60
.LBB40_43:
	s_or_b64 exec, exec, s[0:1]
	v_cmp_gt_i32_e32 vcc, s38, v0
	s_and_saveexec_b64 s[0:1], vcc
	s_cbranch_execnz .LBB40_61
.LBB40_44:
	s_or_b64 exec, exec, s[0:1]
	v_cmp_gt_i32_e32 vcc, s38, v0
	s_and_saveexec_b64 s[0:1], vcc
	s_cbranch_execnz .LBB40_62
.LBB40_45:
	s_or_b64 exec, exec, s[0:1]
	v_cmp_gt_i32_e32 vcc, s38, v0
	s_and_saveexec_b64 s[0:1], vcc
	s_cbranch_execnz .LBB40_63
.LBB40_46:
	s_or_b64 exec, exec, s[0:1]
	v_cmp_gt_i32_e32 vcc, s38, v0
	s_and_saveexec_b64 s[0:1], vcc
	s_cbranch_execnz .LBB40_64
.LBB40_47:
	s_or_b64 exec, exec, s[0:1]
	v_cmp_gt_i32_e32 vcc, s38, v0
	s_and_saveexec_b64 s[0:1], vcc
	s_cbranch_execnz .LBB40_65
.LBB40_48:
	s_or_b64 exec, exec, s[0:1]
	v_cmp_gt_i32_e32 vcc, s38, v0
	s_and_saveexec_b64 s[0:1], vcc
	s_cbranch_execnz .LBB40_66
.LBB40_49:
	s_or_b64 exec, exec, s[0:1]
	v_cmp_gt_i32_e32 vcc, s38, v0
	s_and_saveexec_b64 s[0:1], vcc
	s_cbranch_execnz .LBB40_67
.LBB40_50:
	s_or_b64 exec, exec, s[0:1]
	v_cmp_gt_i32_e32 vcc, s38, v0
	s_and_saveexec_b64 s[0:1], vcc
	s_cbranch_execnz .LBB40_68
.LBB40_51:
	s_or_b64 exec, exec, s[0:1]
	v_cmp_gt_i32_e32 vcc, s38, v0
	s_and_saveexec_b64 s[0:1], vcc
	s_cbranch_execnz .LBB40_69
.LBB40_52:
	s_or_b64 exec, exec, s[0:1]
	v_cmp_gt_i32_e32 vcc, s38, v0
	s_and_saveexec_b64 s[0:1], vcc
	s_cbranch_execz .LBB40_54
.LBB40_53:
	v_lshrrev_b32_e32 v1, 24, v1
	v_add_u32_e32 v0, s33, v0
	global_store_byte v0, v1, s[8:9]
.LBB40_54:
	s_endpgm
.LBB40_55:
	v_mov_b32_e32 v0, v6
	global_store_byte v7, v4, s[8:9]
	s_or_b64 exec, exec, s[2:3]
	v_cmp_gt_i32_e32 vcc, s38, v0
	s_and_saveexec_b64 s[0:1], vcc
	s_cbranch_execz .LBB40_39
.LBB40_56:
	v_lshrrev_b32_e32 v5, 8, v4
	v_add_u32_e32 v6, s33, v0
	v_add_u32_e32 v0, 0x100, v0
	global_store_byte v6, v5, s[8:9]
	s_or_b64 exec, exec, s[0:1]
	v_cmp_gt_i32_e32 vcc, s38, v0
	s_and_saveexec_b64 s[0:1], vcc
	s_cbranch_execz .LBB40_40
.LBB40_57:
	v_add_u32_e32 v5, s33, v0
	v_add_u32_e32 v0, 0x100, v0
	global_store_byte_d16_hi v5, v4, s[8:9]
	s_or_b64 exec, exec, s[0:1]
	v_cmp_gt_i32_e32 vcc, s38, v0
	s_and_saveexec_b64 s[0:1], vcc
	s_cbranch_execz .LBB40_41
.LBB40_58:
	v_lshrrev_b32_e32 v4, 24, v4
	v_add_u32_e32 v5, s33, v0
	v_add_u32_e32 v0, 0x100, v0
	global_store_byte v5, v4, s[8:9]
	s_or_b64 exec, exec, s[0:1]
	v_cmp_gt_i32_e32 vcc, s38, v0
	s_and_saveexec_b64 s[0:1], vcc
	s_cbranch_execz .LBB40_42
.LBB40_59:
	v_add_u32_e32 v4, s33, v0
	v_add_u32_e32 v0, 0x100, v0
	global_store_byte v4, v3, s[8:9]
	s_or_b64 exec, exec, s[0:1]
	v_cmp_gt_i32_e32 vcc, s38, v0
	s_and_saveexec_b64 s[0:1], vcc
	s_cbranch_execz .LBB40_43
.LBB40_60:
	v_lshrrev_b32_e32 v4, 8, v3
	v_add_u32_e32 v5, s33, v0
	v_add_u32_e32 v0, 0x100, v0
	global_store_byte v5, v4, s[8:9]
	s_or_b64 exec, exec, s[0:1]
	v_cmp_gt_i32_e32 vcc, s38, v0
	s_and_saveexec_b64 s[0:1], vcc
	s_cbranch_execz .LBB40_44
.LBB40_61:
	v_add_u32_e32 v4, s33, v0
	v_add_u32_e32 v0, 0x100, v0
	global_store_byte_d16_hi v4, v3, s[8:9]
	s_or_b64 exec, exec, s[0:1]
	v_cmp_gt_i32_e32 vcc, s38, v0
	s_and_saveexec_b64 s[0:1], vcc
	s_cbranch_execz .LBB40_45
.LBB40_62:
	v_lshrrev_b32_e32 v3, 24, v3
	v_add_u32_e32 v4, s33, v0
	v_add_u32_e32 v0, 0x100, v0
	global_store_byte v4, v3, s[8:9]
	s_or_b64 exec, exec, s[0:1]
	v_cmp_gt_i32_e32 vcc, s38, v0
	s_and_saveexec_b64 s[0:1], vcc
	s_cbranch_execz .LBB40_46
.LBB40_63:
	v_add_u32_e32 v3, s33, v0
	v_add_u32_e32 v0, 0x100, v0
	global_store_byte v3, v2, s[8:9]
	s_or_b64 exec, exec, s[0:1]
	v_cmp_gt_i32_e32 vcc, s38, v0
	s_and_saveexec_b64 s[0:1], vcc
	s_cbranch_execz .LBB40_47
.LBB40_64:
	v_lshrrev_b32_e32 v3, 8, v2
	v_add_u32_e32 v4, s33, v0
	v_add_u32_e32 v0, 0x100, v0
	global_store_byte v4, v3, s[8:9]
	s_or_b64 exec, exec, s[0:1]
	v_cmp_gt_i32_e32 vcc, s38, v0
	s_and_saveexec_b64 s[0:1], vcc
	s_cbranch_execz .LBB40_48
.LBB40_65:
	v_add_u32_e32 v3, s33, v0
	v_add_u32_e32 v0, 0x100, v0
	global_store_byte_d16_hi v3, v2, s[8:9]
	s_or_b64 exec, exec, s[0:1]
	v_cmp_gt_i32_e32 vcc, s38, v0
	s_and_saveexec_b64 s[0:1], vcc
	s_cbranch_execz .LBB40_49
.LBB40_66:
	v_lshrrev_b32_e32 v2, 24, v2
	v_add_u32_e32 v3, s33, v0
	v_add_u32_e32 v0, 0x100, v0
	global_store_byte v3, v2, s[8:9]
	s_or_b64 exec, exec, s[0:1]
	v_cmp_gt_i32_e32 vcc, s38, v0
	s_and_saveexec_b64 s[0:1], vcc
	s_cbranch_execz .LBB40_50
.LBB40_67:
	v_add_u32_e32 v2, s33, v0
	v_add_u32_e32 v0, 0x100, v0
	global_store_byte v2, v1, s[8:9]
	s_or_b64 exec, exec, s[0:1]
	v_cmp_gt_i32_e32 vcc, s38, v0
	s_and_saveexec_b64 s[0:1], vcc
	s_cbranch_execz .LBB40_51
.LBB40_68:
	v_lshrrev_b32_e32 v2, 8, v1
	v_add_u32_e32 v3, s33, v0
	v_add_u32_e32 v0, 0x100, v0
	global_store_byte v3, v2, s[8:9]
	s_or_b64 exec, exec, s[0:1]
	v_cmp_gt_i32_e32 vcc, s38, v0
	s_and_saveexec_b64 s[0:1], vcc
	s_cbranch_execz .LBB40_52
.LBB40_69:
	v_add_u32_e32 v2, s33, v0
	v_add_u32_e32 v0, 0x100, v0
	global_store_byte_d16_hi v2, v1, s[8:9]
	s_or_b64 exec, exec, s[0:1]
	v_cmp_gt_i32_e32 vcc, s38, v0
	s_and_saveexec_b64 s[0:1], vcc
	s_cbranch_execnz .LBB40_53
	s_branch .LBB40_54
	.section	.rodata,"a",@progbits
	.p2align	6, 0x0
	.amdhsa_kernel _ZN2at6native29vectorized_elementwise_kernelILi16ENS0_13BinaryFunctorIaaaZNS0_12_GLOBAL__N_121threshold_kernel_implIaEEvRNS_18TensorIteratorBaseET_S7_EUlaaE_EESt5arrayIPcLm3EEEEviT0_T1_
		.amdhsa_group_segment_fixed_size 0
		.amdhsa_private_segment_fixed_size 0
		.amdhsa_kernarg_size 32
		.amdhsa_user_sgpr_count 6
		.amdhsa_user_sgpr_private_segment_buffer 1
		.amdhsa_user_sgpr_dispatch_ptr 0
		.amdhsa_user_sgpr_queue_ptr 0
		.amdhsa_user_sgpr_kernarg_segment_ptr 1
		.amdhsa_user_sgpr_dispatch_id 0
		.amdhsa_user_sgpr_flat_scratch_init 0
		.amdhsa_user_sgpr_private_segment_size 0
		.amdhsa_uses_dynamic_stack 0
		.amdhsa_system_sgpr_private_segment_wavefront_offset 0
		.amdhsa_system_sgpr_workgroup_id_x 1
		.amdhsa_system_sgpr_workgroup_id_y 0
		.amdhsa_system_sgpr_workgroup_id_z 0
		.amdhsa_system_sgpr_workgroup_info 0
		.amdhsa_system_vgpr_workitem_id 0
		.amdhsa_next_free_vgpr 40
		.amdhsa_next_free_sgpr 39
		.amdhsa_reserve_vcc 1
		.amdhsa_reserve_flat_scratch 0
		.amdhsa_float_round_mode_32 0
		.amdhsa_float_round_mode_16_64 0
		.amdhsa_float_denorm_mode_32 3
		.amdhsa_float_denorm_mode_16_64 3
		.amdhsa_dx10_clamp 1
		.amdhsa_ieee_mode 1
		.amdhsa_fp16_overflow 0
		.amdhsa_exception_fp_ieee_invalid_op 0
		.amdhsa_exception_fp_denorm_src 0
		.amdhsa_exception_fp_ieee_div_zero 0
		.amdhsa_exception_fp_ieee_overflow 0
		.amdhsa_exception_fp_ieee_underflow 0
		.amdhsa_exception_fp_ieee_inexact 0
		.amdhsa_exception_int_div_zero 0
	.end_amdhsa_kernel
	.section	.text._ZN2at6native29vectorized_elementwise_kernelILi16ENS0_13BinaryFunctorIaaaZNS0_12_GLOBAL__N_121threshold_kernel_implIaEEvRNS_18TensorIteratorBaseET_S7_EUlaaE_EESt5arrayIPcLm3EEEEviT0_T1_,"axG",@progbits,_ZN2at6native29vectorized_elementwise_kernelILi16ENS0_13BinaryFunctorIaaaZNS0_12_GLOBAL__N_121threshold_kernel_implIaEEvRNS_18TensorIteratorBaseET_S7_EUlaaE_EESt5arrayIPcLm3EEEEviT0_T1_,comdat
.Lfunc_end40:
	.size	_ZN2at6native29vectorized_elementwise_kernelILi16ENS0_13BinaryFunctorIaaaZNS0_12_GLOBAL__N_121threshold_kernel_implIaEEvRNS_18TensorIteratorBaseET_S7_EUlaaE_EESt5arrayIPcLm3EEEEviT0_T1_, .Lfunc_end40-_ZN2at6native29vectorized_elementwise_kernelILi16ENS0_13BinaryFunctorIaaaZNS0_12_GLOBAL__N_121threshold_kernel_implIaEEvRNS_18TensorIteratorBaseET_S7_EUlaaE_EESt5arrayIPcLm3EEEEviT0_T1_
                                        ; -- End function
	.set _ZN2at6native29vectorized_elementwise_kernelILi16ENS0_13BinaryFunctorIaaaZNS0_12_GLOBAL__N_121threshold_kernel_implIaEEvRNS_18TensorIteratorBaseET_S7_EUlaaE_EESt5arrayIPcLm3EEEEviT0_T1_.num_vgpr, 40
	.set _ZN2at6native29vectorized_elementwise_kernelILi16ENS0_13BinaryFunctorIaaaZNS0_12_GLOBAL__N_121threshold_kernel_implIaEEvRNS_18TensorIteratorBaseET_S7_EUlaaE_EESt5arrayIPcLm3EEEEviT0_T1_.num_agpr, 0
	.set _ZN2at6native29vectorized_elementwise_kernelILi16ENS0_13BinaryFunctorIaaaZNS0_12_GLOBAL__N_121threshold_kernel_implIaEEvRNS_18TensorIteratorBaseET_S7_EUlaaE_EESt5arrayIPcLm3EEEEviT0_T1_.numbered_sgpr, 39
	.set _ZN2at6native29vectorized_elementwise_kernelILi16ENS0_13BinaryFunctorIaaaZNS0_12_GLOBAL__N_121threshold_kernel_implIaEEvRNS_18TensorIteratorBaseET_S7_EUlaaE_EESt5arrayIPcLm3EEEEviT0_T1_.num_named_barrier, 0
	.set _ZN2at6native29vectorized_elementwise_kernelILi16ENS0_13BinaryFunctorIaaaZNS0_12_GLOBAL__N_121threshold_kernel_implIaEEvRNS_18TensorIteratorBaseET_S7_EUlaaE_EESt5arrayIPcLm3EEEEviT0_T1_.private_seg_size, 0
	.set _ZN2at6native29vectorized_elementwise_kernelILi16ENS0_13BinaryFunctorIaaaZNS0_12_GLOBAL__N_121threshold_kernel_implIaEEvRNS_18TensorIteratorBaseET_S7_EUlaaE_EESt5arrayIPcLm3EEEEviT0_T1_.uses_vcc, 1
	.set _ZN2at6native29vectorized_elementwise_kernelILi16ENS0_13BinaryFunctorIaaaZNS0_12_GLOBAL__N_121threshold_kernel_implIaEEvRNS_18TensorIteratorBaseET_S7_EUlaaE_EESt5arrayIPcLm3EEEEviT0_T1_.uses_flat_scratch, 0
	.set _ZN2at6native29vectorized_elementwise_kernelILi16ENS0_13BinaryFunctorIaaaZNS0_12_GLOBAL__N_121threshold_kernel_implIaEEvRNS_18TensorIteratorBaseET_S7_EUlaaE_EESt5arrayIPcLm3EEEEviT0_T1_.has_dyn_sized_stack, 0
	.set _ZN2at6native29vectorized_elementwise_kernelILi16ENS0_13BinaryFunctorIaaaZNS0_12_GLOBAL__N_121threshold_kernel_implIaEEvRNS_18TensorIteratorBaseET_S7_EUlaaE_EESt5arrayIPcLm3EEEEviT0_T1_.has_recursion, 0
	.set _ZN2at6native29vectorized_elementwise_kernelILi16ENS0_13BinaryFunctorIaaaZNS0_12_GLOBAL__N_121threshold_kernel_implIaEEvRNS_18TensorIteratorBaseET_S7_EUlaaE_EESt5arrayIPcLm3EEEEviT0_T1_.has_indirect_call, 0
	.section	.AMDGPU.csdata,"",@progbits
; Kernel info:
; codeLenInByte = 3964
; TotalNumSgprs: 43
; NumVgprs: 40
; ScratchSize: 0
; MemoryBound: 0
; FloatMode: 240
; IeeeMode: 1
; LDSByteSize: 0 bytes/workgroup (compile time only)
; SGPRBlocks: 5
; VGPRBlocks: 9
; NumSGPRsForWavesPerEU: 43
; NumVGPRsForWavesPerEU: 40
; Occupancy: 6
; WaveLimiterHint : 0
; COMPUTE_PGM_RSRC2:SCRATCH_EN: 0
; COMPUTE_PGM_RSRC2:USER_SGPR: 6
; COMPUTE_PGM_RSRC2:TRAP_HANDLER: 0
; COMPUTE_PGM_RSRC2:TGID_X_EN: 1
; COMPUTE_PGM_RSRC2:TGID_Y_EN: 0
; COMPUTE_PGM_RSRC2:TGID_Z_EN: 0
; COMPUTE_PGM_RSRC2:TIDIG_COMP_CNT: 0
	.section	.text._ZN2at6native29vectorized_elementwise_kernelILi8ENS0_13BinaryFunctorIaaaZNS0_12_GLOBAL__N_121threshold_kernel_implIaEEvRNS_18TensorIteratorBaseET_S7_EUlaaE_EESt5arrayIPcLm3EEEEviT0_T1_,"axG",@progbits,_ZN2at6native29vectorized_elementwise_kernelILi8ENS0_13BinaryFunctorIaaaZNS0_12_GLOBAL__N_121threshold_kernel_implIaEEvRNS_18TensorIteratorBaseET_S7_EUlaaE_EESt5arrayIPcLm3EEEEviT0_T1_,comdat
	.globl	_ZN2at6native29vectorized_elementwise_kernelILi8ENS0_13BinaryFunctorIaaaZNS0_12_GLOBAL__N_121threshold_kernel_implIaEEvRNS_18TensorIteratorBaseET_S7_EUlaaE_EESt5arrayIPcLm3EEEEviT0_T1_ ; -- Begin function _ZN2at6native29vectorized_elementwise_kernelILi8ENS0_13BinaryFunctorIaaaZNS0_12_GLOBAL__N_121threshold_kernel_implIaEEvRNS_18TensorIteratorBaseET_S7_EUlaaE_EESt5arrayIPcLm3EEEEviT0_T1_
	.p2align	8
	.type	_ZN2at6native29vectorized_elementwise_kernelILi8ENS0_13BinaryFunctorIaaaZNS0_12_GLOBAL__N_121threshold_kernel_implIaEEvRNS_18TensorIteratorBaseET_S7_EUlaaE_EESt5arrayIPcLm3EEEEviT0_T1_,@function
_ZN2at6native29vectorized_elementwise_kernelILi8ENS0_13BinaryFunctorIaaaZNS0_12_GLOBAL__N_121threshold_kernel_implIaEEvRNS_18TensorIteratorBaseET_S7_EUlaaE_EESt5arrayIPcLm3EEEEviT0_T1_: ; @_ZN2at6native29vectorized_elementwise_kernelILi8ENS0_13BinaryFunctorIaaaZNS0_12_GLOBAL__N_121threshold_kernel_implIaEEvRNS_18TensorIteratorBaseET_S7_EUlaaE_EESt5arrayIPcLm3EEEEviT0_T1_
; %bb.0:
	v_mov_b32_e32 v1, 0
	global_load_ushort v5, v1, s[4:5] offset:4
	s_load_dword s0, s[4:5], 0x0
	s_load_dwordx4 s[8:11], s[4:5], 0x8
	s_load_dwordx2 s[12:13], s[4:5], 0x18
	s_lshl_b32 s33, s6, 12
	s_waitcnt lgkmcnt(0)
	s_sub_i32 s38, s0, s33
	s_cmpk_gt_i32 s38, 0xfff
	s_mov_b64 s[0:1], -1
	s_cbranch_scc0 .LBB41_2
; %bb.1:
	s_ashr_i32 s3, s33, 31
	s_add_u32 s0, s10, s33
	s_addc_u32 s1, s11, s3
	v_lshlrev_b32_e32 v10, 3, v0
	global_load_dwordx2 v[1:2], v10, s[0:1]
	global_load_dwordx2 v[3:4], v10, s[0:1] offset:2048
	s_add_u32 s0, s12, s33
	s_addc_u32 s1, s13, s3
	global_load_dwordx2 v[6:7], v10, s[0:1]
	global_load_dwordx2 v[8:9], v10, s[0:1] offset:2048
	v_mov_b32_e32 v11, 8
	s_waitcnt vmcnt(4)
	v_lshrrev_b32_sdwa v11, v11, v5 dst_sel:DWORD dst_unused:UNUSED_PAD src0_sel:DWORD src1_sel:WORD_0
	s_add_u32 s2, s8, s33
	s_addc_u32 s3, s9, s3
	s_waitcnt vmcnt(3)
	v_cmp_gt_i16_sdwa vcc, sext(v2), sext(v5) src0_sel:BYTE_0 src1_sel:BYTE_0
	v_cmp_gt_i16_sdwa s[0:1], sext(v1), sext(v5) src0_sel:BYTE_0 src1_sel:BYTE_0
	v_lshrrev_b32_e32 v12, 8, v1
	v_lshrrev_b32_e32 v13, 16, v1
	;; [unrolled: 1-line block ×6, first 2 shown]
	s_waitcnt vmcnt(1)
	v_lshrrev_b32_e32 v2, 8, v6
	v_lshrrev_b32_e32 v24, 16, v6
	;; [unrolled: 1-line block ×3, first 2 shown]
	v_cndmask_b32_e64 v1, v11, v6, s[0:1]
	v_cndmask_b32_e32 v6, v11, v7, vcc
	v_cmp_gt_i16_sdwa vcc, sext(v3), sext(v5) src0_sel:BYTE_0 src1_sel:BYTE_0
	v_lshrrev_b32_e32 v18, 8, v3
	v_lshrrev_b32_e32 v19, 16, v3
	;; [unrolled: 1-line block ×3, first 2 shown]
	s_waitcnt vmcnt(0)
	v_cndmask_b32_e32 v3, v11, v8, vcc
	v_cmp_gt_i16_sdwa vcc, sext(v4), sext(v5) src0_sel:BYTE_0 src1_sel:BYTE_0
	v_lshrrev_b32_e32 v21, 8, v4
	v_lshrrev_b32_e32 v22, 16, v4
	;; [unrolled: 1-line block ×3, first 2 shown]
	v_cndmask_b32_e32 v4, v11, v9, vcc
	v_cmp_gt_i16_sdwa vcc, sext(v12), sext(v5) src0_sel:BYTE_0 src1_sel:BYTE_0
	v_cndmask_b32_e32 v2, v11, v2, vcc
	v_cmp_gt_i16_sdwa vcc, sext(v13), sext(v5) src0_sel:BYTE_0 src1_sel:BYTE_0
	v_lshrrev_b32_e32 v26, 8, v7
	v_lshrrev_b32_e32 v27, 16, v7
	v_lshrrev_b32_e32 v28, 24, v7
	v_cndmask_b32_e32 v7, v11, v24, vcc
	v_cmp_gt_i16_sdwa vcc, sext(v14), sext(v5) src0_sel:BYTE_0 src1_sel:BYTE_0
	v_lshrrev_b32_e32 v29, 8, v8
	v_lshrrev_b32_e32 v30, 16, v8
	v_lshrrev_b32_e32 v31, 24, v8
	;; [unrolled: 5-line block ×3, first 2 shown]
	v_cndmask_b32_e32 v9, v11, v26, vcc
	v_cmp_gt_i16_sdwa vcc, sext(v16), sext(v5) src0_sel:BYTE_0 src1_sel:BYTE_0
	v_cndmask_b32_e32 v12, v11, v27, vcc
	v_cmp_gt_i16_sdwa vcc, sext(v17), sext(v5) src0_sel:BYTE_0 src1_sel:BYTE_0
	;; [unrolled: 2-line block ×8, first 2 shown]
	v_cndmask_b32_e32 v11, v11, v34, vcc
	v_lshlrev_b16_e32 v17, 8, v17
	v_lshlrev_b16_e32 v11, 8, v11
	;; [unrolled: 1-line block ×8, first 2 shown]
	v_or_b32_sdwa v4, v4, v17 dst_sel:DWORD dst_unused:UNUSED_PAD src0_sel:BYTE_0 src1_sel:DWORD
	v_or_b32_sdwa v11, v18, v11 dst_sel:WORD_1 dst_unused:UNUSED_PAD src0_sel:BYTE_0 src1_sel:DWORD
	v_or_b32_sdwa v3, v3, v14 dst_sel:DWORD dst_unused:UNUSED_PAD src0_sel:BYTE_0 src1_sel:DWORD
	v_or_b32_sdwa v14, v15, v16 dst_sel:WORD_1 dst_unused:UNUSED_PAD src0_sel:BYTE_0 src1_sel:DWORD
	v_or_b32_sdwa v6, v6, v9 dst_sel:DWORD dst_unused:UNUSED_PAD src0_sel:BYTE_0 src1_sel:DWORD
	v_or_b32_sdwa v9, v12, v13 dst_sel:WORD_1 dst_unused:UNUSED_PAD src0_sel:BYTE_0 src1_sel:DWORD
	v_or_b32_sdwa v12, v1, v2 dst_sel:DWORD dst_unused:UNUSED_PAD src0_sel:BYTE_0 src1_sel:DWORD
	v_or_b32_sdwa v7, v7, v8 dst_sel:WORD_1 dst_unused:UNUSED_PAD src0_sel:BYTE_0 src1_sel:DWORD
	v_or_b32_sdwa v2, v4, v11 dst_sel:DWORD dst_unused:UNUSED_PAD src0_sel:WORD_0 src1_sel:DWORD
	v_or_b32_sdwa v1, v3, v14 dst_sel:DWORD dst_unused:UNUSED_PAD src0_sel:WORD_0 src1_sel:DWORD
	;; [unrolled: 1-line block ×4, first 2 shown]
	global_store_dwordx2 v10, v[3:4], s[2:3]
	global_store_dwordx2 v10, v[1:2], s[2:3] offset:2048
	s_mov_b64 s[0:1], 0
.LBB41_2:
	s_andn2_b64 vcc, exec, s[0:1]
	s_cbranch_vccnz .LBB41_54
; %bb.3:
	v_cmp_gt_i32_e64 s[0:1], s38, v0
	v_cmp_le_i32_e32 vcc, s38, v0
                                        ; implicit-def: $vgpr6
	s_and_saveexec_b64 s[2:3], vcc
	s_xor_b64 s[2:3], exec, s[2:3]
; %bb.4:
	v_or_b32_e32 v6, 0x100, v0
; %bb.5:
	s_or_saveexec_b64 s[2:3], s[2:3]
	v_mov_b32_e32 v39, 0
	v_or_b32_e32 v7, s33, v0
	v_mov_b32_e32 v38, 0
	v_mov_b32_e32 v37, 0
	;; [unrolled: 1-line block ×31, first 2 shown]
	s_xor_b64 exec, exec, s[2:3]
	s_cbranch_execz .LBB41_37
; %bb.6:
	global_load_ubyte v8, v7, s[10:11]
	global_load_ubyte v10, v7, s[12:13]
	v_or_b32_e32 v6, 0x100, v0
	v_cmp_gt_u32_e32 vcc, s38, v6
	v_mov_b32_e32 v9, 0
	v_mov_b32_e32 v11, 0
	;; [unrolled: 1-line block ×30, first 2 shown]
	s_and_saveexec_b64 s[4:5], vcc
	s_cbranch_execz .LBB41_36
; %bb.7:
	v_add_u32_e32 v3, s33, v0
	global_load_ubyte v11, v3, s[10:11] offset:256
	global_load_ubyte v9, v3, s[12:13] offset:256
	v_or_b32_e32 v1, 0x200, v0
	v_mov_b32_e32 v12, 0
	v_cmp_gt_u32_e32 vcc, s38, v1
	v_mov_b32_e32 v17, 0
	v_mov_b32_e32 v13, 0
	v_mov_b32_e32 v15, 0
	v_mov_b32_e32 v16, 0
	v_mov_b32_e32 v18, 0
	v_mov_b32_e32 v19, 0
	v_mov_b32_e32 v23, 0
	v_mov_b32_e32 v21, 0
	v_mov_b32_e32 v24, 0
	v_mov_b32_e32 v14, 0
	v_mov_b32_e32 v20, 0
	v_mov_b32_e32 v22, 0
	v_mov_b32_e32 v25, 0
	v_mov_b32_e32 v26, 0
	v_mov_b32_e32 v27, 0
	v_mov_b32_e32 v28, 0
	v_mov_b32_e32 v29, 0
	v_mov_b32_e32 v30, 0
	v_mov_b32_e32 v31, 0
	v_mov_b32_e32 v32, 0
	v_mov_b32_e32 v33, 0
	v_mov_b32_e32 v34, 0
	v_mov_b32_e32 v35, 0
	v_mov_b32_e32 v36, 0
	v_mov_b32_e32 v37, 0
	v_mov_b32_e32 v38, 0
	v_mov_b32_e32 v39, 0
	s_and_saveexec_b64 s[6:7], vcc
	s_cbranch_execz .LBB41_35
; %bb.8:
	v_mov_b32_e32 v2, s11
	v_add_co_u32_e32 v1, vcc, s10, v3
	v_addc_co_u32_e32 v2, vcc, 0, v2, vcc
	v_mov_b32_e32 v4, s13
	v_add_co_u32_e32 v3, vcc, s12, v3
	v_addc_co_u32_e32 v4, vcc, 0, v4, vcc
	global_load_ubyte v17, v[1:2], off offset:512
	global_load_ubyte v12, v[3:4], off offset:512
	v_or_b32_e32 v13, 0x300, v0
	v_cmp_gt_u32_e32 vcc, s38, v13
	v_mov_b32_e32 v13, 0
	v_mov_b32_e32 v15, 0
	;; [unrolled: 1-line block ×26, first 2 shown]
	s_and_saveexec_b64 s[10:11], vcc
	s_cbranch_execz .LBB41_34
; %bb.9:
	global_load_ubyte v15, v[1:2], off offset:768
	global_load_ubyte v13, v[3:4], off offset:768
	v_or_b32_e32 v14, 0x400, v0
	v_cmp_gt_u32_e32 vcc, s38, v14
	v_mov_b32_e32 v16, 0
	v_mov_b32_e32 v18, 0
	;; [unrolled: 1-line block ×24, first 2 shown]
	s_and_saveexec_b64 s[12:13], vcc
	s_cbranch_execz .LBB41_33
; %bb.10:
	global_load_ubyte v18, v[1:2], off offset:1024
	global_load_ubyte v16, v[3:4], off offset:1024
	v_or_b32_e32 v14, 0x500, v0
	v_cmp_gt_u32_e32 vcc, s38, v14
	v_mov_b32_e32 v19, 0
	v_mov_b32_e32 v23, 0
	;; [unrolled: 1-line block ×22, first 2 shown]
	s_and_saveexec_b64 s[14:15], vcc
	s_cbranch_execz .LBB41_32
; %bb.11:
	global_load_ubyte v23, v[1:2], off offset:1280
	global_load_ubyte v19, v[3:4], off offset:1280
	v_or_b32_e32 v14, 0x600, v0
	v_cmp_gt_u32_e32 vcc, s38, v14
	v_mov_b32_e32 v21, 0
	v_mov_b32_e32 v24, 0
	;; [unrolled: 1-line block ×20, first 2 shown]
	s_and_saveexec_b64 s[16:17], vcc
	s_cbranch_execz .LBB41_31
; %bb.12:
	global_load_ubyte v24, v[1:2], off offset:1536
	global_load_ubyte v21, v[3:4], off offset:1536
	v_or_b32_e32 v14, 0x700, v0
	v_cmp_gt_u32_e32 vcc, s38, v14
	v_mov_b32_e32 v14, 0
	v_mov_b32_e32 v20, 0
	;; [unrolled: 1-line block ×18, first 2 shown]
	s_and_saveexec_b64 s[18:19], vcc
	s_cbranch_execz .LBB41_30
; %bb.13:
	global_load_ubyte v20, v[1:2], off offset:1792
	global_load_ubyte v14, v[3:4], off offset:1792
	v_or_b32_e32 v22, 0x800, v0
	v_cmp_gt_u32_e32 vcc, s38, v22
	v_mov_b32_e32 v22, 0
	v_mov_b32_e32 v25, 0
	;; [unrolled: 1-line block ×16, first 2 shown]
	s_and_saveexec_b64 s[20:21], vcc
	s_cbranch_execz .LBB41_29
; %bb.14:
	global_load_ubyte v25, v[1:2], off offset:2048
	global_load_ubyte v22, v[3:4], off offset:2048
	v_or_b32_e32 v26, 0x900, v0
	v_cmp_gt_u32_e32 vcc, s38, v26
	v_mov_b32_e32 v26, 0
	v_mov_b32_e32 v27, 0
	;; [unrolled: 1-line block ×14, first 2 shown]
	s_and_saveexec_b64 s[22:23], vcc
	s_cbranch_execz .LBB41_28
; %bb.15:
	global_load_ubyte v27, v[1:2], off offset:2304
	global_load_ubyte v26, v[3:4], off offset:2304
	v_or_b32_e32 v28, 0xa00, v0
	v_cmp_gt_u32_e32 vcc, s38, v28
	v_mov_b32_e32 v28, 0
	v_mov_b32_e32 v29, 0
	v_mov_b32_e32 v30, 0
	v_mov_b32_e32 v31, 0
	v_mov_b32_e32 v32, 0
	v_mov_b32_e32 v33, 0
	v_mov_b32_e32 v34, 0
	v_mov_b32_e32 v35, 0
	v_mov_b32_e32 v36, 0
	v_mov_b32_e32 v37, 0
	v_mov_b32_e32 v38, 0
	v_mov_b32_e32 v39, 0
	s_and_saveexec_b64 s[24:25], vcc
	s_cbranch_execz .LBB41_27
; %bb.16:
	global_load_ubyte v29, v[1:2], off offset:2560
	global_load_ubyte v28, v[3:4], off offset:2560
	v_or_b32_e32 v30, 0xb00, v0
	v_cmp_gt_u32_e32 vcc, s38, v30
	v_mov_b32_e32 v30, 0
	v_mov_b32_e32 v31, 0
	;; [unrolled: 1-line block ×10, first 2 shown]
	s_and_saveexec_b64 s[26:27], vcc
	s_cbranch_execz .LBB41_26
; %bb.17:
	global_load_ubyte v31, v[1:2], off offset:2816
	global_load_ubyte v30, v[3:4], off offset:2816
	v_or_b32_e32 v32, 0xc00, v0
	v_cmp_gt_u32_e32 vcc, s38, v32
	v_mov_b32_e32 v32, 0
	v_mov_b32_e32 v33, 0
	;; [unrolled: 1-line block ×8, first 2 shown]
	s_and_saveexec_b64 s[28:29], vcc
	s_cbranch_execz .LBB41_25
; %bb.18:
	global_load_ubyte v33, v[1:2], off offset:3072
	global_load_ubyte v32, v[3:4], off offset:3072
	v_or_b32_e32 v34, 0xd00, v0
	v_cmp_gt_u32_e32 vcc, s38, v34
	v_mov_b32_e32 v34, 0
	v_mov_b32_e32 v35, 0
	;; [unrolled: 1-line block ×6, first 2 shown]
	s_and_saveexec_b64 s[30:31], vcc
	s_cbranch_execz .LBB41_24
; %bb.19:
	global_load_ubyte v35, v[1:2], off offset:3328
	global_load_ubyte v34, v[3:4], off offset:3328
	v_or_b32_e32 v36, 0xe00, v0
	v_cmp_gt_u32_e32 vcc, s38, v36
	v_mov_b32_e32 v36, 0
	v_mov_b32_e32 v37, 0
	;; [unrolled: 1-line block ×4, first 2 shown]
	s_and_saveexec_b64 s[34:35], vcc
	s_cbranch_execz .LBB41_23
; %bb.20:
	global_load_ubyte v37, v[1:2], off offset:3584
	global_load_ubyte v36, v[3:4], off offset:3584
	v_or_b32_e32 v38, 0xf00, v0
	v_cmp_gt_u32_e32 vcc, s38, v38
	v_mov_b32_e32 v38, 0
	v_mov_b32_e32 v39, 0
	s_and_saveexec_b64 s[36:37], vcc
	s_cbranch_execz .LBB41_22
; %bb.21:
	global_load_ubyte v39, v[1:2], off offset:3840
	global_load_ubyte v38, v[3:4], off offset:3840
.LBB41_22:
	s_or_b64 exec, exec, s[36:37]
.LBB41_23:
	s_or_b64 exec, exec, s[34:35]
.LBB41_24:
	s_or_b64 exec, exec, s[30:31]
.LBB41_25:
	s_or_b64 exec, exec, s[28:29]
.LBB41_26:
	s_or_b64 exec, exec, s[26:27]
.LBB41_27:
	s_or_b64 exec, exec, s[24:25]
.LBB41_28:
	s_or_b64 exec, exec, s[22:23]
.LBB41_29:
	s_or_b64 exec, exec, s[20:21]
.LBB41_30:
	s_or_b64 exec, exec, s[18:19]
.LBB41_31:
	s_or_b64 exec, exec, s[16:17]
.LBB41_32:
	s_or_b64 exec, exec, s[14:15]
.LBB41_33:
	s_or_b64 exec, exec, s[12:13]
.LBB41_34:
	s_or_b64 exec, exec, s[10:11]
.LBB41_35:
	s_or_b64 exec, exec, s[6:7]
.LBB41_36:
	s_or_b64 exec, exec, s[4:5]
.LBB41_37:
	s_or_b64 exec, exec, s[2:3]
	v_mov_b32_e32 v1, 8
	s_waitcnt vmcnt(0)
	v_lshrrev_b32_sdwa v1, v1, v5 dst_sel:DWORD dst_unused:UNUSED_PAD src0_sel:DWORD src1_sel:WORD_0
	v_cmp_gt_i16_sdwa vcc, sext(v8), sext(v5) src0_sel:BYTE_0 src1_sel:BYTE_0
	s_mov_b32 s2, 0xffff
	v_cndmask_b32_e32 v2, v1, v10, vcc
	v_cmp_gt_i16_sdwa vcc, sext(v11), sext(v5) src0_sel:BYTE_0 src1_sel:BYTE_0
	v_and_b32_sdwa v2, s2, v2 dst_sel:DWORD dst_unused:UNUSED_PAD src0_sel:DWORD src1_sel:BYTE_0
	v_cndmask_b32_e32 v3, v1, v9, vcc
	v_cndmask_b32_e64 v2, 0, v2, s[0:1]
	v_lshlrev_b16_e32 v3, 8, v3
	v_or_b32_e32 v3, v2, v3
	v_and_b32_e32 v3, 0xffff, v3
	v_cmp_gt_i32_e32 vcc, s38, v6
	v_cndmask_b32_e32 v2, v2, v3, vcc
	v_cmp_gt_i16_sdwa vcc, sext(v17), sext(v5) src0_sel:BYTE_0 src1_sel:BYTE_0
	v_cndmask_b32_e32 v4, v1, v12, vcc
	s_mov_b32 s4, 0xc0c0304
	v_or_b32_e32 v3, 0x200, v0
	v_perm_b32 v4, v4, v2, s4
	v_lshl_or_b32 v4, v4, 16, v2
	v_cmp_gt_i32_e32 vcc, s38, v3
	v_cndmask_b32_e32 v2, v2, v4, vcc
	v_cmp_gt_i16_sdwa vcc, sext(v15), sext(v5) src0_sel:BYTE_0 src1_sel:BYTE_0
	s_movk_i32 s3, 0xff
	v_cndmask_b32_e32 v8, v1, v13, vcc
	v_and_b32_sdwa v3, v2, s3 dst_sel:DWORD dst_unused:UNUSED_PAD src0_sel:WORD_1 src1_sel:DWORD
	v_lshlrev_b16_e32 v8, 8, v8
	v_or_b32_e32 v4, 0x300, v0
	v_or_b32_sdwa v3, v3, v8 dst_sel:WORD_1 dst_unused:UNUSED_PAD src0_sel:DWORD src1_sel:DWORD
	v_and_or_b32 v3, v2, s2, v3
	v_cmp_gt_i32_e32 vcc, s38, v4
	v_cndmask_b32_e32 v4, v2, v3, vcc
	v_cmp_gt_i16_sdwa vcc, sext(v18), sext(v5) src0_sel:BYTE_0 src1_sel:BYTE_0
	v_cndmask_b32_e32 v2, v1, v16, vcc
	s_mov_b32 s5, 0x3020104
	v_or_b32_e32 v3, 0x400, v0
	v_perm_b32 v2, v2, 0, s5
	v_cmp_gt_i32_e32 vcc, s38, v3
	v_cndmask_b32_e32 v2, 0, v2, vcc
	v_cmp_gt_i16_sdwa vcc, sext(v23), sext(v5) src0_sel:BYTE_0 src1_sel:BYTE_0
	v_cndmask_b32_e32 v3, v1, v19, vcc
	v_lshlrev_b16_e32 v3, 8, v3
	v_or_b32_sdwa v3, v2, v3 dst_sel:DWORD dst_unused:UNUSED_PAD src0_sel:BYTE_0 src1_sel:DWORD
	v_and_b32_e32 v3, 0xffff, v3
	s_mov_b32 s6, 0xffff0000
	v_or_b32_e32 v8, 0x500, v0
	v_and_or_b32 v3, v2, s6, v3
	v_cmp_gt_i32_e32 vcc, s38, v8
	v_cndmask_b32_e32 v2, v2, v3, vcc
	v_cmp_gt_i16_sdwa vcc, sext(v24), sext(v5) src0_sel:BYTE_0 src1_sel:BYTE_0
	v_or_b32_e32 v3, 0x600, v0
	v_cndmask_b32_e32 v8, v1, v21, vcc
	s_mov_b32 s7, 0x7000504
	v_perm_b32 v8, v2, v8, s7
	v_cmp_gt_i32_e32 vcc, s38, v3
	v_cndmask_b32_e32 v2, v2, v8, vcc
	v_cmp_gt_i16_sdwa vcc, sext(v20), sext(v5) src0_sel:BYTE_0 src1_sel:BYTE_0
	v_cndmask_b32_e32 v9, v1, v14, vcc
	v_and_b32_sdwa v3, v2, s3 dst_sel:DWORD dst_unused:UNUSED_PAD src0_sel:WORD_1 src1_sel:DWORD
	v_lshlrev_b16_e32 v9, 8, v9
	v_or_b32_e32 v8, 0x700, v0
	v_or_b32_sdwa v3, v3, v9 dst_sel:WORD_1 dst_unused:UNUSED_PAD src0_sel:DWORD src1_sel:DWORD
	v_and_or_b32 v3, v2, s2, v3
	v_cmp_gt_i32_e32 vcc, s38, v8
	v_cndmask_b32_e32 v3, v2, v3, vcc
	v_cmp_gt_i16_sdwa vcc, sext(v25), sext(v5) src0_sel:BYTE_0 src1_sel:BYTE_0
	v_or_b32_e32 v2, 0x800, v0
	v_cndmask_b32_e32 v8, v1, v22, vcc
	v_and_b32_sdwa v8, s2, v8 dst_sel:DWORD dst_unused:UNUSED_PAD src0_sel:DWORD src1_sel:BYTE_0
	v_cmp_gt_i32_e32 vcc, s38, v2
	v_cndmask_b32_e32 v2, 0, v8, vcc
	v_cmp_gt_i16_sdwa vcc, sext(v27), sext(v5) src0_sel:BYTE_0 src1_sel:BYTE_0
	v_cndmask_b32_e32 v9, v1, v26, vcc
	v_lshlrev_b16_e32 v9, 8, v9
	v_or_b32_e32 v8, 0x900, v0
	v_or_b32_e32 v9, v2, v9
	v_and_b32_e32 v9, 0xffff, v9
	v_cmp_gt_i32_e32 vcc, s38, v8
	v_cndmask_b32_e32 v2, v2, v9, vcc
	v_cmp_gt_i16_sdwa vcc, sext(v29), sext(v5) src0_sel:BYTE_0 src1_sel:BYTE_0
	v_cndmask_b32_e32 v9, v1, v28, vcc
	v_or_b32_e32 v8, 0xa00, v0
	v_perm_b32 v9, v9, v2, s4
	v_lshl_or_b32 v9, v9, 16, v2
	v_cmp_gt_i32_e32 vcc, s38, v8
	v_cndmask_b32_e32 v2, v2, v9, vcc
	v_cmp_gt_i16_sdwa vcc, sext(v31), sext(v5) src0_sel:BYTE_0 src1_sel:BYTE_0
	v_cndmask_b32_e32 v10, v1, v30, vcc
	v_and_b32_sdwa v8, v2, s3 dst_sel:DWORD dst_unused:UNUSED_PAD src0_sel:WORD_1 src1_sel:DWORD
	v_lshlrev_b16_e32 v10, 8, v10
	v_or_b32_e32 v9, 0xb00, v0
	v_or_b32_sdwa v8, v8, v10 dst_sel:WORD_1 dst_unused:UNUSED_PAD src0_sel:DWORD src1_sel:DWORD
	v_and_or_b32 v8, v2, s2, v8
	v_cmp_gt_i32_e32 vcc, s38, v9
	v_cndmask_b32_e32 v2, v2, v8, vcc
	v_cmp_gt_i16_sdwa vcc, sext(v33), sext(v5) src0_sel:BYTE_0 src1_sel:BYTE_0
	v_cndmask_b32_e32 v8, v1, v32, vcc
	v_or_b32_e32 v9, 0xc00, v0
	v_perm_b32 v8, v8, 0, s5
	v_cmp_gt_i32_e32 vcc, s38, v9
	v_cndmask_b32_e32 v8, 0, v8, vcc
	v_cmp_gt_i16_sdwa vcc, sext(v35), sext(v5) src0_sel:BYTE_0 src1_sel:BYTE_0
	v_cndmask_b32_e32 v9, v1, v34, vcc
	v_lshlrev_b16_e32 v9, 8, v9
	v_or_b32_sdwa v9, v8, v9 dst_sel:DWORD dst_unused:UNUSED_PAD src0_sel:BYTE_0 src1_sel:DWORD
	v_and_b32_e32 v9, 0xffff, v9
	v_or_b32_e32 v10, 0xd00, v0
	v_and_or_b32 v9, v8, s6, v9
	v_cmp_gt_i32_e32 vcc, s38, v10
	v_cndmask_b32_e32 v8, v8, v9, vcc
	v_cmp_gt_i16_sdwa vcc, sext(v37), sext(v5) src0_sel:BYTE_0 src1_sel:BYTE_0
	v_or_b32_e32 v9, 0xe00, v0
	v_cndmask_b32_e32 v10, v1, v36, vcc
	v_perm_b32 v10, v8, v10, s7
	v_cmp_gt_i32_e32 vcc, s38, v9
	v_cndmask_b32_e32 v8, v8, v10, vcc
	v_cmp_gt_i16_sdwa vcc, sext(v39), sext(v5) src0_sel:BYTE_0 src1_sel:BYTE_0
	v_and_b32_sdwa v9, v8, s3 dst_sel:DWORD dst_unused:UNUSED_PAD src0_sel:WORD_1 src1_sel:DWORD
	v_cndmask_b32_sdwa v1, v1, v38, vcc dst_sel:BYTE_1 dst_unused:UNUSED_PAD src0_sel:DWORD src1_sel:DWORD
	v_or_b32_e32 v10, 0xf00, v0
	v_or_b32_sdwa v1, v9, v1 dst_sel:WORD_1 dst_unused:UNUSED_PAD src0_sel:DWORD src1_sel:DWORD
	v_and_or_b32 v1, v8, s2, v1
	v_cmp_gt_i32_e32 vcc, s38, v10
	v_cndmask_b32_e32 v1, v8, v1, vcc
	s_and_saveexec_b64 s[2:3], s[0:1]
	s_cbranch_execnz .LBB41_55
; %bb.38:
	s_or_b64 exec, exec, s[2:3]
	v_cmp_gt_i32_e32 vcc, s38, v0
	s_and_saveexec_b64 s[0:1], vcc
	s_cbranch_execnz .LBB41_56
.LBB41_39:
	s_or_b64 exec, exec, s[0:1]
	v_cmp_gt_i32_e32 vcc, s38, v0
	s_and_saveexec_b64 s[0:1], vcc
	s_cbranch_execnz .LBB41_57
.LBB41_40:
	s_or_b64 exec, exec, s[0:1]
	v_cmp_gt_i32_e32 vcc, s38, v0
	s_and_saveexec_b64 s[0:1], vcc
	s_cbranch_execnz .LBB41_58
.LBB41_41:
	s_or_b64 exec, exec, s[0:1]
	v_cmp_gt_i32_e32 vcc, s38, v0
	s_and_saveexec_b64 s[0:1], vcc
	s_cbranch_execnz .LBB41_59
.LBB41_42:
	s_or_b64 exec, exec, s[0:1]
	v_cmp_gt_i32_e32 vcc, s38, v0
	s_and_saveexec_b64 s[0:1], vcc
	s_cbranch_execnz .LBB41_60
.LBB41_43:
	s_or_b64 exec, exec, s[0:1]
	v_cmp_gt_i32_e32 vcc, s38, v0
	s_and_saveexec_b64 s[0:1], vcc
	s_cbranch_execnz .LBB41_61
.LBB41_44:
	s_or_b64 exec, exec, s[0:1]
	v_cmp_gt_i32_e32 vcc, s38, v0
	s_and_saveexec_b64 s[0:1], vcc
	s_cbranch_execnz .LBB41_62
.LBB41_45:
	s_or_b64 exec, exec, s[0:1]
	v_cmp_gt_i32_e32 vcc, s38, v0
	s_and_saveexec_b64 s[0:1], vcc
	s_cbranch_execnz .LBB41_63
.LBB41_46:
	s_or_b64 exec, exec, s[0:1]
	v_cmp_gt_i32_e32 vcc, s38, v0
	s_and_saveexec_b64 s[0:1], vcc
	s_cbranch_execnz .LBB41_64
.LBB41_47:
	s_or_b64 exec, exec, s[0:1]
	v_cmp_gt_i32_e32 vcc, s38, v0
	s_and_saveexec_b64 s[0:1], vcc
	s_cbranch_execnz .LBB41_65
.LBB41_48:
	s_or_b64 exec, exec, s[0:1]
	v_cmp_gt_i32_e32 vcc, s38, v0
	s_and_saveexec_b64 s[0:1], vcc
	s_cbranch_execnz .LBB41_66
.LBB41_49:
	s_or_b64 exec, exec, s[0:1]
	v_cmp_gt_i32_e32 vcc, s38, v0
	s_and_saveexec_b64 s[0:1], vcc
	s_cbranch_execnz .LBB41_67
.LBB41_50:
	s_or_b64 exec, exec, s[0:1]
	v_cmp_gt_i32_e32 vcc, s38, v0
	s_and_saveexec_b64 s[0:1], vcc
	s_cbranch_execnz .LBB41_68
.LBB41_51:
	s_or_b64 exec, exec, s[0:1]
	v_cmp_gt_i32_e32 vcc, s38, v0
	s_and_saveexec_b64 s[0:1], vcc
	s_cbranch_execnz .LBB41_69
.LBB41_52:
	s_or_b64 exec, exec, s[0:1]
	v_cmp_gt_i32_e32 vcc, s38, v0
	s_and_saveexec_b64 s[0:1], vcc
	s_cbranch_execz .LBB41_54
.LBB41_53:
	v_lshrrev_b32_e32 v1, 24, v1
	v_add_u32_e32 v0, s33, v0
	global_store_byte v0, v1, s[8:9]
.LBB41_54:
	s_endpgm
.LBB41_55:
	v_mov_b32_e32 v0, v6
	global_store_byte v7, v4, s[8:9]
	s_or_b64 exec, exec, s[2:3]
	v_cmp_gt_i32_e32 vcc, s38, v0
	s_and_saveexec_b64 s[0:1], vcc
	s_cbranch_execz .LBB41_39
.LBB41_56:
	v_lshrrev_b32_e32 v5, 8, v4
	v_add_u32_e32 v6, s33, v0
	v_add_u32_e32 v0, 0x100, v0
	global_store_byte v6, v5, s[8:9]
	s_or_b64 exec, exec, s[0:1]
	v_cmp_gt_i32_e32 vcc, s38, v0
	s_and_saveexec_b64 s[0:1], vcc
	s_cbranch_execz .LBB41_40
.LBB41_57:
	v_add_u32_e32 v5, s33, v0
	v_add_u32_e32 v0, 0x100, v0
	global_store_byte_d16_hi v5, v4, s[8:9]
	s_or_b64 exec, exec, s[0:1]
	v_cmp_gt_i32_e32 vcc, s38, v0
	s_and_saveexec_b64 s[0:1], vcc
	s_cbranch_execz .LBB41_41
.LBB41_58:
	v_lshrrev_b32_e32 v4, 24, v4
	v_add_u32_e32 v5, s33, v0
	v_add_u32_e32 v0, 0x100, v0
	global_store_byte v5, v4, s[8:9]
	s_or_b64 exec, exec, s[0:1]
	v_cmp_gt_i32_e32 vcc, s38, v0
	s_and_saveexec_b64 s[0:1], vcc
	s_cbranch_execz .LBB41_42
.LBB41_59:
	v_add_u32_e32 v4, s33, v0
	v_add_u32_e32 v0, 0x100, v0
	global_store_byte v4, v3, s[8:9]
	s_or_b64 exec, exec, s[0:1]
	v_cmp_gt_i32_e32 vcc, s38, v0
	s_and_saveexec_b64 s[0:1], vcc
	s_cbranch_execz .LBB41_43
.LBB41_60:
	v_lshrrev_b32_e32 v4, 8, v3
	v_add_u32_e32 v5, s33, v0
	v_add_u32_e32 v0, 0x100, v0
	global_store_byte v5, v4, s[8:9]
	s_or_b64 exec, exec, s[0:1]
	v_cmp_gt_i32_e32 vcc, s38, v0
	s_and_saveexec_b64 s[0:1], vcc
	s_cbranch_execz .LBB41_44
.LBB41_61:
	v_add_u32_e32 v4, s33, v0
	v_add_u32_e32 v0, 0x100, v0
	global_store_byte_d16_hi v4, v3, s[8:9]
	s_or_b64 exec, exec, s[0:1]
	v_cmp_gt_i32_e32 vcc, s38, v0
	s_and_saveexec_b64 s[0:1], vcc
	s_cbranch_execz .LBB41_45
.LBB41_62:
	v_lshrrev_b32_e32 v3, 24, v3
	v_add_u32_e32 v4, s33, v0
	v_add_u32_e32 v0, 0x100, v0
	global_store_byte v4, v3, s[8:9]
	s_or_b64 exec, exec, s[0:1]
	v_cmp_gt_i32_e32 vcc, s38, v0
	s_and_saveexec_b64 s[0:1], vcc
	s_cbranch_execz .LBB41_46
.LBB41_63:
	v_add_u32_e32 v3, s33, v0
	v_add_u32_e32 v0, 0x100, v0
	global_store_byte v3, v2, s[8:9]
	s_or_b64 exec, exec, s[0:1]
	v_cmp_gt_i32_e32 vcc, s38, v0
	s_and_saveexec_b64 s[0:1], vcc
	s_cbranch_execz .LBB41_47
.LBB41_64:
	v_lshrrev_b32_e32 v3, 8, v2
	v_add_u32_e32 v4, s33, v0
	v_add_u32_e32 v0, 0x100, v0
	global_store_byte v4, v3, s[8:9]
	s_or_b64 exec, exec, s[0:1]
	v_cmp_gt_i32_e32 vcc, s38, v0
	s_and_saveexec_b64 s[0:1], vcc
	s_cbranch_execz .LBB41_48
.LBB41_65:
	v_add_u32_e32 v3, s33, v0
	v_add_u32_e32 v0, 0x100, v0
	global_store_byte_d16_hi v3, v2, s[8:9]
	s_or_b64 exec, exec, s[0:1]
	v_cmp_gt_i32_e32 vcc, s38, v0
	s_and_saveexec_b64 s[0:1], vcc
	s_cbranch_execz .LBB41_49
.LBB41_66:
	v_lshrrev_b32_e32 v2, 24, v2
	v_add_u32_e32 v3, s33, v0
	v_add_u32_e32 v0, 0x100, v0
	global_store_byte v3, v2, s[8:9]
	s_or_b64 exec, exec, s[0:1]
	v_cmp_gt_i32_e32 vcc, s38, v0
	s_and_saveexec_b64 s[0:1], vcc
	s_cbranch_execz .LBB41_50
.LBB41_67:
	v_add_u32_e32 v2, s33, v0
	v_add_u32_e32 v0, 0x100, v0
	global_store_byte v2, v1, s[8:9]
	s_or_b64 exec, exec, s[0:1]
	v_cmp_gt_i32_e32 vcc, s38, v0
	s_and_saveexec_b64 s[0:1], vcc
	s_cbranch_execz .LBB41_51
.LBB41_68:
	v_lshrrev_b32_e32 v2, 8, v1
	v_add_u32_e32 v3, s33, v0
	v_add_u32_e32 v0, 0x100, v0
	global_store_byte v3, v2, s[8:9]
	s_or_b64 exec, exec, s[0:1]
	v_cmp_gt_i32_e32 vcc, s38, v0
	s_and_saveexec_b64 s[0:1], vcc
	s_cbranch_execz .LBB41_52
.LBB41_69:
	v_add_u32_e32 v2, s33, v0
	v_add_u32_e32 v0, 0x100, v0
	global_store_byte_d16_hi v2, v1, s[8:9]
	s_or_b64 exec, exec, s[0:1]
	v_cmp_gt_i32_e32 vcc, s38, v0
	s_and_saveexec_b64 s[0:1], vcc
	s_cbranch_execnz .LBB41_53
	s_branch .LBB41_54
	.section	.rodata,"a",@progbits
	.p2align	6, 0x0
	.amdhsa_kernel _ZN2at6native29vectorized_elementwise_kernelILi8ENS0_13BinaryFunctorIaaaZNS0_12_GLOBAL__N_121threshold_kernel_implIaEEvRNS_18TensorIteratorBaseET_S7_EUlaaE_EESt5arrayIPcLm3EEEEviT0_T1_
		.amdhsa_group_segment_fixed_size 0
		.amdhsa_private_segment_fixed_size 0
		.amdhsa_kernarg_size 32
		.amdhsa_user_sgpr_count 6
		.amdhsa_user_sgpr_private_segment_buffer 1
		.amdhsa_user_sgpr_dispatch_ptr 0
		.amdhsa_user_sgpr_queue_ptr 0
		.amdhsa_user_sgpr_kernarg_segment_ptr 1
		.amdhsa_user_sgpr_dispatch_id 0
		.amdhsa_user_sgpr_flat_scratch_init 0
		.amdhsa_user_sgpr_private_segment_size 0
		.amdhsa_uses_dynamic_stack 0
		.amdhsa_system_sgpr_private_segment_wavefront_offset 0
		.amdhsa_system_sgpr_workgroup_id_x 1
		.amdhsa_system_sgpr_workgroup_id_y 0
		.amdhsa_system_sgpr_workgroup_id_z 0
		.amdhsa_system_sgpr_workgroup_info 0
		.amdhsa_system_vgpr_workitem_id 0
		.amdhsa_next_free_vgpr 40
		.amdhsa_next_free_sgpr 39
		.amdhsa_reserve_vcc 1
		.amdhsa_reserve_flat_scratch 0
		.amdhsa_float_round_mode_32 0
		.amdhsa_float_round_mode_16_64 0
		.amdhsa_float_denorm_mode_32 3
		.amdhsa_float_denorm_mode_16_64 3
		.amdhsa_dx10_clamp 1
		.amdhsa_ieee_mode 1
		.amdhsa_fp16_overflow 0
		.amdhsa_exception_fp_ieee_invalid_op 0
		.amdhsa_exception_fp_denorm_src 0
		.amdhsa_exception_fp_ieee_div_zero 0
		.amdhsa_exception_fp_ieee_overflow 0
		.amdhsa_exception_fp_ieee_underflow 0
		.amdhsa_exception_fp_ieee_inexact 0
		.amdhsa_exception_int_div_zero 0
	.end_amdhsa_kernel
	.section	.text._ZN2at6native29vectorized_elementwise_kernelILi8ENS0_13BinaryFunctorIaaaZNS0_12_GLOBAL__N_121threshold_kernel_implIaEEvRNS_18TensorIteratorBaseET_S7_EUlaaE_EESt5arrayIPcLm3EEEEviT0_T1_,"axG",@progbits,_ZN2at6native29vectorized_elementwise_kernelILi8ENS0_13BinaryFunctorIaaaZNS0_12_GLOBAL__N_121threshold_kernel_implIaEEvRNS_18TensorIteratorBaseET_S7_EUlaaE_EESt5arrayIPcLm3EEEEviT0_T1_,comdat
.Lfunc_end41:
	.size	_ZN2at6native29vectorized_elementwise_kernelILi8ENS0_13BinaryFunctorIaaaZNS0_12_GLOBAL__N_121threshold_kernel_implIaEEvRNS_18TensorIteratorBaseET_S7_EUlaaE_EESt5arrayIPcLm3EEEEviT0_T1_, .Lfunc_end41-_ZN2at6native29vectorized_elementwise_kernelILi8ENS0_13BinaryFunctorIaaaZNS0_12_GLOBAL__N_121threshold_kernel_implIaEEvRNS_18TensorIteratorBaseET_S7_EUlaaE_EESt5arrayIPcLm3EEEEviT0_T1_
                                        ; -- End function
	.set _ZN2at6native29vectorized_elementwise_kernelILi8ENS0_13BinaryFunctorIaaaZNS0_12_GLOBAL__N_121threshold_kernel_implIaEEvRNS_18TensorIteratorBaseET_S7_EUlaaE_EESt5arrayIPcLm3EEEEviT0_T1_.num_vgpr, 40
	.set _ZN2at6native29vectorized_elementwise_kernelILi8ENS0_13BinaryFunctorIaaaZNS0_12_GLOBAL__N_121threshold_kernel_implIaEEvRNS_18TensorIteratorBaseET_S7_EUlaaE_EESt5arrayIPcLm3EEEEviT0_T1_.num_agpr, 0
	.set _ZN2at6native29vectorized_elementwise_kernelILi8ENS0_13BinaryFunctorIaaaZNS0_12_GLOBAL__N_121threshold_kernel_implIaEEvRNS_18TensorIteratorBaseET_S7_EUlaaE_EESt5arrayIPcLm3EEEEviT0_T1_.numbered_sgpr, 39
	.set _ZN2at6native29vectorized_elementwise_kernelILi8ENS0_13BinaryFunctorIaaaZNS0_12_GLOBAL__N_121threshold_kernel_implIaEEvRNS_18TensorIteratorBaseET_S7_EUlaaE_EESt5arrayIPcLm3EEEEviT0_T1_.num_named_barrier, 0
	.set _ZN2at6native29vectorized_elementwise_kernelILi8ENS0_13BinaryFunctorIaaaZNS0_12_GLOBAL__N_121threshold_kernel_implIaEEvRNS_18TensorIteratorBaseET_S7_EUlaaE_EESt5arrayIPcLm3EEEEviT0_T1_.private_seg_size, 0
	.set _ZN2at6native29vectorized_elementwise_kernelILi8ENS0_13BinaryFunctorIaaaZNS0_12_GLOBAL__N_121threshold_kernel_implIaEEvRNS_18TensorIteratorBaseET_S7_EUlaaE_EESt5arrayIPcLm3EEEEviT0_T1_.uses_vcc, 1
	.set _ZN2at6native29vectorized_elementwise_kernelILi8ENS0_13BinaryFunctorIaaaZNS0_12_GLOBAL__N_121threshold_kernel_implIaEEvRNS_18TensorIteratorBaseET_S7_EUlaaE_EESt5arrayIPcLm3EEEEviT0_T1_.uses_flat_scratch, 0
	.set _ZN2at6native29vectorized_elementwise_kernelILi8ENS0_13BinaryFunctorIaaaZNS0_12_GLOBAL__N_121threshold_kernel_implIaEEvRNS_18TensorIteratorBaseET_S7_EUlaaE_EESt5arrayIPcLm3EEEEviT0_T1_.has_dyn_sized_stack, 0
	.set _ZN2at6native29vectorized_elementwise_kernelILi8ENS0_13BinaryFunctorIaaaZNS0_12_GLOBAL__N_121threshold_kernel_implIaEEvRNS_18TensorIteratorBaseET_S7_EUlaaE_EESt5arrayIPcLm3EEEEviT0_T1_.has_recursion, 0
	.set _ZN2at6native29vectorized_elementwise_kernelILi8ENS0_13BinaryFunctorIaaaZNS0_12_GLOBAL__N_121threshold_kernel_implIaEEvRNS_18TensorIteratorBaseET_S7_EUlaaE_EESt5arrayIPcLm3EEEEviT0_T1_.has_indirect_call, 0
	.section	.AMDGPU.csdata,"",@progbits
; Kernel info:
; codeLenInByte = 3984
; TotalNumSgprs: 43
; NumVgprs: 40
; ScratchSize: 0
; MemoryBound: 0
; FloatMode: 240
; IeeeMode: 1
; LDSByteSize: 0 bytes/workgroup (compile time only)
; SGPRBlocks: 5
; VGPRBlocks: 9
; NumSGPRsForWavesPerEU: 43
; NumVGPRsForWavesPerEU: 40
; Occupancy: 6
; WaveLimiterHint : 1
; COMPUTE_PGM_RSRC2:SCRATCH_EN: 0
; COMPUTE_PGM_RSRC2:USER_SGPR: 6
; COMPUTE_PGM_RSRC2:TRAP_HANDLER: 0
; COMPUTE_PGM_RSRC2:TGID_X_EN: 1
; COMPUTE_PGM_RSRC2:TGID_Y_EN: 0
; COMPUTE_PGM_RSRC2:TGID_Z_EN: 0
; COMPUTE_PGM_RSRC2:TIDIG_COMP_CNT: 0
	.section	.text._ZN2at6native29vectorized_elementwise_kernelILi4ENS0_13BinaryFunctorIaaaZNS0_12_GLOBAL__N_121threshold_kernel_implIaEEvRNS_18TensorIteratorBaseET_S7_EUlaaE_EESt5arrayIPcLm3EEEEviT0_T1_,"axG",@progbits,_ZN2at6native29vectorized_elementwise_kernelILi4ENS0_13BinaryFunctorIaaaZNS0_12_GLOBAL__N_121threshold_kernel_implIaEEvRNS_18TensorIteratorBaseET_S7_EUlaaE_EESt5arrayIPcLm3EEEEviT0_T1_,comdat
	.globl	_ZN2at6native29vectorized_elementwise_kernelILi4ENS0_13BinaryFunctorIaaaZNS0_12_GLOBAL__N_121threshold_kernel_implIaEEvRNS_18TensorIteratorBaseET_S7_EUlaaE_EESt5arrayIPcLm3EEEEviT0_T1_ ; -- Begin function _ZN2at6native29vectorized_elementwise_kernelILi4ENS0_13BinaryFunctorIaaaZNS0_12_GLOBAL__N_121threshold_kernel_implIaEEvRNS_18TensorIteratorBaseET_S7_EUlaaE_EESt5arrayIPcLm3EEEEviT0_T1_
	.p2align	8
	.type	_ZN2at6native29vectorized_elementwise_kernelILi4ENS0_13BinaryFunctorIaaaZNS0_12_GLOBAL__N_121threshold_kernel_implIaEEvRNS_18TensorIteratorBaseET_S7_EUlaaE_EESt5arrayIPcLm3EEEEviT0_T1_,@function
_ZN2at6native29vectorized_elementwise_kernelILi4ENS0_13BinaryFunctorIaaaZNS0_12_GLOBAL__N_121threshold_kernel_implIaEEvRNS_18TensorIteratorBaseET_S7_EUlaaE_EESt5arrayIPcLm3EEEEviT0_T1_: ; @_ZN2at6native29vectorized_elementwise_kernelILi4ENS0_13BinaryFunctorIaaaZNS0_12_GLOBAL__N_121threshold_kernel_implIaEEvRNS_18TensorIteratorBaseET_S7_EUlaaE_EESt5arrayIPcLm3EEEEviT0_T1_
; %bb.0:
	v_mov_b32_e32 v1, 0
	global_load_ushort v5, v1, s[4:5] offset:4
	s_load_dword s0, s[4:5], 0x0
	s_load_dwordx4 s[8:11], s[4:5], 0x8
	s_load_dwordx2 s[12:13], s[4:5], 0x18
	s_lshl_b32 s33, s6, 12
	s_waitcnt lgkmcnt(0)
	s_sub_i32 s38, s0, s33
	s_cmpk_gt_i32 s38, 0xfff
	s_mov_b64 s[0:1], -1
	s_cbranch_scc0 .LBB42_2
; %bb.1:
	s_ashr_i32 s2, s33, 31
	s_add_u32 s0, s10, s33
	s_addc_u32 s1, s11, s2
	v_lshlrev_b32_e32 v1, 2, v0
	global_load_dword v2, v1, s[0:1]
	global_load_dword v3, v1, s[0:1] offset:1024
	global_load_dword v4, v1, s[0:1] offset:2048
	;; [unrolled: 1-line block ×3, first 2 shown]
	s_add_u32 s0, s12, s33
	s_addc_u32 s1, s13, s2
	global_load_dword v7, v1, s[0:1]
	global_load_dword v8, v1, s[0:1] offset:1024
	global_load_dword v9, v1, s[0:1] offset:2048
	;; [unrolled: 1-line block ×3, first 2 shown]
	v_mov_b32_e32 v11, 8
	s_waitcnt vmcnt(8)
	v_lshrrev_b32_sdwa v11, v11, v5 dst_sel:DWORD dst_unused:UNUSED_PAD src0_sel:DWORD src1_sel:WORD_0
	s_add_u32 s0, s8, s33
	s_addc_u32 s1, s9, s2
	s_waitcnt vmcnt(7)
	v_cmp_gt_i16_sdwa vcc, sext(v2), sext(v5) src0_sel:BYTE_0 src1_sel:BYTE_0
	v_lshrrev_b32_e32 v12, 8, v2
	v_lshrrev_b32_e32 v13, 16, v2
	v_lshrrev_b32_e32 v14, 24, v2
	s_waitcnt vmcnt(3)
	v_cndmask_b32_e32 v2, v11, v7, vcc
	v_cmp_gt_i16_sdwa vcc, sext(v3), sext(v5) src0_sel:BYTE_0 src1_sel:BYTE_0
	v_lshrrev_b32_e32 v15, 8, v3
	v_lshrrev_b32_e32 v16, 16, v3
	v_lshrrev_b32_e32 v17, 24, v3
	s_waitcnt vmcnt(2)
	v_cndmask_b32_e32 v3, v11, v8, vcc
	;; [unrolled: 6-line block ×3, first 2 shown]
	v_cmp_gt_i16_sdwa vcc, sext(v6), sext(v5) src0_sel:BYTE_0 src1_sel:BYTE_0
	v_lshrrev_b32_e32 v21, 8, v6
	v_lshrrev_b32_e32 v22, 16, v6
	;; [unrolled: 1-line block ×4, first 2 shown]
	s_waitcnt vmcnt(0)
	v_cndmask_b32_e32 v6, v11, v10, vcc
	v_cmp_gt_i16_sdwa vcc, sext(v12), sext(v5) src0_sel:BYTE_0 src1_sel:BYTE_0
	v_lshrrev_b32_e32 v25, 16, v7
	v_lshrrev_b32_e32 v26, 24, v7
	v_cndmask_b32_e32 v7, v11, v24, vcc
	v_cmp_gt_i16_sdwa vcc, sext(v13), sext(v5) src0_sel:BYTE_0 src1_sel:BYTE_0
	v_lshrrev_b32_e32 v27, 8, v8
	v_lshrrev_b32_e32 v28, 16, v8
	v_lshrrev_b32_e32 v29, 24, v8
	v_cndmask_b32_e32 v8, v11, v25, vcc
	v_cmp_gt_i16_sdwa vcc, sext(v14), sext(v5) src0_sel:BYTE_0 src1_sel:BYTE_0
	v_lshrrev_b32_e32 v30, 8, v9
	;; [unrolled: 5-line block ×3, first 2 shown]
	v_lshrrev_b32_e32 v34, 16, v10
	v_lshrrev_b32_e32 v35, 24, v10
	v_cndmask_b32_e32 v10, v11, v27, vcc
	v_cmp_gt_i16_sdwa vcc, sext(v16), sext(v5) src0_sel:BYTE_0 src1_sel:BYTE_0
	v_cndmask_b32_e32 v12, v11, v28, vcc
	v_cmp_gt_i16_sdwa vcc, sext(v17), sext(v5) src0_sel:BYTE_0 src1_sel:BYTE_0
	;; [unrolled: 2-line block ×8, first 2 shown]
	v_cndmask_b32_e32 v11, v11, v35, vcc
	v_lshlrev_b16_e32 v7, 8, v7
	v_lshlrev_b16_e32 v9, 8, v9
	;; [unrolled: 1-line block ×8, first 2 shown]
	v_or_b32_sdwa v2, v2, v7 dst_sel:DWORD dst_unused:UNUSED_PAD src0_sel:BYTE_0 src1_sel:DWORD
	v_or_b32_sdwa v7, v8, v9 dst_sel:WORD_1 dst_unused:UNUSED_PAD src0_sel:BYTE_0 src1_sel:DWORD
	v_or_b32_sdwa v6, v6, v17 dst_sel:DWORD dst_unused:UNUSED_PAD src0_sel:BYTE_0 src1_sel:DWORD
	v_or_b32_sdwa v11, v18, v11 dst_sel:WORD_1 dst_unused:UNUSED_PAD src0_sel:BYTE_0 src1_sel:DWORD
	v_or_b32_sdwa v4, v4, v14 dst_sel:DWORD dst_unused:UNUSED_PAD src0_sel:BYTE_0 src1_sel:DWORD
	v_or_b32_sdwa v14, v15, v16 dst_sel:WORD_1 dst_unused:UNUSED_PAD src0_sel:BYTE_0 src1_sel:DWORD
	v_or_b32_sdwa v3, v3, v10 dst_sel:DWORD dst_unused:UNUSED_PAD src0_sel:BYTE_0 src1_sel:DWORD
	v_or_b32_sdwa v10, v12, v13 dst_sel:WORD_1 dst_unused:UNUSED_PAD src0_sel:BYTE_0 src1_sel:DWORD
	v_or_b32_sdwa v2, v2, v7 dst_sel:DWORD dst_unused:UNUSED_PAD src0_sel:WORD_0 src1_sel:DWORD
	v_or_b32_sdwa v6, v6, v11 dst_sel:DWORD dst_unused:UNUSED_PAD src0_sel:WORD_0 src1_sel:DWORD
	;; [unrolled: 1-line block ×4, first 2 shown]
	global_store_dword v1, v2, s[0:1]
	global_store_dword v1, v3, s[0:1] offset:1024
	global_store_dword v1, v4, s[0:1] offset:2048
	;; [unrolled: 1-line block ×3, first 2 shown]
	s_mov_b64 s[0:1], 0
.LBB42_2:
	s_andn2_b64 vcc, exec, s[0:1]
	s_cbranch_vccnz .LBB42_54
; %bb.3:
	v_cmp_gt_i32_e64 s[0:1], s38, v0
	v_cmp_le_i32_e32 vcc, s38, v0
                                        ; implicit-def: $vgpr6
	s_and_saveexec_b64 s[2:3], vcc
	s_xor_b64 s[2:3], exec, s[2:3]
; %bb.4:
	v_or_b32_e32 v6, 0x100, v0
; %bb.5:
	s_or_saveexec_b64 s[2:3], s[2:3]
	v_mov_b32_e32 v39, 0
	v_or_b32_e32 v7, s33, v0
	v_mov_b32_e32 v38, 0
	v_mov_b32_e32 v37, 0
	;; [unrolled: 1-line block ×31, first 2 shown]
	s_xor_b64 exec, exec, s[2:3]
	s_cbranch_execz .LBB42_37
; %bb.6:
	global_load_ubyte v8, v7, s[10:11]
	global_load_ubyte v10, v7, s[12:13]
	v_or_b32_e32 v6, 0x100, v0
	v_cmp_gt_u32_e32 vcc, s38, v6
	v_mov_b32_e32 v9, 0
	v_mov_b32_e32 v11, 0
	;; [unrolled: 1-line block ×30, first 2 shown]
	s_and_saveexec_b64 s[4:5], vcc
	s_cbranch_execz .LBB42_36
; %bb.7:
	v_add_u32_e32 v3, s33, v0
	global_load_ubyte v11, v3, s[10:11] offset:256
	global_load_ubyte v9, v3, s[12:13] offset:256
	v_or_b32_e32 v1, 0x200, v0
	v_mov_b32_e32 v12, 0
	v_cmp_gt_u32_e32 vcc, s38, v1
	v_mov_b32_e32 v17, 0
	v_mov_b32_e32 v13, 0
	v_mov_b32_e32 v15, 0
	v_mov_b32_e32 v16, 0
	v_mov_b32_e32 v18, 0
	v_mov_b32_e32 v19, 0
	v_mov_b32_e32 v23, 0
	v_mov_b32_e32 v21, 0
	v_mov_b32_e32 v24, 0
	v_mov_b32_e32 v14, 0
	v_mov_b32_e32 v20, 0
	v_mov_b32_e32 v22, 0
	v_mov_b32_e32 v25, 0
	v_mov_b32_e32 v26, 0
	v_mov_b32_e32 v27, 0
	v_mov_b32_e32 v28, 0
	v_mov_b32_e32 v29, 0
	v_mov_b32_e32 v30, 0
	v_mov_b32_e32 v31, 0
	v_mov_b32_e32 v32, 0
	v_mov_b32_e32 v33, 0
	v_mov_b32_e32 v34, 0
	v_mov_b32_e32 v35, 0
	v_mov_b32_e32 v36, 0
	v_mov_b32_e32 v37, 0
	v_mov_b32_e32 v38, 0
	v_mov_b32_e32 v39, 0
	s_and_saveexec_b64 s[6:7], vcc
	s_cbranch_execz .LBB42_35
; %bb.8:
	v_mov_b32_e32 v2, s11
	v_add_co_u32_e32 v1, vcc, s10, v3
	v_addc_co_u32_e32 v2, vcc, 0, v2, vcc
	v_mov_b32_e32 v4, s13
	v_add_co_u32_e32 v3, vcc, s12, v3
	v_addc_co_u32_e32 v4, vcc, 0, v4, vcc
	global_load_ubyte v17, v[1:2], off offset:512
	global_load_ubyte v12, v[3:4], off offset:512
	v_or_b32_e32 v13, 0x300, v0
	v_cmp_gt_u32_e32 vcc, s38, v13
	v_mov_b32_e32 v13, 0
	v_mov_b32_e32 v15, 0
	;; [unrolled: 1-line block ×26, first 2 shown]
	s_and_saveexec_b64 s[10:11], vcc
	s_cbranch_execz .LBB42_34
; %bb.9:
	global_load_ubyte v15, v[1:2], off offset:768
	global_load_ubyte v13, v[3:4], off offset:768
	v_or_b32_e32 v14, 0x400, v0
	v_cmp_gt_u32_e32 vcc, s38, v14
	v_mov_b32_e32 v16, 0
	v_mov_b32_e32 v18, 0
	;; [unrolled: 1-line block ×24, first 2 shown]
	s_and_saveexec_b64 s[12:13], vcc
	s_cbranch_execz .LBB42_33
; %bb.10:
	global_load_ubyte v18, v[1:2], off offset:1024
	global_load_ubyte v16, v[3:4], off offset:1024
	v_or_b32_e32 v14, 0x500, v0
	v_cmp_gt_u32_e32 vcc, s38, v14
	v_mov_b32_e32 v19, 0
	v_mov_b32_e32 v23, 0
	;; [unrolled: 1-line block ×22, first 2 shown]
	s_and_saveexec_b64 s[14:15], vcc
	s_cbranch_execz .LBB42_32
; %bb.11:
	global_load_ubyte v23, v[1:2], off offset:1280
	global_load_ubyte v19, v[3:4], off offset:1280
	v_or_b32_e32 v14, 0x600, v0
	v_cmp_gt_u32_e32 vcc, s38, v14
	v_mov_b32_e32 v21, 0
	v_mov_b32_e32 v24, 0
	;; [unrolled: 1-line block ×20, first 2 shown]
	s_and_saveexec_b64 s[16:17], vcc
	s_cbranch_execz .LBB42_31
; %bb.12:
	global_load_ubyte v24, v[1:2], off offset:1536
	global_load_ubyte v21, v[3:4], off offset:1536
	v_or_b32_e32 v14, 0x700, v0
	v_cmp_gt_u32_e32 vcc, s38, v14
	v_mov_b32_e32 v14, 0
	v_mov_b32_e32 v20, 0
	;; [unrolled: 1-line block ×18, first 2 shown]
	s_and_saveexec_b64 s[18:19], vcc
	s_cbranch_execz .LBB42_30
; %bb.13:
	global_load_ubyte v20, v[1:2], off offset:1792
	global_load_ubyte v14, v[3:4], off offset:1792
	v_or_b32_e32 v22, 0x800, v0
	v_cmp_gt_u32_e32 vcc, s38, v22
	v_mov_b32_e32 v22, 0
	v_mov_b32_e32 v25, 0
	;; [unrolled: 1-line block ×16, first 2 shown]
	s_and_saveexec_b64 s[20:21], vcc
	s_cbranch_execz .LBB42_29
; %bb.14:
	global_load_ubyte v25, v[1:2], off offset:2048
	global_load_ubyte v22, v[3:4], off offset:2048
	v_or_b32_e32 v26, 0x900, v0
	v_cmp_gt_u32_e32 vcc, s38, v26
	v_mov_b32_e32 v26, 0
	v_mov_b32_e32 v27, 0
	;; [unrolled: 1-line block ×14, first 2 shown]
	s_and_saveexec_b64 s[22:23], vcc
	s_cbranch_execz .LBB42_28
; %bb.15:
	global_load_ubyte v27, v[1:2], off offset:2304
	global_load_ubyte v26, v[3:4], off offset:2304
	v_or_b32_e32 v28, 0xa00, v0
	v_cmp_gt_u32_e32 vcc, s38, v28
	v_mov_b32_e32 v28, 0
	v_mov_b32_e32 v29, 0
	;; [unrolled: 1-line block ×12, first 2 shown]
	s_and_saveexec_b64 s[24:25], vcc
	s_cbranch_execz .LBB42_27
; %bb.16:
	global_load_ubyte v29, v[1:2], off offset:2560
	global_load_ubyte v28, v[3:4], off offset:2560
	v_or_b32_e32 v30, 0xb00, v0
	v_cmp_gt_u32_e32 vcc, s38, v30
	v_mov_b32_e32 v30, 0
	v_mov_b32_e32 v31, 0
	;; [unrolled: 1-line block ×10, first 2 shown]
	s_and_saveexec_b64 s[26:27], vcc
	s_cbranch_execz .LBB42_26
; %bb.17:
	global_load_ubyte v31, v[1:2], off offset:2816
	global_load_ubyte v30, v[3:4], off offset:2816
	v_or_b32_e32 v32, 0xc00, v0
	v_cmp_gt_u32_e32 vcc, s38, v32
	v_mov_b32_e32 v32, 0
	v_mov_b32_e32 v33, 0
	;; [unrolled: 1-line block ×8, first 2 shown]
	s_and_saveexec_b64 s[28:29], vcc
	s_cbranch_execz .LBB42_25
; %bb.18:
	global_load_ubyte v33, v[1:2], off offset:3072
	global_load_ubyte v32, v[3:4], off offset:3072
	v_or_b32_e32 v34, 0xd00, v0
	v_cmp_gt_u32_e32 vcc, s38, v34
	v_mov_b32_e32 v34, 0
	v_mov_b32_e32 v35, 0
	;; [unrolled: 1-line block ×6, first 2 shown]
	s_and_saveexec_b64 s[30:31], vcc
	s_cbranch_execz .LBB42_24
; %bb.19:
	global_load_ubyte v35, v[1:2], off offset:3328
	global_load_ubyte v34, v[3:4], off offset:3328
	v_or_b32_e32 v36, 0xe00, v0
	v_cmp_gt_u32_e32 vcc, s38, v36
	v_mov_b32_e32 v36, 0
	v_mov_b32_e32 v37, 0
	;; [unrolled: 1-line block ×4, first 2 shown]
	s_and_saveexec_b64 s[34:35], vcc
	s_cbranch_execz .LBB42_23
; %bb.20:
	global_load_ubyte v37, v[1:2], off offset:3584
	global_load_ubyte v36, v[3:4], off offset:3584
	v_or_b32_e32 v38, 0xf00, v0
	v_cmp_gt_u32_e32 vcc, s38, v38
	v_mov_b32_e32 v38, 0
	v_mov_b32_e32 v39, 0
	s_and_saveexec_b64 s[36:37], vcc
	s_cbranch_execz .LBB42_22
; %bb.21:
	global_load_ubyte v39, v[1:2], off offset:3840
	global_load_ubyte v38, v[3:4], off offset:3840
.LBB42_22:
	s_or_b64 exec, exec, s[36:37]
.LBB42_23:
	s_or_b64 exec, exec, s[34:35]
.LBB42_24:
	s_or_b64 exec, exec, s[30:31]
.LBB42_25:
	s_or_b64 exec, exec, s[28:29]
.LBB42_26:
	s_or_b64 exec, exec, s[26:27]
.LBB42_27:
	s_or_b64 exec, exec, s[24:25]
.LBB42_28:
	s_or_b64 exec, exec, s[22:23]
.LBB42_29:
	s_or_b64 exec, exec, s[20:21]
.LBB42_30:
	s_or_b64 exec, exec, s[18:19]
.LBB42_31:
	s_or_b64 exec, exec, s[16:17]
.LBB42_32:
	s_or_b64 exec, exec, s[14:15]
.LBB42_33:
	s_or_b64 exec, exec, s[12:13]
.LBB42_34:
	s_or_b64 exec, exec, s[10:11]
.LBB42_35:
	s_or_b64 exec, exec, s[6:7]
.LBB42_36:
	s_or_b64 exec, exec, s[4:5]
.LBB42_37:
	s_or_b64 exec, exec, s[2:3]
	v_mov_b32_e32 v1, 8
	s_waitcnt vmcnt(0)
	v_lshrrev_b32_sdwa v1, v1, v5 dst_sel:DWORD dst_unused:UNUSED_PAD src0_sel:DWORD src1_sel:WORD_0
	v_cmp_gt_i16_sdwa vcc, sext(v8), sext(v5) src0_sel:BYTE_0 src1_sel:BYTE_0
	s_mov_b32 s2, 0xffff
	v_cndmask_b32_e32 v2, v1, v10, vcc
	v_cmp_gt_i16_sdwa vcc, sext(v11), sext(v5) src0_sel:BYTE_0 src1_sel:BYTE_0
	v_and_b32_sdwa v2, s2, v2 dst_sel:DWORD dst_unused:UNUSED_PAD src0_sel:DWORD src1_sel:BYTE_0
	v_cndmask_b32_e32 v3, v1, v9, vcc
	v_cndmask_b32_e64 v2, 0, v2, s[0:1]
	v_lshlrev_b16_e32 v3, 8, v3
	v_or_b32_e32 v3, v2, v3
	v_and_b32_e32 v3, 0xffff, v3
	v_cmp_gt_i32_e32 vcc, s38, v6
	v_cndmask_b32_e32 v2, v2, v3, vcc
	v_cmp_gt_i16_sdwa vcc, sext(v17), sext(v5) src0_sel:BYTE_0 src1_sel:BYTE_0
	v_cndmask_b32_e32 v4, v1, v12, vcc
	s_mov_b32 s4, 0xc0c0304
	v_or_b32_e32 v3, 0x200, v0
	v_perm_b32 v4, v4, v2, s4
	v_lshl_or_b32 v4, v4, 16, v2
	v_cmp_gt_i32_e32 vcc, s38, v3
	v_cndmask_b32_e32 v2, v2, v4, vcc
	v_cmp_gt_i16_sdwa vcc, sext(v15), sext(v5) src0_sel:BYTE_0 src1_sel:BYTE_0
	s_movk_i32 s3, 0xff
	v_cndmask_b32_e32 v8, v1, v13, vcc
	v_and_b32_sdwa v3, v2, s3 dst_sel:DWORD dst_unused:UNUSED_PAD src0_sel:WORD_1 src1_sel:DWORD
	v_lshlrev_b16_e32 v8, 8, v8
	v_or_b32_e32 v4, 0x300, v0
	v_or_b32_sdwa v3, v3, v8 dst_sel:WORD_1 dst_unused:UNUSED_PAD src0_sel:DWORD src1_sel:DWORD
	v_and_or_b32 v3, v2, s2, v3
	v_cmp_gt_i32_e32 vcc, s38, v4
	v_cndmask_b32_e32 v4, v2, v3, vcc
	v_cmp_gt_i16_sdwa vcc, sext(v18), sext(v5) src0_sel:BYTE_0 src1_sel:BYTE_0
	v_cndmask_b32_e32 v2, v1, v16, vcc
	s_mov_b32 s5, 0x3020104
	v_or_b32_e32 v3, 0x400, v0
	v_perm_b32 v2, v2, 0, s5
	v_cmp_gt_i32_e32 vcc, s38, v3
	v_cndmask_b32_e32 v2, 0, v2, vcc
	v_cmp_gt_i16_sdwa vcc, sext(v23), sext(v5) src0_sel:BYTE_0 src1_sel:BYTE_0
	v_cndmask_b32_e32 v3, v1, v19, vcc
	v_lshlrev_b16_e32 v3, 8, v3
	v_or_b32_sdwa v3, v2, v3 dst_sel:DWORD dst_unused:UNUSED_PAD src0_sel:BYTE_0 src1_sel:DWORD
	v_and_b32_e32 v3, 0xffff, v3
	s_mov_b32 s6, 0xffff0000
	v_or_b32_e32 v8, 0x500, v0
	v_and_or_b32 v3, v2, s6, v3
	v_cmp_gt_i32_e32 vcc, s38, v8
	v_cndmask_b32_e32 v2, v2, v3, vcc
	v_cmp_gt_i16_sdwa vcc, sext(v24), sext(v5) src0_sel:BYTE_0 src1_sel:BYTE_0
	v_or_b32_e32 v3, 0x600, v0
	v_cndmask_b32_e32 v8, v1, v21, vcc
	s_mov_b32 s7, 0x7000504
	v_perm_b32 v8, v2, v8, s7
	v_cmp_gt_i32_e32 vcc, s38, v3
	v_cndmask_b32_e32 v2, v2, v8, vcc
	v_cmp_gt_i16_sdwa vcc, sext(v20), sext(v5) src0_sel:BYTE_0 src1_sel:BYTE_0
	v_cndmask_b32_e32 v9, v1, v14, vcc
	v_and_b32_sdwa v3, v2, s3 dst_sel:DWORD dst_unused:UNUSED_PAD src0_sel:WORD_1 src1_sel:DWORD
	v_lshlrev_b16_e32 v9, 8, v9
	v_or_b32_e32 v8, 0x700, v0
	v_or_b32_sdwa v3, v3, v9 dst_sel:WORD_1 dst_unused:UNUSED_PAD src0_sel:DWORD src1_sel:DWORD
	v_and_or_b32 v3, v2, s2, v3
	v_cmp_gt_i32_e32 vcc, s38, v8
	v_cndmask_b32_e32 v3, v2, v3, vcc
	v_cmp_gt_i16_sdwa vcc, sext(v25), sext(v5) src0_sel:BYTE_0 src1_sel:BYTE_0
	v_or_b32_e32 v2, 0x800, v0
	v_cndmask_b32_e32 v8, v1, v22, vcc
	v_and_b32_sdwa v8, s2, v8 dst_sel:DWORD dst_unused:UNUSED_PAD src0_sel:DWORD src1_sel:BYTE_0
	v_cmp_gt_i32_e32 vcc, s38, v2
	v_cndmask_b32_e32 v2, 0, v8, vcc
	v_cmp_gt_i16_sdwa vcc, sext(v27), sext(v5) src0_sel:BYTE_0 src1_sel:BYTE_0
	v_cndmask_b32_e32 v9, v1, v26, vcc
	v_lshlrev_b16_e32 v9, 8, v9
	v_or_b32_e32 v8, 0x900, v0
	v_or_b32_e32 v9, v2, v9
	v_and_b32_e32 v9, 0xffff, v9
	v_cmp_gt_i32_e32 vcc, s38, v8
	v_cndmask_b32_e32 v2, v2, v9, vcc
	v_cmp_gt_i16_sdwa vcc, sext(v29), sext(v5) src0_sel:BYTE_0 src1_sel:BYTE_0
	v_cndmask_b32_e32 v9, v1, v28, vcc
	v_or_b32_e32 v8, 0xa00, v0
	v_perm_b32 v9, v9, v2, s4
	v_lshl_or_b32 v9, v9, 16, v2
	v_cmp_gt_i32_e32 vcc, s38, v8
	v_cndmask_b32_e32 v2, v2, v9, vcc
	v_cmp_gt_i16_sdwa vcc, sext(v31), sext(v5) src0_sel:BYTE_0 src1_sel:BYTE_0
	v_cndmask_b32_e32 v10, v1, v30, vcc
	v_and_b32_sdwa v8, v2, s3 dst_sel:DWORD dst_unused:UNUSED_PAD src0_sel:WORD_1 src1_sel:DWORD
	v_lshlrev_b16_e32 v10, 8, v10
	v_or_b32_e32 v9, 0xb00, v0
	v_or_b32_sdwa v8, v8, v10 dst_sel:WORD_1 dst_unused:UNUSED_PAD src0_sel:DWORD src1_sel:DWORD
	v_and_or_b32 v8, v2, s2, v8
	v_cmp_gt_i32_e32 vcc, s38, v9
	v_cndmask_b32_e32 v2, v2, v8, vcc
	v_cmp_gt_i16_sdwa vcc, sext(v33), sext(v5) src0_sel:BYTE_0 src1_sel:BYTE_0
	v_cndmask_b32_e32 v8, v1, v32, vcc
	v_or_b32_e32 v9, 0xc00, v0
	v_perm_b32 v8, v8, 0, s5
	v_cmp_gt_i32_e32 vcc, s38, v9
	v_cndmask_b32_e32 v8, 0, v8, vcc
	v_cmp_gt_i16_sdwa vcc, sext(v35), sext(v5) src0_sel:BYTE_0 src1_sel:BYTE_0
	v_cndmask_b32_e32 v9, v1, v34, vcc
	v_lshlrev_b16_e32 v9, 8, v9
	v_or_b32_sdwa v9, v8, v9 dst_sel:DWORD dst_unused:UNUSED_PAD src0_sel:BYTE_0 src1_sel:DWORD
	v_and_b32_e32 v9, 0xffff, v9
	v_or_b32_e32 v10, 0xd00, v0
	v_and_or_b32 v9, v8, s6, v9
	v_cmp_gt_i32_e32 vcc, s38, v10
	v_cndmask_b32_e32 v8, v8, v9, vcc
	v_cmp_gt_i16_sdwa vcc, sext(v37), sext(v5) src0_sel:BYTE_0 src1_sel:BYTE_0
	v_or_b32_e32 v9, 0xe00, v0
	v_cndmask_b32_e32 v10, v1, v36, vcc
	v_perm_b32 v10, v8, v10, s7
	v_cmp_gt_i32_e32 vcc, s38, v9
	v_cndmask_b32_e32 v8, v8, v10, vcc
	v_cmp_gt_i16_sdwa vcc, sext(v39), sext(v5) src0_sel:BYTE_0 src1_sel:BYTE_0
	v_and_b32_sdwa v9, v8, s3 dst_sel:DWORD dst_unused:UNUSED_PAD src0_sel:WORD_1 src1_sel:DWORD
	v_cndmask_b32_sdwa v1, v1, v38, vcc dst_sel:BYTE_1 dst_unused:UNUSED_PAD src0_sel:DWORD src1_sel:DWORD
	v_or_b32_e32 v10, 0xf00, v0
	v_or_b32_sdwa v1, v9, v1 dst_sel:WORD_1 dst_unused:UNUSED_PAD src0_sel:DWORD src1_sel:DWORD
	v_and_or_b32 v1, v8, s2, v1
	v_cmp_gt_i32_e32 vcc, s38, v10
	v_cndmask_b32_e32 v1, v8, v1, vcc
	s_and_saveexec_b64 s[2:3], s[0:1]
	s_cbranch_execnz .LBB42_55
; %bb.38:
	s_or_b64 exec, exec, s[2:3]
	v_cmp_gt_i32_e32 vcc, s38, v0
	s_and_saveexec_b64 s[0:1], vcc
	s_cbranch_execnz .LBB42_56
.LBB42_39:
	s_or_b64 exec, exec, s[0:1]
	v_cmp_gt_i32_e32 vcc, s38, v0
	s_and_saveexec_b64 s[0:1], vcc
	s_cbranch_execnz .LBB42_57
.LBB42_40:
	s_or_b64 exec, exec, s[0:1]
	v_cmp_gt_i32_e32 vcc, s38, v0
	s_and_saveexec_b64 s[0:1], vcc
	s_cbranch_execnz .LBB42_58
.LBB42_41:
	s_or_b64 exec, exec, s[0:1]
	v_cmp_gt_i32_e32 vcc, s38, v0
	s_and_saveexec_b64 s[0:1], vcc
	s_cbranch_execnz .LBB42_59
.LBB42_42:
	s_or_b64 exec, exec, s[0:1]
	v_cmp_gt_i32_e32 vcc, s38, v0
	s_and_saveexec_b64 s[0:1], vcc
	s_cbranch_execnz .LBB42_60
.LBB42_43:
	s_or_b64 exec, exec, s[0:1]
	v_cmp_gt_i32_e32 vcc, s38, v0
	s_and_saveexec_b64 s[0:1], vcc
	s_cbranch_execnz .LBB42_61
.LBB42_44:
	s_or_b64 exec, exec, s[0:1]
	v_cmp_gt_i32_e32 vcc, s38, v0
	s_and_saveexec_b64 s[0:1], vcc
	s_cbranch_execnz .LBB42_62
.LBB42_45:
	s_or_b64 exec, exec, s[0:1]
	v_cmp_gt_i32_e32 vcc, s38, v0
	s_and_saveexec_b64 s[0:1], vcc
	s_cbranch_execnz .LBB42_63
.LBB42_46:
	s_or_b64 exec, exec, s[0:1]
	v_cmp_gt_i32_e32 vcc, s38, v0
	s_and_saveexec_b64 s[0:1], vcc
	s_cbranch_execnz .LBB42_64
.LBB42_47:
	s_or_b64 exec, exec, s[0:1]
	v_cmp_gt_i32_e32 vcc, s38, v0
	s_and_saveexec_b64 s[0:1], vcc
	s_cbranch_execnz .LBB42_65
.LBB42_48:
	s_or_b64 exec, exec, s[0:1]
	v_cmp_gt_i32_e32 vcc, s38, v0
	s_and_saveexec_b64 s[0:1], vcc
	s_cbranch_execnz .LBB42_66
.LBB42_49:
	s_or_b64 exec, exec, s[0:1]
	v_cmp_gt_i32_e32 vcc, s38, v0
	s_and_saveexec_b64 s[0:1], vcc
	s_cbranch_execnz .LBB42_67
.LBB42_50:
	s_or_b64 exec, exec, s[0:1]
	v_cmp_gt_i32_e32 vcc, s38, v0
	s_and_saveexec_b64 s[0:1], vcc
	s_cbranch_execnz .LBB42_68
.LBB42_51:
	s_or_b64 exec, exec, s[0:1]
	v_cmp_gt_i32_e32 vcc, s38, v0
	s_and_saveexec_b64 s[0:1], vcc
	s_cbranch_execnz .LBB42_69
.LBB42_52:
	s_or_b64 exec, exec, s[0:1]
	v_cmp_gt_i32_e32 vcc, s38, v0
	s_and_saveexec_b64 s[0:1], vcc
	s_cbranch_execz .LBB42_54
.LBB42_53:
	v_lshrrev_b32_e32 v1, 24, v1
	v_add_u32_e32 v0, s33, v0
	global_store_byte v0, v1, s[8:9]
.LBB42_54:
	s_endpgm
.LBB42_55:
	v_mov_b32_e32 v0, v6
	global_store_byte v7, v4, s[8:9]
	s_or_b64 exec, exec, s[2:3]
	v_cmp_gt_i32_e32 vcc, s38, v0
	s_and_saveexec_b64 s[0:1], vcc
	s_cbranch_execz .LBB42_39
.LBB42_56:
	v_lshrrev_b32_e32 v5, 8, v4
	v_add_u32_e32 v6, s33, v0
	v_add_u32_e32 v0, 0x100, v0
	global_store_byte v6, v5, s[8:9]
	s_or_b64 exec, exec, s[0:1]
	v_cmp_gt_i32_e32 vcc, s38, v0
	s_and_saveexec_b64 s[0:1], vcc
	s_cbranch_execz .LBB42_40
.LBB42_57:
	v_add_u32_e32 v5, s33, v0
	v_add_u32_e32 v0, 0x100, v0
	global_store_byte_d16_hi v5, v4, s[8:9]
	s_or_b64 exec, exec, s[0:1]
	v_cmp_gt_i32_e32 vcc, s38, v0
	s_and_saveexec_b64 s[0:1], vcc
	s_cbranch_execz .LBB42_41
.LBB42_58:
	v_lshrrev_b32_e32 v4, 24, v4
	v_add_u32_e32 v5, s33, v0
	v_add_u32_e32 v0, 0x100, v0
	global_store_byte v5, v4, s[8:9]
	s_or_b64 exec, exec, s[0:1]
	v_cmp_gt_i32_e32 vcc, s38, v0
	s_and_saveexec_b64 s[0:1], vcc
	s_cbranch_execz .LBB42_42
.LBB42_59:
	v_add_u32_e32 v4, s33, v0
	v_add_u32_e32 v0, 0x100, v0
	global_store_byte v4, v3, s[8:9]
	s_or_b64 exec, exec, s[0:1]
	v_cmp_gt_i32_e32 vcc, s38, v0
	s_and_saveexec_b64 s[0:1], vcc
	s_cbranch_execz .LBB42_43
.LBB42_60:
	v_lshrrev_b32_e32 v4, 8, v3
	v_add_u32_e32 v5, s33, v0
	v_add_u32_e32 v0, 0x100, v0
	global_store_byte v5, v4, s[8:9]
	s_or_b64 exec, exec, s[0:1]
	v_cmp_gt_i32_e32 vcc, s38, v0
	s_and_saveexec_b64 s[0:1], vcc
	s_cbranch_execz .LBB42_44
.LBB42_61:
	v_add_u32_e32 v4, s33, v0
	v_add_u32_e32 v0, 0x100, v0
	global_store_byte_d16_hi v4, v3, s[8:9]
	s_or_b64 exec, exec, s[0:1]
	v_cmp_gt_i32_e32 vcc, s38, v0
	s_and_saveexec_b64 s[0:1], vcc
	s_cbranch_execz .LBB42_45
.LBB42_62:
	v_lshrrev_b32_e32 v3, 24, v3
	v_add_u32_e32 v4, s33, v0
	v_add_u32_e32 v0, 0x100, v0
	global_store_byte v4, v3, s[8:9]
	s_or_b64 exec, exec, s[0:1]
	v_cmp_gt_i32_e32 vcc, s38, v0
	s_and_saveexec_b64 s[0:1], vcc
	s_cbranch_execz .LBB42_46
.LBB42_63:
	v_add_u32_e32 v3, s33, v0
	v_add_u32_e32 v0, 0x100, v0
	global_store_byte v3, v2, s[8:9]
	s_or_b64 exec, exec, s[0:1]
	v_cmp_gt_i32_e32 vcc, s38, v0
	s_and_saveexec_b64 s[0:1], vcc
	s_cbranch_execz .LBB42_47
.LBB42_64:
	v_lshrrev_b32_e32 v3, 8, v2
	v_add_u32_e32 v4, s33, v0
	v_add_u32_e32 v0, 0x100, v0
	global_store_byte v4, v3, s[8:9]
	s_or_b64 exec, exec, s[0:1]
	v_cmp_gt_i32_e32 vcc, s38, v0
	s_and_saveexec_b64 s[0:1], vcc
	s_cbranch_execz .LBB42_48
.LBB42_65:
	v_add_u32_e32 v3, s33, v0
	v_add_u32_e32 v0, 0x100, v0
	global_store_byte_d16_hi v3, v2, s[8:9]
	s_or_b64 exec, exec, s[0:1]
	v_cmp_gt_i32_e32 vcc, s38, v0
	s_and_saveexec_b64 s[0:1], vcc
	s_cbranch_execz .LBB42_49
.LBB42_66:
	v_lshrrev_b32_e32 v2, 24, v2
	v_add_u32_e32 v3, s33, v0
	v_add_u32_e32 v0, 0x100, v0
	global_store_byte v3, v2, s[8:9]
	s_or_b64 exec, exec, s[0:1]
	v_cmp_gt_i32_e32 vcc, s38, v0
	s_and_saveexec_b64 s[0:1], vcc
	s_cbranch_execz .LBB42_50
.LBB42_67:
	v_add_u32_e32 v2, s33, v0
	v_add_u32_e32 v0, 0x100, v0
	global_store_byte v2, v1, s[8:9]
	s_or_b64 exec, exec, s[0:1]
	v_cmp_gt_i32_e32 vcc, s38, v0
	s_and_saveexec_b64 s[0:1], vcc
	s_cbranch_execz .LBB42_51
.LBB42_68:
	v_lshrrev_b32_e32 v2, 8, v1
	v_add_u32_e32 v3, s33, v0
	v_add_u32_e32 v0, 0x100, v0
	global_store_byte v3, v2, s[8:9]
	s_or_b64 exec, exec, s[0:1]
	v_cmp_gt_i32_e32 vcc, s38, v0
	s_and_saveexec_b64 s[0:1], vcc
	s_cbranch_execz .LBB42_52
.LBB42_69:
	v_add_u32_e32 v2, s33, v0
	v_add_u32_e32 v0, 0x100, v0
	global_store_byte_d16_hi v2, v1, s[8:9]
	s_or_b64 exec, exec, s[0:1]
	v_cmp_gt_i32_e32 vcc, s38, v0
	s_and_saveexec_b64 s[0:1], vcc
	s_cbranch_execnz .LBB42_53
	s_branch .LBB42_54
	.section	.rodata,"a",@progbits
	.p2align	6, 0x0
	.amdhsa_kernel _ZN2at6native29vectorized_elementwise_kernelILi4ENS0_13BinaryFunctorIaaaZNS0_12_GLOBAL__N_121threshold_kernel_implIaEEvRNS_18TensorIteratorBaseET_S7_EUlaaE_EESt5arrayIPcLm3EEEEviT0_T1_
		.amdhsa_group_segment_fixed_size 0
		.amdhsa_private_segment_fixed_size 0
		.amdhsa_kernarg_size 32
		.amdhsa_user_sgpr_count 6
		.amdhsa_user_sgpr_private_segment_buffer 1
		.amdhsa_user_sgpr_dispatch_ptr 0
		.amdhsa_user_sgpr_queue_ptr 0
		.amdhsa_user_sgpr_kernarg_segment_ptr 1
		.amdhsa_user_sgpr_dispatch_id 0
		.amdhsa_user_sgpr_flat_scratch_init 0
		.amdhsa_user_sgpr_private_segment_size 0
		.amdhsa_uses_dynamic_stack 0
		.amdhsa_system_sgpr_private_segment_wavefront_offset 0
		.amdhsa_system_sgpr_workgroup_id_x 1
		.amdhsa_system_sgpr_workgroup_id_y 0
		.amdhsa_system_sgpr_workgroup_id_z 0
		.amdhsa_system_sgpr_workgroup_info 0
		.amdhsa_system_vgpr_workitem_id 0
		.amdhsa_next_free_vgpr 40
		.amdhsa_next_free_sgpr 39
		.amdhsa_reserve_vcc 1
		.amdhsa_reserve_flat_scratch 0
		.amdhsa_float_round_mode_32 0
		.amdhsa_float_round_mode_16_64 0
		.amdhsa_float_denorm_mode_32 3
		.amdhsa_float_denorm_mode_16_64 3
		.amdhsa_dx10_clamp 1
		.amdhsa_ieee_mode 1
		.amdhsa_fp16_overflow 0
		.amdhsa_exception_fp_ieee_invalid_op 0
		.amdhsa_exception_fp_denorm_src 0
		.amdhsa_exception_fp_ieee_div_zero 0
		.amdhsa_exception_fp_ieee_overflow 0
		.amdhsa_exception_fp_ieee_underflow 0
		.amdhsa_exception_fp_ieee_inexact 0
		.amdhsa_exception_int_div_zero 0
	.end_amdhsa_kernel
	.section	.text._ZN2at6native29vectorized_elementwise_kernelILi4ENS0_13BinaryFunctorIaaaZNS0_12_GLOBAL__N_121threshold_kernel_implIaEEvRNS_18TensorIteratorBaseET_S7_EUlaaE_EESt5arrayIPcLm3EEEEviT0_T1_,"axG",@progbits,_ZN2at6native29vectorized_elementwise_kernelILi4ENS0_13BinaryFunctorIaaaZNS0_12_GLOBAL__N_121threshold_kernel_implIaEEvRNS_18TensorIteratorBaseET_S7_EUlaaE_EESt5arrayIPcLm3EEEEviT0_T1_,comdat
.Lfunc_end42:
	.size	_ZN2at6native29vectorized_elementwise_kernelILi4ENS0_13BinaryFunctorIaaaZNS0_12_GLOBAL__N_121threshold_kernel_implIaEEvRNS_18TensorIteratorBaseET_S7_EUlaaE_EESt5arrayIPcLm3EEEEviT0_T1_, .Lfunc_end42-_ZN2at6native29vectorized_elementwise_kernelILi4ENS0_13BinaryFunctorIaaaZNS0_12_GLOBAL__N_121threshold_kernel_implIaEEvRNS_18TensorIteratorBaseET_S7_EUlaaE_EESt5arrayIPcLm3EEEEviT0_T1_
                                        ; -- End function
	.set _ZN2at6native29vectorized_elementwise_kernelILi4ENS0_13BinaryFunctorIaaaZNS0_12_GLOBAL__N_121threshold_kernel_implIaEEvRNS_18TensorIteratorBaseET_S7_EUlaaE_EESt5arrayIPcLm3EEEEviT0_T1_.num_vgpr, 40
	.set _ZN2at6native29vectorized_elementwise_kernelILi4ENS0_13BinaryFunctorIaaaZNS0_12_GLOBAL__N_121threshold_kernel_implIaEEvRNS_18TensorIteratorBaseET_S7_EUlaaE_EESt5arrayIPcLm3EEEEviT0_T1_.num_agpr, 0
	.set _ZN2at6native29vectorized_elementwise_kernelILi4ENS0_13BinaryFunctorIaaaZNS0_12_GLOBAL__N_121threshold_kernel_implIaEEvRNS_18TensorIteratorBaseET_S7_EUlaaE_EESt5arrayIPcLm3EEEEviT0_T1_.numbered_sgpr, 39
	.set _ZN2at6native29vectorized_elementwise_kernelILi4ENS0_13BinaryFunctorIaaaZNS0_12_GLOBAL__N_121threshold_kernel_implIaEEvRNS_18TensorIteratorBaseET_S7_EUlaaE_EESt5arrayIPcLm3EEEEviT0_T1_.num_named_barrier, 0
	.set _ZN2at6native29vectorized_elementwise_kernelILi4ENS0_13BinaryFunctorIaaaZNS0_12_GLOBAL__N_121threshold_kernel_implIaEEvRNS_18TensorIteratorBaseET_S7_EUlaaE_EESt5arrayIPcLm3EEEEviT0_T1_.private_seg_size, 0
	.set _ZN2at6native29vectorized_elementwise_kernelILi4ENS0_13BinaryFunctorIaaaZNS0_12_GLOBAL__N_121threshold_kernel_implIaEEvRNS_18TensorIteratorBaseET_S7_EUlaaE_EESt5arrayIPcLm3EEEEviT0_T1_.uses_vcc, 1
	.set _ZN2at6native29vectorized_elementwise_kernelILi4ENS0_13BinaryFunctorIaaaZNS0_12_GLOBAL__N_121threshold_kernel_implIaEEvRNS_18TensorIteratorBaseET_S7_EUlaaE_EESt5arrayIPcLm3EEEEviT0_T1_.uses_flat_scratch, 0
	.set _ZN2at6native29vectorized_elementwise_kernelILi4ENS0_13BinaryFunctorIaaaZNS0_12_GLOBAL__N_121threshold_kernel_implIaEEvRNS_18TensorIteratorBaseET_S7_EUlaaE_EESt5arrayIPcLm3EEEEviT0_T1_.has_dyn_sized_stack, 0
	.set _ZN2at6native29vectorized_elementwise_kernelILi4ENS0_13BinaryFunctorIaaaZNS0_12_GLOBAL__N_121threshold_kernel_implIaEEvRNS_18TensorIteratorBaseET_S7_EUlaaE_EESt5arrayIPcLm3EEEEviT0_T1_.has_recursion, 0
	.set _ZN2at6native29vectorized_elementwise_kernelILi4ENS0_13BinaryFunctorIaaaZNS0_12_GLOBAL__N_121threshold_kernel_implIaEEvRNS_18TensorIteratorBaseET_S7_EUlaaE_EESt5arrayIPcLm3EEEEviT0_T1_.has_indirect_call, 0
	.section	.AMDGPU.csdata,"",@progbits
; Kernel info:
; codeLenInByte = 4036
; TotalNumSgprs: 43
; NumVgprs: 40
; ScratchSize: 0
; MemoryBound: 0
; FloatMode: 240
; IeeeMode: 1
; LDSByteSize: 0 bytes/workgroup (compile time only)
; SGPRBlocks: 5
; VGPRBlocks: 9
; NumSGPRsForWavesPerEU: 43
; NumVGPRsForWavesPerEU: 40
; Occupancy: 6
; WaveLimiterHint : 1
; COMPUTE_PGM_RSRC2:SCRATCH_EN: 0
; COMPUTE_PGM_RSRC2:USER_SGPR: 6
; COMPUTE_PGM_RSRC2:TRAP_HANDLER: 0
; COMPUTE_PGM_RSRC2:TGID_X_EN: 1
; COMPUTE_PGM_RSRC2:TGID_Y_EN: 0
; COMPUTE_PGM_RSRC2:TGID_Z_EN: 0
; COMPUTE_PGM_RSRC2:TIDIG_COMP_CNT: 0
	.section	.text._ZN2at6native29vectorized_elementwise_kernelILi2ENS0_13BinaryFunctorIaaaZNS0_12_GLOBAL__N_121threshold_kernel_implIaEEvRNS_18TensorIteratorBaseET_S7_EUlaaE_EESt5arrayIPcLm3EEEEviT0_T1_,"axG",@progbits,_ZN2at6native29vectorized_elementwise_kernelILi2ENS0_13BinaryFunctorIaaaZNS0_12_GLOBAL__N_121threshold_kernel_implIaEEvRNS_18TensorIteratorBaseET_S7_EUlaaE_EESt5arrayIPcLm3EEEEviT0_T1_,comdat
	.globl	_ZN2at6native29vectorized_elementwise_kernelILi2ENS0_13BinaryFunctorIaaaZNS0_12_GLOBAL__N_121threshold_kernel_implIaEEvRNS_18TensorIteratorBaseET_S7_EUlaaE_EESt5arrayIPcLm3EEEEviT0_T1_ ; -- Begin function _ZN2at6native29vectorized_elementwise_kernelILi2ENS0_13BinaryFunctorIaaaZNS0_12_GLOBAL__N_121threshold_kernel_implIaEEvRNS_18TensorIteratorBaseET_S7_EUlaaE_EESt5arrayIPcLm3EEEEviT0_T1_
	.p2align	8
	.type	_ZN2at6native29vectorized_elementwise_kernelILi2ENS0_13BinaryFunctorIaaaZNS0_12_GLOBAL__N_121threshold_kernel_implIaEEvRNS_18TensorIteratorBaseET_S7_EUlaaE_EESt5arrayIPcLm3EEEEviT0_T1_,@function
_ZN2at6native29vectorized_elementwise_kernelILi2ENS0_13BinaryFunctorIaaaZNS0_12_GLOBAL__N_121threshold_kernel_implIaEEvRNS_18TensorIteratorBaseET_S7_EUlaaE_EESt5arrayIPcLm3EEEEviT0_T1_: ; @_ZN2at6native29vectorized_elementwise_kernelILi2ENS0_13BinaryFunctorIaaaZNS0_12_GLOBAL__N_121threshold_kernel_implIaEEvRNS_18TensorIteratorBaseET_S7_EUlaaE_EESt5arrayIPcLm3EEEEviT0_T1_
; %bb.0:
	v_mov_b32_e32 v1, 0
	global_load_ushort v5, v1, s[4:5] offset:4
	s_load_dword s0, s[4:5], 0x0
	s_load_dwordx4 s[8:11], s[4:5], 0x8
	s_load_dwordx2 s[12:13], s[4:5], 0x18
	s_lshl_b32 s33, s6, 12
	s_waitcnt lgkmcnt(0)
	s_sub_i32 s38, s0, s33
	s_cmpk_gt_i32 s38, 0xfff
	s_mov_b64 s[0:1], -1
	s_cbranch_scc0 .LBB43_2
; %bb.1:
	s_ashr_i32 s4, s33, 31
	s_add_u32 s0, s10, s33
	s_addc_u32 s1, s11, s4
	s_add_u32 s2, s12, s33
	v_lshlrev_b32_e32 v1, 1, v0
	s_addc_u32 s3, s13, s4
	global_load_ushort v2, v1, s[2:3]
	global_load_ushort v3, v1, s[2:3] offset:512
	global_load_ushort v4, v1, s[2:3] offset:1024
	;; [unrolled: 1-line block ×7, first 2 shown]
	global_load_ushort v11, v1, s[0:1]
	global_load_ushort v12, v1, s[0:1] offset:512
	global_load_ushort v13, v1, s[0:1] offset:1024
	;; [unrolled: 1-line block ×6, first 2 shown]
                                        ; kill: killed $sgpr2 killed $sgpr3
	global_load_ushort v18, v1, s[0:1] offset:3584
	v_mov_b32_e32 v19, 8
	s_waitcnt vmcnt(16)
	v_lshrrev_b32_sdwa v19, v19, v5 dst_sel:DWORD dst_unused:UNUSED_PAD src0_sel:DWORD src1_sel:WORD_0
	s_add_u32 s0, s8, s33
	s_addc_u32 s1, s9, s4
	s_waitcnt vmcnt(15)
	v_lshrrev_b16_e32 v20, 8, v2
	s_waitcnt vmcnt(14)
	v_lshrrev_b16_e32 v21, 8, v3
	;; [unrolled: 2-line block ×8, first 2 shown]
	s_waitcnt vmcnt(7)
	v_cmp_gt_i16_sdwa vcc, sext(v11), sext(v5) src0_sel:BYTE_0 src1_sel:BYTE_0
	v_cndmask_b32_e32 v2, v19, v2, vcc
	s_waitcnt vmcnt(6)
	v_cmp_gt_i16_sdwa vcc, sext(v12), sext(v5) src0_sel:BYTE_0 src1_sel:BYTE_0
	v_cndmask_b32_e32 v3, v19, v3, vcc
	;; [unrolled: 3-line block ×8, first 2 shown]
	v_cmp_gt_i16_sdwa vcc, sext(v11), sext(v5) src0_sel:BYTE_1 src1_sel:BYTE_0
	v_cndmask_b32_e32 v11, v19, v20, vcc
	v_cmp_gt_i16_sdwa vcc, sext(v12), sext(v5) src0_sel:BYTE_1 src1_sel:BYTE_0
	v_cndmask_b32_e32 v12, v19, v21, vcc
	v_cmp_gt_i16_sdwa vcc, sext(v13), sext(v5) src0_sel:BYTE_1 src1_sel:BYTE_0
	v_cndmask_b32_e32 v13, v19, v22, vcc
	v_cmp_gt_i16_sdwa vcc, sext(v14), sext(v5) src0_sel:BYTE_1 src1_sel:BYTE_0
	v_cndmask_b32_e32 v14, v19, v23, vcc
	v_cmp_gt_i16_sdwa vcc, sext(v15), sext(v5) src0_sel:BYTE_1 src1_sel:BYTE_0
	v_cndmask_b32_e32 v15, v19, v24, vcc
	v_cmp_gt_i16_sdwa vcc, sext(v16), sext(v5) src0_sel:BYTE_1 src1_sel:BYTE_0
	v_cndmask_b32_e32 v16, v19, v25, vcc
	v_cmp_gt_i16_sdwa vcc, sext(v17), sext(v5) src0_sel:BYTE_1 src1_sel:BYTE_0
	v_cndmask_b32_e32 v17, v19, v26, vcc
	v_cmp_gt_i16_sdwa vcc, sext(v18), sext(v5) src0_sel:BYTE_1 src1_sel:BYTE_0
	v_cndmask_b32_e32 v18, v19, v27, vcc
	v_lshlrev_b16_e32 v11, 8, v11
	v_lshlrev_b16_e32 v18, 8, v18
	;; [unrolled: 1-line block ×8, first 2 shown]
	v_or_b32_sdwa v2, v2, v11 dst_sel:DWORD dst_unused:UNUSED_PAD src0_sel:BYTE_0 src1_sel:DWORD
	v_or_b32_sdwa v10, v10, v18 dst_sel:DWORD dst_unused:UNUSED_PAD src0_sel:BYTE_0 src1_sel:DWORD
	;; [unrolled: 1-line block ×8, first 2 shown]
	global_store_short v1, v2, s[0:1]
	global_store_short v1, v3, s[0:1] offset:512
	global_store_short v1, v4, s[0:1] offset:1024
	global_store_short v1, v6, s[0:1] offset:1536
	global_store_short v1, v7, s[0:1] offset:2048
	global_store_short v1, v8, s[0:1] offset:2560
	global_store_short v1, v9, s[0:1] offset:3072
	global_store_short v1, v10, s[0:1] offset:3584
	s_mov_b64 s[0:1], 0
.LBB43_2:
	s_andn2_b64 vcc, exec, s[0:1]
	s_cbranch_vccnz .LBB43_54
; %bb.3:
	v_cmp_gt_i32_e64 s[0:1], s38, v0
	v_cmp_le_i32_e32 vcc, s38, v0
                                        ; implicit-def: $vgpr6
	s_and_saveexec_b64 s[2:3], vcc
	s_xor_b64 s[2:3], exec, s[2:3]
; %bb.4:
	v_or_b32_e32 v6, 0x100, v0
; %bb.5:
	s_or_saveexec_b64 s[2:3], s[2:3]
	v_mov_b32_e32 v39, 0
	v_or_b32_e32 v7, s33, v0
	v_mov_b32_e32 v38, 0
	v_mov_b32_e32 v37, 0
	;; [unrolled: 1-line block ×31, first 2 shown]
	s_xor_b64 exec, exec, s[2:3]
	s_cbranch_execz .LBB43_37
; %bb.6:
	global_load_ubyte v8, v7, s[10:11]
	global_load_ubyte v10, v7, s[12:13]
	v_or_b32_e32 v6, 0x100, v0
	v_cmp_gt_u32_e32 vcc, s38, v6
	v_mov_b32_e32 v9, 0
	v_mov_b32_e32 v11, 0
	;; [unrolled: 1-line block ×30, first 2 shown]
	s_and_saveexec_b64 s[4:5], vcc
	s_cbranch_execz .LBB43_36
; %bb.7:
	v_add_u32_e32 v3, s33, v0
	global_load_ubyte v11, v3, s[10:11] offset:256
	global_load_ubyte v9, v3, s[12:13] offset:256
	v_or_b32_e32 v1, 0x200, v0
	v_mov_b32_e32 v12, 0
	v_cmp_gt_u32_e32 vcc, s38, v1
	v_mov_b32_e32 v17, 0
	v_mov_b32_e32 v13, 0
	;; [unrolled: 1-line block ×27, first 2 shown]
	s_and_saveexec_b64 s[6:7], vcc
	s_cbranch_execz .LBB43_35
; %bb.8:
	v_mov_b32_e32 v2, s11
	v_add_co_u32_e32 v1, vcc, s10, v3
	v_addc_co_u32_e32 v2, vcc, 0, v2, vcc
	v_mov_b32_e32 v4, s13
	v_add_co_u32_e32 v3, vcc, s12, v3
	v_addc_co_u32_e32 v4, vcc, 0, v4, vcc
	global_load_ubyte v17, v[1:2], off offset:512
	global_load_ubyte v12, v[3:4], off offset:512
	v_or_b32_e32 v13, 0x300, v0
	v_cmp_gt_u32_e32 vcc, s38, v13
	v_mov_b32_e32 v13, 0
	v_mov_b32_e32 v15, 0
	;; [unrolled: 1-line block ×26, first 2 shown]
	s_and_saveexec_b64 s[10:11], vcc
	s_cbranch_execz .LBB43_34
; %bb.9:
	global_load_ubyte v15, v[1:2], off offset:768
	global_load_ubyte v13, v[3:4], off offset:768
	v_or_b32_e32 v14, 0x400, v0
	v_cmp_gt_u32_e32 vcc, s38, v14
	v_mov_b32_e32 v16, 0
	v_mov_b32_e32 v18, 0
	;; [unrolled: 1-line block ×24, first 2 shown]
	s_and_saveexec_b64 s[12:13], vcc
	s_cbranch_execz .LBB43_33
; %bb.10:
	global_load_ubyte v18, v[1:2], off offset:1024
	global_load_ubyte v16, v[3:4], off offset:1024
	v_or_b32_e32 v14, 0x500, v0
	v_cmp_gt_u32_e32 vcc, s38, v14
	v_mov_b32_e32 v19, 0
	v_mov_b32_e32 v23, 0
	v_mov_b32_e32 v21, 0
	v_mov_b32_e32 v24, 0
	v_mov_b32_e32 v14, 0
	v_mov_b32_e32 v20, 0
	v_mov_b32_e32 v22, 0
	v_mov_b32_e32 v25, 0
	v_mov_b32_e32 v26, 0
	v_mov_b32_e32 v27, 0
	v_mov_b32_e32 v28, 0
	v_mov_b32_e32 v29, 0
	v_mov_b32_e32 v30, 0
	v_mov_b32_e32 v31, 0
	v_mov_b32_e32 v32, 0
	v_mov_b32_e32 v33, 0
	v_mov_b32_e32 v34, 0
	v_mov_b32_e32 v35, 0
	v_mov_b32_e32 v36, 0
	v_mov_b32_e32 v37, 0
	v_mov_b32_e32 v38, 0
	v_mov_b32_e32 v39, 0
	s_and_saveexec_b64 s[14:15], vcc
	s_cbranch_execz .LBB43_32
; %bb.11:
	global_load_ubyte v23, v[1:2], off offset:1280
	global_load_ubyte v19, v[3:4], off offset:1280
	v_or_b32_e32 v14, 0x600, v0
	v_cmp_gt_u32_e32 vcc, s38, v14
	v_mov_b32_e32 v21, 0
	v_mov_b32_e32 v24, 0
	;; [unrolled: 1-line block ×20, first 2 shown]
	s_and_saveexec_b64 s[16:17], vcc
	s_cbranch_execz .LBB43_31
; %bb.12:
	global_load_ubyte v24, v[1:2], off offset:1536
	global_load_ubyte v21, v[3:4], off offset:1536
	v_or_b32_e32 v14, 0x700, v0
	v_cmp_gt_u32_e32 vcc, s38, v14
	v_mov_b32_e32 v14, 0
	v_mov_b32_e32 v20, 0
	;; [unrolled: 1-line block ×18, first 2 shown]
	s_and_saveexec_b64 s[18:19], vcc
	s_cbranch_execz .LBB43_30
; %bb.13:
	global_load_ubyte v20, v[1:2], off offset:1792
	global_load_ubyte v14, v[3:4], off offset:1792
	v_or_b32_e32 v22, 0x800, v0
	v_cmp_gt_u32_e32 vcc, s38, v22
	v_mov_b32_e32 v22, 0
	v_mov_b32_e32 v25, 0
	;; [unrolled: 1-line block ×16, first 2 shown]
	s_and_saveexec_b64 s[20:21], vcc
	s_cbranch_execz .LBB43_29
; %bb.14:
	global_load_ubyte v25, v[1:2], off offset:2048
	global_load_ubyte v22, v[3:4], off offset:2048
	v_or_b32_e32 v26, 0x900, v0
	v_cmp_gt_u32_e32 vcc, s38, v26
	v_mov_b32_e32 v26, 0
	v_mov_b32_e32 v27, 0
	v_mov_b32_e32 v28, 0
	v_mov_b32_e32 v29, 0
	v_mov_b32_e32 v30, 0
	v_mov_b32_e32 v31, 0
	v_mov_b32_e32 v32, 0
	v_mov_b32_e32 v33, 0
	v_mov_b32_e32 v34, 0
	v_mov_b32_e32 v35, 0
	v_mov_b32_e32 v36, 0
	v_mov_b32_e32 v37, 0
	v_mov_b32_e32 v38, 0
	v_mov_b32_e32 v39, 0
	s_and_saveexec_b64 s[22:23], vcc
	s_cbranch_execz .LBB43_28
; %bb.15:
	global_load_ubyte v27, v[1:2], off offset:2304
	global_load_ubyte v26, v[3:4], off offset:2304
	v_or_b32_e32 v28, 0xa00, v0
	v_cmp_gt_u32_e32 vcc, s38, v28
	v_mov_b32_e32 v28, 0
	v_mov_b32_e32 v29, 0
	;; [unrolled: 1-line block ×12, first 2 shown]
	s_and_saveexec_b64 s[24:25], vcc
	s_cbranch_execz .LBB43_27
; %bb.16:
	global_load_ubyte v29, v[1:2], off offset:2560
	global_load_ubyte v28, v[3:4], off offset:2560
	v_or_b32_e32 v30, 0xb00, v0
	v_cmp_gt_u32_e32 vcc, s38, v30
	v_mov_b32_e32 v30, 0
	v_mov_b32_e32 v31, 0
	;; [unrolled: 1-line block ×10, first 2 shown]
	s_and_saveexec_b64 s[26:27], vcc
	s_cbranch_execz .LBB43_26
; %bb.17:
	global_load_ubyte v31, v[1:2], off offset:2816
	global_load_ubyte v30, v[3:4], off offset:2816
	v_or_b32_e32 v32, 0xc00, v0
	v_cmp_gt_u32_e32 vcc, s38, v32
	v_mov_b32_e32 v32, 0
	v_mov_b32_e32 v33, 0
	;; [unrolled: 1-line block ×8, first 2 shown]
	s_and_saveexec_b64 s[28:29], vcc
	s_cbranch_execz .LBB43_25
; %bb.18:
	global_load_ubyte v33, v[1:2], off offset:3072
	global_load_ubyte v32, v[3:4], off offset:3072
	v_or_b32_e32 v34, 0xd00, v0
	v_cmp_gt_u32_e32 vcc, s38, v34
	v_mov_b32_e32 v34, 0
	v_mov_b32_e32 v35, 0
	;; [unrolled: 1-line block ×6, first 2 shown]
	s_and_saveexec_b64 s[30:31], vcc
	s_cbranch_execz .LBB43_24
; %bb.19:
	global_load_ubyte v35, v[1:2], off offset:3328
	global_load_ubyte v34, v[3:4], off offset:3328
	v_or_b32_e32 v36, 0xe00, v0
	v_cmp_gt_u32_e32 vcc, s38, v36
	v_mov_b32_e32 v36, 0
	v_mov_b32_e32 v37, 0
	;; [unrolled: 1-line block ×4, first 2 shown]
	s_and_saveexec_b64 s[34:35], vcc
	s_cbranch_execz .LBB43_23
; %bb.20:
	global_load_ubyte v37, v[1:2], off offset:3584
	global_load_ubyte v36, v[3:4], off offset:3584
	v_or_b32_e32 v38, 0xf00, v0
	v_cmp_gt_u32_e32 vcc, s38, v38
	v_mov_b32_e32 v38, 0
	v_mov_b32_e32 v39, 0
	s_and_saveexec_b64 s[36:37], vcc
	s_cbranch_execz .LBB43_22
; %bb.21:
	global_load_ubyte v39, v[1:2], off offset:3840
	global_load_ubyte v38, v[3:4], off offset:3840
.LBB43_22:
	s_or_b64 exec, exec, s[36:37]
.LBB43_23:
	s_or_b64 exec, exec, s[34:35]
.LBB43_24:
	s_or_b64 exec, exec, s[30:31]
.LBB43_25:
	s_or_b64 exec, exec, s[28:29]
.LBB43_26:
	s_or_b64 exec, exec, s[26:27]
.LBB43_27:
	s_or_b64 exec, exec, s[24:25]
.LBB43_28:
	s_or_b64 exec, exec, s[22:23]
.LBB43_29:
	s_or_b64 exec, exec, s[20:21]
.LBB43_30:
	s_or_b64 exec, exec, s[18:19]
.LBB43_31:
	s_or_b64 exec, exec, s[16:17]
.LBB43_32:
	s_or_b64 exec, exec, s[14:15]
.LBB43_33:
	s_or_b64 exec, exec, s[12:13]
.LBB43_34:
	s_or_b64 exec, exec, s[10:11]
.LBB43_35:
	s_or_b64 exec, exec, s[6:7]
.LBB43_36:
	s_or_b64 exec, exec, s[4:5]
.LBB43_37:
	s_or_b64 exec, exec, s[2:3]
	v_mov_b32_e32 v1, 8
	s_waitcnt vmcnt(0)
	v_lshrrev_b32_sdwa v1, v1, v5 dst_sel:DWORD dst_unused:UNUSED_PAD src0_sel:DWORD src1_sel:WORD_0
	v_cmp_gt_i16_sdwa vcc, sext(v8), sext(v5) src0_sel:BYTE_0 src1_sel:BYTE_0
	s_mov_b32 s2, 0xffff
	v_cndmask_b32_e32 v2, v1, v10, vcc
	v_cmp_gt_i16_sdwa vcc, sext(v11), sext(v5) src0_sel:BYTE_0 src1_sel:BYTE_0
	v_and_b32_sdwa v2, s2, v2 dst_sel:DWORD dst_unused:UNUSED_PAD src0_sel:DWORD src1_sel:BYTE_0
	v_cndmask_b32_e32 v3, v1, v9, vcc
	v_cndmask_b32_e64 v2, 0, v2, s[0:1]
	v_lshlrev_b16_e32 v3, 8, v3
	v_or_b32_e32 v3, v2, v3
	v_and_b32_e32 v3, 0xffff, v3
	v_cmp_gt_i32_e32 vcc, s38, v6
	v_cndmask_b32_e32 v2, v2, v3, vcc
	v_cmp_gt_i16_sdwa vcc, sext(v17), sext(v5) src0_sel:BYTE_0 src1_sel:BYTE_0
	v_cndmask_b32_e32 v4, v1, v12, vcc
	s_mov_b32 s4, 0xc0c0304
	v_or_b32_e32 v3, 0x200, v0
	v_perm_b32 v4, v4, v2, s4
	v_lshl_or_b32 v4, v4, 16, v2
	v_cmp_gt_i32_e32 vcc, s38, v3
	v_cndmask_b32_e32 v2, v2, v4, vcc
	v_cmp_gt_i16_sdwa vcc, sext(v15), sext(v5) src0_sel:BYTE_0 src1_sel:BYTE_0
	s_movk_i32 s3, 0xff
	v_cndmask_b32_e32 v8, v1, v13, vcc
	v_and_b32_sdwa v3, v2, s3 dst_sel:DWORD dst_unused:UNUSED_PAD src0_sel:WORD_1 src1_sel:DWORD
	v_lshlrev_b16_e32 v8, 8, v8
	v_or_b32_e32 v4, 0x300, v0
	v_or_b32_sdwa v3, v3, v8 dst_sel:WORD_1 dst_unused:UNUSED_PAD src0_sel:DWORD src1_sel:DWORD
	v_and_or_b32 v3, v2, s2, v3
	v_cmp_gt_i32_e32 vcc, s38, v4
	v_cndmask_b32_e32 v4, v2, v3, vcc
	v_cmp_gt_i16_sdwa vcc, sext(v18), sext(v5) src0_sel:BYTE_0 src1_sel:BYTE_0
	v_cndmask_b32_e32 v2, v1, v16, vcc
	s_mov_b32 s5, 0x3020104
	v_or_b32_e32 v3, 0x400, v0
	v_perm_b32 v2, v2, 0, s5
	v_cmp_gt_i32_e32 vcc, s38, v3
	v_cndmask_b32_e32 v2, 0, v2, vcc
	v_cmp_gt_i16_sdwa vcc, sext(v23), sext(v5) src0_sel:BYTE_0 src1_sel:BYTE_0
	v_cndmask_b32_e32 v3, v1, v19, vcc
	v_lshlrev_b16_e32 v3, 8, v3
	v_or_b32_sdwa v3, v2, v3 dst_sel:DWORD dst_unused:UNUSED_PAD src0_sel:BYTE_0 src1_sel:DWORD
	v_and_b32_e32 v3, 0xffff, v3
	s_mov_b32 s6, 0xffff0000
	v_or_b32_e32 v8, 0x500, v0
	v_and_or_b32 v3, v2, s6, v3
	v_cmp_gt_i32_e32 vcc, s38, v8
	v_cndmask_b32_e32 v2, v2, v3, vcc
	v_cmp_gt_i16_sdwa vcc, sext(v24), sext(v5) src0_sel:BYTE_0 src1_sel:BYTE_0
	v_or_b32_e32 v3, 0x600, v0
	v_cndmask_b32_e32 v8, v1, v21, vcc
	s_mov_b32 s7, 0x7000504
	v_perm_b32 v8, v2, v8, s7
	v_cmp_gt_i32_e32 vcc, s38, v3
	v_cndmask_b32_e32 v2, v2, v8, vcc
	v_cmp_gt_i16_sdwa vcc, sext(v20), sext(v5) src0_sel:BYTE_0 src1_sel:BYTE_0
	v_cndmask_b32_e32 v9, v1, v14, vcc
	v_and_b32_sdwa v3, v2, s3 dst_sel:DWORD dst_unused:UNUSED_PAD src0_sel:WORD_1 src1_sel:DWORD
	v_lshlrev_b16_e32 v9, 8, v9
	v_or_b32_e32 v8, 0x700, v0
	v_or_b32_sdwa v3, v3, v9 dst_sel:WORD_1 dst_unused:UNUSED_PAD src0_sel:DWORD src1_sel:DWORD
	v_and_or_b32 v3, v2, s2, v3
	v_cmp_gt_i32_e32 vcc, s38, v8
	v_cndmask_b32_e32 v3, v2, v3, vcc
	v_cmp_gt_i16_sdwa vcc, sext(v25), sext(v5) src0_sel:BYTE_0 src1_sel:BYTE_0
	v_or_b32_e32 v2, 0x800, v0
	v_cndmask_b32_e32 v8, v1, v22, vcc
	v_and_b32_sdwa v8, s2, v8 dst_sel:DWORD dst_unused:UNUSED_PAD src0_sel:DWORD src1_sel:BYTE_0
	v_cmp_gt_i32_e32 vcc, s38, v2
	v_cndmask_b32_e32 v2, 0, v8, vcc
	v_cmp_gt_i16_sdwa vcc, sext(v27), sext(v5) src0_sel:BYTE_0 src1_sel:BYTE_0
	v_cndmask_b32_e32 v9, v1, v26, vcc
	v_lshlrev_b16_e32 v9, 8, v9
	v_or_b32_e32 v8, 0x900, v0
	v_or_b32_e32 v9, v2, v9
	v_and_b32_e32 v9, 0xffff, v9
	v_cmp_gt_i32_e32 vcc, s38, v8
	v_cndmask_b32_e32 v2, v2, v9, vcc
	v_cmp_gt_i16_sdwa vcc, sext(v29), sext(v5) src0_sel:BYTE_0 src1_sel:BYTE_0
	v_cndmask_b32_e32 v9, v1, v28, vcc
	v_or_b32_e32 v8, 0xa00, v0
	v_perm_b32 v9, v9, v2, s4
	v_lshl_or_b32 v9, v9, 16, v2
	v_cmp_gt_i32_e32 vcc, s38, v8
	v_cndmask_b32_e32 v2, v2, v9, vcc
	v_cmp_gt_i16_sdwa vcc, sext(v31), sext(v5) src0_sel:BYTE_0 src1_sel:BYTE_0
	v_cndmask_b32_e32 v10, v1, v30, vcc
	v_and_b32_sdwa v8, v2, s3 dst_sel:DWORD dst_unused:UNUSED_PAD src0_sel:WORD_1 src1_sel:DWORD
	v_lshlrev_b16_e32 v10, 8, v10
	v_or_b32_e32 v9, 0xb00, v0
	v_or_b32_sdwa v8, v8, v10 dst_sel:WORD_1 dst_unused:UNUSED_PAD src0_sel:DWORD src1_sel:DWORD
	v_and_or_b32 v8, v2, s2, v8
	v_cmp_gt_i32_e32 vcc, s38, v9
	v_cndmask_b32_e32 v2, v2, v8, vcc
	v_cmp_gt_i16_sdwa vcc, sext(v33), sext(v5) src0_sel:BYTE_0 src1_sel:BYTE_0
	v_cndmask_b32_e32 v8, v1, v32, vcc
	v_or_b32_e32 v9, 0xc00, v0
	v_perm_b32 v8, v8, 0, s5
	v_cmp_gt_i32_e32 vcc, s38, v9
	v_cndmask_b32_e32 v8, 0, v8, vcc
	v_cmp_gt_i16_sdwa vcc, sext(v35), sext(v5) src0_sel:BYTE_0 src1_sel:BYTE_0
	v_cndmask_b32_e32 v9, v1, v34, vcc
	v_lshlrev_b16_e32 v9, 8, v9
	v_or_b32_sdwa v9, v8, v9 dst_sel:DWORD dst_unused:UNUSED_PAD src0_sel:BYTE_0 src1_sel:DWORD
	v_and_b32_e32 v9, 0xffff, v9
	v_or_b32_e32 v10, 0xd00, v0
	v_and_or_b32 v9, v8, s6, v9
	v_cmp_gt_i32_e32 vcc, s38, v10
	v_cndmask_b32_e32 v8, v8, v9, vcc
	v_cmp_gt_i16_sdwa vcc, sext(v37), sext(v5) src0_sel:BYTE_0 src1_sel:BYTE_0
	v_or_b32_e32 v9, 0xe00, v0
	v_cndmask_b32_e32 v10, v1, v36, vcc
	v_perm_b32 v10, v8, v10, s7
	v_cmp_gt_i32_e32 vcc, s38, v9
	v_cndmask_b32_e32 v8, v8, v10, vcc
	v_cmp_gt_i16_sdwa vcc, sext(v39), sext(v5) src0_sel:BYTE_0 src1_sel:BYTE_0
	v_and_b32_sdwa v9, v8, s3 dst_sel:DWORD dst_unused:UNUSED_PAD src0_sel:WORD_1 src1_sel:DWORD
	v_cndmask_b32_sdwa v1, v1, v38, vcc dst_sel:BYTE_1 dst_unused:UNUSED_PAD src0_sel:DWORD src1_sel:DWORD
	v_or_b32_e32 v10, 0xf00, v0
	v_or_b32_sdwa v1, v9, v1 dst_sel:WORD_1 dst_unused:UNUSED_PAD src0_sel:DWORD src1_sel:DWORD
	v_and_or_b32 v1, v8, s2, v1
	v_cmp_gt_i32_e32 vcc, s38, v10
	v_cndmask_b32_e32 v1, v8, v1, vcc
	s_and_saveexec_b64 s[2:3], s[0:1]
	s_cbranch_execnz .LBB43_55
; %bb.38:
	s_or_b64 exec, exec, s[2:3]
	v_cmp_gt_i32_e32 vcc, s38, v0
	s_and_saveexec_b64 s[0:1], vcc
	s_cbranch_execnz .LBB43_56
.LBB43_39:
	s_or_b64 exec, exec, s[0:1]
	v_cmp_gt_i32_e32 vcc, s38, v0
	s_and_saveexec_b64 s[0:1], vcc
	s_cbranch_execnz .LBB43_57
.LBB43_40:
	s_or_b64 exec, exec, s[0:1]
	v_cmp_gt_i32_e32 vcc, s38, v0
	s_and_saveexec_b64 s[0:1], vcc
	s_cbranch_execnz .LBB43_58
.LBB43_41:
	s_or_b64 exec, exec, s[0:1]
	v_cmp_gt_i32_e32 vcc, s38, v0
	s_and_saveexec_b64 s[0:1], vcc
	s_cbranch_execnz .LBB43_59
.LBB43_42:
	s_or_b64 exec, exec, s[0:1]
	v_cmp_gt_i32_e32 vcc, s38, v0
	s_and_saveexec_b64 s[0:1], vcc
	s_cbranch_execnz .LBB43_60
.LBB43_43:
	s_or_b64 exec, exec, s[0:1]
	v_cmp_gt_i32_e32 vcc, s38, v0
	s_and_saveexec_b64 s[0:1], vcc
	s_cbranch_execnz .LBB43_61
.LBB43_44:
	s_or_b64 exec, exec, s[0:1]
	v_cmp_gt_i32_e32 vcc, s38, v0
	s_and_saveexec_b64 s[0:1], vcc
	s_cbranch_execnz .LBB43_62
.LBB43_45:
	s_or_b64 exec, exec, s[0:1]
	v_cmp_gt_i32_e32 vcc, s38, v0
	s_and_saveexec_b64 s[0:1], vcc
	s_cbranch_execnz .LBB43_63
.LBB43_46:
	s_or_b64 exec, exec, s[0:1]
	v_cmp_gt_i32_e32 vcc, s38, v0
	s_and_saveexec_b64 s[0:1], vcc
	s_cbranch_execnz .LBB43_64
.LBB43_47:
	s_or_b64 exec, exec, s[0:1]
	v_cmp_gt_i32_e32 vcc, s38, v0
	s_and_saveexec_b64 s[0:1], vcc
	s_cbranch_execnz .LBB43_65
.LBB43_48:
	s_or_b64 exec, exec, s[0:1]
	v_cmp_gt_i32_e32 vcc, s38, v0
	s_and_saveexec_b64 s[0:1], vcc
	s_cbranch_execnz .LBB43_66
.LBB43_49:
	s_or_b64 exec, exec, s[0:1]
	v_cmp_gt_i32_e32 vcc, s38, v0
	s_and_saveexec_b64 s[0:1], vcc
	s_cbranch_execnz .LBB43_67
.LBB43_50:
	s_or_b64 exec, exec, s[0:1]
	v_cmp_gt_i32_e32 vcc, s38, v0
	s_and_saveexec_b64 s[0:1], vcc
	s_cbranch_execnz .LBB43_68
.LBB43_51:
	s_or_b64 exec, exec, s[0:1]
	v_cmp_gt_i32_e32 vcc, s38, v0
	s_and_saveexec_b64 s[0:1], vcc
	s_cbranch_execnz .LBB43_69
.LBB43_52:
	s_or_b64 exec, exec, s[0:1]
	v_cmp_gt_i32_e32 vcc, s38, v0
	s_and_saveexec_b64 s[0:1], vcc
	s_cbranch_execz .LBB43_54
.LBB43_53:
	v_lshrrev_b32_e32 v1, 24, v1
	v_add_u32_e32 v0, s33, v0
	global_store_byte v0, v1, s[8:9]
.LBB43_54:
	s_endpgm
.LBB43_55:
	v_mov_b32_e32 v0, v6
	global_store_byte v7, v4, s[8:9]
	s_or_b64 exec, exec, s[2:3]
	v_cmp_gt_i32_e32 vcc, s38, v0
	s_and_saveexec_b64 s[0:1], vcc
	s_cbranch_execz .LBB43_39
.LBB43_56:
	v_lshrrev_b32_e32 v5, 8, v4
	v_add_u32_e32 v6, s33, v0
	v_add_u32_e32 v0, 0x100, v0
	global_store_byte v6, v5, s[8:9]
	s_or_b64 exec, exec, s[0:1]
	v_cmp_gt_i32_e32 vcc, s38, v0
	s_and_saveexec_b64 s[0:1], vcc
	s_cbranch_execz .LBB43_40
.LBB43_57:
	v_add_u32_e32 v5, s33, v0
	v_add_u32_e32 v0, 0x100, v0
	global_store_byte_d16_hi v5, v4, s[8:9]
	s_or_b64 exec, exec, s[0:1]
	v_cmp_gt_i32_e32 vcc, s38, v0
	s_and_saveexec_b64 s[0:1], vcc
	s_cbranch_execz .LBB43_41
.LBB43_58:
	v_lshrrev_b32_e32 v4, 24, v4
	v_add_u32_e32 v5, s33, v0
	v_add_u32_e32 v0, 0x100, v0
	global_store_byte v5, v4, s[8:9]
	s_or_b64 exec, exec, s[0:1]
	v_cmp_gt_i32_e32 vcc, s38, v0
	s_and_saveexec_b64 s[0:1], vcc
	s_cbranch_execz .LBB43_42
.LBB43_59:
	v_add_u32_e32 v4, s33, v0
	v_add_u32_e32 v0, 0x100, v0
	global_store_byte v4, v3, s[8:9]
	s_or_b64 exec, exec, s[0:1]
	v_cmp_gt_i32_e32 vcc, s38, v0
	s_and_saveexec_b64 s[0:1], vcc
	s_cbranch_execz .LBB43_43
.LBB43_60:
	v_lshrrev_b32_e32 v4, 8, v3
	v_add_u32_e32 v5, s33, v0
	v_add_u32_e32 v0, 0x100, v0
	global_store_byte v5, v4, s[8:9]
	s_or_b64 exec, exec, s[0:1]
	v_cmp_gt_i32_e32 vcc, s38, v0
	s_and_saveexec_b64 s[0:1], vcc
	s_cbranch_execz .LBB43_44
.LBB43_61:
	v_add_u32_e32 v4, s33, v0
	v_add_u32_e32 v0, 0x100, v0
	global_store_byte_d16_hi v4, v3, s[8:9]
	s_or_b64 exec, exec, s[0:1]
	v_cmp_gt_i32_e32 vcc, s38, v0
	s_and_saveexec_b64 s[0:1], vcc
	s_cbranch_execz .LBB43_45
.LBB43_62:
	v_lshrrev_b32_e32 v3, 24, v3
	v_add_u32_e32 v4, s33, v0
	v_add_u32_e32 v0, 0x100, v0
	global_store_byte v4, v3, s[8:9]
	s_or_b64 exec, exec, s[0:1]
	v_cmp_gt_i32_e32 vcc, s38, v0
	s_and_saveexec_b64 s[0:1], vcc
	s_cbranch_execz .LBB43_46
.LBB43_63:
	v_add_u32_e32 v3, s33, v0
	v_add_u32_e32 v0, 0x100, v0
	global_store_byte v3, v2, s[8:9]
	s_or_b64 exec, exec, s[0:1]
	v_cmp_gt_i32_e32 vcc, s38, v0
	s_and_saveexec_b64 s[0:1], vcc
	s_cbranch_execz .LBB43_47
.LBB43_64:
	v_lshrrev_b32_e32 v3, 8, v2
	v_add_u32_e32 v4, s33, v0
	v_add_u32_e32 v0, 0x100, v0
	global_store_byte v4, v3, s[8:9]
	s_or_b64 exec, exec, s[0:1]
	v_cmp_gt_i32_e32 vcc, s38, v0
	s_and_saveexec_b64 s[0:1], vcc
	s_cbranch_execz .LBB43_48
.LBB43_65:
	v_add_u32_e32 v3, s33, v0
	v_add_u32_e32 v0, 0x100, v0
	global_store_byte_d16_hi v3, v2, s[8:9]
	s_or_b64 exec, exec, s[0:1]
	v_cmp_gt_i32_e32 vcc, s38, v0
	s_and_saveexec_b64 s[0:1], vcc
	s_cbranch_execz .LBB43_49
.LBB43_66:
	v_lshrrev_b32_e32 v2, 24, v2
	v_add_u32_e32 v3, s33, v0
	v_add_u32_e32 v0, 0x100, v0
	global_store_byte v3, v2, s[8:9]
	s_or_b64 exec, exec, s[0:1]
	v_cmp_gt_i32_e32 vcc, s38, v0
	s_and_saveexec_b64 s[0:1], vcc
	s_cbranch_execz .LBB43_50
.LBB43_67:
	v_add_u32_e32 v2, s33, v0
	v_add_u32_e32 v0, 0x100, v0
	global_store_byte v2, v1, s[8:9]
	s_or_b64 exec, exec, s[0:1]
	v_cmp_gt_i32_e32 vcc, s38, v0
	s_and_saveexec_b64 s[0:1], vcc
	s_cbranch_execz .LBB43_51
.LBB43_68:
	v_lshrrev_b32_e32 v2, 8, v1
	v_add_u32_e32 v3, s33, v0
	v_add_u32_e32 v0, 0x100, v0
	global_store_byte v3, v2, s[8:9]
	s_or_b64 exec, exec, s[0:1]
	v_cmp_gt_i32_e32 vcc, s38, v0
	s_and_saveexec_b64 s[0:1], vcc
	s_cbranch_execz .LBB43_52
.LBB43_69:
	v_add_u32_e32 v2, s33, v0
	v_add_u32_e32 v0, 0x100, v0
	global_store_byte_d16_hi v2, v1, s[8:9]
	s_or_b64 exec, exec, s[0:1]
	v_cmp_gt_i32_e32 vcc, s38, v0
	s_and_saveexec_b64 s[0:1], vcc
	s_cbranch_execnz .LBB43_53
	s_branch .LBB43_54
	.section	.rodata,"a",@progbits
	.p2align	6, 0x0
	.amdhsa_kernel _ZN2at6native29vectorized_elementwise_kernelILi2ENS0_13BinaryFunctorIaaaZNS0_12_GLOBAL__N_121threshold_kernel_implIaEEvRNS_18TensorIteratorBaseET_S7_EUlaaE_EESt5arrayIPcLm3EEEEviT0_T1_
		.amdhsa_group_segment_fixed_size 0
		.amdhsa_private_segment_fixed_size 0
		.amdhsa_kernarg_size 32
		.amdhsa_user_sgpr_count 6
		.amdhsa_user_sgpr_private_segment_buffer 1
		.amdhsa_user_sgpr_dispatch_ptr 0
		.amdhsa_user_sgpr_queue_ptr 0
		.amdhsa_user_sgpr_kernarg_segment_ptr 1
		.amdhsa_user_sgpr_dispatch_id 0
		.amdhsa_user_sgpr_flat_scratch_init 0
		.amdhsa_user_sgpr_private_segment_size 0
		.amdhsa_uses_dynamic_stack 0
		.amdhsa_system_sgpr_private_segment_wavefront_offset 0
		.amdhsa_system_sgpr_workgroup_id_x 1
		.amdhsa_system_sgpr_workgroup_id_y 0
		.amdhsa_system_sgpr_workgroup_id_z 0
		.amdhsa_system_sgpr_workgroup_info 0
		.amdhsa_system_vgpr_workitem_id 0
		.amdhsa_next_free_vgpr 40
		.amdhsa_next_free_sgpr 39
		.amdhsa_reserve_vcc 1
		.amdhsa_reserve_flat_scratch 0
		.amdhsa_float_round_mode_32 0
		.amdhsa_float_round_mode_16_64 0
		.amdhsa_float_denorm_mode_32 3
		.amdhsa_float_denorm_mode_16_64 3
		.amdhsa_dx10_clamp 1
		.amdhsa_ieee_mode 1
		.amdhsa_fp16_overflow 0
		.amdhsa_exception_fp_ieee_invalid_op 0
		.amdhsa_exception_fp_denorm_src 0
		.amdhsa_exception_fp_ieee_div_zero 0
		.amdhsa_exception_fp_ieee_overflow 0
		.amdhsa_exception_fp_ieee_underflow 0
		.amdhsa_exception_fp_ieee_inexact 0
		.amdhsa_exception_int_div_zero 0
	.end_amdhsa_kernel
	.section	.text._ZN2at6native29vectorized_elementwise_kernelILi2ENS0_13BinaryFunctorIaaaZNS0_12_GLOBAL__N_121threshold_kernel_implIaEEvRNS_18TensorIteratorBaseET_S7_EUlaaE_EESt5arrayIPcLm3EEEEviT0_T1_,"axG",@progbits,_ZN2at6native29vectorized_elementwise_kernelILi2ENS0_13BinaryFunctorIaaaZNS0_12_GLOBAL__N_121threshold_kernel_implIaEEvRNS_18TensorIteratorBaseET_S7_EUlaaE_EESt5arrayIPcLm3EEEEviT0_T1_,comdat
.Lfunc_end43:
	.size	_ZN2at6native29vectorized_elementwise_kernelILi2ENS0_13BinaryFunctorIaaaZNS0_12_GLOBAL__N_121threshold_kernel_implIaEEvRNS_18TensorIteratorBaseET_S7_EUlaaE_EESt5arrayIPcLm3EEEEviT0_T1_, .Lfunc_end43-_ZN2at6native29vectorized_elementwise_kernelILi2ENS0_13BinaryFunctorIaaaZNS0_12_GLOBAL__N_121threshold_kernel_implIaEEvRNS_18TensorIteratorBaseET_S7_EUlaaE_EESt5arrayIPcLm3EEEEviT0_T1_
                                        ; -- End function
	.set _ZN2at6native29vectorized_elementwise_kernelILi2ENS0_13BinaryFunctorIaaaZNS0_12_GLOBAL__N_121threshold_kernel_implIaEEvRNS_18TensorIteratorBaseET_S7_EUlaaE_EESt5arrayIPcLm3EEEEviT0_T1_.num_vgpr, 40
	.set _ZN2at6native29vectorized_elementwise_kernelILi2ENS0_13BinaryFunctorIaaaZNS0_12_GLOBAL__N_121threshold_kernel_implIaEEvRNS_18TensorIteratorBaseET_S7_EUlaaE_EESt5arrayIPcLm3EEEEviT0_T1_.num_agpr, 0
	.set _ZN2at6native29vectorized_elementwise_kernelILi2ENS0_13BinaryFunctorIaaaZNS0_12_GLOBAL__N_121threshold_kernel_implIaEEvRNS_18TensorIteratorBaseET_S7_EUlaaE_EESt5arrayIPcLm3EEEEviT0_T1_.numbered_sgpr, 39
	.set _ZN2at6native29vectorized_elementwise_kernelILi2ENS0_13BinaryFunctorIaaaZNS0_12_GLOBAL__N_121threshold_kernel_implIaEEvRNS_18TensorIteratorBaseET_S7_EUlaaE_EESt5arrayIPcLm3EEEEviT0_T1_.num_named_barrier, 0
	.set _ZN2at6native29vectorized_elementwise_kernelILi2ENS0_13BinaryFunctorIaaaZNS0_12_GLOBAL__N_121threshold_kernel_implIaEEvRNS_18TensorIteratorBaseET_S7_EUlaaE_EESt5arrayIPcLm3EEEEviT0_T1_.private_seg_size, 0
	.set _ZN2at6native29vectorized_elementwise_kernelILi2ENS0_13BinaryFunctorIaaaZNS0_12_GLOBAL__N_121threshold_kernel_implIaEEvRNS_18TensorIteratorBaseET_S7_EUlaaE_EESt5arrayIPcLm3EEEEviT0_T1_.uses_vcc, 1
	.set _ZN2at6native29vectorized_elementwise_kernelILi2ENS0_13BinaryFunctorIaaaZNS0_12_GLOBAL__N_121threshold_kernel_implIaEEvRNS_18TensorIteratorBaseET_S7_EUlaaE_EESt5arrayIPcLm3EEEEviT0_T1_.uses_flat_scratch, 0
	.set _ZN2at6native29vectorized_elementwise_kernelILi2ENS0_13BinaryFunctorIaaaZNS0_12_GLOBAL__N_121threshold_kernel_implIaEEvRNS_18TensorIteratorBaseET_S7_EUlaaE_EESt5arrayIPcLm3EEEEviT0_T1_.has_dyn_sized_stack, 0
	.set _ZN2at6native29vectorized_elementwise_kernelILi2ENS0_13BinaryFunctorIaaaZNS0_12_GLOBAL__N_121threshold_kernel_implIaEEvRNS_18TensorIteratorBaseET_S7_EUlaaE_EESt5arrayIPcLm3EEEEviT0_T1_.has_recursion, 0
	.set _ZN2at6native29vectorized_elementwise_kernelILi2ENS0_13BinaryFunctorIaaaZNS0_12_GLOBAL__N_121threshold_kernel_implIaEEvRNS_18TensorIteratorBaseET_S7_EUlaaE_EESt5arrayIPcLm3EEEEviT0_T1_.has_indirect_call, 0
	.section	.AMDGPU.csdata,"",@progbits
; Kernel info:
; codeLenInByte = 4080
; TotalNumSgprs: 43
; NumVgprs: 40
; ScratchSize: 0
; MemoryBound: 0
; FloatMode: 240
; IeeeMode: 1
; LDSByteSize: 0 bytes/workgroup (compile time only)
; SGPRBlocks: 5
; VGPRBlocks: 9
; NumSGPRsForWavesPerEU: 43
; NumVGPRsForWavesPerEU: 40
; Occupancy: 6
; WaveLimiterHint : 1
; COMPUTE_PGM_RSRC2:SCRATCH_EN: 0
; COMPUTE_PGM_RSRC2:USER_SGPR: 6
; COMPUTE_PGM_RSRC2:TRAP_HANDLER: 0
; COMPUTE_PGM_RSRC2:TGID_X_EN: 1
; COMPUTE_PGM_RSRC2:TGID_Y_EN: 0
; COMPUTE_PGM_RSRC2:TGID_Z_EN: 0
; COMPUTE_PGM_RSRC2:TIDIG_COMP_CNT: 0
	.section	.text._ZN2at6native27unrolled_elementwise_kernelINS0_13BinaryFunctorIaaaZNS0_12_GLOBAL__N_121threshold_kernel_implIaEEvRNS_18TensorIteratorBaseET_S7_EUlaaE_EESt5arrayIPcLm3EELi4E23TrivialOffsetCalculatorILi2EjESD_ILi1EjENS0_6memory15LoadWithoutCastENSG_16StoreWithoutCastEEEviS7_T0_T2_T3_T4_T5_,"axG",@progbits,_ZN2at6native27unrolled_elementwise_kernelINS0_13BinaryFunctorIaaaZNS0_12_GLOBAL__N_121threshold_kernel_implIaEEvRNS_18TensorIteratorBaseET_S7_EUlaaE_EESt5arrayIPcLm3EELi4E23TrivialOffsetCalculatorILi2EjESD_ILi1EjENS0_6memory15LoadWithoutCastENSG_16StoreWithoutCastEEEviS7_T0_T2_T3_T4_T5_,comdat
	.globl	_ZN2at6native27unrolled_elementwise_kernelINS0_13BinaryFunctorIaaaZNS0_12_GLOBAL__N_121threshold_kernel_implIaEEvRNS_18TensorIteratorBaseET_S7_EUlaaE_EESt5arrayIPcLm3EELi4E23TrivialOffsetCalculatorILi2EjESD_ILi1EjENS0_6memory15LoadWithoutCastENSG_16StoreWithoutCastEEEviS7_T0_T2_T3_T4_T5_ ; -- Begin function _ZN2at6native27unrolled_elementwise_kernelINS0_13BinaryFunctorIaaaZNS0_12_GLOBAL__N_121threshold_kernel_implIaEEvRNS_18TensorIteratorBaseET_S7_EUlaaE_EESt5arrayIPcLm3EELi4E23TrivialOffsetCalculatorILi2EjESD_ILi1EjENS0_6memory15LoadWithoutCastENSG_16StoreWithoutCastEEEviS7_T0_T2_T3_T4_T5_
	.p2align	8
	.type	_ZN2at6native27unrolled_elementwise_kernelINS0_13BinaryFunctorIaaaZNS0_12_GLOBAL__N_121threshold_kernel_implIaEEvRNS_18TensorIteratorBaseET_S7_EUlaaE_EESt5arrayIPcLm3EELi4E23TrivialOffsetCalculatorILi2EjESD_ILi1EjENS0_6memory15LoadWithoutCastENSG_16StoreWithoutCastEEEviS7_T0_T2_T3_T4_T5_,@function
_ZN2at6native27unrolled_elementwise_kernelINS0_13BinaryFunctorIaaaZNS0_12_GLOBAL__N_121threshold_kernel_implIaEEvRNS_18TensorIteratorBaseET_S7_EUlaaE_EESt5arrayIPcLm3EELi4E23TrivialOffsetCalculatorILi2EjESD_ILi1EjENS0_6memory15LoadWithoutCastENSG_16StoreWithoutCastEEEviS7_T0_T2_T3_T4_T5_: ; @_ZN2at6native27unrolled_elementwise_kernelINS0_13BinaryFunctorIaaaZNS0_12_GLOBAL__N_121threshold_kernel_implIaEEvRNS_18TensorIteratorBaseET_S7_EUlaaE_EESt5arrayIPcLm3EELi4E23TrivialOffsetCalculatorILi2EjESD_ILi1EjENS0_6memory15LoadWithoutCastENSG_16StoreWithoutCastEEEviS7_T0_T2_T3_T4_T5_
; %bb.0:
	v_mov_b32_e32 v4, 0
	global_load_ushort v1, v4, s[4:5] offset:4
	s_load_dword s0, s[4:5], 0x0
	s_load_dwordx4 s[8:11], s[4:5], 0x8
	s_load_dwordx2 s[12:13], s[4:5], 0x18
	s_lshl_b32 s16, s6, 10
                                        ; implicit-def: $vgpr2
	s_waitcnt lgkmcnt(0)
	s_sub_i32 s17, s0, s16
	v_cmp_gt_i32_e64 s[0:1], s17, v0
	v_cmp_le_i32_e32 vcc, s17, v0
	s_and_saveexec_b64 s[2:3], vcc
	s_xor_b64 s[2:3], exec, s[2:3]
; %bb.1:
	v_or_b32_e32 v2, 0x100, v0
; %bb.2:
	s_or_saveexec_b64 s[2:3], s[2:3]
	v_or_b32_e32 v3, s16, v0
	v_mov_b32_e32 v5, 0
	v_mov_b32_e32 v10, 0
	;; [unrolled: 1-line block ×7, first 2 shown]
	s_xor_b64 exec, exec, s[2:3]
	s_cbranch_execz .LBB44_10
; %bb.3:
	global_load_ubyte v8, v3, s[10:11]
	global_load_ubyte v11, v3, s[12:13]
	v_or_b32_e32 v2, 0x100, v0
	v_cmp_gt_u32_e32 vcc, s17, v2
	v_mov_b32_e32 v7, 0
	v_mov_b32_e32 v9, 0
	;; [unrolled: 1-line block ×6, first 2 shown]
	s_and_saveexec_b64 s[4:5], vcc
	s_cbranch_execz .LBB44_9
; %bb.4:
	v_add_u32_e32 v4, s16, v2
	global_load_ubyte v9, v4, s[10:11]
	global_load_ubyte v7, v4, s[12:13]
	v_or_b32_e32 v12, 0x200, v0
	v_cmp_gt_u32_e32 vcc, s17, v12
	v_mov_b32_e32 v6, 0
	v_mov_b32_e32 v10, 0
	;; [unrolled: 1-line block ×4, first 2 shown]
	s_and_saveexec_b64 s[6:7], vcc
	s_cbranch_execz .LBB44_8
; %bb.5:
	v_add_u32_e32 v4, s16, v12
	global_load_ubyte v10, v4, s[10:11]
	global_load_ubyte v6, v4, s[12:13]
	v_or_b32_e32 v12, 0x300, v0
	v_cmp_gt_u32_e32 vcc, s17, v12
	v_mov_b32_e32 v5, 0
	v_mov_b32_e32 v4, 0
	s_and_saveexec_b64 s[14:15], vcc
	s_cbranch_execz .LBB44_7
; %bb.6:
	v_add_u32_e32 v12, s16, v12
	global_load_ubyte v4, v12, s[10:11]
	global_load_ubyte v5, v12, s[12:13]
.LBB44_7:
	s_or_b64 exec, exec, s[14:15]
.LBB44_8:
	s_or_b64 exec, exec, s[6:7]
.LBB44_9:
	s_or_b64 exec, exec, s[4:5]
.LBB44_10:
	s_or_b64 exec, exec, s[2:3]
	v_mov_b32_e32 v12, 8
	s_waitcnt vmcnt(0)
	v_lshrrev_b32_sdwa v12, v12, v1 dst_sel:DWORD dst_unused:UNUSED_PAD src0_sel:DWORD src1_sel:WORD_0
	v_cmp_gt_i16_sdwa vcc, sext(v8), sext(v1) src0_sel:BYTE_0 src1_sel:BYTE_0
	s_mov_b32 s2, 0xffff
	v_cndmask_b32_e32 v8, v12, v11, vcc
	v_cmp_gt_i16_sdwa vcc, sext(v9), sext(v1) src0_sel:BYTE_0 src1_sel:BYTE_0
	v_and_b32_sdwa v8, s2, v8 dst_sel:DWORD dst_unused:UNUSED_PAD src0_sel:DWORD src1_sel:BYTE_0
	v_cndmask_b32_e32 v7, v12, v7, vcc
	v_cndmask_b32_e64 v8, 0, v8, s[0:1]
	v_lshlrev_b16_e32 v7, 8, v7
	v_or_b32_e32 v7, v8, v7
	v_and_b32_e32 v7, 0xffff, v7
	v_cmp_gt_i32_e32 vcc, s17, v2
	v_cndmask_b32_e32 v7, v8, v7, vcc
	v_cmp_gt_i16_sdwa vcc, sext(v10), sext(v1) src0_sel:BYTE_0 src1_sel:BYTE_0
	v_cndmask_b32_e32 v6, v12, v6, vcc
	s_mov_b32 s4, 0xc0c0304
	v_or_b32_e32 v8, 0x200, v0
	v_perm_b32 v6, v6, v7, s4
	v_lshl_or_b32 v6, v6, 16, v7
	v_cmp_gt_i32_e32 vcc, s17, v8
	s_movk_i32 s3, 0xff
	v_cndmask_b32_e32 v6, v7, v6, vcc
	v_cmp_gt_i16_sdwa vcc, sext(v4), sext(v1) src0_sel:BYTE_0 src1_sel:BYTE_0
	v_and_b32_sdwa v7, v6, s3 dst_sel:DWORD dst_unused:UNUSED_PAD src0_sel:WORD_1 src1_sel:DWORD
	v_cndmask_b32_sdwa v1, v12, v5, vcc dst_sel:BYTE_1 dst_unused:UNUSED_PAD src0_sel:DWORD src1_sel:DWORD
	v_or_b32_e32 v8, 0x300, v0
	v_or_b32_sdwa v1, v7, v1 dst_sel:WORD_1 dst_unused:UNUSED_PAD src0_sel:DWORD src1_sel:DWORD
	v_and_or_b32 v1, v6, s2, v1
	v_cmp_gt_i32_e32 vcc, s17, v8
	v_cndmask_b32_e32 v1, v6, v1, vcc
	s_and_saveexec_b64 s[2:3], s[0:1]
	s_cbranch_execnz .LBB44_15
; %bb.11:
	s_or_b64 exec, exec, s[2:3]
	v_cmp_gt_i32_e32 vcc, s17, v0
	s_and_saveexec_b64 s[0:1], vcc
	s_cbranch_execnz .LBB44_16
.LBB44_12:
	s_or_b64 exec, exec, s[0:1]
	v_cmp_gt_i32_e32 vcc, s17, v0
	s_and_saveexec_b64 s[0:1], vcc
	s_cbranch_execnz .LBB44_17
.LBB44_13:
	s_or_b64 exec, exec, s[0:1]
	v_cmp_gt_i32_e32 vcc, s17, v0
	s_and_saveexec_b64 s[0:1], vcc
	s_cbranch_execnz .LBB44_18
.LBB44_14:
	s_endpgm
.LBB44_15:
	v_mov_b32_e32 v0, v2
	global_store_byte v3, v1, s[8:9]
	s_or_b64 exec, exec, s[2:3]
	v_cmp_gt_i32_e32 vcc, s17, v0
	s_and_saveexec_b64 s[0:1], vcc
	s_cbranch_execz .LBB44_12
.LBB44_16:
	v_add_u32_e32 v2, 0x100, v0
	v_add_u32_e32 v0, s16, v0
	v_lshrrev_b32_e32 v3, 8, v1
	global_store_byte v0, v3, s[8:9]
	v_mov_b32_e32 v0, v2
	s_or_b64 exec, exec, s[0:1]
	v_cmp_gt_i32_e32 vcc, s17, v0
	s_and_saveexec_b64 s[0:1], vcc
	s_cbranch_execz .LBB44_13
.LBB44_17:
	v_add_u32_e32 v2, 0x100, v0
	v_add_u32_e32 v0, s16, v0
	global_store_byte_d16_hi v0, v1, s[8:9]
	v_mov_b32_e32 v0, v2
	s_or_b64 exec, exec, s[0:1]
	v_cmp_gt_i32_e32 vcc, s17, v0
	s_and_saveexec_b64 s[0:1], vcc
	s_cbranch_execz .LBB44_14
.LBB44_18:
	v_add_u32_e32 v0, s16, v0
	v_lshrrev_b32_e32 v1, 24, v1
	global_store_byte v0, v1, s[8:9]
	s_endpgm
	.section	.rodata,"a",@progbits
	.p2align	6, 0x0
	.amdhsa_kernel _ZN2at6native27unrolled_elementwise_kernelINS0_13BinaryFunctorIaaaZNS0_12_GLOBAL__N_121threshold_kernel_implIaEEvRNS_18TensorIteratorBaseET_S7_EUlaaE_EESt5arrayIPcLm3EELi4E23TrivialOffsetCalculatorILi2EjESD_ILi1EjENS0_6memory15LoadWithoutCastENSG_16StoreWithoutCastEEEviS7_T0_T2_T3_T4_T5_
		.amdhsa_group_segment_fixed_size 0
		.amdhsa_private_segment_fixed_size 0
		.amdhsa_kernarg_size 36
		.amdhsa_user_sgpr_count 6
		.amdhsa_user_sgpr_private_segment_buffer 1
		.amdhsa_user_sgpr_dispatch_ptr 0
		.amdhsa_user_sgpr_queue_ptr 0
		.amdhsa_user_sgpr_kernarg_segment_ptr 1
		.amdhsa_user_sgpr_dispatch_id 0
		.amdhsa_user_sgpr_flat_scratch_init 0
		.amdhsa_user_sgpr_private_segment_size 0
		.amdhsa_uses_dynamic_stack 0
		.amdhsa_system_sgpr_private_segment_wavefront_offset 0
		.amdhsa_system_sgpr_workgroup_id_x 1
		.amdhsa_system_sgpr_workgroup_id_y 0
		.amdhsa_system_sgpr_workgroup_id_z 0
		.amdhsa_system_sgpr_workgroup_info 0
		.amdhsa_system_vgpr_workitem_id 0
		.amdhsa_next_free_vgpr 13
		.amdhsa_next_free_sgpr 18
		.amdhsa_reserve_vcc 1
		.amdhsa_reserve_flat_scratch 0
		.amdhsa_float_round_mode_32 0
		.amdhsa_float_round_mode_16_64 0
		.amdhsa_float_denorm_mode_32 3
		.amdhsa_float_denorm_mode_16_64 3
		.amdhsa_dx10_clamp 1
		.amdhsa_ieee_mode 1
		.amdhsa_fp16_overflow 0
		.amdhsa_exception_fp_ieee_invalid_op 0
		.amdhsa_exception_fp_denorm_src 0
		.amdhsa_exception_fp_ieee_div_zero 0
		.amdhsa_exception_fp_ieee_overflow 0
		.amdhsa_exception_fp_ieee_underflow 0
		.amdhsa_exception_fp_ieee_inexact 0
		.amdhsa_exception_int_div_zero 0
	.end_amdhsa_kernel
	.section	.text._ZN2at6native27unrolled_elementwise_kernelINS0_13BinaryFunctorIaaaZNS0_12_GLOBAL__N_121threshold_kernel_implIaEEvRNS_18TensorIteratorBaseET_S7_EUlaaE_EESt5arrayIPcLm3EELi4E23TrivialOffsetCalculatorILi2EjESD_ILi1EjENS0_6memory15LoadWithoutCastENSG_16StoreWithoutCastEEEviS7_T0_T2_T3_T4_T5_,"axG",@progbits,_ZN2at6native27unrolled_elementwise_kernelINS0_13BinaryFunctorIaaaZNS0_12_GLOBAL__N_121threshold_kernel_implIaEEvRNS_18TensorIteratorBaseET_S7_EUlaaE_EESt5arrayIPcLm3EELi4E23TrivialOffsetCalculatorILi2EjESD_ILi1EjENS0_6memory15LoadWithoutCastENSG_16StoreWithoutCastEEEviS7_T0_T2_T3_T4_T5_,comdat
.Lfunc_end44:
	.size	_ZN2at6native27unrolled_elementwise_kernelINS0_13BinaryFunctorIaaaZNS0_12_GLOBAL__N_121threshold_kernel_implIaEEvRNS_18TensorIteratorBaseET_S7_EUlaaE_EESt5arrayIPcLm3EELi4E23TrivialOffsetCalculatorILi2EjESD_ILi1EjENS0_6memory15LoadWithoutCastENSG_16StoreWithoutCastEEEviS7_T0_T2_T3_T4_T5_, .Lfunc_end44-_ZN2at6native27unrolled_elementwise_kernelINS0_13BinaryFunctorIaaaZNS0_12_GLOBAL__N_121threshold_kernel_implIaEEvRNS_18TensorIteratorBaseET_S7_EUlaaE_EESt5arrayIPcLm3EELi4E23TrivialOffsetCalculatorILi2EjESD_ILi1EjENS0_6memory15LoadWithoutCastENSG_16StoreWithoutCastEEEviS7_T0_T2_T3_T4_T5_
                                        ; -- End function
	.set _ZN2at6native27unrolled_elementwise_kernelINS0_13BinaryFunctorIaaaZNS0_12_GLOBAL__N_121threshold_kernel_implIaEEvRNS_18TensorIteratorBaseET_S7_EUlaaE_EESt5arrayIPcLm3EELi4E23TrivialOffsetCalculatorILi2EjESD_ILi1EjENS0_6memory15LoadWithoutCastENSG_16StoreWithoutCastEEEviS7_T0_T2_T3_T4_T5_.num_vgpr, 13
	.set _ZN2at6native27unrolled_elementwise_kernelINS0_13BinaryFunctorIaaaZNS0_12_GLOBAL__N_121threshold_kernel_implIaEEvRNS_18TensorIteratorBaseET_S7_EUlaaE_EESt5arrayIPcLm3EELi4E23TrivialOffsetCalculatorILi2EjESD_ILi1EjENS0_6memory15LoadWithoutCastENSG_16StoreWithoutCastEEEviS7_T0_T2_T3_T4_T5_.num_agpr, 0
	.set _ZN2at6native27unrolled_elementwise_kernelINS0_13BinaryFunctorIaaaZNS0_12_GLOBAL__N_121threshold_kernel_implIaEEvRNS_18TensorIteratorBaseET_S7_EUlaaE_EESt5arrayIPcLm3EELi4E23TrivialOffsetCalculatorILi2EjESD_ILi1EjENS0_6memory15LoadWithoutCastENSG_16StoreWithoutCastEEEviS7_T0_T2_T3_T4_T5_.numbered_sgpr, 18
	.set _ZN2at6native27unrolled_elementwise_kernelINS0_13BinaryFunctorIaaaZNS0_12_GLOBAL__N_121threshold_kernel_implIaEEvRNS_18TensorIteratorBaseET_S7_EUlaaE_EESt5arrayIPcLm3EELi4E23TrivialOffsetCalculatorILi2EjESD_ILi1EjENS0_6memory15LoadWithoutCastENSG_16StoreWithoutCastEEEviS7_T0_T2_T3_T4_T5_.num_named_barrier, 0
	.set _ZN2at6native27unrolled_elementwise_kernelINS0_13BinaryFunctorIaaaZNS0_12_GLOBAL__N_121threshold_kernel_implIaEEvRNS_18TensorIteratorBaseET_S7_EUlaaE_EESt5arrayIPcLm3EELi4E23TrivialOffsetCalculatorILi2EjESD_ILi1EjENS0_6memory15LoadWithoutCastENSG_16StoreWithoutCastEEEviS7_T0_T2_T3_T4_T5_.private_seg_size, 0
	.set _ZN2at6native27unrolled_elementwise_kernelINS0_13BinaryFunctorIaaaZNS0_12_GLOBAL__N_121threshold_kernel_implIaEEvRNS_18TensorIteratorBaseET_S7_EUlaaE_EESt5arrayIPcLm3EELi4E23TrivialOffsetCalculatorILi2EjESD_ILi1EjENS0_6memory15LoadWithoutCastENSG_16StoreWithoutCastEEEviS7_T0_T2_T3_T4_T5_.uses_vcc, 1
	.set _ZN2at6native27unrolled_elementwise_kernelINS0_13BinaryFunctorIaaaZNS0_12_GLOBAL__N_121threshold_kernel_implIaEEvRNS_18TensorIteratorBaseET_S7_EUlaaE_EESt5arrayIPcLm3EELi4E23TrivialOffsetCalculatorILi2EjESD_ILi1EjENS0_6memory15LoadWithoutCastENSG_16StoreWithoutCastEEEviS7_T0_T2_T3_T4_T5_.uses_flat_scratch, 0
	.set _ZN2at6native27unrolled_elementwise_kernelINS0_13BinaryFunctorIaaaZNS0_12_GLOBAL__N_121threshold_kernel_implIaEEvRNS_18TensorIteratorBaseET_S7_EUlaaE_EESt5arrayIPcLm3EELi4E23TrivialOffsetCalculatorILi2EjESD_ILi1EjENS0_6memory15LoadWithoutCastENSG_16StoreWithoutCastEEEviS7_T0_T2_T3_T4_T5_.has_dyn_sized_stack, 0
	.set _ZN2at6native27unrolled_elementwise_kernelINS0_13BinaryFunctorIaaaZNS0_12_GLOBAL__N_121threshold_kernel_implIaEEvRNS_18TensorIteratorBaseET_S7_EUlaaE_EESt5arrayIPcLm3EELi4E23TrivialOffsetCalculatorILi2EjESD_ILi1EjENS0_6memory15LoadWithoutCastENSG_16StoreWithoutCastEEEviS7_T0_T2_T3_T4_T5_.has_recursion, 0
	.set _ZN2at6native27unrolled_elementwise_kernelINS0_13BinaryFunctorIaaaZNS0_12_GLOBAL__N_121threshold_kernel_implIaEEvRNS_18TensorIteratorBaseET_S7_EUlaaE_EESt5arrayIPcLm3EELi4E23TrivialOffsetCalculatorILi2EjESD_ILi1EjENS0_6memory15LoadWithoutCastENSG_16StoreWithoutCastEEEviS7_T0_T2_T3_T4_T5_.has_indirect_call, 0
	.section	.AMDGPU.csdata,"",@progbits
; Kernel info:
; codeLenInByte = 712
; TotalNumSgprs: 22
; NumVgprs: 13
; ScratchSize: 0
; MemoryBound: 0
; FloatMode: 240
; IeeeMode: 1
; LDSByteSize: 0 bytes/workgroup (compile time only)
; SGPRBlocks: 2
; VGPRBlocks: 3
; NumSGPRsForWavesPerEU: 22
; NumVGPRsForWavesPerEU: 13
; Occupancy: 10
; WaveLimiterHint : 0
; COMPUTE_PGM_RSRC2:SCRATCH_EN: 0
; COMPUTE_PGM_RSRC2:USER_SGPR: 6
; COMPUTE_PGM_RSRC2:TRAP_HANDLER: 0
; COMPUTE_PGM_RSRC2:TGID_X_EN: 1
; COMPUTE_PGM_RSRC2:TGID_Y_EN: 0
; COMPUTE_PGM_RSRC2:TGID_Z_EN: 0
; COMPUTE_PGM_RSRC2:TIDIG_COMP_CNT: 0
	.section	.text._ZN2at6native32elementwise_kernel_manual_unrollILi128ELi8EZNS0_22gpu_kernel_impl_nocastINS0_13BinaryFunctorIaaaZNS0_12_GLOBAL__N_121threshold_kernel_implIaEEvRNS_18TensorIteratorBaseET_S8_EUlaaE_EEEEvS7_RKS8_EUlibE_EEviT1_,"axG",@progbits,_ZN2at6native32elementwise_kernel_manual_unrollILi128ELi8EZNS0_22gpu_kernel_impl_nocastINS0_13BinaryFunctorIaaaZNS0_12_GLOBAL__N_121threshold_kernel_implIaEEvRNS_18TensorIteratorBaseET_S8_EUlaaE_EEEEvS7_RKS8_EUlibE_EEviT1_,comdat
	.globl	_ZN2at6native32elementwise_kernel_manual_unrollILi128ELi8EZNS0_22gpu_kernel_impl_nocastINS0_13BinaryFunctorIaaaZNS0_12_GLOBAL__N_121threshold_kernel_implIaEEvRNS_18TensorIteratorBaseET_S8_EUlaaE_EEEEvS7_RKS8_EUlibE_EEviT1_ ; -- Begin function _ZN2at6native32elementwise_kernel_manual_unrollILi128ELi8EZNS0_22gpu_kernel_impl_nocastINS0_13BinaryFunctorIaaaZNS0_12_GLOBAL__N_121threshold_kernel_implIaEEvRNS_18TensorIteratorBaseET_S8_EUlaaE_EEEEvS7_RKS8_EUlibE_EEviT1_
	.p2align	8
	.type	_ZN2at6native32elementwise_kernel_manual_unrollILi128ELi8EZNS0_22gpu_kernel_impl_nocastINS0_13BinaryFunctorIaaaZNS0_12_GLOBAL__N_121threshold_kernel_implIaEEvRNS_18TensorIteratorBaseET_S8_EUlaaE_EEEEvS7_RKS8_EUlibE_EEviT1_,@function
_ZN2at6native32elementwise_kernel_manual_unrollILi128ELi8EZNS0_22gpu_kernel_impl_nocastINS0_13BinaryFunctorIaaaZNS0_12_GLOBAL__N_121threshold_kernel_implIaEEvRNS_18TensorIteratorBaseET_S8_EUlaaE_EEEEvS7_RKS8_EUlibE_EEviT1_: ; @_ZN2at6native32elementwise_kernel_manual_unrollILi128ELi8EZNS0_22gpu_kernel_impl_nocastINS0_13BinaryFunctorIaaaZNS0_12_GLOBAL__N_121threshold_kernel_implIaEEvRNS_18TensorIteratorBaseET_S8_EUlaaE_EEEEvS7_RKS8_EUlibE_EEviT1_
; %bb.0:
	s_load_dword s38, s[4:5], 0x0
	s_load_dword s33, s[4:5], 0x8
	s_add_u32 s12, s4, 8
	s_addc_u32 s13, s5, 0
	v_lshl_or_b32 v31, s6, 10, v0
	v_or_b32_e32 v41, 0x380, v31
	s_waitcnt lgkmcnt(0)
	s_add_i32 s34, s33, -1
	s_cmp_gt_u32 s34, 1
	v_cmp_le_i32_e32 vcc, s38, v41
	s_cselect_b64 s[14:15], -1, 0
	s_and_saveexec_b64 s[0:1], vcc
	s_xor_b64 s[16:17], exec, s[0:1]
	s_cbranch_execz .LBB45_106
; %bb.1:
	s_load_dwordx4 s[8:11], s[12:13], 0x4
	s_load_dwordx2 s[22:23], s[12:13], 0x14
	s_load_dwordx4 s[4:7], s[12:13], 0xc4
	s_load_dwordx2 s[20:21], s[12:13], 0xd4
	s_load_dword s28, s[12:13], 0x1a0
	s_load_dwordx2 s[18:19], s[12:13], 0x198
	s_load_dwordx4 s[0:3], s[12:13], 0x188
	s_cmp_lg_u32 s33, 0
	s_cselect_b64 s[26:27], -1, 0
	s_min_u32 s37, s34, 15
	s_cmp_gt_u32 s33, 1
	s_cselect_b64 s[24:25], -1, 0
	s_waitcnt lgkmcnt(0)
	s_bfe_i32 s35, s28, 0x80000
	s_bfe_u32 s36, s28, 0x80008
	v_cmp_gt_i32_e32 vcc, s38, v31
	s_and_saveexec_b64 s[28:29], vcc
	s_cbranch_execnz .LBB45_9
; %bb.2:
	s_or_b64 exec, exec, s[28:29]
	v_cmp_gt_i32_e32 vcc, s38, v31
	s_and_saveexec_b64 s[28:29], vcc
	s_cbranch_execnz .LBB45_21
.LBB45_3:
	s_or_b64 exec, exec, s[28:29]
	v_cmp_gt_i32_e32 vcc, s38, v31
	s_and_saveexec_b64 s[28:29], vcc
	s_cbranch_execnz .LBB45_33
.LBB45_4:
	s_or_b64 exec, exec, s[28:29]
	v_cmp_gt_i32_e32 vcc, s38, v31
	s_and_saveexec_b64 s[28:29], vcc
	s_cbranch_execnz .LBB45_45
.LBB45_5:
	s_or_b64 exec, exec, s[28:29]
	v_cmp_gt_i32_e32 vcc, s38, v31
	s_and_saveexec_b64 s[28:29], vcc
	s_cbranch_execnz .LBB45_57
.LBB45_6:
	s_or_b64 exec, exec, s[28:29]
	v_cmp_gt_i32_e32 vcc, s38, v31
	s_and_saveexec_b64 s[28:29], vcc
	s_cbranch_execnz .LBB45_69
.LBB45_7:
	s_or_b64 exec, exec, s[28:29]
	v_cmp_gt_i32_e32 vcc, s38, v31
	s_and_saveexec_b64 s[28:29], vcc
	s_cbranch_execnz .LBB45_81
.LBB45_8:
	s_or_b64 exec, exec, s[28:29]
	v_cmp_gt_i32_e32 vcc, s38, v31
	s_and_saveexec_b64 s[28:29], vcc
	s_cbranch_execnz .LBB45_93
	s_branch .LBB45_105
.LBB45_9:
	s_andn2_b64 vcc, exec, s[14:15]
	s_cbranch_vccnz .LBB45_15
; %bb.10:
	s_andn2_b64 vcc, exec, s[26:27]
	s_cbranch_vccnz .LBB45_16
; %bb.11:
	s_add_i32 s30, s37, 1
	s_and_b32 s39, s30, 30
	s_add_u32 s30, s12, 0xffffffe8
	s_addc_u32 s31, s13, -1
	v_mov_b32_e32 v2, 0
	v_mov_b32_e32 v4, 0
	;; [unrolled: 1-line block ×4, first 2 shown]
.LBB45_12:                              ; =>This Inner Loop Header: Depth=1
	s_load_dwordx4 s[40:43], s[30:31], 0x1c
	s_load_dwordx2 s[48:49], s[30:31], 0x2c
	s_load_dwordx2 s[50:51], s[30:31], 0xec
	s_load_dwordx4 s[44:47], s[30:31], 0xdc
	s_add_u32 s30, s30, 24
	s_waitcnt lgkmcnt(0)
	v_mul_hi_u32 v3, s41, v1
	s_addc_u32 s31, s31, 0
	s_add_i32 s39, s39, -2
	s_cmp_lg_u32 s39, 0
	v_add_u32_e32 v3, v1, v3
	v_lshrrev_b32_e32 v3, s42, v3
	v_mul_lo_u32 v5, v3, s40
	v_mul_hi_u32 v6, s48, v3
	v_sub_u32_e32 v5, v1, v5
	v_add_u32_e32 v1, v3, v6
	v_lshrrev_b32_e32 v1, s49, v1
	v_mul_lo_u32 v8, v1, s43
	v_mul_lo_u32 v6, v5, s44
	;; [unrolled: 1-line block ×4, first 2 shown]
	v_sub_u32_e32 v3, v3, v8
	v_mul_lo_u32 v8, v3, s47
	v_mul_lo_u32 v9, v3, s50
	;; [unrolled: 1-line block ×3, first 2 shown]
	v_add3_u32 v0, v6, v0, v8
	v_add3_u32 v4, v7, v4, v9
	;; [unrolled: 1-line block ×3, first 2 shown]
	s_cbranch_scc1 .LBB45_12
; %bb.13:
	s_bitcmp1_b32 s37, 0
	s_cselect_b64 s[40:41], -1, 0
	s_and_b64 vcc, exec, s[40:41]
	s_cbranch_vccnz .LBB45_17
; %bb.14:
	s_load_dwordx2 s[40:41], s[30:31], 0x1c
	s_load_dword s39, s[30:31], 0x24
	s_load_dwordx2 s[42:43], s[30:31], 0xdc
	s_waitcnt lgkmcnt(0)
	v_mul_hi_u32 v3, s41, v1
	v_add_u32_e32 v3, v1, v3
	v_lshrrev_b32_e32 v3, s39, v3
	v_mul_lo_u32 v3, v3, s40
	s_load_dword s39, s[30:31], 0xe4
	v_sub_u32_e32 v3, v1, v3
	v_mad_u64_u32 v[0:1], s[30:31], v3, s42, v[0:1]
	v_mad_u64_u32 v[4:5], s[30:31], v3, s43, v[4:5]
	s_waitcnt lgkmcnt(0)
	v_mad_u64_u32 v[2:3], s[30:31], v3, s39, v[2:3]
	s_cbranch_execz .LBB45_18
	s_branch .LBB45_20
.LBB45_15:
                                        ; implicit-def: $vgpr0
                                        ; implicit-def: $vgpr4
                                        ; implicit-def: $vgpr2
	s_branch .LBB45_18
.LBB45_16:
	v_mov_b32_e32 v0, 0
	v_mov_b32_e32 v4, 0
	;; [unrolled: 1-line block ×3, first 2 shown]
.LBB45_17:
	s_cbranch_execnz .LBB45_20
.LBB45_18:
	v_mul_hi_u32 v0, s9, v31
	s_andn2_b64 vcc, exec, s[24:25]
	v_add_u32_e32 v0, v31, v0
	v_lshrrev_b32_e32 v1, s10, v0
	v_mul_lo_u32 v0, v1, s8
	v_sub_u32_e32 v2, v31, v0
	v_mul_lo_u32 v0, v2, s4
	v_mul_lo_u32 v4, v2, s5
	;; [unrolled: 1-line block ×3, first 2 shown]
	s_cbranch_vccnz .LBB45_20
; %bb.19:
	v_mul_hi_u32 v3, s22, v1
	v_add_u32_e32 v3, v1, v3
	v_lshrrev_b32_e32 v3, s23, v3
	v_mul_lo_u32 v3, v3, s11
	v_sub_u32_e32 v3, v1, v3
	v_mad_u64_u32 v[0:1], s[30:31], v3, s7, v[0:1]
	v_mad_u64_u32 v[4:5], s[30:31], v3, s20, v[4:5]
	;; [unrolled: 1-line block ×3, first 2 shown]
.LBB45_20:
	global_load_sbyte v1, v4, s[2:3]
	global_load_ubyte v3, v2, s[18:19]
	v_mov_b32_e32 v2, s36
	v_add_u32_e32 v31, 0x80, v31
	s_waitcnt vmcnt(1)
	v_cmp_lt_i16_e32 vcc, s35, v1
	s_waitcnt vmcnt(0)
	v_cndmask_b32_e32 v1, v2, v3, vcc
	global_store_byte v0, v1, s[0:1]
	s_or_b64 exec, exec, s[28:29]
	v_cmp_gt_i32_e32 vcc, s38, v31
	s_and_saveexec_b64 s[28:29], vcc
	s_cbranch_execz .LBB45_3
.LBB45_21:
	s_andn2_b64 vcc, exec, s[14:15]
	s_cbranch_vccnz .LBB45_27
; %bb.22:
	s_andn2_b64 vcc, exec, s[26:27]
	s_cbranch_vccnz .LBB45_28
; %bb.23:
	s_add_i32 s30, s37, 1
	s_and_b32 s39, s30, 30
	s_add_u32 s30, s12, 0xffffffe8
	s_addc_u32 s31, s13, -1
	v_mov_b32_e32 v2, 0
	v_mov_b32_e32 v4, 0
	;; [unrolled: 1-line block ×4, first 2 shown]
.LBB45_24:                              ; =>This Inner Loop Header: Depth=1
	s_load_dwordx4 s[40:43], s[30:31], 0x1c
	s_load_dwordx2 s[48:49], s[30:31], 0x2c
	s_load_dwordx2 s[50:51], s[30:31], 0xec
	s_load_dwordx4 s[44:47], s[30:31], 0xdc
	s_add_u32 s30, s30, 24
	s_waitcnt lgkmcnt(0)
	v_mul_hi_u32 v3, s41, v1
	s_addc_u32 s31, s31, 0
	s_add_i32 s39, s39, -2
	s_cmp_eq_u32 s39, 0
	v_add_u32_e32 v3, v1, v3
	v_lshrrev_b32_e32 v3, s42, v3
	v_mul_lo_u32 v5, v3, s40
	v_mul_hi_u32 v6, s48, v3
	v_sub_u32_e32 v5, v1, v5
	v_add_u32_e32 v1, v3, v6
	v_lshrrev_b32_e32 v1, s49, v1
	v_mul_lo_u32 v8, v1, s43
	v_mul_lo_u32 v6, v5, s44
	;; [unrolled: 1-line block ×4, first 2 shown]
	v_sub_u32_e32 v3, v3, v8
	v_mul_lo_u32 v8, v3, s47
	v_mul_lo_u32 v9, v3, s50
	;; [unrolled: 1-line block ×3, first 2 shown]
	v_add3_u32 v0, v6, v0, v8
	v_add3_u32 v4, v7, v4, v9
	;; [unrolled: 1-line block ×3, first 2 shown]
	s_cbranch_scc0 .LBB45_24
; %bb.25:
	s_bitcmp1_b32 s37, 0
	s_cselect_b64 s[40:41], -1, 0
	s_and_b64 vcc, exec, s[40:41]
	s_cbranch_vccnz .LBB45_29
; %bb.26:
	s_load_dwordx2 s[40:41], s[30:31], 0x1c
	s_load_dword s39, s[30:31], 0x24
	s_load_dwordx2 s[42:43], s[30:31], 0xdc
	s_waitcnt lgkmcnt(0)
	v_mul_hi_u32 v3, s41, v1
	v_add_u32_e32 v3, v1, v3
	v_lshrrev_b32_e32 v3, s39, v3
	v_mul_lo_u32 v3, v3, s40
	s_load_dword s39, s[30:31], 0xe4
	v_sub_u32_e32 v3, v1, v3
	v_mad_u64_u32 v[0:1], s[30:31], v3, s42, v[0:1]
	v_mad_u64_u32 v[4:5], s[30:31], v3, s43, v[4:5]
	s_waitcnt lgkmcnt(0)
	v_mad_u64_u32 v[2:3], s[30:31], v3, s39, v[2:3]
	s_branch .LBB45_29
.LBB45_27:
                                        ; implicit-def: $vgpr0
                                        ; implicit-def: $vgpr4
                                        ; implicit-def: $vgpr2
	s_branch .LBB45_30
.LBB45_28:
	v_mov_b32_e32 v0, 0
	v_mov_b32_e32 v4, 0
	;; [unrolled: 1-line block ×3, first 2 shown]
.LBB45_29:
	s_cbranch_execnz .LBB45_32
.LBB45_30:
	v_mul_hi_u32 v0, s9, v31
	s_andn2_b64 vcc, exec, s[24:25]
	v_add_u32_e32 v0, v31, v0
	v_lshrrev_b32_e32 v1, s10, v0
	v_mul_lo_u32 v0, v1, s8
	v_sub_u32_e32 v2, v31, v0
	v_mul_lo_u32 v0, v2, s4
	v_mul_lo_u32 v4, v2, s5
	;; [unrolled: 1-line block ×3, first 2 shown]
	s_cbranch_vccnz .LBB45_32
; %bb.31:
	v_mul_hi_u32 v3, s22, v1
	v_add_u32_e32 v3, v1, v3
	v_lshrrev_b32_e32 v3, s23, v3
	v_mul_lo_u32 v3, v3, s11
	v_sub_u32_e32 v3, v1, v3
	v_mad_u64_u32 v[0:1], s[30:31], v3, s7, v[0:1]
	v_mad_u64_u32 v[4:5], s[30:31], v3, s20, v[4:5]
	;; [unrolled: 1-line block ×3, first 2 shown]
.LBB45_32:
	global_load_sbyte v1, v4, s[2:3]
	global_load_ubyte v3, v2, s[18:19]
	v_mov_b32_e32 v2, s36
	v_add_u32_e32 v31, 0x80, v31
	s_waitcnt vmcnt(1)
	v_cmp_lt_i16_e32 vcc, s35, v1
	s_waitcnt vmcnt(0)
	v_cndmask_b32_e32 v1, v2, v3, vcc
	global_store_byte v0, v1, s[0:1]
	s_or_b64 exec, exec, s[28:29]
	v_cmp_gt_i32_e32 vcc, s38, v31
	s_and_saveexec_b64 s[28:29], vcc
	s_cbranch_execz .LBB45_4
.LBB45_33:
	s_andn2_b64 vcc, exec, s[14:15]
	s_cbranch_vccnz .LBB45_39
; %bb.34:
	s_andn2_b64 vcc, exec, s[26:27]
	s_cbranch_vccnz .LBB45_40
; %bb.35:
	s_add_i32 s30, s37, 1
	s_and_b32 s39, s30, 30
	s_add_u32 s30, s12, 0xffffffe8
	s_addc_u32 s31, s13, -1
	v_mov_b32_e32 v2, 0
	v_mov_b32_e32 v4, 0
	v_mov_b32_e32 v0, 0
	v_mov_b32_e32 v1, v31
.LBB45_36:                              ; =>This Inner Loop Header: Depth=1
	s_load_dwordx4 s[40:43], s[30:31], 0x1c
	s_load_dwordx2 s[48:49], s[30:31], 0x2c
	s_load_dwordx2 s[50:51], s[30:31], 0xec
	s_load_dwordx4 s[44:47], s[30:31], 0xdc
	s_add_u32 s30, s30, 24
	s_waitcnt lgkmcnt(0)
	v_mul_hi_u32 v3, s41, v1
	s_addc_u32 s31, s31, 0
	s_add_i32 s39, s39, -2
	s_cmp_eq_u32 s39, 0
	v_add_u32_e32 v3, v1, v3
	v_lshrrev_b32_e32 v3, s42, v3
	v_mul_lo_u32 v5, v3, s40
	v_mul_hi_u32 v6, s48, v3
	v_sub_u32_e32 v5, v1, v5
	v_add_u32_e32 v1, v3, v6
	v_lshrrev_b32_e32 v1, s49, v1
	v_mul_lo_u32 v8, v1, s43
	v_mul_lo_u32 v6, v5, s44
	;; [unrolled: 1-line block ×4, first 2 shown]
	v_sub_u32_e32 v3, v3, v8
	v_mul_lo_u32 v8, v3, s47
	v_mul_lo_u32 v9, v3, s50
	;; [unrolled: 1-line block ×3, first 2 shown]
	v_add3_u32 v0, v6, v0, v8
	v_add3_u32 v4, v7, v4, v9
	;; [unrolled: 1-line block ×3, first 2 shown]
	s_cbranch_scc0 .LBB45_36
; %bb.37:
	s_bitcmp1_b32 s37, 0
	s_cselect_b64 s[40:41], -1, 0
	s_and_b64 vcc, exec, s[40:41]
	s_cbranch_vccnz .LBB45_41
; %bb.38:
	s_load_dwordx2 s[40:41], s[30:31], 0x1c
	s_load_dword s39, s[30:31], 0x24
	s_load_dwordx2 s[42:43], s[30:31], 0xdc
	s_waitcnt lgkmcnt(0)
	v_mul_hi_u32 v3, s41, v1
	v_add_u32_e32 v3, v1, v3
	v_lshrrev_b32_e32 v3, s39, v3
	v_mul_lo_u32 v3, v3, s40
	s_load_dword s39, s[30:31], 0xe4
	v_sub_u32_e32 v3, v1, v3
	v_mad_u64_u32 v[0:1], s[30:31], v3, s42, v[0:1]
	v_mad_u64_u32 v[4:5], s[30:31], v3, s43, v[4:5]
	s_waitcnt lgkmcnt(0)
	v_mad_u64_u32 v[2:3], s[30:31], v3, s39, v[2:3]
	s_branch .LBB45_41
.LBB45_39:
                                        ; implicit-def: $vgpr0
                                        ; implicit-def: $vgpr4
                                        ; implicit-def: $vgpr2
	s_branch .LBB45_42
.LBB45_40:
	v_mov_b32_e32 v0, 0
	v_mov_b32_e32 v4, 0
	;; [unrolled: 1-line block ×3, first 2 shown]
.LBB45_41:
	s_cbranch_execnz .LBB45_44
.LBB45_42:
	v_mul_hi_u32 v0, s9, v31
	s_andn2_b64 vcc, exec, s[24:25]
	v_add_u32_e32 v0, v31, v0
	v_lshrrev_b32_e32 v1, s10, v0
	v_mul_lo_u32 v0, v1, s8
	v_sub_u32_e32 v2, v31, v0
	v_mul_lo_u32 v0, v2, s4
	v_mul_lo_u32 v4, v2, s5
	;; [unrolled: 1-line block ×3, first 2 shown]
	s_cbranch_vccnz .LBB45_44
; %bb.43:
	v_mul_hi_u32 v3, s22, v1
	v_add_u32_e32 v3, v1, v3
	v_lshrrev_b32_e32 v3, s23, v3
	v_mul_lo_u32 v3, v3, s11
	v_sub_u32_e32 v3, v1, v3
	v_mad_u64_u32 v[0:1], s[30:31], v3, s7, v[0:1]
	v_mad_u64_u32 v[4:5], s[30:31], v3, s20, v[4:5]
	;; [unrolled: 1-line block ×3, first 2 shown]
.LBB45_44:
	global_load_sbyte v1, v4, s[2:3]
	global_load_ubyte v3, v2, s[18:19]
	v_mov_b32_e32 v2, s36
	v_add_u32_e32 v31, 0x80, v31
	s_waitcnt vmcnt(1)
	v_cmp_lt_i16_e32 vcc, s35, v1
	s_waitcnt vmcnt(0)
	v_cndmask_b32_e32 v1, v2, v3, vcc
	global_store_byte v0, v1, s[0:1]
	s_or_b64 exec, exec, s[28:29]
	v_cmp_gt_i32_e32 vcc, s38, v31
	s_and_saveexec_b64 s[28:29], vcc
	s_cbranch_execz .LBB45_5
.LBB45_45:
	s_andn2_b64 vcc, exec, s[14:15]
	s_cbranch_vccnz .LBB45_51
; %bb.46:
	s_andn2_b64 vcc, exec, s[26:27]
	s_cbranch_vccnz .LBB45_52
; %bb.47:
	s_add_i32 s30, s37, 1
	s_and_b32 s39, s30, 30
	s_add_u32 s30, s12, 0xffffffe8
	s_addc_u32 s31, s13, -1
	v_mov_b32_e32 v2, 0
	v_mov_b32_e32 v4, 0
	;; [unrolled: 1-line block ×4, first 2 shown]
.LBB45_48:                              ; =>This Inner Loop Header: Depth=1
	s_load_dwordx4 s[40:43], s[30:31], 0x1c
	s_load_dwordx2 s[48:49], s[30:31], 0x2c
	s_load_dwordx2 s[50:51], s[30:31], 0xec
	s_load_dwordx4 s[44:47], s[30:31], 0xdc
	s_add_u32 s30, s30, 24
	s_waitcnt lgkmcnt(0)
	v_mul_hi_u32 v3, s41, v1
	s_addc_u32 s31, s31, 0
	s_add_i32 s39, s39, -2
	s_cmp_eq_u32 s39, 0
	v_add_u32_e32 v3, v1, v3
	v_lshrrev_b32_e32 v3, s42, v3
	v_mul_lo_u32 v5, v3, s40
	v_mul_hi_u32 v6, s48, v3
	v_sub_u32_e32 v5, v1, v5
	v_add_u32_e32 v1, v3, v6
	v_lshrrev_b32_e32 v1, s49, v1
	v_mul_lo_u32 v8, v1, s43
	v_mul_lo_u32 v6, v5, s44
	;; [unrolled: 1-line block ×4, first 2 shown]
	v_sub_u32_e32 v3, v3, v8
	v_mul_lo_u32 v8, v3, s47
	v_mul_lo_u32 v9, v3, s50
	;; [unrolled: 1-line block ×3, first 2 shown]
	v_add3_u32 v0, v6, v0, v8
	v_add3_u32 v4, v7, v4, v9
	;; [unrolled: 1-line block ×3, first 2 shown]
	s_cbranch_scc0 .LBB45_48
; %bb.49:
	s_bitcmp1_b32 s37, 0
	s_cselect_b64 s[40:41], -1, 0
	s_and_b64 vcc, exec, s[40:41]
	s_cbranch_vccnz .LBB45_53
; %bb.50:
	s_load_dwordx2 s[40:41], s[30:31], 0x1c
	s_load_dword s39, s[30:31], 0x24
	s_load_dwordx2 s[42:43], s[30:31], 0xdc
	s_waitcnt lgkmcnt(0)
	v_mul_hi_u32 v3, s41, v1
	v_add_u32_e32 v3, v1, v3
	v_lshrrev_b32_e32 v3, s39, v3
	v_mul_lo_u32 v3, v3, s40
	s_load_dword s39, s[30:31], 0xe4
	v_sub_u32_e32 v3, v1, v3
	v_mad_u64_u32 v[0:1], s[30:31], v3, s42, v[0:1]
	v_mad_u64_u32 v[4:5], s[30:31], v3, s43, v[4:5]
	s_waitcnt lgkmcnt(0)
	v_mad_u64_u32 v[2:3], s[30:31], v3, s39, v[2:3]
	s_branch .LBB45_53
.LBB45_51:
                                        ; implicit-def: $vgpr0
                                        ; implicit-def: $vgpr4
                                        ; implicit-def: $vgpr2
	s_branch .LBB45_54
.LBB45_52:
	v_mov_b32_e32 v0, 0
	v_mov_b32_e32 v4, 0
	;; [unrolled: 1-line block ×3, first 2 shown]
.LBB45_53:
	s_cbranch_execnz .LBB45_56
.LBB45_54:
	v_mul_hi_u32 v0, s9, v31
	s_andn2_b64 vcc, exec, s[24:25]
	v_add_u32_e32 v0, v31, v0
	v_lshrrev_b32_e32 v1, s10, v0
	v_mul_lo_u32 v0, v1, s8
	v_sub_u32_e32 v2, v31, v0
	v_mul_lo_u32 v0, v2, s4
	v_mul_lo_u32 v4, v2, s5
	;; [unrolled: 1-line block ×3, first 2 shown]
	s_cbranch_vccnz .LBB45_56
; %bb.55:
	v_mul_hi_u32 v3, s22, v1
	v_add_u32_e32 v3, v1, v3
	v_lshrrev_b32_e32 v3, s23, v3
	v_mul_lo_u32 v3, v3, s11
	v_sub_u32_e32 v3, v1, v3
	v_mad_u64_u32 v[0:1], s[30:31], v3, s7, v[0:1]
	v_mad_u64_u32 v[4:5], s[30:31], v3, s20, v[4:5]
	;; [unrolled: 1-line block ×3, first 2 shown]
.LBB45_56:
	global_load_sbyte v1, v4, s[2:3]
	global_load_ubyte v3, v2, s[18:19]
	v_mov_b32_e32 v2, s36
	v_add_u32_e32 v31, 0x80, v31
	s_waitcnt vmcnt(1)
	v_cmp_lt_i16_e32 vcc, s35, v1
	s_waitcnt vmcnt(0)
	v_cndmask_b32_e32 v1, v2, v3, vcc
	global_store_byte v0, v1, s[0:1]
	s_or_b64 exec, exec, s[28:29]
	v_cmp_gt_i32_e32 vcc, s38, v31
	s_and_saveexec_b64 s[28:29], vcc
	s_cbranch_execz .LBB45_6
.LBB45_57:
	s_andn2_b64 vcc, exec, s[14:15]
	s_cbranch_vccnz .LBB45_63
; %bb.58:
	s_andn2_b64 vcc, exec, s[26:27]
	s_cbranch_vccnz .LBB45_64
; %bb.59:
	s_add_i32 s30, s37, 1
	s_and_b32 s39, s30, 30
	s_add_u32 s30, s12, 0xffffffe8
	s_addc_u32 s31, s13, -1
	v_mov_b32_e32 v2, 0
	v_mov_b32_e32 v4, 0
	;; [unrolled: 1-line block ×4, first 2 shown]
.LBB45_60:                              ; =>This Inner Loop Header: Depth=1
	s_load_dwordx4 s[40:43], s[30:31], 0x1c
	s_load_dwordx2 s[48:49], s[30:31], 0x2c
	s_load_dwordx2 s[50:51], s[30:31], 0xec
	s_load_dwordx4 s[44:47], s[30:31], 0xdc
	s_add_u32 s30, s30, 24
	s_waitcnt lgkmcnt(0)
	v_mul_hi_u32 v3, s41, v1
	s_addc_u32 s31, s31, 0
	s_add_i32 s39, s39, -2
	s_cmp_eq_u32 s39, 0
	v_add_u32_e32 v3, v1, v3
	v_lshrrev_b32_e32 v3, s42, v3
	v_mul_lo_u32 v5, v3, s40
	v_mul_hi_u32 v6, s48, v3
	v_sub_u32_e32 v5, v1, v5
	v_add_u32_e32 v1, v3, v6
	v_lshrrev_b32_e32 v1, s49, v1
	v_mul_lo_u32 v8, v1, s43
	v_mul_lo_u32 v6, v5, s44
	;; [unrolled: 1-line block ×4, first 2 shown]
	v_sub_u32_e32 v3, v3, v8
	v_mul_lo_u32 v8, v3, s47
	v_mul_lo_u32 v9, v3, s50
	;; [unrolled: 1-line block ×3, first 2 shown]
	v_add3_u32 v0, v6, v0, v8
	v_add3_u32 v4, v7, v4, v9
	v_add3_u32 v2, v5, v2, v3
	s_cbranch_scc0 .LBB45_60
; %bb.61:
	s_bitcmp1_b32 s37, 0
	s_cselect_b64 s[40:41], -1, 0
	s_and_b64 vcc, exec, s[40:41]
	s_cbranch_vccnz .LBB45_65
; %bb.62:
	s_load_dwordx2 s[40:41], s[30:31], 0x1c
	s_load_dword s39, s[30:31], 0x24
	s_load_dwordx2 s[42:43], s[30:31], 0xdc
	s_waitcnt lgkmcnt(0)
	v_mul_hi_u32 v3, s41, v1
	v_add_u32_e32 v3, v1, v3
	v_lshrrev_b32_e32 v3, s39, v3
	v_mul_lo_u32 v3, v3, s40
	s_load_dword s39, s[30:31], 0xe4
	v_sub_u32_e32 v3, v1, v3
	v_mad_u64_u32 v[0:1], s[30:31], v3, s42, v[0:1]
	v_mad_u64_u32 v[4:5], s[30:31], v3, s43, v[4:5]
	s_waitcnt lgkmcnt(0)
	v_mad_u64_u32 v[2:3], s[30:31], v3, s39, v[2:3]
	s_branch .LBB45_65
.LBB45_63:
                                        ; implicit-def: $vgpr0
                                        ; implicit-def: $vgpr4
                                        ; implicit-def: $vgpr2
	s_branch .LBB45_66
.LBB45_64:
	v_mov_b32_e32 v0, 0
	v_mov_b32_e32 v4, 0
	;; [unrolled: 1-line block ×3, first 2 shown]
.LBB45_65:
	s_cbranch_execnz .LBB45_68
.LBB45_66:
	v_mul_hi_u32 v0, s9, v31
	s_andn2_b64 vcc, exec, s[24:25]
	v_add_u32_e32 v0, v31, v0
	v_lshrrev_b32_e32 v1, s10, v0
	v_mul_lo_u32 v0, v1, s8
	v_sub_u32_e32 v2, v31, v0
	v_mul_lo_u32 v0, v2, s4
	v_mul_lo_u32 v4, v2, s5
	;; [unrolled: 1-line block ×3, first 2 shown]
	s_cbranch_vccnz .LBB45_68
; %bb.67:
	v_mul_hi_u32 v3, s22, v1
	v_add_u32_e32 v3, v1, v3
	v_lshrrev_b32_e32 v3, s23, v3
	v_mul_lo_u32 v3, v3, s11
	v_sub_u32_e32 v3, v1, v3
	v_mad_u64_u32 v[0:1], s[30:31], v3, s7, v[0:1]
	v_mad_u64_u32 v[4:5], s[30:31], v3, s20, v[4:5]
	v_mad_u64_u32 v[2:3], s[30:31], v3, s21, v[2:3]
.LBB45_68:
	global_load_sbyte v1, v4, s[2:3]
	global_load_ubyte v3, v2, s[18:19]
	v_mov_b32_e32 v2, s36
	v_add_u32_e32 v31, 0x80, v31
	s_waitcnt vmcnt(1)
	v_cmp_lt_i16_e32 vcc, s35, v1
	s_waitcnt vmcnt(0)
	v_cndmask_b32_e32 v1, v2, v3, vcc
	global_store_byte v0, v1, s[0:1]
	s_or_b64 exec, exec, s[28:29]
	v_cmp_gt_i32_e32 vcc, s38, v31
	s_and_saveexec_b64 s[28:29], vcc
	s_cbranch_execz .LBB45_7
.LBB45_69:
	s_andn2_b64 vcc, exec, s[14:15]
	s_cbranch_vccnz .LBB45_75
; %bb.70:
	s_andn2_b64 vcc, exec, s[26:27]
	s_cbranch_vccnz .LBB45_76
; %bb.71:
	s_add_i32 s30, s37, 1
	s_and_b32 s39, s30, 30
	s_add_u32 s30, s12, 0xffffffe8
	s_addc_u32 s31, s13, -1
	v_mov_b32_e32 v2, 0
	v_mov_b32_e32 v4, 0
	;; [unrolled: 1-line block ×4, first 2 shown]
.LBB45_72:                              ; =>This Inner Loop Header: Depth=1
	s_load_dwordx4 s[40:43], s[30:31], 0x1c
	s_load_dwordx2 s[48:49], s[30:31], 0x2c
	s_load_dwordx2 s[50:51], s[30:31], 0xec
	s_load_dwordx4 s[44:47], s[30:31], 0xdc
	s_add_u32 s30, s30, 24
	s_waitcnt lgkmcnt(0)
	v_mul_hi_u32 v3, s41, v1
	s_addc_u32 s31, s31, 0
	s_add_i32 s39, s39, -2
	s_cmp_eq_u32 s39, 0
	v_add_u32_e32 v3, v1, v3
	v_lshrrev_b32_e32 v3, s42, v3
	v_mul_lo_u32 v5, v3, s40
	v_mul_hi_u32 v6, s48, v3
	v_sub_u32_e32 v5, v1, v5
	v_add_u32_e32 v1, v3, v6
	v_lshrrev_b32_e32 v1, s49, v1
	v_mul_lo_u32 v8, v1, s43
	v_mul_lo_u32 v6, v5, s44
	;; [unrolled: 1-line block ×4, first 2 shown]
	v_sub_u32_e32 v3, v3, v8
	v_mul_lo_u32 v8, v3, s47
	v_mul_lo_u32 v9, v3, s50
	;; [unrolled: 1-line block ×3, first 2 shown]
	v_add3_u32 v0, v6, v0, v8
	v_add3_u32 v4, v7, v4, v9
	;; [unrolled: 1-line block ×3, first 2 shown]
	s_cbranch_scc0 .LBB45_72
; %bb.73:
	s_bitcmp1_b32 s37, 0
	s_cselect_b64 s[40:41], -1, 0
	s_and_b64 vcc, exec, s[40:41]
	s_cbranch_vccnz .LBB45_77
; %bb.74:
	s_load_dwordx2 s[40:41], s[30:31], 0x1c
	s_load_dword s39, s[30:31], 0x24
	s_load_dwordx2 s[42:43], s[30:31], 0xdc
	s_waitcnt lgkmcnt(0)
	v_mul_hi_u32 v3, s41, v1
	v_add_u32_e32 v3, v1, v3
	v_lshrrev_b32_e32 v3, s39, v3
	v_mul_lo_u32 v3, v3, s40
	s_load_dword s39, s[30:31], 0xe4
	v_sub_u32_e32 v3, v1, v3
	v_mad_u64_u32 v[0:1], s[30:31], v3, s42, v[0:1]
	v_mad_u64_u32 v[4:5], s[30:31], v3, s43, v[4:5]
	s_waitcnt lgkmcnt(0)
	v_mad_u64_u32 v[2:3], s[30:31], v3, s39, v[2:3]
	s_branch .LBB45_77
.LBB45_75:
                                        ; implicit-def: $vgpr0
                                        ; implicit-def: $vgpr4
                                        ; implicit-def: $vgpr2
	s_branch .LBB45_78
.LBB45_76:
	v_mov_b32_e32 v0, 0
	v_mov_b32_e32 v4, 0
	;; [unrolled: 1-line block ×3, first 2 shown]
.LBB45_77:
	s_cbranch_execnz .LBB45_80
.LBB45_78:
	v_mul_hi_u32 v0, s9, v31
	s_andn2_b64 vcc, exec, s[24:25]
	v_add_u32_e32 v0, v31, v0
	v_lshrrev_b32_e32 v1, s10, v0
	v_mul_lo_u32 v0, v1, s8
	v_sub_u32_e32 v2, v31, v0
	v_mul_lo_u32 v0, v2, s4
	v_mul_lo_u32 v4, v2, s5
	;; [unrolled: 1-line block ×3, first 2 shown]
	s_cbranch_vccnz .LBB45_80
; %bb.79:
	v_mul_hi_u32 v3, s22, v1
	v_add_u32_e32 v3, v1, v3
	v_lshrrev_b32_e32 v3, s23, v3
	v_mul_lo_u32 v3, v3, s11
	v_sub_u32_e32 v3, v1, v3
	v_mad_u64_u32 v[0:1], s[30:31], v3, s7, v[0:1]
	v_mad_u64_u32 v[4:5], s[30:31], v3, s20, v[4:5]
	;; [unrolled: 1-line block ×3, first 2 shown]
.LBB45_80:
	global_load_sbyte v1, v4, s[2:3]
	global_load_ubyte v3, v2, s[18:19]
	v_mov_b32_e32 v2, s36
	v_add_u32_e32 v31, 0x80, v31
	s_waitcnt vmcnt(1)
	v_cmp_lt_i16_e32 vcc, s35, v1
	s_waitcnt vmcnt(0)
	v_cndmask_b32_e32 v1, v2, v3, vcc
	global_store_byte v0, v1, s[0:1]
	s_or_b64 exec, exec, s[28:29]
	v_cmp_gt_i32_e32 vcc, s38, v31
	s_and_saveexec_b64 s[28:29], vcc
	s_cbranch_execz .LBB45_8
.LBB45_81:
	s_andn2_b64 vcc, exec, s[14:15]
	s_cbranch_vccnz .LBB45_87
; %bb.82:
	s_andn2_b64 vcc, exec, s[26:27]
	s_cbranch_vccnz .LBB45_88
; %bb.83:
	s_add_i32 s30, s37, 1
	s_and_b32 s39, s30, 30
	s_add_u32 s30, s12, 0xffffffe8
	s_addc_u32 s31, s13, -1
	v_mov_b32_e32 v2, 0
	v_mov_b32_e32 v4, 0
	;; [unrolled: 1-line block ×4, first 2 shown]
.LBB45_84:                              ; =>This Inner Loop Header: Depth=1
	s_load_dwordx4 s[40:43], s[30:31], 0x1c
	s_load_dwordx2 s[48:49], s[30:31], 0x2c
	s_load_dwordx2 s[50:51], s[30:31], 0xec
	s_load_dwordx4 s[44:47], s[30:31], 0xdc
	s_add_u32 s30, s30, 24
	s_waitcnt lgkmcnt(0)
	v_mul_hi_u32 v3, s41, v1
	s_addc_u32 s31, s31, 0
	s_add_i32 s39, s39, -2
	s_cmp_eq_u32 s39, 0
	v_add_u32_e32 v3, v1, v3
	v_lshrrev_b32_e32 v3, s42, v3
	v_mul_lo_u32 v5, v3, s40
	v_mul_hi_u32 v6, s48, v3
	v_sub_u32_e32 v5, v1, v5
	v_add_u32_e32 v1, v3, v6
	v_lshrrev_b32_e32 v1, s49, v1
	v_mul_lo_u32 v8, v1, s43
	v_mul_lo_u32 v6, v5, s44
	;; [unrolled: 1-line block ×4, first 2 shown]
	v_sub_u32_e32 v3, v3, v8
	v_mul_lo_u32 v8, v3, s47
	v_mul_lo_u32 v9, v3, s50
	;; [unrolled: 1-line block ×3, first 2 shown]
	v_add3_u32 v0, v6, v0, v8
	v_add3_u32 v4, v7, v4, v9
	;; [unrolled: 1-line block ×3, first 2 shown]
	s_cbranch_scc0 .LBB45_84
; %bb.85:
	s_bitcmp1_b32 s37, 0
	s_cselect_b64 s[40:41], -1, 0
	s_and_b64 vcc, exec, s[40:41]
	s_cbranch_vccnz .LBB45_89
; %bb.86:
	s_load_dwordx2 s[40:41], s[30:31], 0x1c
	s_load_dword s39, s[30:31], 0x24
	s_load_dwordx2 s[42:43], s[30:31], 0xdc
	s_waitcnt lgkmcnt(0)
	v_mul_hi_u32 v3, s41, v1
	v_add_u32_e32 v3, v1, v3
	v_lshrrev_b32_e32 v3, s39, v3
	v_mul_lo_u32 v3, v3, s40
	s_load_dword s39, s[30:31], 0xe4
	v_sub_u32_e32 v3, v1, v3
	v_mad_u64_u32 v[0:1], s[30:31], v3, s42, v[0:1]
	v_mad_u64_u32 v[4:5], s[30:31], v3, s43, v[4:5]
	s_waitcnt lgkmcnt(0)
	v_mad_u64_u32 v[2:3], s[30:31], v3, s39, v[2:3]
	s_branch .LBB45_89
.LBB45_87:
                                        ; implicit-def: $vgpr0
                                        ; implicit-def: $vgpr4
                                        ; implicit-def: $vgpr2
	s_branch .LBB45_90
.LBB45_88:
	v_mov_b32_e32 v0, 0
	v_mov_b32_e32 v4, 0
	;; [unrolled: 1-line block ×3, first 2 shown]
.LBB45_89:
	s_cbranch_execnz .LBB45_92
.LBB45_90:
	v_mul_hi_u32 v0, s9, v31
	s_andn2_b64 vcc, exec, s[24:25]
	v_add_u32_e32 v0, v31, v0
	v_lshrrev_b32_e32 v1, s10, v0
	v_mul_lo_u32 v0, v1, s8
	v_sub_u32_e32 v2, v31, v0
	v_mul_lo_u32 v0, v2, s4
	v_mul_lo_u32 v4, v2, s5
	;; [unrolled: 1-line block ×3, first 2 shown]
	s_cbranch_vccnz .LBB45_92
; %bb.91:
	v_mul_hi_u32 v3, s22, v1
	v_add_u32_e32 v3, v1, v3
	v_lshrrev_b32_e32 v3, s23, v3
	v_mul_lo_u32 v3, v3, s11
	v_sub_u32_e32 v3, v1, v3
	v_mad_u64_u32 v[0:1], s[30:31], v3, s7, v[0:1]
	v_mad_u64_u32 v[4:5], s[30:31], v3, s20, v[4:5]
	;; [unrolled: 1-line block ×3, first 2 shown]
.LBB45_92:
	global_load_sbyte v1, v4, s[2:3]
	global_load_ubyte v3, v2, s[18:19]
	v_mov_b32_e32 v2, s36
	v_add_u32_e32 v31, 0x80, v31
	s_waitcnt vmcnt(1)
	v_cmp_lt_i16_e32 vcc, s35, v1
	s_waitcnt vmcnt(0)
	v_cndmask_b32_e32 v1, v2, v3, vcc
	global_store_byte v0, v1, s[0:1]
	s_or_b64 exec, exec, s[28:29]
	v_cmp_gt_i32_e32 vcc, s38, v31
	s_and_saveexec_b64 s[28:29], vcc
	s_cbranch_execz .LBB45_105
.LBB45_93:
	s_andn2_b64 vcc, exec, s[14:15]
	s_cbranch_vccnz .LBB45_99
; %bb.94:
	s_andn2_b64 vcc, exec, s[26:27]
	s_cbranch_vccnz .LBB45_100
; %bb.95:
	s_add_i32 s26, s37, 1
	s_and_b32 s30, s26, 30
	s_add_u32 s26, s12, 0xffffffe8
	s_addc_u32 s27, s13, -1
	v_mov_b32_e32 v2, 0
	v_mov_b32_e32 v4, 0
	;; [unrolled: 1-line block ×4, first 2 shown]
.LBB45_96:                              ; =>This Inner Loop Header: Depth=1
	s_load_dwordx4 s[40:43], s[26:27], 0x1c
	s_load_dwordx2 s[38:39], s[26:27], 0x2c
	s_load_dwordx2 s[48:49], s[26:27], 0xec
	s_load_dwordx4 s[44:47], s[26:27], 0xdc
	s_add_u32 s26, s26, 24
	s_waitcnt lgkmcnt(0)
	v_mul_hi_u32 v3, s41, v1
	s_addc_u32 s27, s27, 0
	s_add_i32 s30, s30, -2
	s_cmp_eq_u32 s30, 0
	v_add_u32_e32 v3, v1, v3
	v_lshrrev_b32_e32 v3, s42, v3
	v_mul_lo_u32 v5, v3, s40
	v_mul_hi_u32 v6, s38, v3
	v_sub_u32_e32 v5, v1, v5
	v_add_u32_e32 v1, v3, v6
	v_lshrrev_b32_e32 v1, s39, v1
	v_mul_lo_u32 v8, v1, s43
	v_mul_lo_u32 v6, v5, s44
	;; [unrolled: 1-line block ×4, first 2 shown]
	v_sub_u32_e32 v3, v3, v8
	v_mul_lo_u32 v8, v3, s47
	v_mul_lo_u32 v9, v3, s48
	;; [unrolled: 1-line block ×3, first 2 shown]
	v_add3_u32 v0, v6, v0, v8
	v_add3_u32 v4, v7, v4, v9
	;; [unrolled: 1-line block ×3, first 2 shown]
	s_cbranch_scc0 .LBB45_96
; %bb.97:
	s_bitcmp1_b32 s37, 0
	s_cselect_b64 s[30:31], -1, 0
	s_and_b64 vcc, exec, s[30:31]
	s_cbranch_vccnz .LBB45_101
; %bb.98:
	s_load_dwordx2 s[30:31], s[26:27], 0x1c
	s_load_dword s37, s[26:27], 0x24
	s_load_dwordx2 s[38:39], s[26:27], 0xdc
	s_waitcnt lgkmcnt(0)
	v_mul_hi_u32 v3, s31, v1
	v_add_u32_e32 v3, v1, v3
	v_lshrrev_b32_e32 v3, s37, v3
	v_mul_lo_u32 v3, v3, s30
	s_load_dword s30, s[26:27], 0xe4
	v_sub_u32_e32 v3, v1, v3
	v_mad_u64_u32 v[0:1], s[26:27], v3, s38, v[0:1]
	v_mad_u64_u32 v[4:5], s[26:27], v3, s39, v[4:5]
	s_waitcnt lgkmcnt(0)
	v_mad_u64_u32 v[2:3], s[26:27], v3, s30, v[2:3]
	s_branch .LBB45_101
.LBB45_99:
                                        ; implicit-def: $vgpr0
                                        ; implicit-def: $vgpr4
                                        ; implicit-def: $vgpr2
	s_branch .LBB45_102
.LBB45_100:
	v_mov_b32_e32 v0, 0
	v_mov_b32_e32 v4, 0
	v_mov_b32_e32 v2, 0
.LBB45_101:
	s_cbranch_execnz .LBB45_104
.LBB45_102:
	v_mul_hi_u32 v0, s9, v31
	s_andn2_b64 vcc, exec, s[24:25]
	v_add_u32_e32 v0, v31, v0
	v_lshrrev_b32_e32 v1, s10, v0
	v_mul_lo_u32 v0, v1, s8
	v_sub_u32_e32 v2, v31, v0
	v_mul_lo_u32 v0, v2, s4
	v_mul_lo_u32 v4, v2, s5
	;; [unrolled: 1-line block ×3, first 2 shown]
	s_cbranch_vccnz .LBB45_104
; %bb.103:
	v_mul_hi_u32 v3, s22, v1
	v_add_u32_e32 v3, v1, v3
	v_lshrrev_b32_e32 v3, s23, v3
	v_mul_lo_u32 v3, v3, s11
	v_sub_u32_e32 v3, v1, v3
	v_mad_u64_u32 v[0:1], s[4:5], v3, s7, v[0:1]
	v_mad_u64_u32 v[4:5], s[4:5], v3, s20, v[4:5]
	v_mad_u64_u32 v[2:3], s[4:5], v3, s21, v[2:3]
.LBB45_104:
	global_load_sbyte v1, v4, s[2:3]
	global_load_ubyte v3, v2, s[18:19]
	v_mov_b32_e32 v2, s36
	s_waitcnt vmcnt(1)
	v_cmp_lt_i16_e32 vcc, s35, v1
	s_waitcnt vmcnt(0)
	v_cndmask_b32_e32 v1, v2, v3, vcc
	global_store_byte v0, v1, s[0:1]
.LBB45_105:
	s_or_b64 exec, exec, s[28:29]
                                        ; implicit-def: $vgpr41
                                        ; implicit-def: $vgpr31
.LBB45_106:
	s_andn2_saveexec_b64 s[0:1], s[16:17]
	s_cbranch_execz .LBB45_113
; %bb.107:
	v_cndmask_b32_e64 v0, 0, 1, s[14:15]
	v_cmp_ne_u32_e64 s[0:1], 1, v0
	s_andn2_b64 vcc, exec, s[14:15]
	s_cbranch_vccnz .LBB45_114
; %bb.108:
	s_cmp_lg_u32 s33, 0
	s_cbranch_scc0 .LBB45_115
; %bb.109:
	s_min_u32 s4, s34, 15
	s_add_i32 s2, s4, 1
	s_and_b32 s5, s2, 30
	s_add_u32 s2, s12, 0xffffffe8
	s_addc_u32 s3, s13, -1
	v_mov_b32_e32 v4, 0
	v_mov_b32_e32 v2, 0
	;; [unrolled: 1-line block ×4, first 2 shown]
.LBB45_110:                             ; =>This Inner Loop Header: Depth=1
	s_load_dwordx4 s[8:11], s[2:3], 0x1c
	s_load_dwordx2 s[6:7], s[2:3], 0x2c
	s_load_dwordx2 s[14:15], s[2:3], 0xec
	s_load_dwordx4 s[16:19], s[2:3], 0xdc
	s_add_u32 s2, s2, 24
	s_waitcnt lgkmcnt(0)
	v_mul_hi_u32 v3, s9, v1
	s_addc_u32 s3, s3, 0
	s_add_i32 s5, s5, -2
	s_cmp_lg_u32 s5, 0
	v_add_u32_e32 v3, v1, v3
	v_lshrrev_b32_e32 v3, s10, v3
	v_mul_lo_u32 v5, v3, s8
	v_mul_hi_u32 v6, s6, v3
	v_sub_u32_e32 v5, v1, v5
	v_add_u32_e32 v1, v3, v6
	v_lshrrev_b32_e32 v1, s7, v1
	v_mul_lo_u32 v8, v1, s11
	v_mul_lo_u32 v6, v5, s16
	;; [unrolled: 1-line block ×4, first 2 shown]
	v_sub_u32_e32 v3, v3, v8
	v_mul_lo_u32 v8, v3, s19
	v_mul_lo_u32 v9, v3, s14
	v_mul_lo_u32 v3, v3, s15
	v_add3_u32 v0, v6, v0, v8
	v_add3_u32 v2, v7, v2, v9
	;; [unrolled: 1-line block ×3, first 2 shown]
	s_cbranch_scc1 .LBB45_110
; %bb.111:
	s_bitcmp1_b32 s4, 0
	s_cselect_b64 s[4:5], -1, 0
	s_and_b64 vcc, exec, s[4:5]
	s_cbranch_vccnz .LBB45_116
; %bb.112:
	s_load_dwordx2 s[4:5], s[2:3], 0x1c
	s_load_dword s8, s[2:3], 0x24
	s_load_dwordx2 s[6:7], s[2:3], 0xdc
	s_waitcnt lgkmcnt(0)
	v_mul_hi_u32 v3, s5, v1
	v_add_u32_e32 v3, v1, v3
	v_lshrrev_b32_e32 v3, s8, v3
	v_mul_lo_u32 v3, v3, s4
	s_load_dword s4, s[2:3], 0xe4
	v_sub_u32_e32 v5, v1, v3
	v_mad_u64_u32 v[0:1], s[2:3], v5, s6, v[0:1]
	v_mad_u64_u32 v[2:3], s[2:3], v5, s7, v[2:3]
	s_waitcnt lgkmcnt(0)
	v_mad_u64_u32 v[4:5], s[2:3], v5, s4, v[4:5]
	s_cbranch_execz .LBB45_117
	s_branch .LBB45_119
.LBB45_113:
	s_endpgm
.LBB45_114:
                                        ; implicit-def: $vgpr0
                                        ; implicit-def: $vgpr2
                                        ; implicit-def: $vgpr4
	s_branch .LBB45_117
.LBB45_115:
	v_mov_b32_e32 v0, 0
	v_mov_b32_e32 v2, 0
	;; [unrolled: 1-line block ×3, first 2 shown]
.LBB45_116:
	s_cbranch_execnz .LBB45_119
.LBB45_117:
	s_load_dwordx4 s[4:7], s[12:13], 0x4
	s_load_dwordx4 s[8:11], s[12:13], 0xc4
	s_cmp_lt_u32 s33, 2
	s_waitcnt lgkmcnt(0)
	v_mul_hi_u32 v0, s5, v31
	v_add_u32_e32 v0, v31, v0
	v_lshrrev_b32_e32 v1, s6, v0
	v_mul_lo_u32 v0, v1, s4
	v_sub_u32_e32 v3, v31, v0
	v_mul_lo_u32 v0, v3, s8
	v_mul_lo_u32 v2, v3, s9
	v_mul_lo_u32 v4, v3, s10
	s_cbranch_scc1 .LBB45_119
; %bb.118:
	s_load_dwordx4 s[4:7], s[12:13], 0x10
	s_load_dwordx4 s[8:11], s[12:13], 0xd0
	s_waitcnt lgkmcnt(0)
	v_mul_hi_u32 v3, s5, v1
	v_add_u32_e32 v3, v1, v3
	v_lshrrev_b32_e32 v3, s6, v3
	v_mul_lo_u32 v3, v3, s4
	v_sub_u32_e32 v5, v1, v3
	v_mad_u64_u32 v[0:1], s[2:3], v5, s8, v[0:1]
	v_mad_u64_u32 v[2:3], s[2:3], v5, s9, v[2:3]
	;; [unrolled: 1-line block ×3, first 2 shown]
.LBB45_119:
	s_and_b64 vcc, exec, s[0:1]
	v_add_u32_e32 v1, 0x80, v31
	s_cbranch_vccnz .LBB45_125
; %bb.120:
	s_cmp_lg_u32 s33, 0
	s_cbranch_scc0 .LBB45_126
; %bb.121:
	s_min_u32 s4, s34, 15
	s_add_i32 s2, s4, 1
	s_and_b32 s5, s2, 30
	s_add_u32 s2, s12, 0xffffffe8
	s_addc_u32 s3, s13, -1
	v_mov_b32_e32 v7, 0
	v_mov_b32_e32 v9, 0
	;; [unrolled: 1-line block ×4, first 2 shown]
.LBB45_122:                             ; =>This Inner Loop Header: Depth=1
	s_load_dwordx4 s[8:11], s[2:3], 0x1c
	s_load_dwordx2 s[6:7], s[2:3], 0x2c
	s_load_dwordx2 s[14:15], s[2:3], 0xec
	s_load_dwordx4 s[16:19], s[2:3], 0xdc
	s_add_u32 s2, s2, 24
	s_waitcnt lgkmcnt(0)
	v_mul_hi_u32 v6, s9, v3
	s_addc_u32 s3, s3, 0
	s_add_i32 s5, s5, -2
	s_cmp_lg_u32 s5, 0
	v_add_u32_e32 v6, v3, v6
	v_lshrrev_b32_e32 v6, s10, v6
	v_mul_lo_u32 v8, v6, s8
	v_mul_hi_u32 v10, s6, v6
	v_sub_u32_e32 v8, v3, v8
	v_add_u32_e32 v3, v6, v10
	v_lshrrev_b32_e32 v3, s7, v3
	v_mul_lo_u32 v12, v3, s11
	v_mul_lo_u32 v10, v8, s16
	;; [unrolled: 1-line block ×4, first 2 shown]
	v_sub_u32_e32 v6, v6, v12
	v_mul_lo_u32 v12, v6, s19
	v_mul_lo_u32 v13, v6, s14
	;; [unrolled: 1-line block ×3, first 2 shown]
	v_add3_u32 v5, v10, v5, v12
	v_add3_u32 v9, v11, v9, v13
	;; [unrolled: 1-line block ×3, first 2 shown]
	s_cbranch_scc1 .LBB45_122
; %bb.123:
	s_bitcmp1_b32 s4, 0
	s_cselect_b64 s[4:5], -1, 0
	s_and_b64 vcc, exec, s[4:5]
	s_cbranch_vccnz .LBB45_127
; %bb.124:
	s_load_dwordx2 s[4:5], s[2:3], 0x1c
	s_load_dword s8, s[2:3], 0x24
	s_load_dwordx2 s[6:7], s[2:3], 0xdc
	s_waitcnt lgkmcnt(0)
	v_mul_hi_u32 v6, s5, v3
	v_add_u32_e32 v6, v3, v6
	v_lshrrev_b32_e32 v6, s8, v6
	v_mul_lo_u32 v6, v6, s4
	s_load_dword s4, s[2:3], 0xe4
	v_sub_u32_e32 v3, v3, v6
	v_mad_u64_u32 v[5:6], s[2:3], v3, s6, v[5:6]
	v_mad_u64_u32 v[9:10], s[2:3], v3, s7, v[9:10]
	s_waitcnt lgkmcnt(0)
	v_mad_u64_u32 v[7:8], s[2:3], v3, s4, v[7:8]
	s_cbranch_execz .LBB45_128
	s_branch .LBB45_130
.LBB45_125:
                                        ; implicit-def: $vgpr5
                                        ; implicit-def: $vgpr9
                                        ; implicit-def: $vgpr7
	s_branch .LBB45_128
.LBB45_126:
	v_mov_b32_e32 v5, 0
	v_mov_b32_e32 v9, 0
	;; [unrolled: 1-line block ×3, first 2 shown]
.LBB45_127:
	s_cbranch_execnz .LBB45_130
.LBB45_128:
	s_load_dwordx4 s[4:7], s[12:13], 0x4
	s_load_dwordx4 s[8:11], s[12:13], 0xc4
	s_cmp_lt_u32 s33, 2
	s_waitcnt lgkmcnt(0)
	v_mul_hi_u32 v3, s5, v1
	v_add_u32_e32 v3, v1, v3
	v_lshrrev_b32_e32 v3, s6, v3
	v_mul_lo_u32 v5, v3, s4
	v_sub_u32_e32 v1, v1, v5
	v_mul_lo_u32 v5, v1, s8
	v_mul_lo_u32 v9, v1, s9
	;; [unrolled: 1-line block ×3, first 2 shown]
	s_cbranch_scc1 .LBB45_130
; %bb.129:
	s_load_dwordx4 s[4:7], s[12:13], 0x10
	s_load_dwordx4 s[8:11], s[12:13], 0xd0
	s_waitcnt lgkmcnt(0)
	v_mul_hi_u32 v1, s5, v3
	v_add_u32_e32 v1, v3, v1
	v_lshrrev_b32_e32 v1, s6, v1
	v_mul_lo_u32 v1, v1, s4
	v_sub_u32_e32 v1, v3, v1
	v_mad_u64_u32 v[5:6], s[2:3], v1, s8, v[5:6]
	v_mad_u64_u32 v[9:10], s[2:3], v1, s9, v[9:10]
	;; [unrolled: 1-line block ×3, first 2 shown]
.LBB45_130:
	s_and_b64 vcc, exec, s[0:1]
	v_add_u32_e32 v1, 0x100, v31
	s_cbranch_vccnz .LBB45_136
; %bb.131:
	s_cmp_lg_u32 s33, 0
	s_cbranch_scc0 .LBB45_137
; %bb.132:
	s_min_u32 s4, s34, 15
	s_add_i32 s2, s4, 1
	s_and_b32 s5, s2, 30
	s_add_u32 s2, s12, 0xffffffe8
	s_addc_u32 s3, s13, -1
	v_mov_b32_e32 v12, 0
	v_mov_b32_e32 v14, 0
	;; [unrolled: 1-line block ×4, first 2 shown]
.LBB45_133:                             ; =>This Inner Loop Header: Depth=1
	s_load_dwordx4 s[8:11], s[2:3], 0x1c
	s_load_dwordx2 s[6:7], s[2:3], 0x2c
	s_load_dwordx2 s[14:15], s[2:3], 0xec
	s_load_dwordx4 s[16:19], s[2:3], 0xdc
	s_add_u32 s2, s2, 24
	s_waitcnt lgkmcnt(0)
	v_mul_hi_u32 v6, s9, v3
	s_addc_u32 s3, s3, 0
	s_add_i32 s5, s5, -2
	s_cmp_lg_u32 s5, 0
	v_add_u32_e32 v6, v3, v6
	v_lshrrev_b32_e32 v6, s10, v6
	v_mul_lo_u32 v8, v6, s8
	v_mul_hi_u32 v11, s6, v6
	v_sub_u32_e32 v8, v3, v8
	v_add_u32_e32 v3, v6, v11
	v_lshrrev_b32_e32 v3, s7, v3
	v_mul_lo_u32 v15, v3, s11
	v_mul_lo_u32 v11, v8, s16
	;; [unrolled: 1-line block ×4, first 2 shown]
	v_sub_u32_e32 v6, v6, v15
	v_mul_lo_u32 v15, v6, s19
	v_mul_lo_u32 v16, v6, s14
	;; [unrolled: 1-line block ×3, first 2 shown]
	v_add3_u32 v10, v11, v10, v15
	v_add3_u32 v14, v13, v14, v16
	;; [unrolled: 1-line block ×3, first 2 shown]
	s_cbranch_scc1 .LBB45_133
; %bb.134:
	s_bitcmp1_b32 s4, 0
	s_cselect_b64 s[4:5], -1, 0
	s_and_b64 vcc, exec, s[4:5]
	s_cbranch_vccnz .LBB45_138
; %bb.135:
	s_load_dwordx2 s[4:5], s[2:3], 0x1c
	s_load_dword s8, s[2:3], 0x24
	s_load_dwordx2 s[6:7], s[2:3], 0xdc
	s_waitcnt lgkmcnt(0)
	v_mul_hi_u32 v6, s5, v3
	v_add_u32_e32 v6, v3, v6
	v_lshrrev_b32_e32 v6, s8, v6
	v_mul_lo_u32 v6, v6, s4
	s_load_dword s4, s[2:3], 0xe4
	v_sub_u32_e32 v3, v3, v6
	v_mad_u64_u32 v[10:11], s[2:3], v3, s6, v[10:11]
	v_mad_u64_u32 v[14:15], s[2:3], v3, s7, v[14:15]
	s_waitcnt lgkmcnt(0)
	v_mad_u64_u32 v[12:13], s[2:3], v3, s4, v[12:13]
	s_cbranch_execz .LBB45_139
	s_branch .LBB45_141
.LBB45_136:
                                        ; implicit-def: $vgpr10
                                        ; implicit-def: $vgpr14
                                        ; implicit-def: $vgpr12
	s_branch .LBB45_139
.LBB45_137:
	v_mov_b32_e32 v10, 0
	v_mov_b32_e32 v14, 0
	;; [unrolled: 1-line block ×3, first 2 shown]
.LBB45_138:
	s_cbranch_execnz .LBB45_141
.LBB45_139:
	s_load_dwordx4 s[4:7], s[12:13], 0x4
	s_load_dwordx4 s[8:11], s[12:13], 0xc4
	s_cmp_lt_u32 s33, 2
	s_waitcnt lgkmcnt(0)
	v_mul_hi_u32 v3, s5, v1
	v_add_u32_e32 v3, v1, v3
	v_lshrrev_b32_e32 v3, s6, v3
	v_mul_lo_u32 v6, v3, s4
	v_sub_u32_e32 v1, v1, v6
	v_mul_lo_u32 v10, v1, s8
	v_mul_lo_u32 v14, v1, s9
	;; [unrolled: 1-line block ×3, first 2 shown]
	s_cbranch_scc1 .LBB45_141
; %bb.140:
	s_load_dwordx4 s[4:7], s[12:13], 0x10
	s_load_dwordx4 s[8:11], s[12:13], 0xd0
	s_waitcnt lgkmcnt(0)
	v_mul_hi_u32 v1, s5, v3
	v_add_u32_e32 v1, v3, v1
	v_lshrrev_b32_e32 v1, s6, v1
	v_mul_lo_u32 v1, v1, s4
	v_sub_u32_e32 v1, v3, v1
	v_mad_u64_u32 v[10:11], s[2:3], v1, s8, v[10:11]
	v_mad_u64_u32 v[14:15], s[2:3], v1, s9, v[14:15]
	;; [unrolled: 1-line block ×3, first 2 shown]
.LBB45_141:
	s_and_b64 vcc, exec, s[0:1]
	v_add_u32_e32 v1, 0x180, v31
	s_cbranch_vccnz .LBB45_147
; %bb.142:
	s_cmp_lg_u32 s33, 0
	s_cbranch_scc0 .LBB45_148
; %bb.143:
	s_min_u32 s4, s34, 15
	s_add_i32 s2, s4, 1
	s_and_b32 s5, s2, 30
	s_add_u32 s2, s12, 0xffffffe8
	s_addc_u32 s3, s13, -1
	v_mov_b32_e32 v17, 0
	v_mov_b32_e32 v19, 0
	;; [unrolled: 1-line block ×4, first 2 shown]
.LBB45_144:                             ; =>This Inner Loop Header: Depth=1
	s_load_dwordx4 s[8:11], s[2:3], 0x1c
	s_load_dwordx2 s[6:7], s[2:3], 0x2c
	s_load_dwordx2 s[14:15], s[2:3], 0xec
	s_load_dwordx4 s[16:19], s[2:3], 0xdc
	s_add_u32 s2, s2, 24
	s_waitcnt lgkmcnt(0)
	v_mul_hi_u32 v6, s9, v3
	s_addc_u32 s3, s3, 0
	s_add_i32 s5, s5, -2
	s_cmp_lg_u32 s5, 0
	v_add_u32_e32 v6, v3, v6
	v_lshrrev_b32_e32 v6, s10, v6
	v_mul_lo_u32 v8, v6, s8
	v_mul_hi_u32 v11, s6, v6
	v_sub_u32_e32 v8, v3, v8
	v_add_u32_e32 v3, v6, v11
	v_lshrrev_b32_e32 v3, s7, v3
	v_mul_lo_u32 v16, v3, s11
	v_mul_lo_u32 v11, v8, s16
	;; [unrolled: 1-line block ×4, first 2 shown]
	v_sub_u32_e32 v6, v6, v16
	v_mul_lo_u32 v16, v6, s19
	v_mul_lo_u32 v18, v6, s14
	;; [unrolled: 1-line block ×3, first 2 shown]
	v_add3_u32 v15, v11, v15, v16
	v_add3_u32 v19, v13, v19, v18
	v_add3_u32 v17, v8, v17, v6
	s_cbranch_scc1 .LBB45_144
; %bb.145:
	s_bitcmp1_b32 s4, 0
	s_cselect_b64 s[4:5], -1, 0
	s_and_b64 vcc, exec, s[4:5]
	s_cbranch_vccnz .LBB45_149
; %bb.146:
	s_load_dwordx2 s[4:5], s[2:3], 0x1c
	s_load_dword s8, s[2:3], 0x24
	s_load_dwordx2 s[6:7], s[2:3], 0xdc
	s_waitcnt lgkmcnt(0)
	v_mul_hi_u32 v6, s5, v3
	v_add_u32_e32 v6, v3, v6
	v_lshrrev_b32_e32 v6, s8, v6
	v_mul_lo_u32 v6, v6, s4
	s_load_dword s4, s[2:3], 0xe4
	v_sub_u32_e32 v3, v3, v6
	v_mad_u64_u32 v[15:16], s[2:3], v3, s6, v[15:16]
	v_mad_u64_u32 v[19:20], s[2:3], v3, s7, v[19:20]
	s_waitcnt lgkmcnt(0)
	v_mad_u64_u32 v[17:18], s[2:3], v3, s4, v[17:18]
	s_cbranch_execz .LBB45_150
	s_branch .LBB45_152
.LBB45_147:
                                        ; implicit-def: $vgpr15
                                        ; implicit-def: $vgpr19
                                        ; implicit-def: $vgpr17
	s_branch .LBB45_150
.LBB45_148:
	v_mov_b32_e32 v15, 0
	v_mov_b32_e32 v19, 0
	;; [unrolled: 1-line block ×3, first 2 shown]
.LBB45_149:
	s_cbranch_execnz .LBB45_152
.LBB45_150:
	s_load_dwordx4 s[4:7], s[12:13], 0x4
	s_load_dwordx4 s[8:11], s[12:13], 0xc4
	s_cmp_lt_u32 s33, 2
	s_waitcnt lgkmcnt(0)
	v_mul_hi_u32 v3, s5, v1
	v_add_u32_e32 v3, v1, v3
	v_lshrrev_b32_e32 v3, s6, v3
	v_mul_lo_u32 v6, v3, s4
	v_sub_u32_e32 v1, v1, v6
	v_mul_lo_u32 v15, v1, s8
	v_mul_lo_u32 v19, v1, s9
	;; [unrolled: 1-line block ×3, first 2 shown]
	s_cbranch_scc1 .LBB45_152
; %bb.151:
	s_load_dwordx4 s[4:7], s[12:13], 0x10
	s_load_dwordx4 s[8:11], s[12:13], 0xd0
	s_waitcnt lgkmcnt(0)
	v_mul_hi_u32 v1, s5, v3
	v_add_u32_e32 v1, v3, v1
	v_lshrrev_b32_e32 v1, s6, v1
	v_mul_lo_u32 v1, v1, s4
	v_sub_u32_e32 v1, v3, v1
	v_mad_u64_u32 v[15:16], s[2:3], v1, s8, v[15:16]
	v_mad_u64_u32 v[19:20], s[2:3], v1, s9, v[19:20]
	;; [unrolled: 1-line block ×3, first 2 shown]
.LBB45_152:
	s_and_b64 vcc, exec, s[0:1]
	v_add_u32_e32 v1, 0x200, v31
	s_cbranch_vccnz .LBB45_158
; %bb.153:
	s_cmp_lg_u32 s33, 0
	s_cbranch_scc0 .LBB45_159
; %bb.154:
	s_min_u32 s4, s34, 15
	s_add_i32 s2, s4, 1
	s_and_b32 s5, s2, 30
	s_add_u32 s2, s12, 0xffffffe8
	s_addc_u32 s3, s13, -1
	v_mov_b32_e32 v22, 0
	v_mov_b32_e32 v24, 0
	;; [unrolled: 1-line block ×4, first 2 shown]
.LBB45_155:                             ; =>This Inner Loop Header: Depth=1
	s_load_dwordx4 s[8:11], s[2:3], 0x1c
	s_load_dwordx2 s[6:7], s[2:3], 0x2c
	s_load_dwordx2 s[14:15], s[2:3], 0xec
	s_load_dwordx4 s[16:19], s[2:3], 0xdc
	s_add_u32 s2, s2, 24
	s_waitcnt lgkmcnt(0)
	v_mul_hi_u32 v6, s9, v3
	s_addc_u32 s3, s3, 0
	s_add_i32 s5, s5, -2
	s_cmp_lg_u32 s5, 0
	v_add_u32_e32 v6, v3, v6
	v_lshrrev_b32_e32 v6, s10, v6
	v_mul_lo_u32 v8, v6, s8
	v_mul_hi_u32 v11, s6, v6
	v_sub_u32_e32 v8, v3, v8
	v_add_u32_e32 v3, v6, v11
	v_lshrrev_b32_e32 v3, s7, v3
	v_mul_lo_u32 v16, v3, s11
	v_mul_lo_u32 v11, v8, s16
	;; [unrolled: 1-line block ×4, first 2 shown]
	v_sub_u32_e32 v6, v6, v16
	v_mul_lo_u32 v16, v6, s19
	v_mul_lo_u32 v18, v6, s14
	;; [unrolled: 1-line block ×3, first 2 shown]
	v_add3_u32 v20, v11, v20, v16
	v_add3_u32 v24, v13, v24, v18
	;; [unrolled: 1-line block ×3, first 2 shown]
	s_cbranch_scc1 .LBB45_155
; %bb.156:
	s_bitcmp1_b32 s4, 0
	s_cselect_b64 s[4:5], -1, 0
	s_and_b64 vcc, exec, s[4:5]
	s_cbranch_vccnz .LBB45_160
; %bb.157:
	s_load_dwordx2 s[4:5], s[2:3], 0x1c
	s_load_dword s8, s[2:3], 0x24
	s_load_dwordx2 s[6:7], s[2:3], 0xdc
	s_waitcnt lgkmcnt(0)
	v_mul_hi_u32 v6, s5, v3
	v_add_u32_e32 v6, v3, v6
	v_lshrrev_b32_e32 v6, s8, v6
	v_mul_lo_u32 v6, v6, s4
	s_load_dword s4, s[2:3], 0xe4
	v_sub_u32_e32 v3, v3, v6
	v_mad_u64_u32 v[20:21], s[2:3], v3, s6, v[20:21]
	v_mad_u64_u32 v[24:25], s[2:3], v3, s7, v[24:25]
	s_waitcnt lgkmcnt(0)
	v_mad_u64_u32 v[22:23], s[2:3], v3, s4, v[22:23]
	s_cbranch_execz .LBB45_161
	s_branch .LBB45_163
.LBB45_158:
                                        ; implicit-def: $vgpr20
                                        ; implicit-def: $vgpr24
                                        ; implicit-def: $vgpr22
	s_branch .LBB45_161
.LBB45_159:
	v_mov_b32_e32 v20, 0
	v_mov_b32_e32 v24, 0
	;; [unrolled: 1-line block ×3, first 2 shown]
.LBB45_160:
	s_cbranch_execnz .LBB45_163
.LBB45_161:
	s_load_dwordx4 s[4:7], s[12:13], 0x4
	s_load_dwordx4 s[8:11], s[12:13], 0xc4
	s_cmp_lt_u32 s33, 2
	s_waitcnt lgkmcnt(0)
	v_mul_hi_u32 v3, s5, v1
	v_add_u32_e32 v3, v1, v3
	v_lshrrev_b32_e32 v3, s6, v3
	v_mul_lo_u32 v6, v3, s4
	v_sub_u32_e32 v1, v1, v6
	v_mul_lo_u32 v20, v1, s8
	v_mul_lo_u32 v24, v1, s9
	;; [unrolled: 1-line block ×3, first 2 shown]
	s_cbranch_scc1 .LBB45_163
; %bb.162:
	s_load_dwordx4 s[4:7], s[12:13], 0x10
	s_load_dwordx4 s[8:11], s[12:13], 0xd0
	s_waitcnt lgkmcnt(0)
	v_mul_hi_u32 v1, s5, v3
	v_add_u32_e32 v1, v3, v1
	v_lshrrev_b32_e32 v1, s6, v1
	v_mul_lo_u32 v1, v1, s4
	v_sub_u32_e32 v1, v3, v1
	v_mad_u64_u32 v[20:21], s[2:3], v1, s8, v[20:21]
	v_mad_u64_u32 v[24:25], s[2:3], v1, s9, v[24:25]
	;; [unrolled: 1-line block ×3, first 2 shown]
.LBB45_163:
	s_and_b64 vcc, exec, s[0:1]
	v_add_u32_e32 v1, 0x280, v31
	s_cbranch_vccnz .LBB45_169
; %bb.164:
	s_cmp_lg_u32 s33, 0
	s_cbranch_scc0 .LBB45_170
; %bb.165:
	s_min_u32 s4, s34, 15
	s_add_i32 s2, s4, 1
	s_and_b32 s5, s2, 30
	s_add_u32 s2, s12, 0xffffffe8
	s_addc_u32 s3, s13, -1
	v_mov_b32_e32 v27, 0
	v_mov_b32_e32 v29, 0
	;; [unrolled: 1-line block ×4, first 2 shown]
.LBB45_166:                             ; =>This Inner Loop Header: Depth=1
	s_load_dwordx4 s[8:11], s[2:3], 0x1c
	s_load_dwordx2 s[6:7], s[2:3], 0x2c
	s_load_dwordx2 s[14:15], s[2:3], 0xec
	s_load_dwordx4 s[16:19], s[2:3], 0xdc
	s_add_u32 s2, s2, 24
	s_waitcnt lgkmcnt(0)
	v_mul_hi_u32 v6, s9, v3
	s_addc_u32 s3, s3, 0
	s_add_i32 s5, s5, -2
	s_cmp_lg_u32 s5, 0
	v_add_u32_e32 v6, v3, v6
	v_lshrrev_b32_e32 v6, s10, v6
	v_mul_lo_u32 v8, v6, s8
	v_mul_hi_u32 v11, s6, v6
	v_sub_u32_e32 v8, v3, v8
	v_add_u32_e32 v3, v6, v11
	v_lshrrev_b32_e32 v3, s7, v3
	v_mul_lo_u32 v16, v3, s11
	v_mul_lo_u32 v11, v8, s16
	;; [unrolled: 1-line block ×4, first 2 shown]
	v_sub_u32_e32 v6, v6, v16
	v_mul_lo_u32 v16, v6, s19
	v_mul_lo_u32 v18, v6, s14
	;; [unrolled: 1-line block ×3, first 2 shown]
	v_add3_u32 v25, v11, v25, v16
	v_add3_u32 v29, v13, v29, v18
	;; [unrolled: 1-line block ×3, first 2 shown]
	s_cbranch_scc1 .LBB45_166
; %bb.167:
	s_bitcmp1_b32 s4, 0
	s_cselect_b64 s[4:5], -1, 0
	s_and_b64 vcc, exec, s[4:5]
	s_cbranch_vccnz .LBB45_171
; %bb.168:
	s_load_dwordx2 s[4:5], s[2:3], 0x1c
	s_load_dword s8, s[2:3], 0x24
	s_load_dwordx2 s[6:7], s[2:3], 0xdc
	s_waitcnt lgkmcnt(0)
	v_mul_hi_u32 v6, s5, v3
	v_add_u32_e32 v6, v3, v6
	v_lshrrev_b32_e32 v6, s8, v6
	v_mul_lo_u32 v6, v6, s4
	s_load_dword s4, s[2:3], 0xe4
	v_sub_u32_e32 v3, v3, v6
	v_mad_u64_u32 v[25:26], s[2:3], v3, s6, v[25:26]
	v_mad_u64_u32 v[29:30], s[2:3], v3, s7, v[29:30]
	s_waitcnt lgkmcnt(0)
	v_mad_u64_u32 v[27:28], s[2:3], v3, s4, v[27:28]
	s_cbranch_execz .LBB45_172
	s_branch .LBB45_174
.LBB45_169:
                                        ; implicit-def: $vgpr25
                                        ; implicit-def: $vgpr29
                                        ; implicit-def: $vgpr27
	s_branch .LBB45_172
.LBB45_170:
	v_mov_b32_e32 v25, 0
	v_mov_b32_e32 v29, 0
	;; [unrolled: 1-line block ×3, first 2 shown]
.LBB45_171:
	s_cbranch_execnz .LBB45_174
.LBB45_172:
	s_load_dwordx4 s[4:7], s[12:13], 0x4
	s_load_dwordx4 s[8:11], s[12:13], 0xc4
	s_cmp_lt_u32 s33, 2
	s_waitcnt lgkmcnt(0)
	v_mul_hi_u32 v3, s5, v1
	v_add_u32_e32 v3, v1, v3
	v_lshrrev_b32_e32 v3, s6, v3
	v_mul_lo_u32 v6, v3, s4
	v_sub_u32_e32 v1, v1, v6
	v_mul_lo_u32 v25, v1, s8
	v_mul_lo_u32 v29, v1, s9
	;; [unrolled: 1-line block ×3, first 2 shown]
	s_cbranch_scc1 .LBB45_174
; %bb.173:
	s_load_dwordx4 s[4:7], s[12:13], 0x10
	s_load_dwordx4 s[8:11], s[12:13], 0xd0
	s_waitcnt lgkmcnt(0)
	v_mul_hi_u32 v1, s5, v3
	v_add_u32_e32 v1, v3, v1
	v_lshrrev_b32_e32 v1, s6, v1
	v_mul_lo_u32 v1, v1, s4
	v_sub_u32_e32 v1, v3, v1
	v_mad_u64_u32 v[25:26], s[2:3], v1, s8, v[25:26]
	v_mad_u64_u32 v[29:30], s[2:3], v1, s9, v[29:30]
	;; [unrolled: 1-line block ×3, first 2 shown]
.LBB45_174:
	s_and_b64 vcc, exec, s[0:1]
	v_add_u32_e32 v1, 0x300, v31
	s_cbranch_vccnz .LBB45_180
; %bb.175:
	s_cmp_lg_u32 s33, 0
	s_cbranch_scc0 .LBB45_181
; %bb.176:
	s_min_u32 s4, s34, 15
	s_add_i32 s2, s4, 1
	s_and_b32 s5, s2, 30
	s_add_u32 s2, s12, 0xffffffe8
	s_addc_u32 s3, s13, -1
	v_mov_b32_e32 v32, 0
	v_mov_b32_e32 v34, 0
	;; [unrolled: 1-line block ×4, first 2 shown]
.LBB45_177:                             ; =>This Inner Loop Header: Depth=1
	s_load_dwordx4 s[8:11], s[2:3], 0x1c
	s_load_dwordx2 s[6:7], s[2:3], 0x2c
	s_load_dwordx2 s[14:15], s[2:3], 0xec
	s_load_dwordx4 s[16:19], s[2:3], 0xdc
	s_add_u32 s2, s2, 24
	s_waitcnt lgkmcnt(0)
	v_mul_hi_u32 v6, s9, v3
	s_addc_u32 s3, s3, 0
	s_add_i32 s5, s5, -2
	s_cmp_lg_u32 s5, 0
	v_add_u32_e32 v6, v3, v6
	v_lshrrev_b32_e32 v6, s10, v6
	v_mul_lo_u32 v8, v6, s8
	v_mul_hi_u32 v11, s6, v6
	v_sub_u32_e32 v8, v3, v8
	v_add_u32_e32 v3, v6, v11
	v_lshrrev_b32_e32 v3, s7, v3
	v_mul_lo_u32 v16, v3, s11
	v_mul_lo_u32 v11, v8, s16
	;; [unrolled: 1-line block ×4, first 2 shown]
	v_sub_u32_e32 v6, v6, v16
	v_mul_lo_u32 v16, v6, s19
	v_mul_lo_u32 v18, v6, s14
	;; [unrolled: 1-line block ×3, first 2 shown]
	v_add3_u32 v30, v11, v30, v16
	v_add3_u32 v34, v13, v34, v18
	;; [unrolled: 1-line block ×3, first 2 shown]
	s_cbranch_scc1 .LBB45_177
; %bb.178:
	s_bitcmp1_b32 s4, 0
	s_cselect_b64 s[4:5], -1, 0
	s_and_b64 vcc, exec, s[4:5]
	s_cbranch_vccnz .LBB45_182
; %bb.179:
	s_load_dwordx2 s[4:5], s[2:3], 0x1c
	s_load_dword s8, s[2:3], 0x24
	s_load_dwordx2 s[6:7], s[2:3], 0xdc
	s_waitcnt lgkmcnt(0)
	v_mul_hi_u32 v6, s5, v3
	v_add_u32_e32 v6, v3, v6
	v_lshrrev_b32_e32 v6, s8, v6
	v_mul_lo_u32 v6, v6, s4
	s_load_dword s4, s[2:3], 0xe4
	v_sub_u32_e32 v3, v3, v6
	v_mad_u64_u32 v[30:31], s[2:3], v3, s6, v[30:31]
	v_mad_u64_u32 v[34:35], s[2:3], v3, s7, v[34:35]
	s_waitcnt lgkmcnt(0)
	v_mad_u64_u32 v[32:33], s[2:3], v3, s4, v[32:33]
	s_cbranch_execz .LBB45_183
	s_branch .LBB45_185
.LBB45_180:
                                        ; implicit-def: $vgpr30
                                        ; implicit-def: $vgpr34
                                        ; implicit-def: $vgpr32
	s_branch .LBB45_183
.LBB45_181:
	v_mov_b32_e32 v30, 0
	v_mov_b32_e32 v34, 0
	;; [unrolled: 1-line block ×3, first 2 shown]
.LBB45_182:
	s_cbranch_execnz .LBB45_185
.LBB45_183:
	s_load_dwordx4 s[4:7], s[12:13], 0x4
	s_load_dwordx4 s[8:11], s[12:13], 0xc4
	s_cmp_lt_u32 s33, 2
	s_waitcnt lgkmcnt(0)
	v_mul_hi_u32 v3, s5, v1
	v_add_u32_e32 v3, v1, v3
	v_lshrrev_b32_e32 v3, s6, v3
	v_mul_lo_u32 v6, v3, s4
	v_sub_u32_e32 v1, v1, v6
	v_mul_lo_u32 v30, v1, s8
	v_mul_lo_u32 v34, v1, s9
	;; [unrolled: 1-line block ×3, first 2 shown]
	s_cbranch_scc1 .LBB45_185
; %bb.184:
	s_load_dwordx4 s[4:7], s[12:13], 0x10
	s_load_dwordx4 s[8:11], s[12:13], 0xd0
	s_waitcnt lgkmcnt(0)
	v_mul_hi_u32 v1, s5, v3
	v_add_u32_e32 v1, v3, v1
	v_lshrrev_b32_e32 v1, s6, v1
	v_mul_lo_u32 v1, v1, s4
	v_sub_u32_e32 v1, v3, v1
	v_mad_u64_u32 v[30:31], s[2:3], v1, s8, v[30:31]
	v_mad_u64_u32 v[34:35], s[2:3], v1, s9, v[34:35]
	;; [unrolled: 1-line block ×3, first 2 shown]
.LBB45_185:
	s_and_b64 vcc, exec, s[0:1]
	s_cbranch_vccnz .LBB45_191
; %bb.186:
	s_cmp_lg_u32 s33, 0
	s_cbranch_scc0 .LBB45_192
; %bb.187:
	s_min_u32 s2, s34, 15
	s_add_i32 s0, s2, 1
	s_and_b32 s3, s0, 30
	s_add_u32 s0, s12, 0xffffffe8
	s_addc_u32 s1, s13, -1
	v_mov_b32_e32 v37, 0
	v_mov_b32_e32 v39, 0
	;; [unrolled: 1-line block ×4, first 2 shown]
.LBB45_188:                             ; =>This Inner Loop Header: Depth=1
	s_load_dwordx4 s[4:7], s[0:1], 0x1c
	s_load_dwordx2 s[14:15], s[0:1], 0x2c
	s_load_dwordx2 s[16:17], s[0:1], 0xec
	s_load_dwordx4 s[8:11], s[0:1], 0xdc
	s_add_u32 s0, s0, 24
	s_waitcnt lgkmcnt(0)
	v_mul_hi_u32 v3, s5, v1
	s_addc_u32 s1, s1, 0
	s_add_i32 s3, s3, -2
	s_cmp_lg_u32 s3, 0
	v_add_u32_e32 v3, v1, v3
	v_lshrrev_b32_e32 v3, s6, v3
	v_mul_lo_u32 v6, v3, s4
	v_mul_hi_u32 v8, s14, v3
	v_sub_u32_e32 v6, v1, v6
	v_add_u32_e32 v1, v3, v8
	v_lshrrev_b32_e32 v1, s15, v1
	v_mul_lo_u32 v13, v1, s7
	v_mul_lo_u32 v8, v6, s8
	;; [unrolled: 1-line block ×4, first 2 shown]
	v_sub_u32_e32 v3, v3, v13
	v_mul_lo_u32 v13, v3, s11
	v_mul_lo_u32 v16, v3, s16
	;; [unrolled: 1-line block ×3, first 2 shown]
	v_add3_u32 v35, v8, v35, v13
	v_add3_u32 v39, v11, v39, v16
	;; [unrolled: 1-line block ×3, first 2 shown]
	s_cbranch_scc1 .LBB45_188
; %bb.189:
	s_bitcmp1_b32 s2, 0
	s_cselect_b64 s[2:3], -1, 0
	s_and_b64 vcc, exec, s[2:3]
	s_cbranch_vccnz .LBB45_193
; %bb.190:
	s_load_dwordx2 s[2:3], s[0:1], 0x1c
	s_load_dword s6, s[0:1], 0x24
	s_load_dwordx2 s[4:5], s[0:1], 0xdc
	s_waitcnt lgkmcnt(0)
	v_mul_hi_u32 v3, s3, v1
	v_add_u32_e32 v3, v1, v3
	v_lshrrev_b32_e32 v3, s6, v3
	v_mul_lo_u32 v3, v3, s2
	s_load_dword s2, s[0:1], 0xe4
	v_sub_u32_e32 v1, v1, v3
	v_mad_u64_u32 v[35:36], s[0:1], v1, s4, v[35:36]
	v_mad_u64_u32 v[39:40], s[0:1], v1, s5, v[39:40]
	s_waitcnt lgkmcnt(0)
	v_mad_u64_u32 v[37:38], s[0:1], v1, s2, v[37:38]
	s_cbranch_execz .LBB45_194
	s_branch .LBB45_196
.LBB45_191:
                                        ; implicit-def: $vgpr35
                                        ; implicit-def: $vgpr39
                                        ; implicit-def: $vgpr37
	s_branch .LBB45_194
.LBB45_192:
	v_mov_b32_e32 v35, 0
	v_mov_b32_e32 v39, 0
	;; [unrolled: 1-line block ×3, first 2 shown]
.LBB45_193:
	s_cbranch_execnz .LBB45_196
.LBB45_194:
	s_load_dwordx4 s[0:3], s[12:13], 0x4
	s_load_dwordx4 s[4:7], s[12:13], 0xc4
	s_cmp_lt_u32 s33, 2
	s_waitcnt lgkmcnt(0)
	v_mul_hi_u32 v1, s1, v41
	v_add_u32_e32 v1, v41, v1
	v_lshrrev_b32_e32 v1, s2, v1
	v_mul_lo_u32 v3, v1, s0
	v_sub_u32_e32 v3, v41, v3
	v_mul_lo_u32 v35, v3, s4
	v_mul_lo_u32 v39, v3, s5
	;; [unrolled: 1-line block ×3, first 2 shown]
	s_cbranch_scc1 .LBB45_196
; %bb.195:
	s_load_dwordx4 s[0:3], s[12:13], 0x10
	s_load_dwordx4 s[4:7], s[12:13], 0xd0
	s_waitcnt lgkmcnt(0)
	v_mul_hi_u32 v3, s1, v1
	v_add_u32_e32 v3, v1, v3
	v_lshrrev_b32_e32 v3, s2, v3
	v_mul_lo_u32 v3, v3, s0
	v_sub_u32_e32 v1, v1, v3
	v_mad_u64_u32 v[35:36], s[0:1], v1, s4, v[35:36]
	v_mad_u64_u32 v[39:40], s[0:1], v1, s5, v[39:40]
	;; [unrolled: 1-line block ×3, first 2 shown]
.LBB45_196:
	s_load_dwordx4 s[0:3], s[12:13], 0x188
	s_load_dwordx2 s[4:5], s[12:13], 0x198
	s_waitcnt lgkmcnt(0)
	global_load_sbyte v1, v2, s[2:3]
	global_load_ubyte v3, v4, s[4:5]
	global_load_sbyte v6, v9, s[2:3]
	global_load_ubyte v8, v7, s[4:5]
	;; [unrolled: 2-line block ×4, first 2 shown]
                                        ; kill: killed $vgpr9
                                        ; kill: killed $vgpr4
                                        ; kill: killed $vgpr14
                                        ; kill: killed $vgpr7
                                        ; kill: killed $vgpr19
                                        ; kill: killed $vgpr12
                                        ; kill: killed $vgpr17
                                        ; kill: killed $vgpr2
	global_load_sbyte v2, v24, s[2:3]
	global_load_ubyte v4, v22, s[4:5]
	global_load_sbyte v7, v29, s[2:3]
	global_load_ubyte v9, v27, s[4:5]
	global_load_sbyte v12, v34, s[2:3]
	global_load_ubyte v14, v32, s[4:5]
	global_load_sbyte v17, v39, s[2:3]
	global_load_ubyte v19, v37, s[4:5]
	s_load_dword s2, s[12:13], 0x1a0
	s_waitcnt lgkmcnt(0)
	s_bfe_i32 s3, s2, 0x80000
	s_bfe_u32 s2, s2, 0x80008
	v_mov_b32_e32 v21, s2
	s_waitcnt vmcnt(15)
	v_cmp_lt_i16_e32 vcc, s3, v1
	s_waitcnt vmcnt(14)
	v_cndmask_b32_e32 v1, v21, v3, vcc
	s_waitcnt vmcnt(13)
	v_cmp_lt_i16_e32 vcc, s3, v6
	s_waitcnt vmcnt(12)
	v_cndmask_b32_e32 v3, v21, v8, vcc
	;; [unrolled: 4-line block ×8, first 2 shown]
	global_store_byte v0, v1, s[0:1]
	global_store_byte v5, v3, s[0:1]
	;; [unrolled: 1-line block ×8, first 2 shown]
	s_endpgm
	.section	.rodata,"a",@progbits
	.p2align	6, 0x0
	.amdhsa_kernel _ZN2at6native32elementwise_kernel_manual_unrollILi128ELi8EZNS0_22gpu_kernel_impl_nocastINS0_13BinaryFunctorIaaaZNS0_12_GLOBAL__N_121threshold_kernel_implIaEEvRNS_18TensorIteratorBaseET_S8_EUlaaE_EEEEvS7_RKS8_EUlibE_EEviT1_
		.amdhsa_group_segment_fixed_size 0
		.amdhsa_private_segment_fixed_size 0
		.amdhsa_kernarg_size 432
		.amdhsa_user_sgpr_count 6
		.amdhsa_user_sgpr_private_segment_buffer 1
		.amdhsa_user_sgpr_dispatch_ptr 0
		.amdhsa_user_sgpr_queue_ptr 0
		.amdhsa_user_sgpr_kernarg_segment_ptr 1
		.amdhsa_user_sgpr_dispatch_id 0
		.amdhsa_user_sgpr_flat_scratch_init 0
		.amdhsa_user_sgpr_private_segment_size 0
		.amdhsa_uses_dynamic_stack 0
		.amdhsa_system_sgpr_private_segment_wavefront_offset 0
		.amdhsa_system_sgpr_workgroup_id_x 1
		.amdhsa_system_sgpr_workgroup_id_y 0
		.amdhsa_system_sgpr_workgroup_id_z 0
		.amdhsa_system_sgpr_workgroup_info 0
		.amdhsa_system_vgpr_workitem_id 0
		.amdhsa_next_free_vgpr 42
		.amdhsa_next_free_sgpr 52
		.amdhsa_reserve_vcc 1
		.amdhsa_reserve_flat_scratch 0
		.amdhsa_float_round_mode_32 0
		.amdhsa_float_round_mode_16_64 0
		.amdhsa_float_denorm_mode_32 3
		.amdhsa_float_denorm_mode_16_64 3
		.amdhsa_dx10_clamp 1
		.amdhsa_ieee_mode 1
		.amdhsa_fp16_overflow 0
		.amdhsa_exception_fp_ieee_invalid_op 0
		.amdhsa_exception_fp_denorm_src 0
		.amdhsa_exception_fp_ieee_div_zero 0
		.amdhsa_exception_fp_ieee_overflow 0
		.amdhsa_exception_fp_ieee_underflow 0
		.amdhsa_exception_fp_ieee_inexact 0
		.amdhsa_exception_int_div_zero 0
	.end_amdhsa_kernel
	.section	.text._ZN2at6native32elementwise_kernel_manual_unrollILi128ELi8EZNS0_22gpu_kernel_impl_nocastINS0_13BinaryFunctorIaaaZNS0_12_GLOBAL__N_121threshold_kernel_implIaEEvRNS_18TensorIteratorBaseET_S8_EUlaaE_EEEEvS7_RKS8_EUlibE_EEviT1_,"axG",@progbits,_ZN2at6native32elementwise_kernel_manual_unrollILi128ELi8EZNS0_22gpu_kernel_impl_nocastINS0_13BinaryFunctorIaaaZNS0_12_GLOBAL__N_121threshold_kernel_implIaEEvRNS_18TensorIteratorBaseET_S8_EUlaaE_EEEEvS7_RKS8_EUlibE_EEviT1_,comdat
.Lfunc_end45:
	.size	_ZN2at6native32elementwise_kernel_manual_unrollILi128ELi8EZNS0_22gpu_kernel_impl_nocastINS0_13BinaryFunctorIaaaZNS0_12_GLOBAL__N_121threshold_kernel_implIaEEvRNS_18TensorIteratorBaseET_S8_EUlaaE_EEEEvS7_RKS8_EUlibE_EEviT1_, .Lfunc_end45-_ZN2at6native32elementwise_kernel_manual_unrollILi128ELi8EZNS0_22gpu_kernel_impl_nocastINS0_13BinaryFunctorIaaaZNS0_12_GLOBAL__N_121threshold_kernel_implIaEEvRNS_18TensorIteratorBaseET_S8_EUlaaE_EEEEvS7_RKS8_EUlibE_EEviT1_
                                        ; -- End function
	.set _ZN2at6native32elementwise_kernel_manual_unrollILi128ELi8EZNS0_22gpu_kernel_impl_nocastINS0_13BinaryFunctorIaaaZNS0_12_GLOBAL__N_121threshold_kernel_implIaEEvRNS_18TensorIteratorBaseET_S8_EUlaaE_EEEEvS7_RKS8_EUlibE_EEviT1_.num_vgpr, 42
	.set _ZN2at6native32elementwise_kernel_manual_unrollILi128ELi8EZNS0_22gpu_kernel_impl_nocastINS0_13BinaryFunctorIaaaZNS0_12_GLOBAL__N_121threshold_kernel_implIaEEvRNS_18TensorIteratorBaseET_S8_EUlaaE_EEEEvS7_RKS8_EUlibE_EEviT1_.num_agpr, 0
	.set _ZN2at6native32elementwise_kernel_manual_unrollILi128ELi8EZNS0_22gpu_kernel_impl_nocastINS0_13BinaryFunctorIaaaZNS0_12_GLOBAL__N_121threshold_kernel_implIaEEvRNS_18TensorIteratorBaseET_S8_EUlaaE_EEEEvS7_RKS8_EUlibE_EEviT1_.numbered_sgpr, 52
	.set _ZN2at6native32elementwise_kernel_manual_unrollILi128ELi8EZNS0_22gpu_kernel_impl_nocastINS0_13BinaryFunctorIaaaZNS0_12_GLOBAL__N_121threshold_kernel_implIaEEvRNS_18TensorIteratorBaseET_S8_EUlaaE_EEEEvS7_RKS8_EUlibE_EEviT1_.num_named_barrier, 0
	.set _ZN2at6native32elementwise_kernel_manual_unrollILi128ELi8EZNS0_22gpu_kernel_impl_nocastINS0_13BinaryFunctorIaaaZNS0_12_GLOBAL__N_121threshold_kernel_implIaEEvRNS_18TensorIteratorBaseET_S8_EUlaaE_EEEEvS7_RKS8_EUlibE_EEviT1_.private_seg_size, 0
	.set _ZN2at6native32elementwise_kernel_manual_unrollILi128ELi8EZNS0_22gpu_kernel_impl_nocastINS0_13BinaryFunctorIaaaZNS0_12_GLOBAL__N_121threshold_kernel_implIaEEvRNS_18TensorIteratorBaseET_S8_EUlaaE_EEEEvS7_RKS8_EUlibE_EEviT1_.uses_vcc, 1
	.set _ZN2at6native32elementwise_kernel_manual_unrollILi128ELi8EZNS0_22gpu_kernel_impl_nocastINS0_13BinaryFunctorIaaaZNS0_12_GLOBAL__N_121threshold_kernel_implIaEEvRNS_18TensorIteratorBaseET_S8_EUlaaE_EEEEvS7_RKS8_EUlibE_EEviT1_.uses_flat_scratch, 0
	.set _ZN2at6native32elementwise_kernel_manual_unrollILi128ELi8EZNS0_22gpu_kernel_impl_nocastINS0_13BinaryFunctorIaaaZNS0_12_GLOBAL__N_121threshold_kernel_implIaEEvRNS_18TensorIteratorBaseET_S8_EUlaaE_EEEEvS7_RKS8_EUlibE_EEviT1_.has_dyn_sized_stack, 0
	.set _ZN2at6native32elementwise_kernel_manual_unrollILi128ELi8EZNS0_22gpu_kernel_impl_nocastINS0_13BinaryFunctorIaaaZNS0_12_GLOBAL__N_121threshold_kernel_implIaEEvRNS_18TensorIteratorBaseET_S8_EUlaaE_EEEEvS7_RKS8_EUlibE_EEviT1_.has_recursion, 0
	.set _ZN2at6native32elementwise_kernel_manual_unrollILi128ELi8EZNS0_22gpu_kernel_impl_nocastINS0_13BinaryFunctorIaaaZNS0_12_GLOBAL__N_121threshold_kernel_implIaEEvRNS_18TensorIteratorBaseET_S8_EUlaaE_EEEEvS7_RKS8_EUlibE_EEviT1_.has_indirect_call, 0
	.section	.AMDGPU.csdata,"",@progbits
; Kernel info:
; codeLenInByte = 9340
; TotalNumSgprs: 56
; NumVgprs: 42
; ScratchSize: 0
; MemoryBound: 0
; FloatMode: 240
; IeeeMode: 1
; LDSByteSize: 0 bytes/workgroup (compile time only)
; SGPRBlocks: 6
; VGPRBlocks: 10
; NumSGPRsForWavesPerEU: 56
; NumVGPRsForWavesPerEU: 42
; Occupancy: 5
; WaveLimiterHint : 1
; COMPUTE_PGM_RSRC2:SCRATCH_EN: 0
; COMPUTE_PGM_RSRC2:USER_SGPR: 6
; COMPUTE_PGM_RSRC2:TRAP_HANDLER: 0
; COMPUTE_PGM_RSRC2:TGID_X_EN: 1
; COMPUTE_PGM_RSRC2:TGID_Y_EN: 0
; COMPUTE_PGM_RSRC2:TGID_Z_EN: 0
; COMPUTE_PGM_RSRC2:TIDIG_COMP_CNT: 0
	.section	.text._ZN2at6native32elementwise_kernel_manual_unrollILi128ELi4EZNS0_15gpu_kernel_implINS0_13BinaryFunctorIaaaZNS0_12_GLOBAL__N_121threshold_kernel_implIaEEvRNS_18TensorIteratorBaseET_S8_EUlaaE_EEEEvS7_RKS8_EUlibE_EEviT1_,"axG",@progbits,_ZN2at6native32elementwise_kernel_manual_unrollILi128ELi4EZNS0_15gpu_kernel_implINS0_13BinaryFunctorIaaaZNS0_12_GLOBAL__N_121threshold_kernel_implIaEEvRNS_18TensorIteratorBaseET_S8_EUlaaE_EEEEvS7_RKS8_EUlibE_EEviT1_,comdat
	.globl	_ZN2at6native32elementwise_kernel_manual_unrollILi128ELi4EZNS0_15gpu_kernel_implINS0_13BinaryFunctorIaaaZNS0_12_GLOBAL__N_121threshold_kernel_implIaEEvRNS_18TensorIteratorBaseET_S8_EUlaaE_EEEEvS7_RKS8_EUlibE_EEviT1_ ; -- Begin function _ZN2at6native32elementwise_kernel_manual_unrollILi128ELi4EZNS0_15gpu_kernel_implINS0_13BinaryFunctorIaaaZNS0_12_GLOBAL__N_121threshold_kernel_implIaEEvRNS_18TensorIteratorBaseET_S8_EUlaaE_EEEEvS7_RKS8_EUlibE_EEviT1_
	.p2align	8
	.type	_ZN2at6native32elementwise_kernel_manual_unrollILi128ELi4EZNS0_15gpu_kernel_implINS0_13BinaryFunctorIaaaZNS0_12_GLOBAL__N_121threshold_kernel_implIaEEvRNS_18TensorIteratorBaseET_S8_EUlaaE_EEEEvS7_RKS8_EUlibE_EEviT1_,@function
_ZN2at6native32elementwise_kernel_manual_unrollILi128ELi4EZNS0_15gpu_kernel_implINS0_13BinaryFunctorIaaaZNS0_12_GLOBAL__N_121threshold_kernel_implIaEEvRNS_18TensorIteratorBaseET_S8_EUlaaE_EEEEvS7_RKS8_EUlibE_EEviT1_: ; @_ZN2at6native32elementwise_kernel_manual_unrollILi128ELi4EZNS0_15gpu_kernel_implINS0_13BinaryFunctorIaaaZNS0_12_GLOBAL__N_121threshold_kernel_implIaEEvRNS_18TensorIteratorBaseET_S8_EUlaaE_EEEEvS7_RKS8_EUlibE_EEviT1_
; %bb.0:
	s_load_dwordx2 s[0:1], s[4:5], 0x2c
	s_load_dword s48, s[4:5], 0x0
	s_load_dwordx4 s[8:11], s[4:5], 0x8
	s_load_dwordx2 s[2:3], s[4:5], 0x18
	s_load_dwordx4 s[12:15], s[4:5], 0x20
	v_lshl_or_b32 v14, s6, 9, v0
	v_or_b32_e32 v0, 0x180, v14
	s_waitcnt lgkmcnt(0)
	s_sext_i32_i8 s15, s1
	s_lshr_b32 s56, s0, 24
	s_bfe_i32 s33, s0, 0x80000
	s_lshr_b32 s54, s0, 8
	s_lshr_b32 s55, s0, 16
	v_cmp_le_i32_e32 vcc, s48, v0
	s_mov_b64 s[4:5], 0
	s_mov_b64 s[16:17], 0
	s_and_saveexec_b64 s[0:1], vcc
	s_xor_b64 s[6:7], exec, s[0:1]
	s_cbranch_execz .LBB46_1512
; %bb.1:
	v_cmp_gt_i32_e32 vcc, s48, v14
	s_mov_b64 s[0:1], -1
	s_mov_b64 s[26:27], 0
	s_mov_b64 s[20:21], 0
	;; [unrolled: 1-line block ×3, first 2 shown]
	s_and_saveexec_b64 s[22:23], vcc
	s_cbranch_execz .LBB46_375
; %bb.2:
	v_mul_lo_u32 v0, v14, s13
	v_mov_b32_e32 v1, s11
	s_and_b32 s18, 0xffff, s56
	s_cmp_lt_i32 s18, 11
	v_ashrrev_i32_e32 v3, 31, v0
	v_add_co_u32_e32 v2, vcc, s10, v0
	v_addc_co_u32_e32 v3, vcc, v1, v3, vcc
	s_cbranch_scc1 .LBB46_9
; %bb.3:
	s_cmp_gt_i32 s18, 25
	s_cbranch_scc0 .LBB46_18
; %bb.4:
	s_cmp_gt_i32 s18, 28
	s_cbranch_scc0 .LBB46_28
	;; [unrolled: 3-line block ×4, first 2 shown]
; %bb.7:
	s_cmp_eq_u32 s18, 46
	s_cbranch_scc0 .LBB46_37
; %bb.8:
	global_load_dword v0, v[2:3], off
	s_waitcnt vmcnt(0)
	v_lshlrev_b32_e32 v0, 16, v0
	v_cvt_i32_f32_e32 v0, v0
	s_branch .LBB46_39
.LBB46_9:
                                        ; implicit-def: $vgpr0
	s_mov_b64 s[0:1], 0
	s_cbranch_execnz .LBB46_101
.LBB46_10:
	s_andn2_b64 vcc, exec, s[0:1]
	s_cbranch_vccnz .LBB46_148
.LBB46_11:
	s_waitcnt vmcnt(0)
	v_mul_lo_u32 v1, v14, s14
	v_mov_b32_e32 v2, s3
	s_and_b32 s24, s15, 0xff
	s_cmp_lt_i32 s24, 11
	v_ashrrev_i32_e32 v3, 31, v1
	v_add_co_u32_e32 v1, vcc, s2, v1
	v_addc_co_u32_e32 v2, vcc, v2, v3, vcc
	s_cbranch_scc1 .LBB46_19
; %bb.12:
	s_and_b32 s25, 0xffff, s24
	s_cmp_gt_i32 s25, 25
	s_cbranch_scc0 .LBB46_29
; %bb.13:
	s_cmp_gt_i32 s25, 28
	s_cbranch_scc0 .LBB46_32
; %bb.14:
	;; [unrolled: 3-line block ×4, first 2 shown]
	s_cmp_eq_u32 s25, 46
	s_mov_b64 s[16:17], 0
	s_cbranch_scc0 .LBB46_149
; %bb.17:
	global_load_dword v3, v[1:2], off
	s_mov_b64 s[0:1], -1
	s_mov_b64 s[18:19], 0
	s_waitcnt vmcnt(0)
	v_lshlrev_b32_e32 v3, 16, v3
	v_cvt_i32_f32_e32 v3, v3
	s_branch .LBB46_151
.LBB46_18:
	s_mov_b64 s[0:1], 0
                                        ; implicit-def: $vgpr0
	s_cbranch_execnz .LBB46_68
	s_branch .LBB46_100
.LBB46_19:
	s_mov_b64 s[18:19], 0
                                        ; implicit-def: $vgpr3
	s_mov_b64 s[0:1], 0
	s_cbranch_execnz .LBB46_324
.LBB46_20:
	s_andn2_b64 vcc, exec, s[0:1]
	s_cbranch_vccnz .LBB46_372
.LBB46_21:
	v_mul_lo_u32 v1, v14, s12
	v_mov_b32_e32 v2, s54
	v_cmp_gt_i16_sdwa vcc, sext(v0), s33 src0_sel:BYTE_0 src1_sel:DWORD
	s_waitcnt vmcnt(0)
	v_cndmask_b32_e32 v2, v2, v3, vcc
	v_ashrrev_i32_e32 v3, 31, v1
	v_mov_b32_e32 v4, s9
	s_and_b32 s30, s55, 0xff
	v_add_co_u32_e32 v0, vcc, s8, v1
	s_cmp_lt_i32 s30, 11
	v_addc_co_u32_e32 v1, vcc, v4, v3, vcc
	s_cbranch_scc1 .LBB46_30
; %bb.22:
	s_and_b32 s31, 0xffff, s30
	s_cmp_gt_i32 s31, 25
	s_cbranch_scc0 .LBB46_33
; %bb.23:
	s_cmp_gt_i32 s31, 28
	s_cbranch_scc0 .LBB46_36
; %bb.24:
	;; [unrolled: 3-line block ×4, first 2 shown]
	s_mov_b64 s[24:25], 0
	s_mov_b64 s[0:1], -1
	s_cmp_eq_u32 s31, 46
	s_mov_b64 s[16:17], 0
	s_cbranch_scc0 .LBB46_155
; %bb.27:
	v_bfe_i32 v3, v2, 0, 8
	v_cvt_f32_i32_sdwa v3, sext(v3) dst_sel:DWORD dst_unused:UNUSED_PAD src0_sel:WORD_0
	s_movk_i32 s0, 0x7fff
	s_mov_b64 s[16:17], -1
	v_bfe_u32 v4, v3, 16, 1
	v_add3_u32 v3, v3, v4, s0
	v_lshrrev_b32_e32 v3, 16, v3
	global_store_dword v[0:1], v3, off
	s_mov_b64 s[0:1], 0
	s_branch .LBB46_155
.LBB46_28:
	s_mov_b64 s[16:17], -1
	s_mov_b64 s[0:1], 0
                                        ; implicit-def: $vgpr0
	s_branch .LBB46_51
.LBB46_29:
	s_mov_b64 s[16:17], -1
	s_mov_b64 s[18:19], 0
	s_mov_b64 s[0:1], 0
                                        ; implicit-def: $vgpr3
	s_branch .LBB46_290
.LBB46_30:
	s_mov_b64 s[24:25], -1
	s_mov_b64 s[0:1], 0
	s_mov_b64 s[16:17], 0
	s_branch .LBB46_224
.LBB46_31:
	s_mov_b64 s[16:17], -1
	s_mov_b64 s[0:1], 0
                                        ; implicit-def: $vgpr0
	s_branch .LBB46_46
.LBB46_32:
	s_mov_b64 s[16:17], -1
	s_mov_b64 s[18:19], 0
	s_mov_b64 s[0:1], 0
                                        ; implicit-def: $vgpr3
	s_branch .LBB46_273
.LBB46_33:
	s_mov_b64 s[24:25], -1
	s_mov_b64 s[0:1], 0
	s_mov_b64 s[16:17], 0
	s_branch .LBB46_182
.LBB46_34:
	s_mov_b64 s[16:17], -1
	s_branch .LBB46_38
.LBB46_35:
	s_mov_b64 s[16:17], -1
	s_mov_b64 s[18:19], 0
	s_mov_b64 s[0:1], 0
                                        ; implicit-def: $vgpr3
	s_branch .LBB46_268
.LBB46_36:
	s_mov_b64 s[24:25], -1
	s_mov_b64 s[0:1], 0
	s_mov_b64 s[16:17], 0
	s_branch .LBB46_165
.LBB46_37:
	s_mov_b64 s[20:21], -1
.LBB46_38:
	s_mov_b64 s[0:1], 0
                                        ; implicit-def: $vgpr0
.LBB46_39:
	s_and_b64 vcc, exec, s[16:17]
	s_cbranch_vccz .LBB46_45
; %bb.40:
	s_cmp_eq_u32 s18, 44
	s_cbranch_scc0 .LBB46_44
; %bb.41:
	global_load_ubyte v0, v[2:3], off
	s_mov_b64 s[0:1], -1
	s_mov_b64 s[20:21], 0
	s_waitcnt vmcnt(0)
	v_lshlrev_b32_e32 v1, 23, v0
	v_cvt_i32_f32_e32 v1, v1
	v_cmp_ne_u32_e32 vcc, 0, v0
	v_cndmask_b32_e32 v0, 0, v1, vcc
	s_branch .LBB46_45
.LBB46_42:
	s_mov_b64 s[16:17], -1
	s_mov_b64 s[18:19], 0
	s_branch .LBB46_150
.LBB46_43:
	s_mov_b64 s[24:25], -1
	s_mov_b64 s[0:1], 0
	s_mov_b64 s[16:17], 0
	s_branch .LBB46_161
.LBB46_44:
	s_mov_b64 s[20:21], -1
                                        ; implicit-def: $vgpr0
.LBB46_45:
	s_mov_b64 s[16:17], 0
.LBB46_46:
	s_and_b64 vcc, exec, s[16:17]
	s_cbranch_vccz .LBB46_50
; %bb.47:
	s_cmp_eq_u32 s18, 29
	s_cbranch_scc0 .LBB46_49
; %bb.48:
	global_load_dwordx2 v[0:1], v[2:3], off
	s_mov_b64 s[0:1], -1
	s_mov_b64 s[20:21], 0
	s_branch .LBB46_50
.LBB46_49:
	s_mov_b64 s[20:21], -1
                                        ; implicit-def: $vgpr0
.LBB46_50:
	s_mov_b64 s[16:17], 0
.LBB46_51:
	s_and_b64 vcc, exec, s[16:17]
	s_cbranch_vccz .LBB46_67
; %bb.52:
	s_cmp_lt_i32 s18, 27
	s_cbranch_scc1 .LBB46_55
; %bb.53:
	s_cmp_gt_i32 s18, 27
	s_cbranch_scc0 .LBB46_56
; %bb.54:
	global_load_dword v0, v[2:3], off
	s_mov_b64 s[0:1], 0
	s_branch .LBB46_57
.LBB46_55:
	s_mov_b64 s[0:1], -1
                                        ; implicit-def: $vgpr0
	s_branch .LBB46_60
.LBB46_56:
	s_mov_b64 s[0:1], -1
                                        ; implicit-def: $vgpr0
.LBB46_57:
	s_andn2_b64 vcc, exec, s[0:1]
	s_cbranch_vccnz .LBB46_59
; %bb.58:
	global_load_ushort v0, v[2:3], off
.LBB46_59:
	s_mov_b64 s[0:1], 0
.LBB46_60:
	s_andn2_b64 vcc, exec, s[0:1]
	s_cbranch_vccnz .LBB46_66
; %bb.61:
	global_load_ubyte v1, v[2:3], off
	s_movk_i32 s0, 0x7f
	s_mov_b64 s[16:17], 0
	s_waitcnt vmcnt(0)
	v_cmp_lt_i16_e32 vcc, s0, v1
	s_and_saveexec_b64 s[0:1], vcc
	s_xor_b64 s[0:1], exec, s[0:1]
	s_cbranch_execz .LBB46_77
; %bb.62:
	s_movk_i32 s16, 0x80
	v_cmp_ne_u16_e32 vcc, s16, v1
	s_and_b64 s[16:17], vcc, exec
	s_andn2_saveexec_b64 s[0:1], s[0:1]
	s_cbranch_execnz .LBB46_78
.LBB46_63:
	s_or_b64 exec, exec, s[0:1]
	v_mov_b32_e32 v0, 0
	s_and_saveexec_b64 s[0:1], s[16:17]
	s_cbranch_execz .LBB46_65
.LBB46_64:
	v_lshlrev_b32_e32 v0, 24, v1
	v_and_b32_e32 v1, 0xffff, v1
	v_and_b32_e32 v4, 7, v1
	v_ffbh_u32_e32 v6, v4
	v_min_u32_e32 v6, 32, v6
	v_subrev_u32_e32 v7, 28, v6
	v_bfe_u32 v5, v1, 3, 4
	v_lshlrev_b32_e32 v1, v7, v1
	v_sub_u32_e32 v6, 29, v6
	v_and_b32_e32 v1, 7, v1
	v_cmp_eq_u32_e32 vcc, 0, v5
	v_cndmask_b32_e32 v5, v5, v6, vcc
	v_cndmask_b32_e32 v1, v4, v1, vcc
	v_mov_b32_e32 v4, 0x3b800000
	v_lshlrev_b32_e32 v1, 20, v1
	v_and_b32_e32 v0, 0x80000000, v0
	v_lshl_add_u32 v4, v5, 23, v4
	v_or3_b32 v0, v0, v4, v1
	v_cvt_i32_f32_e32 v0, v0
.LBB46_65:
	s_or_b64 exec, exec, s[0:1]
.LBB46_66:
	s_mov_b64 s[0:1], -1
.LBB46_67:
	s_branch .LBB46_100
.LBB46_68:
	s_cmp_gt_i32 s18, 22
	s_cbranch_scc0 .LBB46_76
; %bb.69:
	s_cmp_lt_i32 s18, 24
	s_cbranch_scc1 .LBB46_79
; %bb.70:
	s_cmp_gt_i32 s18, 24
	s_cbranch_scc0 .LBB46_80
; %bb.71:
	global_load_ubyte v1, v[2:3], off
	s_movk_i32 s0, 0x7f
	s_mov_b64 s[16:17], 0
	s_waitcnt vmcnt(0)
	v_cmp_lt_i16_e32 vcc, s0, v1
	s_and_saveexec_b64 s[0:1], vcc
	s_xor_b64 s[0:1], exec, s[0:1]
	s_cbranch_execz .LBB46_92
; %bb.72:
	s_movk_i32 s16, 0x80
	v_cmp_ne_u16_e32 vcc, s16, v1
	s_and_b64 s[16:17], vcc, exec
	s_andn2_saveexec_b64 s[0:1], s[0:1]
	s_cbranch_execnz .LBB46_93
.LBB46_73:
	s_or_b64 exec, exec, s[0:1]
	v_mov_b32_e32 v0, 0
	s_and_saveexec_b64 s[0:1], s[16:17]
	s_cbranch_execz .LBB46_75
.LBB46_74:
	v_lshlrev_b32_e32 v0, 24, v1
	v_and_b32_e32 v1, 0xffff, v1
	v_and_b32_e32 v4, 3, v1
	v_ffbh_u32_e32 v6, v4
	v_min_u32_e32 v6, 32, v6
	v_subrev_u32_e32 v7, 29, v6
	v_bfe_u32 v5, v1, 2, 5
	v_lshlrev_b32_e32 v1, v7, v1
	v_sub_u32_e32 v6, 30, v6
	v_and_b32_e32 v1, 3, v1
	v_cmp_eq_u32_e32 vcc, 0, v5
	v_cndmask_b32_e32 v5, v5, v6, vcc
	v_cndmask_b32_e32 v1, v4, v1, vcc
	v_mov_b32_e32 v4, 0x37800000
	v_lshlrev_b32_e32 v1, 21, v1
	v_and_b32_e32 v0, 0x80000000, v0
	v_lshl_add_u32 v4, v5, 23, v4
	v_or3_b32 v0, v0, v4, v1
	v_cvt_i32_f32_e32 v0, v0
.LBB46_75:
	s_or_b64 exec, exec, s[0:1]
	s_mov_b64 s[0:1], 0
	s_branch .LBB46_81
.LBB46_76:
	s_mov_b64 s[16:17], -1
                                        ; implicit-def: $vgpr0
	s_branch .LBB46_87
.LBB46_77:
	s_andn2_saveexec_b64 s[0:1], s[0:1]
	s_cbranch_execz .LBB46_63
.LBB46_78:
	v_cmp_ne_u16_e32 vcc, 0, v1
	s_andn2_b64 s[16:17], s[16:17], exec
	s_and_b64 s[24:25], vcc, exec
	s_or_b64 s[16:17], s[16:17], s[24:25]
	s_or_b64 exec, exec, s[0:1]
	v_mov_b32_e32 v0, 0
	s_and_saveexec_b64 s[0:1], s[16:17]
	s_cbranch_execnz .LBB46_64
	s_branch .LBB46_65
.LBB46_79:
	s_mov_b64 s[0:1], -1
                                        ; implicit-def: $vgpr0
	s_branch .LBB46_84
.LBB46_80:
	s_mov_b64 s[0:1], -1
                                        ; implicit-def: $vgpr0
.LBB46_81:
	s_and_b64 vcc, exec, s[0:1]
	s_cbranch_vccz .LBB46_83
; %bb.82:
	global_load_ubyte v0, v[2:3], off
	s_mov_b32 s0, 0x7f800000
	s_waitcnt vmcnt(0)
	v_lshlrev_b32_e32 v0, 24, v0
	v_and_b32_e32 v1, 0x7f000000, v0
	v_ffbh_u32_e32 v4, v1
	v_min_u32_e32 v4, 32, v4
	v_sub_u32_e64 v4, v4, 4 clamp
	v_lshlrev_b32_e32 v6, v4, v1
	v_lshlrev_b32_e32 v4, 23, v4
	v_lshrrev_b32_e32 v6, 4, v6
	v_add_u32_e32 v5, 0x1000000, v1
	v_sub_u32_e32 v4, v6, v4
	v_ashrrev_i32_e32 v5, 8, v5
	v_add_u32_e32 v4, 0x3c000000, v4
	v_and_or_b32 v4, v5, s0, v4
	v_cmp_ne_u32_e32 vcc, 0, v1
	v_cndmask_b32_e32 v1, 0, v4, vcc
	s_brev_b32 s0, 1
	v_and_or_b32 v0, v0, s0, v1
	v_cvt_i32_f32_e32 v0, v0
.LBB46_83:
	s_mov_b64 s[0:1], 0
.LBB46_84:
	s_andn2_b64 vcc, exec, s[0:1]
	s_cbranch_vccnz .LBB46_86
; %bb.85:
	global_load_ubyte v0, v[2:3], off
	s_movk_i32 s0, 0x7f00
	s_brev_b32 s1, 16
	s_waitcnt vmcnt(0)
	v_lshlrev_b16_e32 v1, 8, v0
	v_lshlrev_b32_e32 v0, 25, v0
	v_lshrrev_b32_e32 v4, 4, v0
	v_and_or_b32 v5, v1, s0, 0.5
	v_or_b32_e32 v4, 0x70000000, v4
	v_add_f32_e32 v5, -0.5, v5
	v_mul_f32_e32 v4, 0x7800000, v4
	v_cmp_gt_u32_e32 vcc, s1, v0
	v_bfe_i32 v1, v1, 0, 16
	v_cndmask_b32_e32 v0, v4, v5, vcc
	s_brev_b32 s0, 1
	v_and_or_b32 v0, v1, s0, v0
	v_cvt_i32_f32_e32 v0, v0
.LBB46_86:
	s_mov_b64 s[16:17], 0
	s_mov_b64 s[0:1], -1
.LBB46_87:
	s_andn2_b64 vcc, exec, s[16:17]
	s_cbranch_vccnz .LBB46_100
; %bb.88:
	s_cmp_gt_i32 s18, 14
	s_cbranch_scc0 .LBB46_91
; %bb.89:
	s_cmp_eq_u32 s18, 15
	s_cbranch_scc0 .LBB46_94
; %bb.90:
	global_load_ushort v0, v[2:3], off
	s_mov_b64 s[0:1], -1
	s_mov_b64 s[20:21], 0
	s_waitcnt vmcnt(0)
	v_lshlrev_b32_e32 v0, 16, v0
	v_cvt_i32_f32_e32 v0, v0
	s_branch .LBB46_95
.LBB46_91:
	s_mov_b64 s[16:17], -1
                                        ; implicit-def: $vgpr0
	s_branch .LBB46_96
.LBB46_92:
	s_andn2_saveexec_b64 s[0:1], s[0:1]
	s_cbranch_execz .LBB46_73
.LBB46_93:
	v_cmp_ne_u16_e32 vcc, 0, v1
	s_andn2_b64 s[16:17], s[16:17], exec
	s_and_b64 s[24:25], vcc, exec
	s_or_b64 s[16:17], s[16:17], s[24:25]
	s_or_b64 exec, exec, s[0:1]
	v_mov_b32_e32 v0, 0
	s_and_saveexec_b64 s[0:1], s[16:17]
	s_cbranch_execnz .LBB46_74
	s_branch .LBB46_75
.LBB46_94:
	s_mov_b64 s[20:21], -1
                                        ; implicit-def: $vgpr0
.LBB46_95:
	s_mov_b64 s[16:17], 0
.LBB46_96:
	s_and_b64 vcc, exec, s[16:17]
	s_cbranch_vccz .LBB46_100
; %bb.97:
	s_cmp_eq_u32 s18, 11
	s_cbranch_scc0 .LBB46_99
; %bb.98:
	global_load_ubyte v0, v[2:3], off
	s_mov_b64 s[0:1], -1
	s_mov_b64 s[20:21], 0
	s_waitcnt vmcnt(0)
	v_cmp_ne_u16_e32 vcc, 0, v0
	v_cndmask_b32_e64 v0, 0, 1, vcc
	s_branch .LBB46_100
.LBB46_99:
	s_mov_b64 s[20:21], -1
                                        ; implicit-def: $vgpr0
.LBB46_100:
	s_branch .LBB46_10
.LBB46_101:
	s_cmp_lt_i32 s18, 5
	s_cbranch_scc1 .LBB46_106
; %bb.102:
	s_cmp_lt_i32 s18, 8
	s_cbranch_scc1 .LBB46_107
; %bb.103:
	;; [unrolled: 3-line block ×3, first 2 shown]
	s_cmp_gt_i32 s18, 9
	s_cbranch_scc0 .LBB46_109
; %bb.105:
	global_load_dwordx2 v[0:1], v[2:3], off
	s_mov_b64 s[0:1], 0
	s_waitcnt vmcnt(0)
	v_cvt_i32_f64_e32 v0, v[0:1]
	s_branch .LBB46_110
.LBB46_106:
                                        ; implicit-def: $vgpr0
	s_branch .LBB46_128
.LBB46_107:
	s_mov_b64 s[0:1], -1
                                        ; implicit-def: $vgpr0
	s_branch .LBB46_116
.LBB46_108:
	s_mov_b64 s[0:1], -1
                                        ; implicit-def: $vgpr0
	s_branch .LBB46_113
.LBB46_109:
	s_mov_b64 s[0:1], -1
                                        ; implicit-def: $vgpr0
.LBB46_110:
	s_andn2_b64 vcc, exec, s[0:1]
	s_cbranch_vccnz .LBB46_112
; %bb.111:
	global_load_dword v0, v[2:3], off
	s_waitcnt vmcnt(0)
	v_cvt_i32_f32_e32 v0, v0
.LBB46_112:
	s_mov_b64 s[0:1], 0
.LBB46_113:
	s_andn2_b64 vcc, exec, s[0:1]
	s_cbranch_vccnz .LBB46_115
; %bb.114:
	global_load_dword v0, v[2:3], off
	s_waitcnt vmcnt(0)
	v_cvt_i16_f16_e32 v0, v0
.LBB46_115:
	s_mov_b64 s[0:1], 0
.LBB46_116:
	s_andn2_b64 vcc, exec, s[0:1]
	s_cbranch_vccnz .LBB46_127
; %bb.117:
	s_cmp_lt_i32 s18, 6
	s_cbranch_scc1 .LBB46_120
; %bb.118:
	s_cmp_gt_i32 s18, 6
	s_cbranch_scc0 .LBB46_121
; %bb.119:
	global_load_dwordx2 v[0:1], v[2:3], off
	s_mov_b64 s[0:1], 0
	s_waitcnt vmcnt(0)
	v_cvt_i32_f64_e32 v0, v[0:1]
	s_branch .LBB46_122
.LBB46_120:
	s_mov_b64 s[0:1], -1
                                        ; implicit-def: $vgpr0
	s_branch .LBB46_125
.LBB46_121:
	s_mov_b64 s[0:1], -1
                                        ; implicit-def: $vgpr0
.LBB46_122:
	s_andn2_b64 vcc, exec, s[0:1]
	s_cbranch_vccnz .LBB46_124
; %bb.123:
	global_load_dword v0, v[2:3], off
	s_waitcnt vmcnt(0)
	v_cvt_i32_f32_e32 v0, v0
.LBB46_124:
	s_mov_b64 s[0:1], 0
.LBB46_125:
	s_andn2_b64 vcc, exec, s[0:1]
	s_cbranch_vccnz .LBB46_127
; %bb.126:
	global_load_ushort v0, v[2:3], off
	s_waitcnt vmcnt(0)
	v_cvt_i16_f16_e32 v0, v0
.LBB46_127:
	s_cbranch_execnz .LBB46_147
.LBB46_128:
	s_cmp_lt_i32 s18, 2
	s_cbranch_scc1 .LBB46_132
; %bb.129:
	s_cmp_lt_i32 s18, 3
	s_cbranch_scc1 .LBB46_133
; %bb.130:
	s_cmp_gt_i32 s18, 3
	s_cbranch_scc0 .LBB46_134
; %bb.131:
	global_load_dwordx2 v[0:1], v[2:3], off
	s_mov_b64 s[0:1], 0
	s_branch .LBB46_135
.LBB46_132:
	s_mov_b64 s[0:1], -1
                                        ; implicit-def: $vgpr0
	s_branch .LBB46_141
.LBB46_133:
	s_mov_b64 s[0:1], -1
                                        ; implicit-def: $vgpr0
	s_branch .LBB46_138
.LBB46_134:
	s_mov_b64 s[0:1], -1
                                        ; implicit-def: $vgpr0
.LBB46_135:
	s_andn2_b64 vcc, exec, s[0:1]
	s_cbranch_vccnz .LBB46_137
; %bb.136:
	global_load_dword v0, v[2:3], off
.LBB46_137:
	s_mov_b64 s[0:1], 0
.LBB46_138:
	s_andn2_b64 vcc, exec, s[0:1]
	s_cbranch_vccnz .LBB46_140
; %bb.139:
	global_load_ushort v0, v[2:3], off
.LBB46_140:
	s_mov_b64 s[0:1], 0
.LBB46_141:
	s_andn2_b64 vcc, exec, s[0:1]
	s_cbranch_vccnz .LBB46_147
; %bb.142:
	s_cmp_gt_i32 s18, 0
	s_cbranch_scc0 .LBB46_144
; %bb.143:
	global_load_ubyte v0, v[2:3], off
	s_mov_b64 s[0:1], 0
	s_branch .LBB46_145
.LBB46_144:
	s_mov_b64 s[0:1], -1
                                        ; implicit-def: $vgpr0
.LBB46_145:
	s_andn2_b64 vcc, exec, s[0:1]
	s_cbranch_vccnz .LBB46_147
; %bb.146:
	global_load_ubyte v0, v[2:3], off
.LBB46_147:
	s_branch .LBB46_11
.LBB46_148:
	s_mov_b64 s[0:1], 0
	s_mov_b64 s[18:19], 0
	s_branch .LBB46_373
.LBB46_149:
	s_mov_b64 s[18:19], -1
.LBB46_150:
	s_mov_b64 s[0:1], 0
                                        ; implicit-def: $vgpr3
.LBB46_151:
	s_and_b64 vcc, exec, s[16:17]
	s_cbranch_vccz .LBB46_267
; %bb.152:
	s_cmp_eq_u32 s25, 44
	s_cbranch_scc0 .LBB46_266
; %bb.153:
	global_load_ubyte v3, v[1:2], off
	s_mov_b64 s[0:1], -1
	s_mov_b64 s[18:19], 0
	s_waitcnt vmcnt(0)
	v_lshlrev_b32_e32 v4, 23, v3
	v_cvt_i32_f32_e32 v4, v4
	v_cmp_ne_u32_e32 vcc, 0, v3
	v_cndmask_b32_e32 v3, 0, v4, vcc
	s_branch .LBB46_267
.LBB46_154:
	s_mov_b64 s[24:25], -1
	s_mov_b64 s[0:1], 0
	s_mov_b64 s[16:17], 0
.LBB46_155:
	s_and_b64 vcc, exec, s[24:25]
	s_cbranch_vccz .LBB46_160
; %bb.156:
	s_cmp_eq_u32 s31, 44
	s_mov_b64 s[0:1], -1
	s_cbranch_scc0 .LBB46_160
; %bb.157:
	v_bfe_i32 v3, v2, 0, 8
	v_cvt_f32_i32_sdwa v3, sext(v3) dst_sel:DWORD dst_unused:UNUSED_PAD src0_sel:WORD_0
	s_movk_i32 s0, 0xff
	v_mov_b32_e32 v5, 0xff
	v_bfe_u32 v4, v3, 23, 8
	v_cmp_ne_u32_e32 vcc, s0, v4
	s_and_saveexec_b64 s[16:17], vcc
; %bb.158:
	s_mov_b32 s0, 0x3fffff
	v_lshrrev_b32_e32 v5, 23, v3
	v_and_b32_e32 v6, 0x400000, v3
	v_and_or_b32 v3, v3, s0, v4
	v_cmp_ne_u32_e32 vcc, 0, v6
	v_cmp_ne_u32_e64 s[0:1], 0, v3
	s_and_b64 s[0:1], vcc, s[0:1]
	v_cndmask_b32_e64 v3, 0, 1, s[0:1]
	v_add_u32_e32 v5, v5, v3
; %bb.159:
	s_or_b64 exec, exec, s[16:17]
	s_mov_b64 s[16:17], -1
	s_mov_b64 s[0:1], 0
	global_store_byte v[0:1], v5, off
.LBB46_160:
	s_mov_b64 s[24:25], 0
.LBB46_161:
	s_and_b64 vcc, exec, s[24:25]
	s_cbranch_vccz .LBB46_164
; %bb.162:
	s_cmp_eq_u32 s31, 29
	s_mov_b64 s[0:1], -1
	s_cbranch_scc0 .LBB46_164
; %bb.163:
	v_bfe_i32 v3, v2, 0, 8
	v_ashrrev_i32_e32 v4, 31, v3
	global_store_dwordx2 v[0:1], v[3:4], off
	s_mov_b64 s[16:17], -1
	s_mov_b64 s[0:1], 0
.LBB46_164:
	s_mov_b64 s[24:25], 0
.LBB46_165:
	s_and_b64 vcc, exec, s[24:25]
	s_cbranch_vccz .LBB46_181
; %bb.166:
	s_cmp_lt_i32 s31, 27
	s_mov_b64 s[16:17], -1
	s_cbranch_scc1 .LBB46_172
; %bb.167:
	s_cmp_gt_i32 s31, 27
	s_cbranch_scc0 .LBB46_169
; %bb.168:
	v_bfe_i32 v3, v2, 0, 8
	s_mov_b64 s[16:17], 0
	global_store_dword v[0:1], v3, off
.LBB46_169:
	s_andn2_b64 vcc, exec, s[16:17]
	s_cbranch_vccnz .LBB46_171
; %bb.170:
	v_bfe_i32 v3, v2, 0, 8
	global_store_short v[0:1], v3, off
.LBB46_171:
	s_mov_b64 s[16:17], 0
.LBB46_172:
	s_andn2_b64 vcc, exec, s[16:17]
	s_cbranch_vccnz .LBB46_180
; %bb.173:
	v_bfe_i32 v3, v2, 0, 8
	v_cvt_f32_i32_sdwa v3, sext(v3) dst_sel:DWORD dst_unused:UNUSED_PAD src0_sel:WORD_0
	s_mov_b32 s16, 0x43800000
	v_mov_b32_e32 v5, 0x80
	v_and_b32_e32 v4, 0x7fffffff, v3
	v_cmp_gt_u32_e32 vcc, s16, v4
	s_and_saveexec_b64 s[16:17], vcc
	s_cbranch_execz .LBB46_179
; %bb.174:
	s_mov_b32 s24, 0x3bffffff
	v_cmp_lt_u32_e32 vcc, s24, v4
	s_mov_b64 s[24:25], 0
                                        ; implicit-def: $vgpr4
	s_and_saveexec_b64 s[28:29], vcc
	s_xor_b64 s[28:29], exec, s[28:29]
	s_cbranch_execz .LBB46_404
; %bb.175:
	v_bfe_u32 v4, v3, 20, 1
	s_mov_b32 s34, 0x487ffff
	v_add3_u32 v4, v3, v4, s34
	s_mov_b64 s[24:25], exec
	v_lshrrev_b32_e32 v4, 20, v4
	s_andn2_saveexec_b64 s[28:29], s[28:29]
	s_cbranch_execnz .LBB46_405
.LBB46_176:
	s_or_b64 exec, exec, s[28:29]
	v_mov_b32_e32 v5, 0
	s_and_saveexec_b64 s[28:29], s[24:25]
.LBB46_177:
	v_lshrrev_b32_e32 v3, 24, v3
	s_movk_i32 s24, 0x80
	v_and_or_b32 v5, v3, s24, v4
.LBB46_178:
	s_or_b64 exec, exec, s[28:29]
.LBB46_179:
	s_or_b64 exec, exec, s[16:17]
	global_store_byte v[0:1], v5, off
.LBB46_180:
	s_mov_b64 s[16:17], -1
.LBB46_181:
	s_mov_b64 s[24:25], 0
.LBB46_182:
	s_and_b64 vcc, exec, s[24:25]
	s_cbranch_vccz .LBB46_223
; %bb.183:
	s_cmp_gt_i32 s31, 22
	s_mov_b64 s[24:25], -1
	s_cbranch_scc0 .LBB46_215
; %bb.184:
	s_cmp_lt_i32 s31, 24
	s_mov_b64 s[16:17], -1
	s_cbranch_scc1 .LBB46_204
; %bb.185:
	s_cmp_gt_i32 s31, 24
	s_cbranch_scc0 .LBB46_193
; %bb.186:
	v_bfe_i32 v3, v2, 0, 8
	v_cvt_f32_i32_sdwa v3, sext(v3) dst_sel:DWORD dst_unused:UNUSED_PAD src0_sel:WORD_0
	s_mov_b32 s16, 0x47800000
	v_mov_b32_e32 v5, 0x80
	v_and_b32_e32 v4, 0x7fffffff, v3
	v_cmp_gt_u32_e32 vcc, s16, v4
	s_and_saveexec_b64 s[16:17], vcc
	s_cbranch_execz .LBB46_192
; %bb.187:
	s_mov_b32 s24, 0x37ffffff
	v_cmp_lt_u32_e32 vcc, s24, v4
	s_mov_b64 s[24:25], 0
                                        ; implicit-def: $vgpr4
	s_and_saveexec_b64 s[28:29], vcc
	s_xor_b64 s[28:29], exec, s[28:29]
	s_cbranch_execz .LBB46_519
; %bb.188:
	v_bfe_u32 v4, v3, 21, 1
	s_mov_b32 s34, 0x88fffff
	v_add3_u32 v4, v3, v4, s34
	s_mov_b64 s[24:25], exec
	v_lshrrev_b32_e32 v4, 21, v4
	s_andn2_saveexec_b64 s[28:29], s[28:29]
	s_cbranch_execnz .LBB46_520
.LBB46_189:
	s_or_b64 exec, exec, s[28:29]
	v_mov_b32_e32 v5, 0
	s_and_saveexec_b64 s[28:29], s[24:25]
.LBB46_190:
	v_lshrrev_b32_e32 v3, 24, v3
	s_movk_i32 s24, 0x80
	v_and_or_b32 v5, v3, s24, v4
.LBB46_191:
	s_or_b64 exec, exec, s[28:29]
.LBB46_192:
	s_or_b64 exec, exec, s[16:17]
	s_mov_b64 s[16:17], 0
	global_store_byte v[0:1], v5, off
.LBB46_193:
	s_and_b64 vcc, exec, s[16:17]
	s_cbranch_vccz .LBB46_203
; %bb.194:
	v_bfe_i32 v3, v2, 0, 8
	v_cvt_f32_i32_sdwa v3, sext(v3) dst_sel:DWORD dst_unused:UNUSED_PAD src0_sel:WORD_0
	s_mov_b32 s16, 0x43f00000
                                        ; implicit-def: $vgpr4
	v_and_b32_e32 v5, 0x7fffffff, v3
	v_cmp_gt_u32_e32 vcc, s16, v5
	s_and_saveexec_b64 s[16:17], vcc
	s_xor_b64 s[16:17], exec, s[16:17]
	s_cbranch_execz .LBB46_200
; %bb.195:
	s_mov_b32 s24, 0x3c7fffff
	v_cmp_lt_u32_e32 vcc, s24, v5
                                        ; implicit-def: $vgpr4
	s_and_saveexec_b64 s[24:25], vcc
	s_xor_b64 s[24:25], exec, s[24:25]
; %bb.196:
	v_bfe_u32 v4, v3, 20, 1
	s_mov_b32 s28, 0x407ffff
	v_add3_u32 v4, v3, v4, s28
	v_lshrrev_b32_e32 v5, 20, v4
	v_and_b32_e32 v4, 0xff00000, v4
	s_mov_b32 s28, 0x7f00000
	v_mov_b32_e32 v6, 0x7e
	v_cmp_ne_u32_e32 vcc, s28, v4
	v_cndmask_b32_e32 v4, v6, v5, vcc
; %bb.197:
	s_andn2_saveexec_b64 s[24:25], s[24:25]
; %bb.198:
	s_mov_b32 s28, 0x46800000
	v_add_f32_e64 v4, |v3|, s28
; %bb.199:
	s_or_b64 exec, exec, s[24:25]
                                        ; implicit-def: $vgpr5
.LBB46_200:
	s_andn2_saveexec_b64 s[16:17], s[16:17]
; %bb.201:
	s_mov_b32 s24, 0x7f800000
	v_mov_b32_e32 v4, 0x7e
	v_mov_b32_e32 v6, 0x7f
	v_cmp_lt_u32_e32 vcc, s24, v5
	v_cndmask_b32_e32 v4, v4, v6, vcc
; %bb.202:
	s_or_b64 exec, exec, s[16:17]
	v_lshrrev_b32_e32 v3, 24, v3
	s_movk_i32 s16, 0x80
	v_and_or_b32 v3, v3, s16, v4
	global_store_byte v[0:1], v3, off
.LBB46_203:
	s_mov_b64 s[16:17], 0
.LBB46_204:
	s_andn2_b64 vcc, exec, s[16:17]
	s_cbranch_vccnz .LBB46_214
; %bb.205:
	v_bfe_i32 v3, v2, 0, 8
	v_cvt_f32_i32_sdwa v3, sext(v3) dst_sel:DWORD dst_unused:UNUSED_PAD src0_sel:WORD_0
	s_mov_b32 s16, 0x47800000
                                        ; implicit-def: $vgpr4
	v_and_b32_e32 v5, 0x7fffffff, v3
	v_cmp_gt_u32_e32 vcc, s16, v5
	s_and_saveexec_b64 s[16:17], vcc
	s_xor_b64 s[16:17], exec, s[16:17]
	s_cbranch_execz .LBB46_211
; %bb.206:
	s_mov_b32 s24, 0x387fffff
	v_cmp_lt_u32_e32 vcc, s24, v5
                                        ; implicit-def: $vgpr4
	s_and_saveexec_b64 s[24:25], vcc
	s_xor_b64 s[24:25], exec, s[24:25]
; %bb.207:
	v_bfe_u32 v4, v3, 21, 1
	s_mov_b32 s28, 0x80fffff
	v_add3_u32 v4, v3, v4, s28
	v_lshrrev_b32_e32 v4, 21, v4
; %bb.208:
	s_andn2_saveexec_b64 s[24:25], s[24:25]
; %bb.209:
	s_mov_b32 s28, 0x43000000
	v_add_f32_e64 v4, |v3|, s28
; %bb.210:
	s_or_b64 exec, exec, s[24:25]
                                        ; implicit-def: $vgpr5
.LBB46_211:
	s_andn2_saveexec_b64 s[16:17], s[16:17]
; %bb.212:
	s_mov_b32 s24, 0x7f800000
	v_mov_b32_e32 v4, 0x7c
	v_mov_b32_e32 v6, 0x7f
	v_cmp_lt_u32_e32 vcc, s24, v5
	v_cndmask_b32_e32 v4, v4, v6, vcc
; %bb.213:
	s_or_b64 exec, exec, s[16:17]
	v_lshrrev_b32_e32 v3, 24, v3
	s_movk_i32 s16, 0x80
	v_and_or_b32 v3, v3, s16, v4
	global_store_byte v[0:1], v3, off
.LBB46_214:
	s_mov_b64 s[24:25], 0
	s_mov_b64 s[16:17], -1
.LBB46_215:
	s_andn2_b64 vcc, exec, s[24:25]
	s_cbranch_vccnz .LBB46_223
; %bb.216:
	s_cmp_gt_i32 s31, 14
	s_mov_b64 s[24:25], -1
	s_cbranch_scc0 .LBB46_220
; %bb.217:
	s_cmp_eq_u32 s31, 15
	s_mov_b64 s[0:1], -1
	s_cbranch_scc0 .LBB46_219
; %bb.218:
	v_bfe_i32 v3, v2, 0, 8
	v_cvt_f32_i32_sdwa v3, sext(v3) dst_sel:DWORD dst_unused:UNUSED_PAD src0_sel:WORD_0
	s_movk_i32 s0, 0x7fff
	s_mov_b64 s[16:17], -1
	v_bfe_u32 v4, v3, 16, 1
	v_add3_u32 v3, v3, v4, s0
	global_store_short_d16_hi v[0:1], v3, off
	s_mov_b64 s[0:1], 0
.LBB46_219:
	s_mov_b64 s[24:25], 0
.LBB46_220:
	s_and_b64 vcc, exec, s[24:25]
	s_cbranch_vccz .LBB46_223
; %bb.221:
	s_cmp_eq_u32 s31, 11
	s_mov_b64 s[0:1], -1
	s_cbranch_scc0 .LBB46_223
; %bb.222:
	v_mov_b32_e32 v3, 0
	v_cmp_ne_u16_sdwa s[0:1], v2, v3 src0_sel:BYTE_0 src1_sel:DWORD
	v_cndmask_b32_e64 v3, 0, 1, s[0:1]
	s_mov_b64 s[16:17], -1
	s_mov_b64 s[0:1], 0
	global_store_byte v[0:1], v3, off
.LBB46_223:
	s_mov_b64 s[24:25], 0
.LBB46_224:
	s_and_b64 vcc, exec, s[24:25]
	s_cbranch_vccz .LBB46_263
; %bb.225:
	s_and_b32 s24, 0xffff, s30
	s_cmp_lt_i32 s24, 5
	s_mov_b64 s[16:17], -1
	s_cbranch_scc1 .LBB46_246
; %bb.226:
	s_cmp_lt_i32 s24, 8
	s_cbranch_scc1 .LBB46_236
; %bb.227:
	s_cmp_lt_i32 s24, 9
	s_cbranch_scc1 .LBB46_233
; %bb.228:
	s_cmp_gt_i32 s24, 9
	s_cbranch_scc0 .LBB46_230
; %bb.229:
	v_bfe_i32 v3, v2, 0, 8
	v_bfe_i32 v3, v3, 0, 16
	v_cvt_f64_i32_e32 v[3:4], v3
	v_mov_b32_e32 v5, 0
	v_mov_b32_e32 v6, v5
	s_mov_b64 s[16:17], 0
	global_store_dwordx4 v[0:1], v[3:6], off
.LBB46_230:
	s_andn2_b64 vcc, exec, s[16:17]
	s_cbranch_vccnz .LBB46_232
; %bb.231:
	v_bfe_i32 v3, v2, 0, 8
	v_cvt_f32_i32_sdwa v3, sext(v3) dst_sel:DWORD dst_unused:UNUSED_PAD src0_sel:WORD_0
	v_mov_b32_e32 v4, 0
	global_store_dwordx2 v[0:1], v[3:4], off
.LBB46_232:
	s_mov_b64 s[16:17], 0
.LBB46_233:
	s_andn2_b64 vcc, exec, s[16:17]
	s_cbranch_vccnz .LBB46_235
; %bb.234:
	v_cvt_f16_i16_sdwa v3, sext(v2) dst_sel:DWORD dst_unused:UNUSED_PAD src0_sel:BYTE_0
	global_store_dword v[0:1], v3, off
.LBB46_235:
	s_mov_b64 s[16:17], 0
.LBB46_236:
	s_andn2_b64 vcc, exec, s[16:17]
	s_cbranch_vccnz .LBB46_245
; %bb.237:
	s_cmp_lt_i32 s24, 6
	s_mov_b64 s[16:17], -1
	s_cbranch_scc1 .LBB46_243
; %bb.238:
	s_cmp_gt_i32 s24, 6
	s_cbranch_scc0 .LBB46_240
; %bb.239:
	v_bfe_i32 v3, v2, 0, 8
	v_bfe_i32 v3, v3, 0, 16
	v_cvt_f64_i32_e32 v[3:4], v3
	s_mov_b64 s[16:17], 0
	global_store_dwordx2 v[0:1], v[3:4], off
.LBB46_240:
	s_andn2_b64 vcc, exec, s[16:17]
	s_cbranch_vccnz .LBB46_242
; %bb.241:
	v_bfe_i32 v3, v2, 0, 8
	v_cvt_f32_i32_sdwa v3, sext(v3) dst_sel:DWORD dst_unused:UNUSED_PAD src0_sel:WORD_0
	global_store_dword v[0:1], v3, off
.LBB46_242:
	s_mov_b64 s[16:17], 0
.LBB46_243:
	s_andn2_b64 vcc, exec, s[16:17]
	s_cbranch_vccnz .LBB46_245
; %bb.244:
	v_cvt_f16_i16_sdwa v3, sext(v2) dst_sel:DWORD dst_unused:UNUSED_PAD src0_sel:BYTE_0
	global_store_short v[0:1], v3, off
.LBB46_245:
	s_mov_b64 s[16:17], 0
.LBB46_246:
	s_andn2_b64 vcc, exec, s[16:17]
	s_cbranch_vccnz .LBB46_262
; %bb.247:
	s_cmp_lt_i32 s24, 2
	s_mov_b64 s[16:17], -1
	s_cbranch_scc1 .LBB46_257
; %bb.248:
	s_cmp_lt_i32 s24, 3
	s_cbranch_scc1 .LBB46_254
; %bb.249:
	s_cmp_gt_i32 s24, 3
	s_cbranch_scc0 .LBB46_251
; %bb.250:
	v_bfe_i32 v3, v2, 0, 8
	v_ashrrev_i32_e32 v4, 31, v3
	global_store_dwordx2 v[0:1], v[3:4], off
	s_mov_b64 s[16:17], 0
.LBB46_251:
	s_andn2_b64 vcc, exec, s[16:17]
	s_cbranch_vccnz .LBB46_253
; %bb.252:
	v_bfe_i32 v3, v2, 0, 8
	global_store_dword v[0:1], v3, off
.LBB46_253:
	s_mov_b64 s[16:17], 0
.LBB46_254:
	s_andn2_b64 vcc, exec, s[16:17]
	s_cbranch_vccnz .LBB46_256
; %bb.255:
	v_bfe_i32 v3, v2, 0, 8
	global_store_short v[0:1], v3, off
.LBB46_256:
	s_mov_b64 s[16:17], 0
.LBB46_257:
	s_andn2_b64 vcc, exec, s[16:17]
	s_cbranch_vccnz .LBB46_262
; %bb.258:
	s_cmp_gt_i32 s24, 0
	s_mov_b64 s[16:17], -1
	s_cbranch_scc0 .LBB46_260
; %bb.259:
	global_store_byte v[0:1], v2, off
	s_mov_b64 s[16:17], 0
.LBB46_260:
	s_andn2_b64 vcc, exec, s[16:17]
	s_cbranch_vccnz .LBB46_262
; %bb.261:
	global_store_byte v[0:1], v2, off
.LBB46_262:
	s_mov_b64 s[16:17], -1
.LBB46_263:
	s_andn2_b64 vcc, exec, s[16:17]
	s_cbranch_vccnz .LBB46_265
; %bb.264:
	v_add_u32_e32 v14, 0x80, v14
	s_mov_b64 s[24:25], -1
	s_branch .LBB46_374
.LBB46_265:
	s_mov_b64 s[24:25], 0
                                        ; implicit-def: $vgpr14
	s_branch .LBB46_374
.LBB46_266:
	s_mov_b64 s[18:19], -1
                                        ; implicit-def: $vgpr3
.LBB46_267:
	s_mov_b64 s[16:17], 0
.LBB46_268:
	s_and_b64 vcc, exec, s[16:17]
	s_cbranch_vccz .LBB46_272
; %bb.269:
	s_cmp_eq_u32 s25, 29
	s_cbranch_scc0 .LBB46_271
; %bb.270:
	global_load_dwordx2 v[3:4], v[1:2], off
	s_mov_b64 s[0:1], -1
	s_mov_b64 s[18:19], 0
	s_branch .LBB46_272
.LBB46_271:
	s_mov_b64 s[18:19], -1
                                        ; implicit-def: $vgpr3
.LBB46_272:
	s_mov_b64 s[16:17], 0
.LBB46_273:
	s_and_b64 vcc, exec, s[16:17]
	s_cbranch_vccz .LBB46_289
; %bb.274:
	s_cmp_lt_i32 s25, 27
	s_cbranch_scc1 .LBB46_277
; %bb.275:
	s_cmp_gt_i32 s25, 27
	s_cbranch_scc0 .LBB46_278
; %bb.276:
	global_load_dword v3, v[1:2], off
	s_mov_b64 s[0:1], 0
	s_branch .LBB46_279
.LBB46_277:
	s_mov_b64 s[0:1], -1
                                        ; implicit-def: $vgpr3
	s_branch .LBB46_282
.LBB46_278:
	s_mov_b64 s[0:1], -1
                                        ; implicit-def: $vgpr3
.LBB46_279:
	s_andn2_b64 vcc, exec, s[0:1]
	s_cbranch_vccnz .LBB46_281
; %bb.280:
	global_load_ushort v3, v[1:2], off
.LBB46_281:
	s_mov_b64 s[0:1], 0
.LBB46_282:
	s_andn2_b64 vcc, exec, s[0:1]
	s_cbranch_vccnz .LBB46_288
; %bb.283:
	global_load_ubyte v4, v[1:2], off
	s_movk_i32 s0, 0x7f
	s_mov_b64 s[16:17], 0
	s_waitcnt vmcnt(0)
	v_cmp_lt_i16_e32 vcc, s0, v4
	s_and_saveexec_b64 s[0:1], vcc
	s_xor_b64 s[0:1], exec, s[0:1]
	s_cbranch_execz .LBB46_300
; %bb.284:
	s_movk_i32 s16, 0x80
	v_cmp_ne_u16_e32 vcc, s16, v4
	s_and_b64 s[16:17], vcc, exec
	s_andn2_saveexec_b64 s[0:1], s[0:1]
	s_cbranch_execnz .LBB46_301
.LBB46_285:
	s_or_b64 exec, exec, s[0:1]
	v_mov_b32_e32 v3, 0
	s_and_saveexec_b64 s[0:1], s[16:17]
	s_cbranch_execz .LBB46_287
.LBB46_286:
	v_lshlrev_b32_e32 v3, 24, v4
	v_and_b32_e32 v4, 0xffff, v4
	v_and_b32_e32 v5, 7, v4
	v_ffbh_u32_e32 v7, v5
	v_min_u32_e32 v7, 32, v7
	v_subrev_u32_e32 v8, 28, v7
	v_bfe_u32 v6, v4, 3, 4
	v_lshlrev_b32_e32 v4, v8, v4
	v_sub_u32_e32 v7, 29, v7
	v_and_b32_e32 v4, 7, v4
	v_cmp_eq_u32_e32 vcc, 0, v6
	v_cndmask_b32_e32 v6, v6, v7, vcc
	v_cndmask_b32_e32 v4, v5, v4, vcc
	v_mov_b32_e32 v5, 0x3b800000
	v_lshlrev_b32_e32 v4, 20, v4
	v_and_b32_e32 v3, 0x80000000, v3
	v_lshl_add_u32 v5, v6, 23, v5
	v_or3_b32 v3, v3, v5, v4
	v_cvt_i32_f32_e32 v3, v3
.LBB46_287:
	s_or_b64 exec, exec, s[0:1]
.LBB46_288:
	s_mov_b64 s[0:1], -1
.LBB46_289:
	s_mov_b64 s[16:17], 0
.LBB46_290:
	s_and_b64 vcc, exec, s[16:17]
	s_cbranch_vccz .LBB46_323
; %bb.291:
	s_cmp_gt_i32 s25, 22
	s_cbranch_scc0 .LBB46_299
; %bb.292:
	s_cmp_lt_i32 s25, 24
	s_cbranch_scc1 .LBB46_302
; %bb.293:
	s_cmp_gt_i32 s25, 24
	s_cbranch_scc0 .LBB46_303
; %bb.294:
	global_load_ubyte v4, v[1:2], off
	s_movk_i32 s0, 0x7f
	s_mov_b64 s[16:17], 0
	s_waitcnt vmcnt(0)
	v_cmp_lt_i16_e32 vcc, s0, v4
	s_and_saveexec_b64 s[0:1], vcc
	s_xor_b64 s[0:1], exec, s[0:1]
	s_cbranch_execz .LBB46_315
; %bb.295:
	s_movk_i32 s16, 0x80
	v_cmp_ne_u16_e32 vcc, s16, v4
	s_and_b64 s[16:17], vcc, exec
	s_andn2_saveexec_b64 s[0:1], s[0:1]
	s_cbranch_execnz .LBB46_316
.LBB46_296:
	s_or_b64 exec, exec, s[0:1]
	v_mov_b32_e32 v3, 0
	s_and_saveexec_b64 s[0:1], s[16:17]
	s_cbranch_execz .LBB46_298
.LBB46_297:
	v_lshlrev_b32_e32 v3, 24, v4
	v_and_b32_e32 v4, 0xffff, v4
	v_and_b32_e32 v5, 3, v4
	v_ffbh_u32_e32 v7, v5
	v_min_u32_e32 v7, 32, v7
	v_subrev_u32_e32 v8, 29, v7
	v_bfe_u32 v6, v4, 2, 5
	v_lshlrev_b32_e32 v4, v8, v4
	v_sub_u32_e32 v7, 30, v7
	v_and_b32_e32 v4, 3, v4
	v_cmp_eq_u32_e32 vcc, 0, v6
	v_cndmask_b32_e32 v6, v6, v7, vcc
	v_cndmask_b32_e32 v4, v5, v4, vcc
	v_mov_b32_e32 v5, 0x37800000
	v_lshlrev_b32_e32 v4, 21, v4
	v_and_b32_e32 v3, 0x80000000, v3
	v_lshl_add_u32 v5, v6, 23, v5
	v_or3_b32 v3, v3, v5, v4
	v_cvt_i32_f32_e32 v3, v3
.LBB46_298:
	s_or_b64 exec, exec, s[0:1]
	s_mov_b64 s[0:1], 0
	s_branch .LBB46_304
.LBB46_299:
	s_mov_b64 s[16:17], -1
                                        ; implicit-def: $vgpr3
	s_branch .LBB46_310
.LBB46_300:
	s_andn2_saveexec_b64 s[0:1], s[0:1]
	s_cbranch_execz .LBB46_285
.LBB46_301:
	v_cmp_ne_u16_e32 vcc, 0, v4
	s_andn2_b64 s[16:17], s[16:17], exec
	s_and_b64 s[28:29], vcc, exec
	s_or_b64 s[16:17], s[16:17], s[28:29]
	s_or_b64 exec, exec, s[0:1]
	v_mov_b32_e32 v3, 0
	s_and_saveexec_b64 s[0:1], s[16:17]
	s_cbranch_execnz .LBB46_286
	s_branch .LBB46_287
.LBB46_302:
	s_mov_b64 s[0:1], -1
                                        ; implicit-def: $vgpr3
	s_branch .LBB46_307
.LBB46_303:
	s_mov_b64 s[0:1], -1
                                        ; implicit-def: $vgpr3
.LBB46_304:
	s_and_b64 vcc, exec, s[0:1]
	s_cbranch_vccz .LBB46_306
; %bb.305:
	global_load_ubyte v3, v[1:2], off
	s_mov_b32 s0, 0x7f800000
	s_waitcnt vmcnt(0)
	v_lshlrev_b32_e32 v3, 24, v3
	v_and_b32_e32 v4, 0x7f000000, v3
	v_ffbh_u32_e32 v5, v4
	v_min_u32_e32 v5, 32, v5
	v_sub_u32_e64 v5, v5, 4 clamp
	v_lshlrev_b32_e32 v7, v5, v4
	v_lshlrev_b32_e32 v5, 23, v5
	v_lshrrev_b32_e32 v7, 4, v7
	v_add_u32_e32 v6, 0x1000000, v4
	v_sub_u32_e32 v5, v7, v5
	v_ashrrev_i32_e32 v6, 8, v6
	v_add_u32_e32 v5, 0x3c000000, v5
	v_and_or_b32 v5, v6, s0, v5
	v_cmp_ne_u32_e32 vcc, 0, v4
	v_cndmask_b32_e32 v4, 0, v5, vcc
	s_brev_b32 s0, 1
	v_and_or_b32 v3, v3, s0, v4
	v_cvt_i32_f32_e32 v3, v3
.LBB46_306:
	s_mov_b64 s[0:1], 0
.LBB46_307:
	s_andn2_b64 vcc, exec, s[0:1]
	s_cbranch_vccnz .LBB46_309
; %bb.308:
	global_load_ubyte v3, v[1:2], off
	s_movk_i32 s0, 0x7f00
	s_brev_b32 s1, 16
	s_waitcnt vmcnt(0)
	v_lshlrev_b16_e32 v4, 8, v3
	v_lshlrev_b32_e32 v3, 25, v3
	v_lshrrev_b32_e32 v5, 4, v3
	v_and_or_b32 v6, v4, s0, 0.5
	v_or_b32_e32 v5, 0x70000000, v5
	v_add_f32_e32 v6, -0.5, v6
	v_mul_f32_e32 v5, 0x7800000, v5
	v_cmp_gt_u32_e32 vcc, s1, v3
	v_bfe_i32 v4, v4, 0, 16
	v_cndmask_b32_e32 v3, v5, v6, vcc
	s_brev_b32 s0, 1
	v_and_or_b32 v3, v4, s0, v3
	v_cvt_i32_f32_e32 v3, v3
.LBB46_309:
	s_mov_b64 s[16:17], 0
	s_mov_b64 s[0:1], -1
.LBB46_310:
	s_andn2_b64 vcc, exec, s[16:17]
	s_cbranch_vccnz .LBB46_323
; %bb.311:
	s_cmp_gt_i32 s25, 14
	s_cbranch_scc0 .LBB46_314
; %bb.312:
	s_cmp_eq_u32 s25, 15
	s_cbranch_scc0 .LBB46_317
; %bb.313:
	global_load_ushort v3, v[1:2], off
	s_mov_b64 s[0:1], -1
	s_mov_b64 s[18:19], 0
	s_waitcnt vmcnt(0)
	v_lshlrev_b32_e32 v3, 16, v3
	v_cvt_i32_f32_e32 v3, v3
	s_branch .LBB46_318
.LBB46_314:
	s_mov_b64 s[16:17], -1
                                        ; implicit-def: $vgpr3
	s_branch .LBB46_319
.LBB46_315:
	s_andn2_saveexec_b64 s[0:1], s[0:1]
	s_cbranch_execz .LBB46_296
.LBB46_316:
	v_cmp_ne_u16_e32 vcc, 0, v4
	s_andn2_b64 s[16:17], s[16:17], exec
	s_and_b64 s[28:29], vcc, exec
	s_or_b64 s[16:17], s[16:17], s[28:29]
	s_or_b64 exec, exec, s[0:1]
	v_mov_b32_e32 v3, 0
	s_and_saveexec_b64 s[0:1], s[16:17]
	s_cbranch_execnz .LBB46_297
	s_branch .LBB46_298
.LBB46_317:
	s_mov_b64 s[18:19], -1
                                        ; implicit-def: $vgpr3
.LBB46_318:
	s_mov_b64 s[16:17], 0
.LBB46_319:
	s_and_b64 vcc, exec, s[16:17]
	s_cbranch_vccz .LBB46_323
; %bb.320:
	s_cmp_eq_u32 s25, 11
	s_cbranch_scc0 .LBB46_322
; %bb.321:
	global_load_ubyte v3, v[1:2], off
	s_mov_b64 s[0:1], -1
	s_mov_b64 s[18:19], 0
	s_waitcnt vmcnt(0)
	v_cmp_ne_u16_e32 vcc, 0, v3
	v_cndmask_b32_e64 v3, 0, 1, vcc
	s_branch .LBB46_323
.LBB46_322:
	s_mov_b64 s[18:19], -1
                                        ; implicit-def: $vgpr3
.LBB46_323:
	s_branch .LBB46_20
.LBB46_324:
	s_and_b32 s16, 0xffff, s24
	s_cmp_lt_i32 s16, 5
	s_cbranch_scc1 .LBB46_329
; %bb.325:
	s_cmp_lt_i32 s16, 8
	s_cbranch_scc1 .LBB46_330
; %bb.326:
	;; [unrolled: 3-line block ×3, first 2 shown]
	s_cmp_gt_i32 s16, 9
	s_cbranch_scc0 .LBB46_332
; %bb.328:
	global_load_dwordx2 v[3:4], v[1:2], off
	s_mov_b64 s[0:1], 0
	s_waitcnt vmcnt(0)
	v_cvt_i32_f64_e32 v3, v[3:4]
	s_branch .LBB46_333
.LBB46_329:
	s_mov_b64 s[0:1], -1
                                        ; implicit-def: $vgpr3
	s_branch .LBB46_351
.LBB46_330:
	s_mov_b64 s[0:1], -1
                                        ; implicit-def: $vgpr3
	s_branch .LBB46_339
.LBB46_331:
	s_mov_b64 s[0:1], -1
                                        ; implicit-def: $vgpr3
	s_branch .LBB46_336
.LBB46_332:
	s_mov_b64 s[0:1], -1
                                        ; implicit-def: $vgpr3
.LBB46_333:
	s_andn2_b64 vcc, exec, s[0:1]
	s_cbranch_vccnz .LBB46_335
; %bb.334:
	global_load_dword v3, v[1:2], off
	s_waitcnt vmcnt(0)
	v_cvt_i32_f32_e32 v3, v3
.LBB46_335:
	s_mov_b64 s[0:1], 0
.LBB46_336:
	s_andn2_b64 vcc, exec, s[0:1]
	s_cbranch_vccnz .LBB46_338
; %bb.337:
	global_load_dword v3, v[1:2], off
	s_waitcnt vmcnt(0)
	v_cvt_i16_f16_e32 v3, v3
.LBB46_338:
	s_mov_b64 s[0:1], 0
.LBB46_339:
	s_andn2_b64 vcc, exec, s[0:1]
	s_cbranch_vccnz .LBB46_350
; %bb.340:
	s_cmp_lt_i32 s16, 6
	s_cbranch_scc1 .LBB46_343
; %bb.341:
	s_cmp_gt_i32 s16, 6
	s_cbranch_scc0 .LBB46_344
; %bb.342:
	global_load_dwordx2 v[3:4], v[1:2], off
	s_mov_b64 s[0:1], 0
	s_waitcnt vmcnt(0)
	v_cvt_i32_f64_e32 v3, v[3:4]
	s_branch .LBB46_345
.LBB46_343:
	s_mov_b64 s[0:1], -1
                                        ; implicit-def: $vgpr3
	s_branch .LBB46_348
.LBB46_344:
	s_mov_b64 s[0:1], -1
                                        ; implicit-def: $vgpr3
.LBB46_345:
	s_andn2_b64 vcc, exec, s[0:1]
	s_cbranch_vccnz .LBB46_347
; %bb.346:
	global_load_dword v3, v[1:2], off
	s_waitcnt vmcnt(0)
	v_cvt_i32_f32_e32 v3, v3
.LBB46_347:
	s_mov_b64 s[0:1], 0
.LBB46_348:
	s_andn2_b64 vcc, exec, s[0:1]
	s_cbranch_vccnz .LBB46_350
; %bb.349:
	global_load_ushort v3, v[1:2], off
	s_waitcnt vmcnt(0)
	v_cvt_i16_f16_e32 v3, v3
.LBB46_350:
	s_mov_b64 s[0:1], 0
.LBB46_351:
	s_andn2_b64 vcc, exec, s[0:1]
	s_cbranch_vccnz .LBB46_371
; %bb.352:
	s_cmp_lt_i32 s16, 2
	s_cbranch_scc1 .LBB46_356
; %bb.353:
	s_cmp_lt_i32 s16, 3
	s_cbranch_scc1 .LBB46_357
; %bb.354:
	s_cmp_gt_i32 s16, 3
	s_cbranch_scc0 .LBB46_358
; %bb.355:
	global_load_dwordx2 v[3:4], v[1:2], off
	s_mov_b64 s[0:1], 0
	s_branch .LBB46_359
.LBB46_356:
	s_mov_b64 s[0:1], -1
                                        ; implicit-def: $vgpr3
	s_branch .LBB46_365
.LBB46_357:
	s_mov_b64 s[0:1], -1
                                        ; implicit-def: $vgpr3
	s_branch .LBB46_362
.LBB46_358:
	s_mov_b64 s[0:1], -1
                                        ; implicit-def: $vgpr3
.LBB46_359:
	s_andn2_b64 vcc, exec, s[0:1]
	s_cbranch_vccnz .LBB46_361
; %bb.360:
	global_load_dword v3, v[1:2], off
.LBB46_361:
	s_mov_b64 s[0:1], 0
.LBB46_362:
	s_andn2_b64 vcc, exec, s[0:1]
	s_cbranch_vccnz .LBB46_364
; %bb.363:
	global_load_ushort v3, v[1:2], off
.LBB46_364:
	s_mov_b64 s[0:1], 0
.LBB46_365:
	s_andn2_b64 vcc, exec, s[0:1]
	s_cbranch_vccnz .LBB46_371
; %bb.366:
	s_cmp_gt_i32 s16, 0
	s_cbranch_scc0 .LBB46_368
; %bb.367:
	global_load_ubyte v3, v[1:2], off
	s_mov_b64 s[0:1], 0
	s_branch .LBB46_369
.LBB46_368:
	s_mov_b64 s[0:1], -1
                                        ; implicit-def: $vgpr3
.LBB46_369:
	s_andn2_b64 vcc, exec, s[0:1]
	s_cbranch_vccnz .LBB46_371
; %bb.370:
	global_load_ubyte v3, v[1:2], off
.LBB46_371:
	s_branch .LBB46_21
.LBB46_372:
	s_mov_b64 s[0:1], 0
.LBB46_373:
                                        ; implicit-def: $vgpr14
	s_mov_b64 s[24:25], 0
.LBB46_374:
	s_and_b64 s[16:17], s[0:1], exec
	s_and_b64 s[18:19], s[18:19], exec
	;; [unrolled: 1-line block ×3, first 2 shown]
	s_orn2_b64 s[0:1], s[24:25], exec
.LBB46_375:
	s_or_b64 exec, exec, s[22:23]
	s_mov_b64 s[30:31], 0
	s_mov_b64 s[28:29], 0
                                        ; implicit-def: $vgpr2_vgpr3
                                        ; implicit-def: $vgpr0
	s_and_saveexec_b64 s[22:23], s[0:1]
	s_cbranch_execz .LBB46_384
; %bb.376:
	v_cmp_gt_i32_e32 vcc, s48, v14
	s_mov_b64 s[0:1], -1
	s_mov_b64 s[24:25], s[20:21]
	s_mov_b64 s[26:27], s[18:19]
	;; [unrolled: 1-line block ×3, first 2 shown]
	s_and_saveexec_b64 s[30:31], vcc
	s_cbranch_execz .LBB46_757
; %bb.377:
	s_waitcnt vmcnt(0)
	v_mul_lo_u32 v0, v14, s13
	v_mov_b32_e32 v1, s11
	s_and_b32 s28, 0xffff, s56
	s_cmp_lt_i32 s28, 11
	v_ashrrev_i32_e32 v3, 31, v0
	v_add_co_u32_e32 v2, vcc, s10, v0
	v_addc_co_u32_e32 v3, vcc, v1, v3, vcc
	s_cbranch_scc1 .LBB46_387
; %bb.378:
	s_cmp_gt_i32 s28, 25
	s_cbranch_scc0 .LBB46_396
; %bb.379:
	s_cmp_gt_i32 s28, 28
	s_cbranch_scc0 .LBB46_398
	;; [unrolled: 3-line block ×4, first 2 shown]
; %bb.382:
	s_cmp_eq_u32 s28, 46
	s_mov_b64 s[26:27], 0
	s_cbranch_scc0 .LBB46_406
; %bb.383:
	global_load_dword v0, v[2:3], off
	s_mov_b64 s[24:25], 0
	s_waitcnt vmcnt(0)
	v_lshlrev_b32_e32 v0, 16, v0
	v_cvt_i32_f32_e32 v0, v0
	s_branch .LBB46_407
.LBB46_384:
	s_or_b64 exec, exec, s[22:23]
	s_mov_b64 s[22:23], 0
	s_and_saveexec_b64 s[0:1], s[20:21]
	s_cbranch_execnz .LBB46_1220
.LBB46_385:
	s_or_b64 exec, exec, s[0:1]
	s_and_saveexec_b64 s[0:1], s[26:27]
	s_xor_b64 s[0:1], exec, s[0:1]
	s_cbranch_execz .LBB46_1221
.LBB46_386:
	s_waitcnt vmcnt(0)
	global_load_ubyte v0, v[2:3], off
	s_or_b64 s[28:29], s[28:29], exec
	s_waitcnt vmcnt(0)
	v_cmp_ne_u16_e32 vcc, 0, v0
	v_cndmask_b32_e64 v0, 0, 1, vcc
	s_or_b64 exec, exec, s[0:1]
	s_and_saveexec_b64 s[0:1], s[30:31]
	s_cbranch_execz .LBB46_1267
	s_branch .LBB46_1222
.LBB46_387:
	s_mov_b64 s[0:1], 0
                                        ; implicit-def: $vgpr0
	s_mov_b64 s[24:25], s[20:21]
	s_cbranch_execnz .LBB46_469
.LBB46_388:
	s_andn2_b64 vcc, exec, s[0:1]
	s_cbranch_vccnz .LBB46_517
.LBB46_389:
	s_waitcnt vmcnt(0)
	v_mul_lo_u32 v1, v14, s14
	v_mov_b32_e32 v2, s3
	s_and_b32 s34, s15, 0xff
	s_cmp_lt_i32 s34, 11
	v_ashrrev_i32_e32 v3, 31, v1
	v_add_co_u32_e32 v1, vcc, s2, v1
	v_addc_co_u32_e32 v2, vcc, v2, v3, vcc
	s_cbranch_scc1 .LBB46_397
; %bb.390:
	s_and_b32 s35, 0xffff, s34
	s_cmp_gt_i32 s35, 25
	s_cbranch_scc0 .LBB46_399
; %bb.391:
	s_cmp_gt_i32 s35, 28
	s_cbranch_scc0 .LBB46_401
; %bb.392:
	;; [unrolled: 3-line block ×4, first 2 shown]
	s_cmp_eq_u32 s35, 46
	s_mov_b64 s[28:29], 0
	s_cbranch_scc0 .LBB46_521
; %bb.395:
	global_load_dword v3, v[1:2], off
	s_mov_b64 s[0:1], -1
	s_mov_b64 s[26:27], 0
	s_waitcnt vmcnt(0)
	v_lshlrev_b32_e32 v3, 16, v3
	v_cvt_i32_f32_e32 v3, v3
	s_branch .LBB46_522
.LBB46_396:
	s_mov_b64 s[26:27], -1
	s_mov_b64 s[0:1], 0
	s_mov_b64 s[24:25], s[20:21]
                                        ; implicit-def: $vgpr0
	s_branch .LBB46_435
.LBB46_397:
	s_mov_b64 s[28:29], -1
	s_mov_b64 s[0:1], 0
                                        ; implicit-def: $vgpr3
	s_mov_b64 s[26:27], s[18:19]
	s_branch .LBB46_583
.LBB46_398:
	s_mov_b64 s[26:27], -1
	s_mov_b64 s[0:1], 0
	s_mov_b64 s[24:25], s[20:21]
                                        ; implicit-def: $vgpr0
	s_branch .LBB46_418
.LBB46_399:
	s_mov_b64 s[28:29], -1
	s_mov_b64 s[0:1], 0
	s_mov_b64 s[26:27], s[18:19]
                                        ; implicit-def: $vgpr3
	s_branch .LBB46_549
.LBB46_400:
	s_mov_b64 s[26:27], -1
	s_mov_b64 s[0:1], 0
	s_mov_b64 s[24:25], s[20:21]
                                        ; implicit-def: $vgpr0
	s_branch .LBB46_413
.LBB46_401:
	s_mov_b64 s[28:29], -1
	s_mov_b64 s[0:1], 0
	s_mov_b64 s[26:27], s[18:19]
                                        ; implicit-def: $vgpr3
	s_branch .LBB46_532
.LBB46_402:
	s_mov_b64 s[26:27], -1
	s_mov_b64 s[0:1], 0
	s_mov_b64 s[24:25], s[20:21]
                                        ; implicit-def: $vgpr0
	s_branch .LBB46_407
.LBB46_403:
	s_mov_b64 s[28:29], -1
	s_mov_b64 s[0:1], 0
	s_mov_b64 s[26:27], s[18:19]
                                        ; implicit-def: $vgpr3
	s_branch .LBB46_527
.LBB46_404:
	s_andn2_saveexec_b64 s[28:29], s[28:29]
	s_cbranch_execz .LBB46_176
.LBB46_405:
	s_mov_b32 s34, 0x46000000
	v_add_f32_e64 v4, |v3|, s34
	v_and_b32_e32 v4, 0xff, v4
	v_cmp_ne_u32_e32 vcc, 0, v4
	s_andn2_b64 s[24:25], s[24:25], exec
	s_and_b64 s[34:35], vcc, exec
	s_or_b64 s[24:25], s[24:25], s[34:35]
	s_or_b64 exec, exec, s[28:29]
	v_mov_b32_e32 v5, 0
	s_and_saveexec_b64 s[28:29], s[24:25]
	s_cbranch_execnz .LBB46_177
	s_branch .LBB46_178
.LBB46_406:
	s_mov_b64 s[24:25], -1
                                        ; implicit-def: $vgpr0
	s_mov_b64 s[0:1], 0
.LBB46_407:
	s_and_b64 vcc, exec, s[26:27]
	s_cbranch_vccz .LBB46_412
; %bb.408:
	s_cmp_eq_u32 s28, 44
	s_cbranch_scc0 .LBB46_411
; %bb.409:
	global_load_ubyte v0, v[2:3], off
	s_mov_b64 s[0:1], -1
	s_mov_b64 s[24:25], 0
	s_waitcnt vmcnt(0)
	v_lshlrev_b32_e32 v1, 23, v0
	v_cvt_i32_f32_e32 v1, v1
	v_cmp_ne_u32_e32 vcc, 0, v0
	v_cndmask_b32_e32 v0, 0, v1, vcc
	s_branch .LBB46_412
.LBB46_410:
	s_mov_b64 s[28:29], -1
	s_mov_b64 s[0:1], 0
	s_mov_b64 s[26:27], s[18:19]
                                        ; implicit-def: $vgpr3
	s_branch .LBB46_522
.LBB46_411:
	s_mov_b64 s[24:25], -1
                                        ; implicit-def: $vgpr0
.LBB46_412:
	s_mov_b64 s[26:27], 0
.LBB46_413:
	s_and_b64 vcc, exec, s[26:27]
	s_cbranch_vccz .LBB46_417
; %bb.414:
	s_cmp_eq_u32 s28, 29
	s_cbranch_scc0 .LBB46_416
; %bb.415:
	global_load_dwordx2 v[0:1], v[2:3], off
	s_mov_b64 s[0:1], -1
	s_mov_b64 s[24:25], 0
	s_branch .LBB46_417
.LBB46_416:
	s_mov_b64 s[24:25], -1
                                        ; implicit-def: $vgpr0
.LBB46_417:
	s_mov_b64 s[26:27], 0
.LBB46_418:
	s_and_b64 vcc, exec, s[26:27]
	s_cbranch_vccz .LBB46_434
; %bb.419:
	s_cmp_lt_i32 s28, 27
	s_cbranch_scc1 .LBB46_422
; %bb.420:
	s_cmp_gt_i32 s28, 27
	s_cbranch_scc0 .LBB46_423
; %bb.421:
	global_load_dword v0, v[2:3], off
	s_mov_b64 s[0:1], 0
	s_branch .LBB46_424
.LBB46_422:
	s_mov_b64 s[0:1], -1
                                        ; implicit-def: $vgpr0
	s_branch .LBB46_427
.LBB46_423:
	s_mov_b64 s[0:1], -1
                                        ; implicit-def: $vgpr0
.LBB46_424:
	s_andn2_b64 vcc, exec, s[0:1]
	s_cbranch_vccnz .LBB46_426
; %bb.425:
	global_load_ushort v0, v[2:3], off
.LBB46_426:
	s_mov_b64 s[0:1], 0
.LBB46_427:
	s_andn2_b64 vcc, exec, s[0:1]
	s_cbranch_vccnz .LBB46_433
; %bb.428:
	global_load_ubyte v1, v[2:3], off
	s_movk_i32 s0, 0x7f
	s_mov_b64 s[26:27], 0
	s_waitcnt vmcnt(0)
	v_cmp_lt_i16_e32 vcc, s0, v1
	s_and_saveexec_b64 s[0:1], vcc
	s_xor_b64 s[0:1], exec, s[0:1]
	s_cbranch_execz .LBB46_445
; %bb.429:
	s_movk_i32 s26, 0x80
	v_cmp_ne_u16_e32 vcc, s26, v1
	s_and_b64 s[26:27], vcc, exec
	s_andn2_saveexec_b64 s[0:1], s[0:1]
	s_cbranch_execnz .LBB46_446
.LBB46_430:
	s_or_b64 exec, exec, s[0:1]
	v_mov_b32_e32 v0, 0
	s_and_saveexec_b64 s[0:1], s[26:27]
	s_cbranch_execz .LBB46_432
.LBB46_431:
	v_lshlrev_b32_e32 v0, 24, v1
	v_and_b32_e32 v1, 0xffff, v1
	v_and_b32_e32 v4, 7, v1
	v_ffbh_u32_e32 v6, v4
	v_min_u32_e32 v6, 32, v6
	v_subrev_u32_e32 v7, 28, v6
	v_bfe_u32 v5, v1, 3, 4
	v_lshlrev_b32_e32 v1, v7, v1
	v_sub_u32_e32 v6, 29, v6
	v_and_b32_e32 v1, 7, v1
	v_cmp_eq_u32_e32 vcc, 0, v5
	v_cndmask_b32_e32 v5, v5, v6, vcc
	v_cndmask_b32_e32 v1, v4, v1, vcc
	v_mov_b32_e32 v4, 0x3b800000
	v_lshlrev_b32_e32 v1, 20, v1
	v_and_b32_e32 v0, 0x80000000, v0
	v_lshl_add_u32 v4, v5, 23, v4
	v_or3_b32 v0, v0, v4, v1
	v_cvt_i32_f32_e32 v0, v0
.LBB46_432:
	s_or_b64 exec, exec, s[0:1]
.LBB46_433:
	s_mov_b64 s[0:1], -1
.LBB46_434:
	s_mov_b64 s[26:27], 0
.LBB46_435:
	s_and_b64 vcc, exec, s[26:27]
	s_cbranch_vccz .LBB46_468
; %bb.436:
	s_cmp_gt_i32 s28, 22
	s_cbranch_scc0 .LBB46_444
; %bb.437:
	s_cmp_lt_i32 s28, 24
	s_cbranch_scc1 .LBB46_447
; %bb.438:
	s_cmp_gt_i32 s28, 24
	s_cbranch_scc0 .LBB46_448
; %bb.439:
	global_load_ubyte v1, v[2:3], off
	s_movk_i32 s0, 0x7f
	s_mov_b64 s[26:27], 0
	s_waitcnt vmcnt(0)
	v_cmp_lt_i16_e32 vcc, s0, v1
	s_and_saveexec_b64 s[0:1], vcc
	s_xor_b64 s[0:1], exec, s[0:1]
	s_cbranch_execz .LBB46_460
; %bb.440:
	s_movk_i32 s26, 0x80
	v_cmp_ne_u16_e32 vcc, s26, v1
	s_and_b64 s[26:27], vcc, exec
	s_andn2_saveexec_b64 s[0:1], s[0:1]
	s_cbranch_execnz .LBB46_461
.LBB46_441:
	s_or_b64 exec, exec, s[0:1]
	v_mov_b32_e32 v0, 0
	s_and_saveexec_b64 s[0:1], s[26:27]
	s_cbranch_execz .LBB46_443
.LBB46_442:
	v_lshlrev_b32_e32 v0, 24, v1
	v_and_b32_e32 v1, 0xffff, v1
	v_and_b32_e32 v4, 3, v1
	v_ffbh_u32_e32 v6, v4
	v_min_u32_e32 v6, 32, v6
	v_subrev_u32_e32 v7, 29, v6
	v_bfe_u32 v5, v1, 2, 5
	v_lshlrev_b32_e32 v1, v7, v1
	v_sub_u32_e32 v6, 30, v6
	v_and_b32_e32 v1, 3, v1
	v_cmp_eq_u32_e32 vcc, 0, v5
	v_cndmask_b32_e32 v5, v5, v6, vcc
	v_cndmask_b32_e32 v1, v4, v1, vcc
	v_mov_b32_e32 v4, 0x37800000
	v_lshlrev_b32_e32 v1, 21, v1
	v_and_b32_e32 v0, 0x80000000, v0
	v_lshl_add_u32 v4, v5, 23, v4
	v_or3_b32 v0, v0, v4, v1
	v_cvt_i32_f32_e32 v0, v0
.LBB46_443:
	s_or_b64 exec, exec, s[0:1]
	s_mov_b64 s[0:1], 0
	s_branch .LBB46_449
.LBB46_444:
	s_mov_b64 s[26:27], -1
                                        ; implicit-def: $vgpr0
	s_branch .LBB46_455
.LBB46_445:
	s_andn2_saveexec_b64 s[0:1], s[0:1]
	s_cbranch_execz .LBB46_430
.LBB46_446:
	v_cmp_ne_u16_e32 vcc, 0, v1
	s_andn2_b64 s[26:27], s[26:27], exec
	s_and_b64 s[34:35], vcc, exec
	s_or_b64 s[26:27], s[26:27], s[34:35]
	s_or_b64 exec, exec, s[0:1]
	v_mov_b32_e32 v0, 0
	s_and_saveexec_b64 s[0:1], s[26:27]
	s_cbranch_execnz .LBB46_431
	s_branch .LBB46_432
.LBB46_447:
	s_mov_b64 s[0:1], -1
                                        ; implicit-def: $vgpr0
	s_branch .LBB46_452
.LBB46_448:
	s_mov_b64 s[0:1], -1
                                        ; implicit-def: $vgpr0
.LBB46_449:
	s_and_b64 vcc, exec, s[0:1]
	s_cbranch_vccz .LBB46_451
; %bb.450:
	global_load_ubyte v0, v[2:3], off
	s_mov_b32 s0, 0x7f800000
	s_waitcnt vmcnt(0)
	v_lshlrev_b32_e32 v0, 24, v0
	v_and_b32_e32 v1, 0x7f000000, v0
	v_ffbh_u32_e32 v4, v1
	v_min_u32_e32 v4, 32, v4
	v_sub_u32_e64 v4, v4, 4 clamp
	v_lshlrev_b32_e32 v6, v4, v1
	v_lshlrev_b32_e32 v4, 23, v4
	v_lshrrev_b32_e32 v6, 4, v6
	v_add_u32_e32 v5, 0x1000000, v1
	v_sub_u32_e32 v4, v6, v4
	v_ashrrev_i32_e32 v5, 8, v5
	v_add_u32_e32 v4, 0x3c000000, v4
	v_and_or_b32 v4, v5, s0, v4
	v_cmp_ne_u32_e32 vcc, 0, v1
	v_cndmask_b32_e32 v1, 0, v4, vcc
	s_brev_b32 s0, 1
	v_and_or_b32 v0, v0, s0, v1
	v_cvt_i32_f32_e32 v0, v0
.LBB46_451:
	s_mov_b64 s[0:1], 0
.LBB46_452:
	s_andn2_b64 vcc, exec, s[0:1]
	s_cbranch_vccnz .LBB46_454
; %bb.453:
	global_load_ubyte v0, v[2:3], off
	s_movk_i32 s0, 0x7f00
	s_brev_b32 s1, 16
	s_waitcnt vmcnt(0)
	v_lshlrev_b16_e32 v1, 8, v0
	v_lshlrev_b32_e32 v0, 25, v0
	v_lshrrev_b32_e32 v4, 4, v0
	v_and_or_b32 v5, v1, s0, 0.5
	v_or_b32_e32 v4, 0x70000000, v4
	v_add_f32_e32 v5, -0.5, v5
	v_mul_f32_e32 v4, 0x7800000, v4
	v_cmp_gt_u32_e32 vcc, s1, v0
	v_bfe_i32 v1, v1, 0, 16
	v_cndmask_b32_e32 v0, v4, v5, vcc
	s_brev_b32 s0, 1
	v_and_or_b32 v0, v1, s0, v0
	v_cvt_i32_f32_e32 v0, v0
.LBB46_454:
	s_mov_b64 s[26:27], 0
	s_mov_b64 s[0:1], -1
.LBB46_455:
	s_andn2_b64 vcc, exec, s[26:27]
	s_cbranch_vccnz .LBB46_468
; %bb.456:
	s_cmp_gt_i32 s28, 14
	s_cbranch_scc0 .LBB46_459
; %bb.457:
	s_cmp_eq_u32 s28, 15
	s_cbranch_scc0 .LBB46_462
; %bb.458:
	global_load_ushort v0, v[2:3], off
	s_mov_b64 s[0:1], -1
	s_mov_b64 s[24:25], 0
	s_waitcnt vmcnt(0)
	v_lshlrev_b32_e32 v0, 16, v0
	v_cvt_i32_f32_e32 v0, v0
	s_branch .LBB46_463
.LBB46_459:
	s_mov_b64 s[26:27], -1
                                        ; implicit-def: $vgpr0
	s_branch .LBB46_464
.LBB46_460:
	s_andn2_saveexec_b64 s[0:1], s[0:1]
	s_cbranch_execz .LBB46_441
.LBB46_461:
	v_cmp_ne_u16_e32 vcc, 0, v1
	s_andn2_b64 s[26:27], s[26:27], exec
	s_and_b64 s[34:35], vcc, exec
	s_or_b64 s[26:27], s[26:27], s[34:35]
	s_or_b64 exec, exec, s[0:1]
	v_mov_b32_e32 v0, 0
	s_and_saveexec_b64 s[0:1], s[26:27]
	s_cbranch_execnz .LBB46_442
	s_branch .LBB46_443
.LBB46_462:
	s_mov_b64 s[24:25], -1
                                        ; implicit-def: $vgpr0
.LBB46_463:
	s_mov_b64 s[26:27], 0
.LBB46_464:
	s_and_b64 vcc, exec, s[26:27]
	s_cbranch_vccz .LBB46_468
; %bb.465:
	s_cmp_eq_u32 s28, 11
	s_cbranch_scc0 .LBB46_467
; %bb.466:
	global_load_ubyte v0, v[2:3], off
	s_mov_b64 s[0:1], -1
	s_mov_b64 s[24:25], 0
	s_waitcnt vmcnt(0)
	v_cmp_ne_u16_e32 vcc, 0, v0
	v_cndmask_b32_e64 v0, 0, 1, vcc
	s_branch .LBB46_468
.LBB46_467:
	s_mov_b64 s[24:25], -1
                                        ; implicit-def: $vgpr0
.LBB46_468:
	s_branch .LBB46_388
.LBB46_469:
	s_cmp_lt_i32 s28, 5
	s_cbranch_scc1 .LBB46_474
; %bb.470:
	s_cmp_lt_i32 s28, 8
	s_cbranch_scc1 .LBB46_475
; %bb.471:
	;; [unrolled: 3-line block ×3, first 2 shown]
	s_cmp_gt_i32 s28, 9
	s_cbranch_scc0 .LBB46_477
; %bb.473:
	global_load_dwordx2 v[0:1], v[2:3], off
	s_mov_b64 s[0:1], 0
	s_waitcnt vmcnt(0)
	v_cvt_i32_f64_e32 v0, v[0:1]
	s_branch .LBB46_478
.LBB46_474:
	s_mov_b64 s[0:1], -1
                                        ; implicit-def: $vgpr0
	s_branch .LBB46_496
.LBB46_475:
	s_mov_b64 s[0:1], -1
                                        ; implicit-def: $vgpr0
	s_branch .LBB46_484
.LBB46_476:
	s_mov_b64 s[0:1], -1
                                        ; implicit-def: $vgpr0
	s_branch .LBB46_481
.LBB46_477:
	s_mov_b64 s[0:1], -1
                                        ; implicit-def: $vgpr0
.LBB46_478:
	s_andn2_b64 vcc, exec, s[0:1]
	s_cbranch_vccnz .LBB46_480
; %bb.479:
	global_load_dword v0, v[2:3], off
	s_waitcnt vmcnt(0)
	v_cvt_i32_f32_e32 v0, v0
.LBB46_480:
	s_mov_b64 s[0:1], 0
.LBB46_481:
	s_andn2_b64 vcc, exec, s[0:1]
	s_cbranch_vccnz .LBB46_483
; %bb.482:
	global_load_dword v0, v[2:3], off
	s_waitcnt vmcnt(0)
	v_cvt_i16_f16_e32 v0, v0
.LBB46_483:
	s_mov_b64 s[0:1], 0
.LBB46_484:
	s_andn2_b64 vcc, exec, s[0:1]
	s_cbranch_vccnz .LBB46_495
; %bb.485:
	s_cmp_lt_i32 s28, 6
	s_cbranch_scc1 .LBB46_488
; %bb.486:
	s_cmp_gt_i32 s28, 6
	s_cbranch_scc0 .LBB46_489
; %bb.487:
	global_load_dwordx2 v[0:1], v[2:3], off
	s_mov_b64 s[0:1], 0
	s_waitcnt vmcnt(0)
	v_cvt_i32_f64_e32 v0, v[0:1]
	s_branch .LBB46_490
.LBB46_488:
	s_mov_b64 s[0:1], -1
                                        ; implicit-def: $vgpr0
	s_branch .LBB46_493
.LBB46_489:
	s_mov_b64 s[0:1], -1
                                        ; implicit-def: $vgpr0
.LBB46_490:
	s_andn2_b64 vcc, exec, s[0:1]
	s_cbranch_vccnz .LBB46_492
; %bb.491:
	global_load_dword v0, v[2:3], off
	s_waitcnt vmcnt(0)
	v_cvt_i32_f32_e32 v0, v0
.LBB46_492:
	s_mov_b64 s[0:1], 0
.LBB46_493:
	s_andn2_b64 vcc, exec, s[0:1]
	s_cbranch_vccnz .LBB46_495
; %bb.494:
	global_load_ushort v0, v[2:3], off
	s_waitcnt vmcnt(0)
	v_cvt_i16_f16_e32 v0, v0
.LBB46_495:
	s_mov_b64 s[0:1], 0
.LBB46_496:
	s_andn2_b64 vcc, exec, s[0:1]
	s_cbranch_vccnz .LBB46_516
; %bb.497:
	s_cmp_lt_i32 s28, 2
	s_cbranch_scc1 .LBB46_501
; %bb.498:
	s_cmp_lt_i32 s28, 3
	s_cbranch_scc1 .LBB46_502
; %bb.499:
	s_cmp_gt_i32 s28, 3
	s_cbranch_scc0 .LBB46_503
; %bb.500:
	global_load_dwordx2 v[0:1], v[2:3], off
	s_mov_b64 s[0:1], 0
	s_branch .LBB46_504
.LBB46_501:
	s_mov_b64 s[0:1], -1
                                        ; implicit-def: $vgpr0
	s_branch .LBB46_510
.LBB46_502:
	s_mov_b64 s[0:1], -1
                                        ; implicit-def: $vgpr0
	s_branch .LBB46_507
.LBB46_503:
	s_mov_b64 s[0:1], -1
                                        ; implicit-def: $vgpr0
.LBB46_504:
	s_andn2_b64 vcc, exec, s[0:1]
	s_cbranch_vccnz .LBB46_506
; %bb.505:
	global_load_dword v0, v[2:3], off
.LBB46_506:
	s_mov_b64 s[0:1], 0
.LBB46_507:
	s_andn2_b64 vcc, exec, s[0:1]
	s_cbranch_vccnz .LBB46_509
; %bb.508:
	global_load_ushort v0, v[2:3], off
.LBB46_509:
	s_mov_b64 s[0:1], 0
.LBB46_510:
	s_andn2_b64 vcc, exec, s[0:1]
	s_cbranch_vccnz .LBB46_516
; %bb.511:
	s_cmp_gt_i32 s28, 0
	s_cbranch_scc0 .LBB46_513
; %bb.512:
	global_load_ubyte v0, v[2:3], off
	s_mov_b64 s[0:1], 0
	s_branch .LBB46_514
.LBB46_513:
	s_mov_b64 s[0:1], -1
                                        ; implicit-def: $vgpr0
.LBB46_514:
	s_andn2_b64 vcc, exec, s[0:1]
	s_cbranch_vccnz .LBB46_516
; %bb.515:
	global_load_ubyte v0, v[2:3], off
.LBB46_516:
	s_branch .LBB46_389
.LBB46_517:
	s_mov_b64 s[34:35], 0
	s_mov_b64 s[0:1], s[16:17]
	;; [unrolled: 1-line block ×3, first 2 shown]
.LBB46_518:
                                        ; implicit-def: $vgpr14
	s_branch .LBB46_756
.LBB46_519:
	s_andn2_saveexec_b64 s[28:29], s[28:29]
	s_cbranch_execz .LBB46_189
.LBB46_520:
	s_mov_b32 s34, 0x42800000
	v_add_f32_e64 v4, |v3|, s34
	v_and_b32_e32 v4, 0xff, v4
	v_cmp_ne_u32_e32 vcc, 0, v4
	s_andn2_b64 s[24:25], s[24:25], exec
	s_and_b64 s[34:35], vcc, exec
	s_or_b64 s[24:25], s[24:25], s[34:35]
	s_or_b64 exec, exec, s[28:29]
	v_mov_b32_e32 v5, 0
	s_and_saveexec_b64 s[28:29], s[24:25]
	s_cbranch_execnz .LBB46_190
	s_branch .LBB46_191
.LBB46_521:
	s_mov_b64 s[26:27], -1
                                        ; implicit-def: $vgpr3
	s_mov_b64 s[0:1], 0
.LBB46_522:
	s_and_b64 vcc, exec, s[28:29]
	s_cbranch_vccz .LBB46_526
; %bb.523:
	s_cmp_eq_u32 s35, 44
	s_cbranch_scc0 .LBB46_525
; %bb.524:
	global_load_ubyte v3, v[1:2], off
	s_mov_b64 s[0:1], -1
	s_mov_b64 s[26:27], 0
	s_waitcnt vmcnt(0)
	v_lshlrev_b32_e32 v4, 23, v3
	v_cvt_i32_f32_e32 v4, v4
	v_cmp_ne_u32_e32 vcc, 0, v3
	v_cndmask_b32_e32 v3, 0, v4, vcc
	s_branch .LBB46_526
.LBB46_525:
	s_mov_b64 s[26:27], -1
                                        ; implicit-def: $vgpr3
.LBB46_526:
	s_mov_b64 s[28:29], 0
.LBB46_527:
	s_and_b64 vcc, exec, s[28:29]
	s_cbranch_vccz .LBB46_531
; %bb.528:
	s_cmp_eq_u32 s35, 29
	s_cbranch_scc0 .LBB46_530
; %bb.529:
	global_load_dwordx2 v[3:4], v[1:2], off
	s_mov_b64 s[0:1], -1
	s_mov_b64 s[26:27], 0
	s_branch .LBB46_531
.LBB46_530:
	s_mov_b64 s[26:27], -1
                                        ; implicit-def: $vgpr3
.LBB46_531:
	s_mov_b64 s[28:29], 0
.LBB46_532:
	s_and_b64 vcc, exec, s[28:29]
	s_cbranch_vccz .LBB46_548
; %bb.533:
	s_cmp_lt_i32 s35, 27
	s_cbranch_scc1 .LBB46_536
; %bb.534:
	s_cmp_gt_i32 s35, 27
	s_cbranch_scc0 .LBB46_537
; %bb.535:
	global_load_dword v3, v[1:2], off
	s_mov_b64 s[0:1], 0
	s_branch .LBB46_538
.LBB46_536:
	s_mov_b64 s[0:1], -1
                                        ; implicit-def: $vgpr3
	s_branch .LBB46_541
.LBB46_537:
	s_mov_b64 s[0:1], -1
                                        ; implicit-def: $vgpr3
.LBB46_538:
	s_andn2_b64 vcc, exec, s[0:1]
	s_cbranch_vccnz .LBB46_540
; %bb.539:
	global_load_ushort v3, v[1:2], off
.LBB46_540:
	s_mov_b64 s[0:1], 0
.LBB46_541:
	s_andn2_b64 vcc, exec, s[0:1]
	s_cbranch_vccnz .LBB46_547
; %bb.542:
	global_load_ubyte v4, v[1:2], off
	s_movk_i32 s0, 0x7f
	s_mov_b64 s[28:29], 0
	s_waitcnt vmcnt(0)
	v_cmp_lt_i16_e32 vcc, s0, v4
	s_and_saveexec_b64 s[0:1], vcc
	s_xor_b64 s[0:1], exec, s[0:1]
	s_cbranch_execz .LBB46_559
; %bb.543:
	s_movk_i32 s28, 0x80
	v_cmp_ne_u16_e32 vcc, s28, v4
	s_and_b64 s[28:29], vcc, exec
	s_andn2_saveexec_b64 s[0:1], s[0:1]
	s_cbranch_execnz .LBB46_560
.LBB46_544:
	s_or_b64 exec, exec, s[0:1]
	v_mov_b32_e32 v3, 0
	s_and_saveexec_b64 s[0:1], s[28:29]
	s_cbranch_execz .LBB46_546
.LBB46_545:
	v_lshlrev_b32_e32 v3, 24, v4
	v_and_b32_e32 v4, 0xffff, v4
	v_and_b32_e32 v5, 7, v4
	v_ffbh_u32_e32 v7, v5
	v_min_u32_e32 v7, 32, v7
	v_subrev_u32_e32 v8, 28, v7
	v_bfe_u32 v6, v4, 3, 4
	v_lshlrev_b32_e32 v4, v8, v4
	v_sub_u32_e32 v7, 29, v7
	v_and_b32_e32 v4, 7, v4
	v_cmp_eq_u32_e32 vcc, 0, v6
	v_cndmask_b32_e32 v6, v6, v7, vcc
	v_cndmask_b32_e32 v4, v5, v4, vcc
	v_mov_b32_e32 v5, 0x3b800000
	v_lshlrev_b32_e32 v4, 20, v4
	v_and_b32_e32 v3, 0x80000000, v3
	v_lshl_add_u32 v5, v6, 23, v5
	v_or3_b32 v3, v3, v5, v4
	v_cvt_i32_f32_e32 v3, v3
.LBB46_546:
	s_or_b64 exec, exec, s[0:1]
.LBB46_547:
	s_mov_b64 s[0:1], -1
.LBB46_548:
	s_mov_b64 s[28:29], 0
.LBB46_549:
	s_and_b64 vcc, exec, s[28:29]
	s_cbranch_vccz .LBB46_582
; %bb.550:
	s_cmp_gt_i32 s35, 22
	s_cbranch_scc0 .LBB46_558
; %bb.551:
	s_cmp_lt_i32 s35, 24
	s_cbranch_scc1 .LBB46_561
; %bb.552:
	s_cmp_gt_i32 s35, 24
	s_cbranch_scc0 .LBB46_562
; %bb.553:
	global_load_ubyte v4, v[1:2], off
	s_movk_i32 s0, 0x7f
	s_mov_b64 s[28:29], 0
	s_waitcnt vmcnt(0)
	v_cmp_lt_i16_e32 vcc, s0, v4
	s_and_saveexec_b64 s[0:1], vcc
	s_xor_b64 s[0:1], exec, s[0:1]
	s_cbranch_execz .LBB46_574
; %bb.554:
	s_movk_i32 s28, 0x80
	v_cmp_ne_u16_e32 vcc, s28, v4
	s_and_b64 s[28:29], vcc, exec
	s_andn2_saveexec_b64 s[0:1], s[0:1]
	s_cbranch_execnz .LBB46_575
.LBB46_555:
	s_or_b64 exec, exec, s[0:1]
	v_mov_b32_e32 v3, 0
	s_and_saveexec_b64 s[0:1], s[28:29]
	s_cbranch_execz .LBB46_557
.LBB46_556:
	v_lshlrev_b32_e32 v3, 24, v4
	v_and_b32_e32 v4, 0xffff, v4
	v_and_b32_e32 v5, 3, v4
	v_ffbh_u32_e32 v7, v5
	v_min_u32_e32 v7, 32, v7
	v_subrev_u32_e32 v8, 29, v7
	v_bfe_u32 v6, v4, 2, 5
	v_lshlrev_b32_e32 v4, v8, v4
	v_sub_u32_e32 v7, 30, v7
	v_and_b32_e32 v4, 3, v4
	v_cmp_eq_u32_e32 vcc, 0, v6
	v_cndmask_b32_e32 v6, v6, v7, vcc
	v_cndmask_b32_e32 v4, v5, v4, vcc
	v_mov_b32_e32 v5, 0x37800000
	v_lshlrev_b32_e32 v4, 21, v4
	v_and_b32_e32 v3, 0x80000000, v3
	v_lshl_add_u32 v5, v6, 23, v5
	v_or3_b32 v3, v3, v5, v4
	v_cvt_i32_f32_e32 v3, v3
.LBB46_557:
	s_or_b64 exec, exec, s[0:1]
	s_mov_b64 s[0:1], 0
	s_branch .LBB46_563
.LBB46_558:
	s_mov_b64 s[28:29], -1
                                        ; implicit-def: $vgpr3
	s_branch .LBB46_569
.LBB46_559:
	s_andn2_saveexec_b64 s[0:1], s[0:1]
	s_cbranch_execz .LBB46_544
.LBB46_560:
	v_cmp_ne_u16_e32 vcc, 0, v4
	s_andn2_b64 s[28:29], s[28:29], exec
	s_and_b64 s[36:37], vcc, exec
	s_or_b64 s[28:29], s[28:29], s[36:37]
	s_or_b64 exec, exec, s[0:1]
	v_mov_b32_e32 v3, 0
	s_and_saveexec_b64 s[0:1], s[28:29]
	s_cbranch_execnz .LBB46_545
	s_branch .LBB46_546
.LBB46_561:
	s_mov_b64 s[0:1], -1
                                        ; implicit-def: $vgpr3
	s_branch .LBB46_566
.LBB46_562:
	s_mov_b64 s[0:1], -1
                                        ; implicit-def: $vgpr3
.LBB46_563:
	s_and_b64 vcc, exec, s[0:1]
	s_cbranch_vccz .LBB46_565
; %bb.564:
	global_load_ubyte v3, v[1:2], off
	s_mov_b32 s0, 0x7f800000
	s_waitcnt vmcnt(0)
	v_lshlrev_b32_e32 v3, 24, v3
	v_and_b32_e32 v4, 0x7f000000, v3
	v_ffbh_u32_e32 v5, v4
	v_min_u32_e32 v5, 32, v5
	v_sub_u32_e64 v5, v5, 4 clamp
	v_lshlrev_b32_e32 v7, v5, v4
	v_lshlrev_b32_e32 v5, 23, v5
	v_lshrrev_b32_e32 v7, 4, v7
	v_add_u32_e32 v6, 0x1000000, v4
	v_sub_u32_e32 v5, v7, v5
	v_ashrrev_i32_e32 v6, 8, v6
	v_add_u32_e32 v5, 0x3c000000, v5
	v_and_or_b32 v5, v6, s0, v5
	v_cmp_ne_u32_e32 vcc, 0, v4
	v_cndmask_b32_e32 v4, 0, v5, vcc
	s_brev_b32 s0, 1
	v_and_or_b32 v3, v3, s0, v4
	v_cvt_i32_f32_e32 v3, v3
.LBB46_565:
	s_mov_b64 s[0:1], 0
.LBB46_566:
	s_andn2_b64 vcc, exec, s[0:1]
	s_cbranch_vccnz .LBB46_568
; %bb.567:
	global_load_ubyte v3, v[1:2], off
	s_movk_i32 s0, 0x7f00
	s_brev_b32 s1, 16
	s_waitcnt vmcnt(0)
	v_lshlrev_b16_e32 v4, 8, v3
	v_lshlrev_b32_e32 v3, 25, v3
	v_lshrrev_b32_e32 v5, 4, v3
	v_and_or_b32 v6, v4, s0, 0.5
	v_or_b32_e32 v5, 0x70000000, v5
	v_add_f32_e32 v6, -0.5, v6
	v_mul_f32_e32 v5, 0x7800000, v5
	v_cmp_gt_u32_e32 vcc, s1, v3
	v_bfe_i32 v4, v4, 0, 16
	v_cndmask_b32_e32 v3, v5, v6, vcc
	s_brev_b32 s0, 1
	v_and_or_b32 v3, v4, s0, v3
	v_cvt_i32_f32_e32 v3, v3
.LBB46_568:
	s_mov_b64 s[28:29], 0
	s_mov_b64 s[0:1], -1
.LBB46_569:
	s_andn2_b64 vcc, exec, s[28:29]
	s_cbranch_vccnz .LBB46_582
; %bb.570:
	s_cmp_gt_i32 s35, 14
	s_cbranch_scc0 .LBB46_573
; %bb.571:
	s_cmp_eq_u32 s35, 15
	s_cbranch_scc0 .LBB46_576
; %bb.572:
	global_load_ushort v3, v[1:2], off
	s_mov_b64 s[0:1], -1
	s_mov_b64 s[26:27], 0
	s_waitcnt vmcnt(0)
	v_lshlrev_b32_e32 v3, 16, v3
	v_cvt_i32_f32_e32 v3, v3
	s_branch .LBB46_577
.LBB46_573:
	s_mov_b64 s[28:29], -1
                                        ; implicit-def: $vgpr3
	s_branch .LBB46_578
.LBB46_574:
	s_andn2_saveexec_b64 s[0:1], s[0:1]
	s_cbranch_execz .LBB46_555
.LBB46_575:
	v_cmp_ne_u16_e32 vcc, 0, v4
	s_andn2_b64 s[28:29], s[28:29], exec
	s_and_b64 s[36:37], vcc, exec
	s_or_b64 s[28:29], s[28:29], s[36:37]
	s_or_b64 exec, exec, s[0:1]
	v_mov_b32_e32 v3, 0
	s_and_saveexec_b64 s[0:1], s[28:29]
	s_cbranch_execnz .LBB46_556
	s_branch .LBB46_557
.LBB46_576:
	s_mov_b64 s[26:27], -1
                                        ; implicit-def: $vgpr3
.LBB46_577:
	s_mov_b64 s[28:29], 0
.LBB46_578:
	s_and_b64 vcc, exec, s[28:29]
	s_cbranch_vccz .LBB46_582
; %bb.579:
	s_cmp_eq_u32 s35, 11
	s_cbranch_scc0 .LBB46_581
; %bb.580:
	global_load_ubyte v3, v[1:2], off
	s_mov_b64 s[0:1], -1
	s_mov_b64 s[26:27], 0
	s_waitcnt vmcnt(0)
	v_cmp_ne_u16_e32 vcc, 0, v3
	v_cndmask_b32_e64 v3, 0, 1, vcc
	s_branch .LBB46_582
.LBB46_581:
	s_mov_b64 s[26:27], -1
                                        ; implicit-def: $vgpr3
.LBB46_582:
	s_mov_b64 s[28:29], 0
.LBB46_583:
	s_and_b64 vcc, exec, s[28:29]
	s_cbranch_vccz .LBB46_632
; %bb.584:
	s_and_b32 s28, 0xffff, s34
	s_cmp_lt_i32 s28, 5
	s_cbranch_scc1 .LBB46_589
; %bb.585:
	s_cmp_lt_i32 s28, 8
	s_cbranch_scc1 .LBB46_590
; %bb.586:
	s_cmp_lt_i32 s28, 9
	s_cbranch_scc1 .LBB46_591
; %bb.587:
	s_cmp_gt_i32 s28, 9
	s_cbranch_scc0 .LBB46_592
; %bb.588:
	global_load_dwordx2 v[3:4], v[1:2], off
	s_mov_b64 s[0:1], 0
	s_waitcnt vmcnt(0)
	v_cvt_i32_f64_e32 v3, v[3:4]
	s_branch .LBB46_593
.LBB46_589:
	s_mov_b64 s[0:1], -1
                                        ; implicit-def: $vgpr3
	s_branch .LBB46_611
.LBB46_590:
	s_mov_b64 s[0:1], -1
                                        ; implicit-def: $vgpr3
	s_branch .LBB46_599
.LBB46_591:
	s_mov_b64 s[0:1], -1
                                        ; implicit-def: $vgpr3
	s_branch .LBB46_596
.LBB46_592:
	s_mov_b64 s[0:1], -1
                                        ; implicit-def: $vgpr3
.LBB46_593:
	s_andn2_b64 vcc, exec, s[0:1]
	s_cbranch_vccnz .LBB46_595
; %bb.594:
	global_load_dword v3, v[1:2], off
	s_waitcnt vmcnt(0)
	v_cvt_i32_f32_e32 v3, v3
.LBB46_595:
	s_mov_b64 s[0:1], 0
.LBB46_596:
	s_andn2_b64 vcc, exec, s[0:1]
	s_cbranch_vccnz .LBB46_598
; %bb.597:
	global_load_dword v3, v[1:2], off
	s_waitcnt vmcnt(0)
	v_cvt_i16_f16_e32 v3, v3
.LBB46_598:
	s_mov_b64 s[0:1], 0
.LBB46_599:
	s_andn2_b64 vcc, exec, s[0:1]
	s_cbranch_vccnz .LBB46_610
; %bb.600:
	s_cmp_lt_i32 s28, 6
	s_cbranch_scc1 .LBB46_603
; %bb.601:
	s_cmp_gt_i32 s28, 6
	s_cbranch_scc0 .LBB46_604
; %bb.602:
	global_load_dwordx2 v[3:4], v[1:2], off
	s_mov_b64 s[0:1], 0
	s_waitcnt vmcnt(0)
	v_cvt_i32_f64_e32 v3, v[3:4]
	s_branch .LBB46_605
.LBB46_603:
	s_mov_b64 s[0:1], -1
                                        ; implicit-def: $vgpr3
	s_branch .LBB46_608
.LBB46_604:
	s_mov_b64 s[0:1], -1
                                        ; implicit-def: $vgpr3
.LBB46_605:
	s_andn2_b64 vcc, exec, s[0:1]
	s_cbranch_vccnz .LBB46_607
; %bb.606:
	global_load_dword v3, v[1:2], off
	s_waitcnt vmcnt(0)
	v_cvt_i32_f32_e32 v3, v3
.LBB46_607:
	s_mov_b64 s[0:1], 0
.LBB46_608:
	s_andn2_b64 vcc, exec, s[0:1]
	s_cbranch_vccnz .LBB46_610
; %bb.609:
	global_load_ushort v3, v[1:2], off
	s_waitcnt vmcnt(0)
	v_cvt_i16_f16_e32 v3, v3
.LBB46_610:
	s_mov_b64 s[0:1], 0
.LBB46_611:
	s_andn2_b64 vcc, exec, s[0:1]
	s_cbranch_vccnz .LBB46_631
; %bb.612:
	s_cmp_lt_i32 s28, 2
	s_cbranch_scc1 .LBB46_616
; %bb.613:
	s_cmp_lt_i32 s28, 3
	s_cbranch_scc1 .LBB46_617
; %bb.614:
	s_cmp_gt_i32 s28, 3
	s_cbranch_scc0 .LBB46_618
; %bb.615:
	global_load_dwordx2 v[3:4], v[1:2], off
	s_mov_b64 s[0:1], 0
	s_branch .LBB46_619
.LBB46_616:
	s_mov_b64 s[0:1], -1
                                        ; implicit-def: $vgpr3
	s_branch .LBB46_625
.LBB46_617:
	s_mov_b64 s[0:1], -1
                                        ; implicit-def: $vgpr3
	s_branch .LBB46_622
.LBB46_618:
	s_mov_b64 s[0:1], -1
                                        ; implicit-def: $vgpr3
.LBB46_619:
	s_andn2_b64 vcc, exec, s[0:1]
	s_cbranch_vccnz .LBB46_621
; %bb.620:
	global_load_dword v3, v[1:2], off
.LBB46_621:
	s_mov_b64 s[0:1], 0
.LBB46_622:
	s_andn2_b64 vcc, exec, s[0:1]
	s_cbranch_vccnz .LBB46_624
; %bb.623:
	global_load_ushort v3, v[1:2], off
.LBB46_624:
	s_mov_b64 s[0:1], 0
.LBB46_625:
	s_andn2_b64 vcc, exec, s[0:1]
	s_cbranch_vccnz .LBB46_631
; %bb.626:
	s_cmp_gt_i32 s28, 0
	s_cbranch_scc0 .LBB46_628
; %bb.627:
	global_load_ubyte v3, v[1:2], off
	s_mov_b64 s[0:1], 0
	s_branch .LBB46_629
.LBB46_628:
	s_mov_b64 s[0:1], -1
                                        ; implicit-def: $vgpr3
.LBB46_629:
	s_andn2_b64 vcc, exec, s[0:1]
	s_cbranch_vccnz .LBB46_631
; %bb.630:
	global_load_ubyte v3, v[1:2], off
.LBB46_631:
	s_mov_b64 s[0:1], -1
.LBB46_632:
	s_andn2_b64 vcc, exec, s[0:1]
	s_cbranch_vccnz .LBB46_640
; %bb.633:
	v_mul_lo_u32 v1, v14, s12
	v_mov_b32_e32 v2, s54
	v_cmp_gt_i16_sdwa vcc, sext(v0), s33 src0_sel:BYTE_0 src1_sel:DWORD
	s_waitcnt vmcnt(0)
	v_cndmask_b32_e32 v2, v2, v3, vcc
	v_ashrrev_i32_e32 v3, 31, v1
	v_mov_b32_e32 v4, s9
	s_and_b32 s38, s55, 0xff
	v_add_co_u32_e32 v0, vcc, s8, v1
	s_cmp_lt_i32 s38, 11
	v_addc_co_u32_e32 v1, vcc, v4, v3, vcc
	s_cbranch_scc1 .LBB46_641
; %bb.634:
	s_and_b32 s39, 0xffff, s38
	s_cmp_gt_i32 s39, 25
	s_cbranch_scc0 .LBB46_642
; %bb.635:
	s_cmp_gt_i32 s39, 28
	s_cbranch_scc0 .LBB46_643
; %bb.636:
	;; [unrolled: 3-line block ×4, first 2 shown]
	s_mov_b64 s[34:35], 0
	s_mov_b64 s[0:1], -1
	s_cmp_eq_u32 s39, 46
	s_mov_b64 s[28:29], 0
	s_cbranch_scc0 .LBB46_646
; %bb.639:
	v_bfe_i32 v3, v2, 0, 8
	v_cvt_f32_i32_sdwa v3, sext(v3) dst_sel:DWORD dst_unused:UNUSED_PAD src0_sel:WORD_0
	s_movk_i32 s0, 0x7fff
	s_mov_b64 s[28:29], -1
	v_bfe_u32 v4, v3, 16, 1
	v_add3_u32 v3, v3, v4, s0
	v_lshrrev_b32_e32 v3, 16, v3
	global_store_dword v[0:1], v3, off
	s_mov_b64 s[0:1], 0
	s_branch .LBB46_646
.LBB46_640:
	s_mov_b64 s[34:35], 0
                                        ; implicit-def: $vgpr14
	s_mov_b64 s[0:1], s[16:17]
	s_branch .LBB46_756
.LBB46_641:
	s_mov_b64 s[34:35], -1
	s_mov_b64 s[28:29], 0
	s_mov_b64 s[0:1], s[16:17]
	s_branch .LBB46_715
.LBB46_642:
	s_mov_b64 s[34:35], -1
	s_mov_b64 s[28:29], 0
	s_mov_b64 s[0:1], s[16:17]
	s_branch .LBB46_673
.LBB46_643:
	s_mov_b64 s[34:35], -1
	s_mov_b64 s[28:29], 0
	s_mov_b64 s[0:1], s[16:17]
	s_branch .LBB46_656
.LBB46_644:
	s_mov_b64 s[34:35], -1
	s_mov_b64 s[28:29], 0
	s_mov_b64 s[0:1], s[16:17]
	s_branch .LBB46_652
.LBB46_645:
	s_mov_b64 s[34:35], -1
	s_mov_b64 s[28:29], 0
	s_mov_b64 s[0:1], s[16:17]
.LBB46_646:
	s_and_b64 vcc, exec, s[34:35]
	s_cbranch_vccz .LBB46_651
; %bb.647:
	s_cmp_eq_u32 s39, 44
	s_mov_b64 s[0:1], -1
	s_cbranch_scc0 .LBB46_651
; %bb.648:
	v_bfe_i32 v3, v2, 0, 8
	v_cvt_f32_i32_sdwa v3, sext(v3) dst_sel:DWORD dst_unused:UNUSED_PAD src0_sel:WORD_0
	s_movk_i32 s0, 0xff
	v_mov_b32_e32 v5, 0xff
	v_bfe_u32 v4, v3, 23, 8
	v_cmp_ne_u32_e32 vcc, s0, v4
	s_and_saveexec_b64 s[28:29], vcc
; %bb.649:
	s_mov_b32 s0, 0x3fffff
	v_lshrrev_b32_e32 v5, 23, v3
	v_and_b32_e32 v6, 0x400000, v3
	v_and_or_b32 v3, v3, s0, v4
	v_cmp_ne_u32_e32 vcc, 0, v6
	v_cmp_ne_u32_e64 s[0:1], 0, v3
	s_and_b64 s[0:1], vcc, s[0:1]
	v_cndmask_b32_e64 v3, 0, 1, s[0:1]
	v_add_u32_e32 v5, v5, v3
; %bb.650:
	s_or_b64 exec, exec, s[28:29]
	s_mov_b64 s[28:29], -1
	s_mov_b64 s[0:1], 0
	global_store_byte v[0:1], v5, off
.LBB46_651:
	s_mov_b64 s[34:35], 0
.LBB46_652:
	s_and_b64 vcc, exec, s[34:35]
	s_cbranch_vccz .LBB46_655
; %bb.653:
	s_cmp_eq_u32 s39, 29
	s_mov_b64 s[0:1], -1
	s_cbranch_scc0 .LBB46_655
; %bb.654:
	v_bfe_i32 v3, v2, 0, 8
	v_ashrrev_i32_e32 v4, 31, v3
	global_store_dwordx2 v[0:1], v[3:4], off
	s_mov_b64 s[28:29], -1
	s_mov_b64 s[0:1], 0
.LBB46_655:
	s_mov_b64 s[34:35], 0
.LBB46_656:
	s_and_b64 vcc, exec, s[34:35]
	s_cbranch_vccz .LBB46_672
; %bb.657:
	s_cmp_lt_i32 s39, 27
	s_mov_b64 s[28:29], -1
	s_cbranch_scc1 .LBB46_663
; %bb.658:
	s_cmp_gt_i32 s39, 27
	s_cbranch_scc0 .LBB46_660
; %bb.659:
	v_bfe_i32 v3, v2, 0, 8
	s_mov_b64 s[28:29], 0
	global_store_dword v[0:1], v3, off
.LBB46_660:
	s_andn2_b64 vcc, exec, s[28:29]
	s_cbranch_vccnz .LBB46_662
; %bb.661:
	v_bfe_i32 v3, v2, 0, 8
	global_store_short v[0:1], v3, off
.LBB46_662:
	s_mov_b64 s[28:29], 0
.LBB46_663:
	s_andn2_b64 vcc, exec, s[28:29]
	s_cbranch_vccnz .LBB46_671
; %bb.664:
	v_bfe_i32 v3, v2, 0, 8
	v_cvt_f32_i32_sdwa v3, sext(v3) dst_sel:DWORD dst_unused:UNUSED_PAD src0_sel:WORD_0
	s_mov_b32 s28, 0x43800000
	v_mov_b32_e32 v5, 0x80
	v_and_b32_e32 v4, 0x7fffffff, v3
	v_cmp_gt_u32_e32 vcc, s28, v4
	s_and_saveexec_b64 s[28:29], vcc
	s_cbranch_execz .LBB46_670
; %bb.665:
	s_mov_b32 s34, 0x3bffffff
	v_cmp_lt_u32_e32 vcc, s34, v4
	s_mov_b64 s[34:35], 0
                                        ; implicit-def: $vgpr4
	s_and_saveexec_b64 s[36:37], vcc
	s_xor_b64 s[36:37], exec, s[36:37]
	s_cbranch_execz .LBB46_772
; %bb.666:
	v_bfe_u32 v4, v3, 20, 1
	s_mov_b32 s40, 0x487ffff
	v_add3_u32 v4, v3, v4, s40
	s_mov_b64 s[34:35], exec
	v_lshrrev_b32_e32 v4, 20, v4
	s_andn2_saveexec_b64 s[36:37], s[36:37]
	s_cbranch_execnz .LBB46_773
.LBB46_667:
	s_or_b64 exec, exec, s[36:37]
	v_mov_b32_e32 v5, 0
	s_and_saveexec_b64 s[36:37], s[34:35]
.LBB46_668:
	v_lshrrev_b32_e32 v3, 24, v3
	s_movk_i32 s34, 0x80
	v_and_or_b32 v5, v3, s34, v4
.LBB46_669:
	s_or_b64 exec, exec, s[36:37]
.LBB46_670:
	s_or_b64 exec, exec, s[28:29]
	global_store_byte v[0:1], v5, off
.LBB46_671:
	s_mov_b64 s[28:29], -1
.LBB46_672:
	s_mov_b64 s[34:35], 0
.LBB46_673:
	s_and_b64 vcc, exec, s[34:35]
	s_cbranch_vccz .LBB46_714
; %bb.674:
	s_cmp_gt_i32 s39, 22
	s_mov_b64 s[34:35], -1
	s_cbranch_scc0 .LBB46_706
; %bb.675:
	s_cmp_lt_i32 s39, 24
	s_mov_b64 s[28:29], -1
	s_cbranch_scc1 .LBB46_695
; %bb.676:
	s_cmp_gt_i32 s39, 24
	s_cbranch_scc0 .LBB46_684
; %bb.677:
	v_bfe_i32 v3, v2, 0, 8
	v_cvt_f32_i32_sdwa v3, sext(v3) dst_sel:DWORD dst_unused:UNUSED_PAD src0_sel:WORD_0
	s_mov_b32 s28, 0x47800000
	v_mov_b32_e32 v5, 0x80
	v_and_b32_e32 v4, 0x7fffffff, v3
	v_cmp_gt_u32_e32 vcc, s28, v4
	s_and_saveexec_b64 s[28:29], vcc
	s_cbranch_execz .LBB46_683
; %bb.678:
	s_mov_b32 s34, 0x37ffffff
	v_cmp_lt_u32_e32 vcc, s34, v4
	s_mov_b64 s[34:35], 0
                                        ; implicit-def: $vgpr4
	s_and_saveexec_b64 s[36:37], vcc
	s_xor_b64 s[36:37], exec, s[36:37]
	s_cbranch_execz .LBB46_900
; %bb.679:
	v_bfe_u32 v4, v3, 21, 1
	s_mov_b32 s40, 0x88fffff
	v_add3_u32 v4, v3, v4, s40
	s_mov_b64 s[34:35], exec
	v_lshrrev_b32_e32 v4, 21, v4
	s_andn2_saveexec_b64 s[36:37], s[36:37]
	s_cbranch_execnz .LBB46_901
.LBB46_680:
	s_or_b64 exec, exec, s[36:37]
	v_mov_b32_e32 v5, 0
	s_and_saveexec_b64 s[36:37], s[34:35]
.LBB46_681:
	v_lshrrev_b32_e32 v3, 24, v3
	s_movk_i32 s34, 0x80
	v_and_or_b32 v5, v3, s34, v4
.LBB46_682:
	s_or_b64 exec, exec, s[36:37]
.LBB46_683:
	s_or_b64 exec, exec, s[28:29]
	s_mov_b64 s[28:29], 0
	global_store_byte v[0:1], v5, off
.LBB46_684:
	s_and_b64 vcc, exec, s[28:29]
	s_cbranch_vccz .LBB46_694
; %bb.685:
	v_bfe_i32 v3, v2, 0, 8
	v_cvt_f32_i32_sdwa v3, sext(v3) dst_sel:DWORD dst_unused:UNUSED_PAD src0_sel:WORD_0
	s_mov_b32 s28, 0x43f00000
                                        ; implicit-def: $vgpr4
	v_and_b32_e32 v5, 0x7fffffff, v3
	v_cmp_gt_u32_e32 vcc, s28, v5
	s_and_saveexec_b64 s[28:29], vcc
	s_xor_b64 s[28:29], exec, s[28:29]
	s_cbranch_execz .LBB46_691
; %bb.686:
	s_mov_b32 s34, 0x3c7fffff
	v_cmp_lt_u32_e32 vcc, s34, v5
                                        ; implicit-def: $vgpr4
	s_and_saveexec_b64 s[34:35], vcc
	s_xor_b64 s[34:35], exec, s[34:35]
; %bb.687:
	v_bfe_u32 v4, v3, 20, 1
	s_mov_b32 s36, 0x407ffff
	v_add3_u32 v4, v3, v4, s36
	v_lshrrev_b32_e32 v5, 20, v4
	v_and_b32_e32 v4, 0xff00000, v4
	s_mov_b32 s36, 0x7f00000
	v_mov_b32_e32 v6, 0x7e
	v_cmp_ne_u32_e32 vcc, s36, v4
	v_cndmask_b32_e32 v4, v6, v5, vcc
; %bb.688:
	s_andn2_saveexec_b64 s[34:35], s[34:35]
; %bb.689:
	s_mov_b32 s36, 0x46800000
	v_add_f32_e64 v4, |v3|, s36
; %bb.690:
	s_or_b64 exec, exec, s[34:35]
                                        ; implicit-def: $vgpr5
.LBB46_691:
	s_andn2_saveexec_b64 s[28:29], s[28:29]
; %bb.692:
	s_mov_b32 s34, 0x7f800000
	v_mov_b32_e32 v4, 0x7e
	v_mov_b32_e32 v6, 0x7f
	v_cmp_lt_u32_e32 vcc, s34, v5
	v_cndmask_b32_e32 v4, v4, v6, vcc
; %bb.693:
	s_or_b64 exec, exec, s[28:29]
	v_lshrrev_b32_e32 v3, 24, v3
	s_movk_i32 s28, 0x80
	v_and_or_b32 v3, v3, s28, v4
	global_store_byte v[0:1], v3, off
.LBB46_694:
	s_mov_b64 s[28:29], 0
.LBB46_695:
	s_andn2_b64 vcc, exec, s[28:29]
	s_cbranch_vccnz .LBB46_705
; %bb.696:
	v_bfe_i32 v3, v2, 0, 8
	v_cvt_f32_i32_sdwa v3, sext(v3) dst_sel:DWORD dst_unused:UNUSED_PAD src0_sel:WORD_0
	s_mov_b32 s28, 0x47800000
                                        ; implicit-def: $vgpr4
	v_and_b32_e32 v5, 0x7fffffff, v3
	v_cmp_gt_u32_e32 vcc, s28, v5
	s_and_saveexec_b64 s[28:29], vcc
	s_xor_b64 s[28:29], exec, s[28:29]
	s_cbranch_execz .LBB46_702
; %bb.697:
	s_mov_b32 s34, 0x387fffff
	v_cmp_lt_u32_e32 vcc, s34, v5
                                        ; implicit-def: $vgpr4
	s_and_saveexec_b64 s[34:35], vcc
	s_xor_b64 s[34:35], exec, s[34:35]
; %bb.698:
	v_bfe_u32 v4, v3, 21, 1
	s_mov_b32 s36, 0x80fffff
	v_add3_u32 v4, v3, v4, s36
	v_lshrrev_b32_e32 v4, 21, v4
; %bb.699:
	s_andn2_saveexec_b64 s[34:35], s[34:35]
; %bb.700:
	s_mov_b32 s36, 0x43000000
	v_add_f32_e64 v4, |v3|, s36
; %bb.701:
	s_or_b64 exec, exec, s[34:35]
                                        ; implicit-def: $vgpr5
.LBB46_702:
	s_andn2_saveexec_b64 s[28:29], s[28:29]
; %bb.703:
	s_mov_b32 s34, 0x7f800000
	v_mov_b32_e32 v4, 0x7c
	v_mov_b32_e32 v6, 0x7f
	v_cmp_lt_u32_e32 vcc, s34, v5
	v_cndmask_b32_e32 v4, v4, v6, vcc
; %bb.704:
	s_or_b64 exec, exec, s[28:29]
	v_lshrrev_b32_e32 v3, 24, v3
	s_movk_i32 s28, 0x80
	v_and_or_b32 v3, v3, s28, v4
	global_store_byte v[0:1], v3, off
.LBB46_705:
	s_mov_b64 s[34:35], 0
	s_mov_b64 s[28:29], -1
.LBB46_706:
	s_andn2_b64 vcc, exec, s[34:35]
	s_cbranch_vccnz .LBB46_714
; %bb.707:
	s_cmp_gt_i32 s39, 14
	s_mov_b64 s[34:35], -1
	s_cbranch_scc0 .LBB46_711
; %bb.708:
	s_cmp_eq_u32 s39, 15
	s_mov_b64 s[0:1], -1
	s_cbranch_scc0 .LBB46_710
; %bb.709:
	v_bfe_i32 v3, v2, 0, 8
	v_cvt_f32_i32_sdwa v3, sext(v3) dst_sel:DWORD dst_unused:UNUSED_PAD src0_sel:WORD_0
	s_movk_i32 s0, 0x7fff
	s_mov_b64 s[28:29], -1
	v_bfe_u32 v4, v3, 16, 1
	v_add3_u32 v3, v3, v4, s0
	global_store_short_d16_hi v[0:1], v3, off
	s_mov_b64 s[0:1], 0
.LBB46_710:
	s_mov_b64 s[34:35], 0
.LBB46_711:
	s_and_b64 vcc, exec, s[34:35]
	s_cbranch_vccz .LBB46_714
; %bb.712:
	s_cmp_eq_u32 s39, 11
	s_mov_b64 s[0:1], -1
	s_cbranch_scc0 .LBB46_714
; %bb.713:
	v_mov_b32_e32 v3, 0
	v_cmp_ne_u16_sdwa s[0:1], v2, v3 src0_sel:BYTE_0 src1_sel:DWORD
	v_cndmask_b32_e64 v3, 0, 1, s[0:1]
	s_mov_b64 s[28:29], -1
	s_mov_b64 s[0:1], 0
	global_store_byte v[0:1], v3, off
.LBB46_714:
	s_mov_b64 s[34:35], 0
.LBB46_715:
	s_and_b64 vcc, exec, s[34:35]
	s_cbranch_vccz .LBB46_754
; %bb.716:
	s_and_b32 s34, 0xffff, s38
	s_cmp_lt_i32 s34, 5
	s_mov_b64 s[28:29], -1
	s_cbranch_scc1 .LBB46_737
; %bb.717:
	s_cmp_lt_i32 s34, 8
	s_cbranch_scc1 .LBB46_727
; %bb.718:
	s_cmp_lt_i32 s34, 9
	s_cbranch_scc1 .LBB46_724
; %bb.719:
	s_cmp_gt_i32 s34, 9
	s_cbranch_scc0 .LBB46_721
; %bb.720:
	v_bfe_i32 v3, v2, 0, 8
	v_bfe_i32 v3, v3, 0, 16
	v_cvt_f64_i32_e32 v[3:4], v3
	v_mov_b32_e32 v5, 0
	v_mov_b32_e32 v6, v5
	s_mov_b64 s[28:29], 0
	global_store_dwordx4 v[0:1], v[3:6], off
.LBB46_721:
	s_andn2_b64 vcc, exec, s[28:29]
	s_cbranch_vccnz .LBB46_723
; %bb.722:
	v_bfe_i32 v3, v2, 0, 8
	v_cvt_f32_i32_sdwa v3, sext(v3) dst_sel:DWORD dst_unused:UNUSED_PAD src0_sel:WORD_0
	v_mov_b32_e32 v4, 0
	global_store_dwordx2 v[0:1], v[3:4], off
.LBB46_723:
	s_mov_b64 s[28:29], 0
.LBB46_724:
	s_andn2_b64 vcc, exec, s[28:29]
	s_cbranch_vccnz .LBB46_726
; %bb.725:
	v_cvt_f16_i16_sdwa v3, sext(v2) dst_sel:DWORD dst_unused:UNUSED_PAD src0_sel:BYTE_0
	global_store_dword v[0:1], v3, off
.LBB46_726:
	s_mov_b64 s[28:29], 0
.LBB46_727:
	s_andn2_b64 vcc, exec, s[28:29]
	s_cbranch_vccnz .LBB46_736
; %bb.728:
	s_cmp_lt_i32 s34, 6
	s_mov_b64 s[28:29], -1
	s_cbranch_scc1 .LBB46_734
; %bb.729:
	s_cmp_gt_i32 s34, 6
	s_cbranch_scc0 .LBB46_731
; %bb.730:
	v_bfe_i32 v3, v2, 0, 8
	v_bfe_i32 v3, v3, 0, 16
	v_cvt_f64_i32_e32 v[3:4], v3
	s_mov_b64 s[28:29], 0
	global_store_dwordx2 v[0:1], v[3:4], off
.LBB46_731:
	s_andn2_b64 vcc, exec, s[28:29]
	s_cbranch_vccnz .LBB46_733
; %bb.732:
	v_bfe_i32 v3, v2, 0, 8
	v_cvt_f32_i32_sdwa v3, sext(v3) dst_sel:DWORD dst_unused:UNUSED_PAD src0_sel:WORD_0
	global_store_dword v[0:1], v3, off
.LBB46_733:
	s_mov_b64 s[28:29], 0
.LBB46_734:
	s_andn2_b64 vcc, exec, s[28:29]
	s_cbranch_vccnz .LBB46_736
; %bb.735:
	v_cvt_f16_i16_sdwa v3, sext(v2) dst_sel:DWORD dst_unused:UNUSED_PAD src0_sel:BYTE_0
	global_store_short v[0:1], v3, off
.LBB46_736:
	s_mov_b64 s[28:29], 0
.LBB46_737:
	s_andn2_b64 vcc, exec, s[28:29]
	s_cbranch_vccnz .LBB46_753
; %bb.738:
	s_cmp_lt_i32 s34, 2
	s_mov_b64 s[28:29], -1
	s_cbranch_scc1 .LBB46_748
; %bb.739:
	s_cmp_lt_i32 s34, 3
	s_cbranch_scc1 .LBB46_745
; %bb.740:
	s_cmp_gt_i32 s34, 3
	s_cbranch_scc0 .LBB46_742
; %bb.741:
	v_bfe_i32 v3, v2, 0, 8
	v_ashrrev_i32_e32 v4, 31, v3
	s_mov_b64 s[28:29], 0
	global_store_dwordx2 v[0:1], v[3:4], off
.LBB46_742:
	s_andn2_b64 vcc, exec, s[28:29]
	s_cbranch_vccnz .LBB46_744
; %bb.743:
	v_bfe_i32 v3, v2, 0, 8
	global_store_dword v[0:1], v3, off
.LBB46_744:
	s_mov_b64 s[28:29], 0
.LBB46_745:
	s_andn2_b64 vcc, exec, s[28:29]
	s_cbranch_vccnz .LBB46_747
; %bb.746:
	v_bfe_i32 v3, v2, 0, 8
	global_store_short v[0:1], v3, off
.LBB46_747:
	s_mov_b64 s[28:29], 0
.LBB46_748:
	s_andn2_b64 vcc, exec, s[28:29]
	s_cbranch_vccnz .LBB46_753
; %bb.749:
	s_cmp_gt_i32 s34, 0
	s_mov_b64 s[28:29], -1
	s_cbranch_scc0 .LBB46_751
; %bb.750:
	s_mov_b64 s[28:29], 0
	global_store_byte v[0:1], v2, off
.LBB46_751:
	s_andn2_b64 vcc, exec, s[28:29]
	s_cbranch_vccnz .LBB46_753
; %bb.752:
	global_store_byte v[0:1], v2, off
.LBB46_753:
	s_mov_b64 s[28:29], -1
.LBB46_754:
	s_andn2_b64 vcc, exec, s[28:29]
	s_cbranch_vccnz .LBB46_767
; %bb.755:
	v_add_u32_e32 v14, 0x80, v14
	s_mov_b64 s[34:35], -1
.LBB46_756:
	s_andn2_b64 s[28:29], s[16:17], exec
	s_and_b64 s[0:1], s[0:1], exec
	s_or_b64 s[28:29], s[28:29], s[0:1]
	s_andn2_b64 s[0:1], s[18:19], exec
	s_and_b64 s[26:27], s[26:27], exec
	s_or_b64 s[26:27], s[0:1], s[26:27]
	;; [unrolled: 3-line block ×3, first 2 shown]
	s_orn2_b64 s[0:1], s[34:35], exec
.LBB46_757:
	s_or_b64 exec, exec, s[30:31]
	s_mov_b64 s[34:35], 0
	s_mov_b64 s[36:37], 0
	;; [unrolled: 1-line block ×3, first 2 shown]
                                        ; implicit-def: $vgpr2_vgpr3
                                        ; implicit-def: $vgpr0
	s_and_saveexec_b64 s[30:31], s[0:1]
	s_cbranch_execz .LBB46_1219
; %bb.758:
	v_cmp_gt_i32_e32 vcc, s48, v14
	s_mov_b64 s[46:47], -1
	s_mov_b64 s[0:1], s[24:25]
	s_mov_b64 s[38:39], s[26:27]
	;; [unrolled: 1-line block ×3, first 2 shown]
	s_and_saveexec_b64 s[34:35], vcc
	s_cbranch_execz .LBB46_1138
; %bb.759:
	s_waitcnt vmcnt(0)
	v_mul_lo_u32 v0, v14, s13
	v_mov_b32_e32 v1, s11
	s_and_b32 s40, 0xffff, s56
	s_cmp_lt_i32 s40, 11
	v_ashrrev_i32_e32 v3, 31, v0
	v_add_co_u32_e32 v2, vcc, s10, v0
	v_addc_co_u32_e32 v3, vcc, v1, v3, vcc
	s_cbranch_scc1 .LBB46_766
; %bb.760:
	s_cmp_gt_i32 s40, 25
	s_cbranch_scc0 .LBB46_768
; %bb.761:
	s_cmp_gt_i32 s40, 28
	s_cbranch_scc0 .LBB46_769
	;; [unrolled: 3-line block ×4, first 2 shown]
; %bb.764:
	s_cmp_eq_u32 s40, 46
	s_mov_b64 s[38:39], 0
	s_cbranch_scc0 .LBB46_774
; %bb.765:
	global_load_dword v0, v[2:3], off
	s_mov_b64 s[0:1], -1
	s_waitcnt vmcnt(0)
	v_lshlrev_b32_e32 v0, 16, v0
	v_cvt_i32_f32_e32 v0, v0
	s_branch .LBB46_775
.LBB46_766:
	s_mov_b64 s[38:39], -1
	s_mov_b64 s[0:1], 0
                                        ; implicit-def: $vgpr0
	s_mov_b64 s[36:37], s[24:25]
	s_branch .LBB46_836
.LBB46_767:
	s_mov_b64 s[34:35], 0
	s_branch .LBB46_518
.LBB46_768:
	s_mov_b64 s[38:39], -1
	s_mov_b64 s[0:1], 0
	s_mov_b64 s[36:37], s[24:25]
                                        ; implicit-def: $vgpr0
	s_branch .LBB46_802
.LBB46_769:
	s_mov_b64 s[38:39], -1
	s_mov_b64 s[0:1], 0
	s_mov_b64 s[36:37], s[24:25]
                                        ; implicit-def: $vgpr0
	s_branch .LBB46_785
.LBB46_770:
	s_mov_b64 s[38:39], -1
	s_mov_b64 s[0:1], 0
	s_mov_b64 s[36:37], s[24:25]
                                        ; implicit-def: $vgpr0
	s_branch .LBB46_780
.LBB46_771:
	s_mov_b64 s[38:39], -1
	s_mov_b64 s[0:1], 0
	s_mov_b64 s[36:37], s[24:25]
                                        ; implicit-def: $vgpr0
	s_branch .LBB46_775
.LBB46_772:
	s_andn2_saveexec_b64 s[36:37], s[36:37]
	s_cbranch_execz .LBB46_667
.LBB46_773:
	s_mov_b32 s40, 0x46000000
	v_add_f32_e64 v4, |v3|, s40
	v_and_b32_e32 v4, 0xff, v4
	v_cmp_ne_u32_e32 vcc, 0, v4
	s_andn2_b64 s[34:35], s[34:35], exec
	s_and_b64 s[40:41], vcc, exec
	s_or_b64 s[34:35], s[34:35], s[40:41]
	s_or_b64 exec, exec, s[36:37]
	v_mov_b32_e32 v5, 0
	s_and_saveexec_b64 s[36:37], s[34:35]
	s_cbranch_execnz .LBB46_668
	s_branch .LBB46_669
.LBB46_774:
	s_mov_b64 s[36:37], -1
                                        ; implicit-def: $vgpr0
	s_mov_b64 s[0:1], 0
.LBB46_775:
	s_and_b64 vcc, exec, s[38:39]
	s_cbranch_vccz .LBB46_779
; %bb.776:
	s_cmp_eq_u32 s40, 44
	s_cbranch_scc0 .LBB46_778
; %bb.777:
	global_load_ubyte v0, v[2:3], off
	s_mov_b64 s[0:1], -1
	s_mov_b64 s[36:37], 0
	s_waitcnt vmcnt(0)
	v_lshlrev_b32_e32 v1, 23, v0
	v_cvt_i32_f32_e32 v1, v1
	v_cmp_ne_u32_e32 vcc, 0, v0
	v_cndmask_b32_e32 v0, 0, v1, vcc
	s_branch .LBB46_779
.LBB46_778:
	s_mov_b64 s[36:37], -1
                                        ; implicit-def: $vgpr0
.LBB46_779:
	s_mov_b64 s[38:39], 0
.LBB46_780:
	s_and_b64 vcc, exec, s[38:39]
	s_cbranch_vccz .LBB46_784
; %bb.781:
	s_cmp_eq_u32 s40, 29
	s_cbranch_scc0 .LBB46_783
; %bb.782:
	global_load_dwordx2 v[0:1], v[2:3], off
	s_mov_b64 s[0:1], -1
	s_mov_b64 s[36:37], 0
	s_branch .LBB46_784
.LBB46_783:
	s_mov_b64 s[36:37], -1
                                        ; implicit-def: $vgpr0
.LBB46_784:
	s_mov_b64 s[38:39], 0
.LBB46_785:
	s_and_b64 vcc, exec, s[38:39]
	s_cbranch_vccz .LBB46_801
; %bb.786:
	s_cmp_lt_i32 s40, 27
	s_cbranch_scc1 .LBB46_789
; %bb.787:
	s_cmp_gt_i32 s40, 27
	s_cbranch_scc0 .LBB46_790
; %bb.788:
	global_load_dword v0, v[2:3], off
	s_mov_b64 s[0:1], 0
	s_branch .LBB46_791
.LBB46_789:
	s_mov_b64 s[0:1], -1
                                        ; implicit-def: $vgpr0
	s_branch .LBB46_794
.LBB46_790:
	s_mov_b64 s[0:1], -1
                                        ; implicit-def: $vgpr0
.LBB46_791:
	s_andn2_b64 vcc, exec, s[0:1]
	s_cbranch_vccnz .LBB46_793
; %bb.792:
	global_load_ushort v0, v[2:3], off
.LBB46_793:
	s_mov_b64 s[0:1], 0
.LBB46_794:
	s_andn2_b64 vcc, exec, s[0:1]
	s_cbranch_vccnz .LBB46_800
; %bb.795:
	global_load_ubyte v1, v[2:3], off
	s_movk_i32 s0, 0x7f
	s_mov_b64 s[38:39], 0
	s_waitcnt vmcnt(0)
	v_cmp_lt_i16_e32 vcc, s0, v1
	s_and_saveexec_b64 s[0:1], vcc
	s_xor_b64 s[0:1], exec, s[0:1]
	s_cbranch_execz .LBB46_812
; %bb.796:
	s_movk_i32 s38, 0x80
	v_cmp_ne_u16_e32 vcc, s38, v1
	s_and_b64 s[38:39], vcc, exec
	s_andn2_saveexec_b64 s[0:1], s[0:1]
	s_cbranch_execnz .LBB46_813
.LBB46_797:
	s_or_b64 exec, exec, s[0:1]
	v_mov_b32_e32 v0, 0
	s_and_saveexec_b64 s[0:1], s[38:39]
	s_cbranch_execz .LBB46_799
.LBB46_798:
	v_lshlrev_b32_e32 v0, 24, v1
	v_and_b32_e32 v1, 0xffff, v1
	v_and_b32_e32 v4, 7, v1
	v_ffbh_u32_e32 v6, v4
	v_min_u32_e32 v6, 32, v6
	v_subrev_u32_e32 v7, 28, v6
	v_bfe_u32 v5, v1, 3, 4
	v_lshlrev_b32_e32 v1, v7, v1
	v_sub_u32_e32 v6, 29, v6
	v_and_b32_e32 v1, 7, v1
	v_cmp_eq_u32_e32 vcc, 0, v5
	v_cndmask_b32_e32 v5, v5, v6, vcc
	v_cndmask_b32_e32 v1, v4, v1, vcc
	v_mov_b32_e32 v4, 0x3b800000
	v_lshlrev_b32_e32 v1, 20, v1
	v_and_b32_e32 v0, 0x80000000, v0
	v_lshl_add_u32 v4, v5, 23, v4
	v_or3_b32 v0, v0, v4, v1
	v_cvt_i32_f32_e32 v0, v0
.LBB46_799:
	s_or_b64 exec, exec, s[0:1]
.LBB46_800:
	s_mov_b64 s[0:1], -1
.LBB46_801:
	s_mov_b64 s[38:39], 0
.LBB46_802:
	s_and_b64 vcc, exec, s[38:39]
	s_cbranch_vccz .LBB46_835
; %bb.803:
	s_cmp_gt_i32 s40, 22
	s_cbranch_scc0 .LBB46_811
; %bb.804:
	s_cmp_lt_i32 s40, 24
	s_cbranch_scc1 .LBB46_814
; %bb.805:
	s_cmp_gt_i32 s40, 24
	s_cbranch_scc0 .LBB46_815
; %bb.806:
	global_load_ubyte v1, v[2:3], off
	s_movk_i32 s0, 0x7f
	s_mov_b64 s[38:39], 0
	s_waitcnt vmcnt(0)
	v_cmp_lt_i16_e32 vcc, s0, v1
	s_and_saveexec_b64 s[0:1], vcc
	s_xor_b64 s[0:1], exec, s[0:1]
	s_cbranch_execz .LBB46_827
; %bb.807:
	s_movk_i32 s38, 0x80
	v_cmp_ne_u16_e32 vcc, s38, v1
	s_and_b64 s[38:39], vcc, exec
	s_andn2_saveexec_b64 s[0:1], s[0:1]
	s_cbranch_execnz .LBB46_828
.LBB46_808:
	s_or_b64 exec, exec, s[0:1]
	v_mov_b32_e32 v0, 0
	s_and_saveexec_b64 s[0:1], s[38:39]
	s_cbranch_execz .LBB46_810
.LBB46_809:
	v_lshlrev_b32_e32 v0, 24, v1
	v_and_b32_e32 v1, 0xffff, v1
	v_and_b32_e32 v4, 3, v1
	v_ffbh_u32_e32 v6, v4
	v_min_u32_e32 v6, 32, v6
	v_subrev_u32_e32 v7, 29, v6
	v_bfe_u32 v5, v1, 2, 5
	v_lshlrev_b32_e32 v1, v7, v1
	v_sub_u32_e32 v6, 30, v6
	v_and_b32_e32 v1, 3, v1
	v_cmp_eq_u32_e32 vcc, 0, v5
	v_cndmask_b32_e32 v5, v5, v6, vcc
	v_cndmask_b32_e32 v1, v4, v1, vcc
	v_mov_b32_e32 v4, 0x37800000
	v_lshlrev_b32_e32 v1, 21, v1
	v_and_b32_e32 v0, 0x80000000, v0
	v_lshl_add_u32 v4, v5, 23, v4
	v_or3_b32 v0, v0, v4, v1
	v_cvt_i32_f32_e32 v0, v0
.LBB46_810:
	s_or_b64 exec, exec, s[0:1]
	s_mov_b64 s[0:1], 0
	s_branch .LBB46_816
.LBB46_811:
	s_mov_b64 s[38:39], -1
                                        ; implicit-def: $vgpr0
	s_branch .LBB46_822
.LBB46_812:
	s_andn2_saveexec_b64 s[0:1], s[0:1]
	s_cbranch_execz .LBB46_797
.LBB46_813:
	v_cmp_ne_u16_e32 vcc, 0, v1
	s_andn2_b64 s[38:39], s[38:39], exec
	s_and_b64 s[42:43], vcc, exec
	s_or_b64 s[38:39], s[38:39], s[42:43]
	s_or_b64 exec, exec, s[0:1]
	v_mov_b32_e32 v0, 0
	s_and_saveexec_b64 s[0:1], s[38:39]
	s_cbranch_execnz .LBB46_798
	s_branch .LBB46_799
.LBB46_814:
	s_mov_b64 s[0:1], -1
                                        ; implicit-def: $vgpr0
	s_branch .LBB46_819
.LBB46_815:
	s_mov_b64 s[0:1], -1
                                        ; implicit-def: $vgpr0
.LBB46_816:
	s_and_b64 vcc, exec, s[0:1]
	s_cbranch_vccz .LBB46_818
; %bb.817:
	global_load_ubyte v0, v[2:3], off
	s_mov_b32 s0, 0x7f800000
	s_waitcnt vmcnt(0)
	v_lshlrev_b32_e32 v0, 24, v0
	v_and_b32_e32 v1, 0x7f000000, v0
	v_ffbh_u32_e32 v4, v1
	v_min_u32_e32 v4, 32, v4
	v_sub_u32_e64 v4, v4, 4 clamp
	v_lshlrev_b32_e32 v6, v4, v1
	v_lshlrev_b32_e32 v4, 23, v4
	v_lshrrev_b32_e32 v6, 4, v6
	v_add_u32_e32 v5, 0x1000000, v1
	v_sub_u32_e32 v4, v6, v4
	v_ashrrev_i32_e32 v5, 8, v5
	v_add_u32_e32 v4, 0x3c000000, v4
	v_and_or_b32 v4, v5, s0, v4
	v_cmp_ne_u32_e32 vcc, 0, v1
	v_cndmask_b32_e32 v1, 0, v4, vcc
	s_brev_b32 s0, 1
	v_and_or_b32 v0, v0, s0, v1
	v_cvt_i32_f32_e32 v0, v0
.LBB46_818:
	s_mov_b64 s[0:1], 0
.LBB46_819:
	s_andn2_b64 vcc, exec, s[0:1]
	s_cbranch_vccnz .LBB46_821
; %bb.820:
	global_load_ubyte v0, v[2:3], off
	s_movk_i32 s0, 0x7f00
	s_brev_b32 s1, 16
	s_waitcnt vmcnt(0)
	v_lshlrev_b16_e32 v1, 8, v0
	v_lshlrev_b32_e32 v0, 25, v0
	v_lshrrev_b32_e32 v4, 4, v0
	v_and_or_b32 v5, v1, s0, 0.5
	v_or_b32_e32 v4, 0x70000000, v4
	v_add_f32_e32 v5, -0.5, v5
	v_mul_f32_e32 v4, 0x7800000, v4
	v_cmp_gt_u32_e32 vcc, s1, v0
	v_bfe_i32 v1, v1, 0, 16
	v_cndmask_b32_e32 v0, v4, v5, vcc
	s_brev_b32 s0, 1
	v_and_or_b32 v0, v1, s0, v0
	v_cvt_i32_f32_e32 v0, v0
.LBB46_821:
	s_mov_b64 s[38:39], 0
	s_mov_b64 s[0:1], -1
.LBB46_822:
	s_andn2_b64 vcc, exec, s[38:39]
	s_cbranch_vccnz .LBB46_835
; %bb.823:
	s_cmp_gt_i32 s40, 14
	s_cbranch_scc0 .LBB46_826
; %bb.824:
	s_cmp_eq_u32 s40, 15
	s_cbranch_scc0 .LBB46_829
; %bb.825:
	global_load_ushort v0, v[2:3], off
	s_mov_b64 s[0:1], -1
	s_mov_b64 s[36:37], 0
	s_waitcnt vmcnt(0)
	v_lshlrev_b32_e32 v0, 16, v0
	v_cvt_i32_f32_e32 v0, v0
	s_branch .LBB46_830
.LBB46_826:
	s_mov_b64 s[38:39], -1
                                        ; implicit-def: $vgpr0
	s_branch .LBB46_831
.LBB46_827:
	s_andn2_saveexec_b64 s[0:1], s[0:1]
	s_cbranch_execz .LBB46_808
.LBB46_828:
	v_cmp_ne_u16_e32 vcc, 0, v1
	s_andn2_b64 s[38:39], s[38:39], exec
	s_and_b64 s[42:43], vcc, exec
	s_or_b64 s[38:39], s[38:39], s[42:43]
	s_or_b64 exec, exec, s[0:1]
	v_mov_b32_e32 v0, 0
	s_and_saveexec_b64 s[0:1], s[38:39]
	s_cbranch_execnz .LBB46_809
	s_branch .LBB46_810
.LBB46_829:
	s_mov_b64 s[36:37], -1
                                        ; implicit-def: $vgpr0
.LBB46_830:
	s_mov_b64 s[38:39], 0
.LBB46_831:
	s_and_b64 vcc, exec, s[38:39]
	s_cbranch_vccz .LBB46_835
; %bb.832:
	s_cmp_eq_u32 s40, 11
	s_cbranch_scc0 .LBB46_834
; %bb.833:
	global_load_ubyte v0, v[2:3], off
	s_mov_b64 s[0:1], -1
	s_mov_b64 s[36:37], 0
	s_waitcnt vmcnt(0)
	v_cmp_ne_u16_e32 vcc, 0, v0
	v_cndmask_b32_e64 v0, 0, 1, vcc
	s_branch .LBB46_835
.LBB46_834:
	s_mov_b64 s[36:37], -1
                                        ; implicit-def: $vgpr0
.LBB46_835:
	s_mov_b64 s[38:39], 0
.LBB46_836:
	s_and_b64 vcc, exec, s[38:39]
	s_cbranch_vccz .LBB46_885
; %bb.837:
	s_cmp_lt_i32 s40, 5
	s_cbranch_scc1 .LBB46_842
; %bb.838:
	s_cmp_lt_i32 s40, 8
	s_cbranch_scc1 .LBB46_843
	;; [unrolled: 3-line block ×3, first 2 shown]
; %bb.840:
	s_cmp_gt_i32 s40, 9
	s_cbranch_scc0 .LBB46_845
; %bb.841:
	global_load_dwordx2 v[0:1], v[2:3], off
	s_mov_b64 s[0:1], 0
	s_waitcnt vmcnt(0)
	v_cvt_i32_f64_e32 v0, v[0:1]
	s_branch .LBB46_846
.LBB46_842:
	s_mov_b64 s[0:1], -1
                                        ; implicit-def: $vgpr0
	s_branch .LBB46_864
.LBB46_843:
	s_mov_b64 s[0:1], -1
                                        ; implicit-def: $vgpr0
	s_branch .LBB46_852
.LBB46_844:
	s_mov_b64 s[0:1], -1
                                        ; implicit-def: $vgpr0
	s_branch .LBB46_849
.LBB46_845:
	s_mov_b64 s[0:1], -1
                                        ; implicit-def: $vgpr0
.LBB46_846:
	s_andn2_b64 vcc, exec, s[0:1]
	s_cbranch_vccnz .LBB46_848
; %bb.847:
	global_load_dword v0, v[2:3], off
	s_waitcnt vmcnt(0)
	v_cvt_i32_f32_e32 v0, v0
.LBB46_848:
	s_mov_b64 s[0:1], 0
.LBB46_849:
	s_andn2_b64 vcc, exec, s[0:1]
	s_cbranch_vccnz .LBB46_851
; %bb.850:
	global_load_dword v0, v[2:3], off
	s_waitcnt vmcnt(0)
	v_cvt_i16_f16_e32 v0, v0
.LBB46_851:
	s_mov_b64 s[0:1], 0
.LBB46_852:
	s_andn2_b64 vcc, exec, s[0:1]
	s_cbranch_vccnz .LBB46_863
; %bb.853:
	s_cmp_lt_i32 s40, 6
	s_cbranch_scc1 .LBB46_856
; %bb.854:
	s_cmp_gt_i32 s40, 6
	s_cbranch_scc0 .LBB46_857
; %bb.855:
	global_load_dwordx2 v[0:1], v[2:3], off
	s_mov_b64 s[0:1], 0
	s_waitcnt vmcnt(0)
	v_cvt_i32_f64_e32 v0, v[0:1]
	s_branch .LBB46_858
.LBB46_856:
	s_mov_b64 s[0:1], -1
                                        ; implicit-def: $vgpr0
	s_branch .LBB46_861
.LBB46_857:
	s_mov_b64 s[0:1], -1
                                        ; implicit-def: $vgpr0
.LBB46_858:
	s_andn2_b64 vcc, exec, s[0:1]
	s_cbranch_vccnz .LBB46_860
; %bb.859:
	global_load_dword v0, v[2:3], off
	s_waitcnt vmcnt(0)
	v_cvt_i32_f32_e32 v0, v0
.LBB46_860:
	s_mov_b64 s[0:1], 0
.LBB46_861:
	s_andn2_b64 vcc, exec, s[0:1]
	s_cbranch_vccnz .LBB46_863
; %bb.862:
	global_load_ushort v0, v[2:3], off
	s_waitcnt vmcnt(0)
	v_cvt_i16_f16_e32 v0, v0
.LBB46_863:
	s_mov_b64 s[0:1], 0
.LBB46_864:
	s_andn2_b64 vcc, exec, s[0:1]
	s_cbranch_vccnz .LBB46_884
; %bb.865:
	s_cmp_lt_i32 s40, 2
	s_cbranch_scc1 .LBB46_869
; %bb.866:
	s_cmp_lt_i32 s40, 3
	s_cbranch_scc1 .LBB46_870
; %bb.867:
	s_cmp_gt_i32 s40, 3
	s_cbranch_scc0 .LBB46_871
; %bb.868:
	global_load_dwordx2 v[0:1], v[2:3], off
	s_mov_b64 s[0:1], 0
	s_branch .LBB46_872
.LBB46_869:
	s_mov_b64 s[0:1], -1
                                        ; implicit-def: $vgpr0
	s_branch .LBB46_878
.LBB46_870:
	s_mov_b64 s[0:1], -1
                                        ; implicit-def: $vgpr0
	s_branch .LBB46_875
.LBB46_871:
	s_mov_b64 s[0:1], -1
                                        ; implicit-def: $vgpr0
.LBB46_872:
	s_andn2_b64 vcc, exec, s[0:1]
	s_cbranch_vccnz .LBB46_874
; %bb.873:
	global_load_dword v0, v[2:3], off
.LBB46_874:
	s_mov_b64 s[0:1], 0
.LBB46_875:
	s_andn2_b64 vcc, exec, s[0:1]
	s_cbranch_vccnz .LBB46_877
; %bb.876:
	global_load_ushort v0, v[2:3], off
.LBB46_877:
	s_mov_b64 s[0:1], 0
.LBB46_878:
	s_andn2_b64 vcc, exec, s[0:1]
	s_cbranch_vccnz .LBB46_884
; %bb.879:
	s_cmp_gt_i32 s40, 0
	s_cbranch_scc0 .LBB46_881
; %bb.880:
	global_load_ubyte v0, v[2:3], off
	s_mov_b64 s[0:1], 0
	s_branch .LBB46_882
.LBB46_881:
	s_mov_b64 s[0:1], -1
                                        ; implicit-def: $vgpr0
.LBB46_882:
	s_andn2_b64 vcc, exec, s[0:1]
	s_cbranch_vccnz .LBB46_884
; %bb.883:
	global_load_ubyte v0, v[2:3], off
.LBB46_884:
	s_mov_b64 s[0:1], -1
.LBB46_885:
	s_andn2_b64 vcc, exec, s[0:1]
	s_cbranch_vccnz .LBB46_893
; %bb.886:
	s_waitcnt vmcnt(0)
	v_mul_lo_u32 v1, v14, s14
	v_mov_b32_e32 v2, s3
	s_and_b32 s42, s15, 0xff
	s_cmp_lt_i32 s42, 11
	v_ashrrev_i32_e32 v3, 31, v1
	v_add_co_u32_e32 v1, vcc, s2, v1
	v_addc_co_u32_e32 v2, vcc, v2, v3, vcc
	s_cbranch_scc1 .LBB46_895
; %bb.887:
	s_and_b32 s43, 0xffff, s42
	s_cmp_gt_i32 s43, 25
	s_cbranch_scc0 .LBB46_896
; %bb.888:
	s_cmp_gt_i32 s43, 28
	s_cbranch_scc0 .LBB46_897
; %bb.889:
	;; [unrolled: 3-line block ×4, first 2 shown]
	s_cmp_eq_u32 s43, 46
	s_mov_b64 s[40:41], 0
	s_cbranch_scc0 .LBB46_902
; %bb.892:
	global_load_dword v3, v[1:2], off
	s_mov_b64 s[0:1], -1
	s_mov_b64 s[38:39], 0
	s_waitcnt vmcnt(0)
	v_lshlrev_b32_e32 v3, 16, v3
	v_cvt_i32_f32_e32 v3, v3
	s_branch .LBB46_903
.LBB46_893:
	s_mov_b64 s[42:43], 0
	s_mov_b64 s[0:1], s[28:29]
	;; [unrolled: 1-line block ×3, first 2 shown]
.LBB46_894:
                                        ; implicit-def: $vgpr14
	s_branch .LBB46_1137
.LBB46_895:
	s_mov_b64 s[40:41], -1
	s_mov_b64 s[0:1], 0
                                        ; implicit-def: $vgpr3
	s_mov_b64 s[38:39], s[26:27]
	s_branch .LBB46_964
.LBB46_896:
	s_mov_b64 s[40:41], -1
	s_mov_b64 s[0:1], 0
	s_mov_b64 s[38:39], s[26:27]
                                        ; implicit-def: $vgpr3
	s_branch .LBB46_930
.LBB46_897:
	s_mov_b64 s[40:41], -1
	s_mov_b64 s[0:1], 0
	s_mov_b64 s[38:39], s[26:27]
                                        ; implicit-def: $vgpr3
	s_branch .LBB46_913
.LBB46_898:
	s_mov_b64 s[40:41], -1
	s_mov_b64 s[0:1], 0
	s_mov_b64 s[38:39], s[26:27]
                                        ; implicit-def: $vgpr3
	s_branch .LBB46_908
.LBB46_899:
	s_mov_b64 s[40:41], -1
	s_mov_b64 s[0:1], 0
	s_mov_b64 s[38:39], s[26:27]
                                        ; implicit-def: $vgpr3
	s_branch .LBB46_903
.LBB46_900:
	s_andn2_saveexec_b64 s[36:37], s[36:37]
	s_cbranch_execz .LBB46_680
.LBB46_901:
	s_mov_b32 s40, 0x42800000
	v_add_f32_e64 v4, |v3|, s40
	v_and_b32_e32 v4, 0xff, v4
	v_cmp_ne_u32_e32 vcc, 0, v4
	s_andn2_b64 s[34:35], s[34:35], exec
	s_and_b64 s[40:41], vcc, exec
	s_or_b64 s[34:35], s[34:35], s[40:41]
	s_or_b64 exec, exec, s[36:37]
	v_mov_b32_e32 v5, 0
	s_and_saveexec_b64 s[36:37], s[34:35]
	s_cbranch_execnz .LBB46_681
	s_branch .LBB46_682
.LBB46_902:
	s_mov_b64 s[38:39], -1
                                        ; implicit-def: $vgpr3
	s_mov_b64 s[0:1], 0
.LBB46_903:
	s_and_b64 vcc, exec, s[40:41]
	s_cbranch_vccz .LBB46_907
; %bb.904:
	s_cmp_eq_u32 s43, 44
	s_cbranch_scc0 .LBB46_906
; %bb.905:
	global_load_ubyte v3, v[1:2], off
	s_mov_b64 s[0:1], -1
	s_mov_b64 s[38:39], 0
	s_waitcnt vmcnt(0)
	v_lshlrev_b32_e32 v4, 23, v3
	v_cvt_i32_f32_e32 v4, v4
	v_cmp_ne_u32_e32 vcc, 0, v3
	v_cndmask_b32_e32 v3, 0, v4, vcc
	s_branch .LBB46_907
.LBB46_906:
	s_mov_b64 s[38:39], -1
                                        ; implicit-def: $vgpr3
.LBB46_907:
	s_mov_b64 s[40:41], 0
.LBB46_908:
	s_and_b64 vcc, exec, s[40:41]
	s_cbranch_vccz .LBB46_912
; %bb.909:
	s_cmp_eq_u32 s43, 29
	s_cbranch_scc0 .LBB46_911
; %bb.910:
	global_load_dwordx2 v[3:4], v[1:2], off
	s_mov_b64 s[0:1], -1
	s_mov_b64 s[38:39], 0
	s_branch .LBB46_912
.LBB46_911:
	s_mov_b64 s[38:39], -1
                                        ; implicit-def: $vgpr3
.LBB46_912:
	s_mov_b64 s[40:41], 0
.LBB46_913:
	s_and_b64 vcc, exec, s[40:41]
	s_cbranch_vccz .LBB46_929
; %bb.914:
	s_cmp_lt_i32 s43, 27
	s_cbranch_scc1 .LBB46_917
; %bb.915:
	s_cmp_gt_i32 s43, 27
	s_cbranch_scc0 .LBB46_918
; %bb.916:
	global_load_dword v3, v[1:2], off
	s_mov_b64 s[0:1], 0
	s_branch .LBB46_919
.LBB46_917:
	s_mov_b64 s[0:1], -1
                                        ; implicit-def: $vgpr3
	s_branch .LBB46_922
.LBB46_918:
	s_mov_b64 s[0:1], -1
                                        ; implicit-def: $vgpr3
.LBB46_919:
	s_andn2_b64 vcc, exec, s[0:1]
	s_cbranch_vccnz .LBB46_921
; %bb.920:
	global_load_ushort v3, v[1:2], off
.LBB46_921:
	s_mov_b64 s[0:1], 0
.LBB46_922:
	s_andn2_b64 vcc, exec, s[0:1]
	s_cbranch_vccnz .LBB46_928
; %bb.923:
	global_load_ubyte v4, v[1:2], off
	s_movk_i32 s0, 0x7f
	s_mov_b64 s[40:41], 0
	s_waitcnt vmcnt(0)
	v_cmp_lt_i16_e32 vcc, s0, v4
	s_and_saveexec_b64 s[0:1], vcc
	s_xor_b64 s[0:1], exec, s[0:1]
	s_cbranch_execz .LBB46_940
; %bb.924:
	s_movk_i32 s40, 0x80
	v_cmp_ne_u16_e32 vcc, s40, v4
	s_and_b64 s[40:41], vcc, exec
	s_andn2_saveexec_b64 s[0:1], s[0:1]
	s_cbranch_execnz .LBB46_941
.LBB46_925:
	s_or_b64 exec, exec, s[0:1]
	v_mov_b32_e32 v3, 0
	s_and_saveexec_b64 s[0:1], s[40:41]
	s_cbranch_execz .LBB46_927
.LBB46_926:
	v_lshlrev_b32_e32 v3, 24, v4
	v_and_b32_e32 v4, 0xffff, v4
	v_and_b32_e32 v5, 7, v4
	v_ffbh_u32_e32 v7, v5
	v_min_u32_e32 v7, 32, v7
	v_subrev_u32_e32 v8, 28, v7
	v_bfe_u32 v6, v4, 3, 4
	v_lshlrev_b32_e32 v4, v8, v4
	v_sub_u32_e32 v7, 29, v7
	v_and_b32_e32 v4, 7, v4
	v_cmp_eq_u32_e32 vcc, 0, v6
	v_cndmask_b32_e32 v6, v6, v7, vcc
	v_cndmask_b32_e32 v4, v5, v4, vcc
	v_mov_b32_e32 v5, 0x3b800000
	v_lshlrev_b32_e32 v4, 20, v4
	v_and_b32_e32 v3, 0x80000000, v3
	v_lshl_add_u32 v5, v6, 23, v5
	v_or3_b32 v3, v3, v5, v4
	v_cvt_i32_f32_e32 v3, v3
.LBB46_927:
	s_or_b64 exec, exec, s[0:1]
.LBB46_928:
	s_mov_b64 s[0:1], -1
.LBB46_929:
	s_mov_b64 s[40:41], 0
.LBB46_930:
	s_and_b64 vcc, exec, s[40:41]
	s_cbranch_vccz .LBB46_963
; %bb.931:
	s_cmp_gt_i32 s43, 22
	s_cbranch_scc0 .LBB46_939
; %bb.932:
	s_cmp_lt_i32 s43, 24
	s_cbranch_scc1 .LBB46_942
; %bb.933:
	s_cmp_gt_i32 s43, 24
	s_cbranch_scc0 .LBB46_943
; %bb.934:
	global_load_ubyte v4, v[1:2], off
	s_movk_i32 s0, 0x7f
	s_mov_b64 s[40:41], 0
	s_waitcnt vmcnt(0)
	v_cmp_lt_i16_e32 vcc, s0, v4
	s_and_saveexec_b64 s[0:1], vcc
	s_xor_b64 s[0:1], exec, s[0:1]
	s_cbranch_execz .LBB46_955
; %bb.935:
	s_movk_i32 s40, 0x80
	v_cmp_ne_u16_e32 vcc, s40, v4
	s_and_b64 s[40:41], vcc, exec
	s_andn2_saveexec_b64 s[0:1], s[0:1]
	s_cbranch_execnz .LBB46_956
.LBB46_936:
	s_or_b64 exec, exec, s[0:1]
	v_mov_b32_e32 v3, 0
	s_and_saveexec_b64 s[0:1], s[40:41]
	s_cbranch_execz .LBB46_938
.LBB46_937:
	v_lshlrev_b32_e32 v3, 24, v4
	v_and_b32_e32 v4, 0xffff, v4
	v_and_b32_e32 v5, 3, v4
	v_ffbh_u32_e32 v7, v5
	v_min_u32_e32 v7, 32, v7
	v_subrev_u32_e32 v8, 29, v7
	v_bfe_u32 v6, v4, 2, 5
	v_lshlrev_b32_e32 v4, v8, v4
	v_sub_u32_e32 v7, 30, v7
	v_and_b32_e32 v4, 3, v4
	v_cmp_eq_u32_e32 vcc, 0, v6
	v_cndmask_b32_e32 v6, v6, v7, vcc
	v_cndmask_b32_e32 v4, v5, v4, vcc
	v_mov_b32_e32 v5, 0x37800000
	v_lshlrev_b32_e32 v4, 21, v4
	v_and_b32_e32 v3, 0x80000000, v3
	v_lshl_add_u32 v5, v6, 23, v5
	v_or3_b32 v3, v3, v5, v4
	v_cvt_i32_f32_e32 v3, v3
.LBB46_938:
	s_or_b64 exec, exec, s[0:1]
	s_mov_b64 s[0:1], 0
	s_branch .LBB46_944
.LBB46_939:
	s_mov_b64 s[40:41], -1
                                        ; implicit-def: $vgpr3
	s_branch .LBB46_950
.LBB46_940:
	s_andn2_saveexec_b64 s[0:1], s[0:1]
	s_cbranch_execz .LBB46_925
.LBB46_941:
	v_cmp_ne_u16_e32 vcc, 0, v4
	s_andn2_b64 s[40:41], s[40:41], exec
	s_and_b64 s[44:45], vcc, exec
	s_or_b64 s[40:41], s[40:41], s[44:45]
	s_or_b64 exec, exec, s[0:1]
	v_mov_b32_e32 v3, 0
	s_and_saveexec_b64 s[0:1], s[40:41]
	s_cbranch_execnz .LBB46_926
	s_branch .LBB46_927
.LBB46_942:
	s_mov_b64 s[0:1], -1
                                        ; implicit-def: $vgpr3
	s_branch .LBB46_947
.LBB46_943:
	s_mov_b64 s[0:1], -1
                                        ; implicit-def: $vgpr3
.LBB46_944:
	s_and_b64 vcc, exec, s[0:1]
	s_cbranch_vccz .LBB46_946
; %bb.945:
	global_load_ubyte v3, v[1:2], off
	s_mov_b32 s0, 0x7f800000
	s_waitcnt vmcnt(0)
	v_lshlrev_b32_e32 v3, 24, v3
	v_and_b32_e32 v4, 0x7f000000, v3
	v_ffbh_u32_e32 v5, v4
	v_min_u32_e32 v5, 32, v5
	v_sub_u32_e64 v5, v5, 4 clamp
	v_lshlrev_b32_e32 v7, v5, v4
	v_lshlrev_b32_e32 v5, 23, v5
	v_lshrrev_b32_e32 v7, 4, v7
	v_add_u32_e32 v6, 0x1000000, v4
	v_sub_u32_e32 v5, v7, v5
	v_ashrrev_i32_e32 v6, 8, v6
	v_add_u32_e32 v5, 0x3c000000, v5
	v_and_or_b32 v5, v6, s0, v5
	v_cmp_ne_u32_e32 vcc, 0, v4
	v_cndmask_b32_e32 v4, 0, v5, vcc
	s_brev_b32 s0, 1
	v_and_or_b32 v3, v3, s0, v4
	v_cvt_i32_f32_e32 v3, v3
.LBB46_946:
	s_mov_b64 s[0:1], 0
.LBB46_947:
	s_andn2_b64 vcc, exec, s[0:1]
	s_cbranch_vccnz .LBB46_949
; %bb.948:
	global_load_ubyte v3, v[1:2], off
	s_movk_i32 s0, 0x7f00
	s_brev_b32 s1, 16
	s_waitcnt vmcnt(0)
	v_lshlrev_b16_e32 v4, 8, v3
	v_lshlrev_b32_e32 v3, 25, v3
	v_lshrrev_b32_e32 v5, 4, v3
	v_and_or_b32 v6, v4, s0, 0.5
	v_or_b32_e32 v5, 0x70000000, v5
	v_add_f32_e32 v6, -0.5, v6
	v_mul_f32_e32 v5, 0x7800000, v5
	v_cmp_gt_u32_e32 vcc, s1, v3
	v_bfe_i32 v4, v4, 0, 16
	v_cndmask_b32_e32 v3, v5, v6, vcc
	s_brev_b32 s0, 1
	v_and_or_b32 v3, v4, s0, v3
	v_cvt_i32_f32_e32 v3, v3
.LBB46_949:
	s_mov_b64 s[40:41], 0
	s_mov_b64 s[0:1], -1
.LBB46_950:
	s_andn2_b64 vcc, exec, s[40:41]
	s_cbranch_vccnz .LBB46_963
; %bb.951:
	s_cmp_gt_i32 s43, 14
	s_cbranch_scc0 .LBB46_954
; %bb.952:
	s_cmp_eq_u32 s43, 15
	s_cbranch_scc0 .LBB46_957
; %bb.953:
	global_load_ushort v3, v[1:2], off
	s_mov_b64 s[0:1], -1
	s_mov_b64 s[38:39], 0
	s_waitcnt vmcnt(0)
	v_lshlrev_b32_e32 v3, 16, v3
	v_cvt_i32_f32_e32 v3, v3
	s_branch .LBB46_958
.LBB46_954:
	s_mov_b64 s[40:41], -1
                                        ; implicit-def: $vgpr3
	s_branch .LBB46_959
.LBB46_955:
	s_andn2_saveexec_b64 s[0:1], s[0:1]
	s_cbranch_execz .LBB46_936
.LBB46_956:
	v_cmp_ne_u16_e32 vcc, 0, v4
	s_andn2_b64 s[40:41], s[40:41], exec
	s_and_b64 s[44:45], vcc, exec
	s_or_b64 s[40:41], s[40:41], s[44:45]
	s_or_b64 exec, exec, s[0:1]
	v_mov_b32_e32 v3, 0
	s_and_saveexec_b64 s[0:1], s[40:41]
	s_cbranch_execnz .LBB46_937
	s_branch .LBB46_938
.LBB46_957:
	s_mov_b64 s[38:39], -1
                                        ; implicit-def: $vgpr3
.LBB46_958:
	s_mov_b64 s[40:41], 0
.LBB46_959:
	s_and_b64 vcc, exec, s[40:41]
	s_cbranch_vccz .LBB46_963
; %bb.960:
	s_cmp_eq_u32 s43, 11
	s_cbranch_scc0 .LBB46_962
; %bb.961:
	global_load_ubyte v3, v[1:2], off
	s_mov_b64 s[0:1], -1
	s_mov_b64 s[38:39], 0
	s_waitcnt vmcnt(0)
	v_cmp_ne_u16_e32 vcc, 0, v3
	v_cndmask_b32_e64 v3, 0, 1, vcc
	s_branch .LBB46_963
.LBB46_962:
	s_mov_b64 s[38:39], -1
                                        ; implicit-def: $vgpr3
.LBB46_963:
	s_mov_b64 s[40:41], 0
.LBB46_964:
	s_and_b64 vcc, exec, s[40:41]
	s_cbranch_vccz .LBB46_1013
; %bb.965:
	s_and_b32 s40, 0xffff, s42
	s_cmp_lt_i32 s40, 5
	s_cbranch_scc1 .LBB46_970
; %bb.966:
	s_cmp_lt_i32 s40, 8
	s_cbranch_scc1 .LBB46_971
; %bb.967:
	;; [unrolled: 3-line block ×3, first 2 shown]
	s_cmp_gt_i32 s40, 9
	s_cbranch_scc0 .LBB46_973
; %bb.969:
	global_load_dwordx2 v[3:4], v[1:2], off
	s_mov_b64 s[0:1], 0
	s_waitcnt vmcnt(0)
	v_cvt_i32_f64_e32 v3, v[3:4]
	s_branch .LBB46_974
.LBB46_970:
	s_mov_b64 s[0:1], -1
                                        ; implicit-def: $vgpr3
	s_branch .LBB46_992
.LBB46_971:
	s_mov_b64 s[0:1], -1
                                        ; implicit-def: $vgpr3
	s_branch .LBB46_980
.LBB46_972:
	s_mov_b64 s[0:1], -1
                                        ; implicit-def: $vgpr3
	s_branch .LBB46_977
.LBB46_973:
	s_mov_b64 s[0:1], -1
                                        ; implicit-def: $vgpr3
.LBB46_974:
	s_andn2_b64 vcc, exec, s[0:1]
	s_cbranch_vccnz .LBB46_976
; %bb.975:
	global_load_dword v3, v[1:2], off
	s_waitcnt vmcnt(0)
	v_cvt_i32_f32_e32 v3, v3
.LBB46_976:
	s_mov_b64 s[0:1], 0
.LBB46_977:
	s_andn2_b64 vcc, exec, s[0:1]
	s_cbranch_vccnz .LBB46_979
; %bb.978:
	global_load_dword v3, v[1:2], off
	s_waitcnt vmcnt(0)
	v_cvt_i16_f16_e32 v3, v3
.LBB46_979:
	s_mov_b64 s[0:1], 0
.LBB46_980:
	s_andn2_b64 vcc, exec, s[0:1]
	s_cbranch_vccnz .LBB46_991
; %bb.981:
	s_cmp_lt_i32 s40, 6
	s_cbranch_scc1 .LBB46_984
; %bb.982:
	s_cmp_gt_i32 s40, 6
	s_cbranch_scc0 .LBB46_985
; %bb.983:
	global_load_dwordx2 v[3:4], v[1:2], off
	s_mov_b64 s[0:1], 0
	s_waitcnt vmcnt(0)
	v_cvt_i32_f64_e32 v3, v[3:4]
	s_branch .LBB46_986
.LBB46_984:
	s_mov_b64 s[0:1], -1
                                        ; implicit-def: $vgpr3
	s_branch .LBB46_989
.LBB46_985:
	s_mov_b64 s[0:1], -1
                                        ; implicit-def: $vgpr3
.LBB46_986:
	s_andn2_b64 vcc, exec, s[0:1]
	s_cbranch_vccnz .LBB46_988
; %bb.987:
	global_load_dword v3, v[1:2], off
	s_waitcnt vmcnt(0)
	v_cvt_i32_f32_e32 v3, v3
.LBB46_988:
	s_mov_b64 s[0:1], 0
.LBB46_989:
	s_andn2_b64 vcc, exec, s[0:1]
	s_cbranch_vccnz .LBB46_991
; %bb.990:
	global_load_ushort v3, v[1:2], off
	s_waitcnt vmcnt(0)
	v_cvt_i16_f16_e32 v3, v3
.LBB46_991:
	s_mov_b64 s[0:1], 0
.LBB46_992:
	s_andn2_b64 vcc, exec, s[0:1]
	s_cbranch_vccnz .LBB46_1012
; %bb.993:
	s_cmp_lt_i32 s40, 2
	s_cbranch_scc1 .LBB46_997
; %bb.994:
	s_cmp_lt_i32 s40, 3
	s_cbranch_scc1 .LBB46_998
; %bb.995:
	s_cmp_gt_i32 s40, 3
	s_cbranch_scc0 .LBB46_999
; %bb.996:
	global_load_dwordx2 v[3:4], v[1:2], off
	s_mov_b64 s[0:1], 0
	s_branch .LBB46_1000
.LBB46_997:
	s_mov_b64 s[0:1], -1
                                        ; implicit-def: $vgpr3
	s_branch .LBB46_1006
.LBB46_998:
	s_mov_b64 s[0:1], -1
                                        ; implicit-def: $vgpr3
	s_branch .LBB46_1003
.LBB46_999:
	s_mov_b64 s[0:1], -1
                                        ; implicit-def: $vgpr3
.LBB46_1000:
	s_andn2_b64 vcc, exec, s[0:1]
	s_cbranch_vccnz .LBB46_1002
; %bb.1001:
	global_load_dword v3, v[1:2], off
.LBB46_1002:
	s_mov_b64 s[0:1], 0
.LBB46_1003:
	s_andn2_b64 vcc, exec, s[0:1]
	s_cbranch_vccnz .LBB46_1005
; %bb.1004:
	global_load_ushort v3, v[1:2], off
.LBB46_1005:
	s_mov_b64 s[0:1], 0
.LBB46_1006:
	s_andn2_b64 vcc, exec, s[0:1]
	s_cbranch_vccnz .LBB46_1012
; %bb.1007:
	s_cmp_gt_i32 s40, 0
	s_cbranch_scc0 .LBB46_1009
; %bb.1008:
	global_load_ubyte v3, v[1:2], off
	s_mov_b64 s[0:1], 0
	s_branch .LBB46_1010
.LBB46_1009:
	s_mov_b64 s[0:1], -1
                                        ; implicit-def: $vgpr3
.LBB46_1010:
	s_andn2_b64 vcc, exec, s[0:1]
	s_cbranch_vccnz .LBB46_1012
; %bb.1011:
	global_load_ubyte v3, v[1:2], off
.LBB46_1012:
	s_mov_b64 s[0:1], -1
.LBB46_1013:
	s_andn2_b64 vcc, exec, s[0:1]
	s_cbranch_vccnz .LBB46_1021
; %bb.1014:
	v_mul_lo_u32 v1, v14, s12
	v_mov_b32_e32 v2, s54
	v_cmp_gt_i16_sdwa vcc, sext(v0), s33 src0_sel:BYTE_0 src1_sel:DWORD
	s_waitcnt vmcnt(0)
	v_cndmask_b32_e32 v2, v2, v3, vcc
	v_ashrrev_i32_e32 v3, 31, v1
	v_mov_b32_e32 v4, s9
	s_and_b32 s46, s55, 0xff
	v_add_co_u32_e32 v0, vcc, s8, v1
	s_cmp_lt_i32 s46, 11
	v_addc_co_u32_e32 v1, vcc, v4, v3, vcc
	s_cbranch_scc1 .LBB46_1022
; %bb.1015:
	s_and_b32 s47, 0xffff, s46
	s_cmp_gt_i32 s47, 25
	s_cbranch_scc0 .LBB46_1023
; %bb.1016:
	s_cmp_gt_i32 s47, 28
	s_cbranch_scc0 .LBB46_1024
; %bb.1017:
	;; [unrolled: 3-line block ×4, first 2 shown]
	s_mov_b64 s[42:43], 0
	s_mov_b64 s[0:1], -1
	s_cmp_eq_u32 s47, 46
	s_mov_b64 s[40:41], 0
	s_cbranch_scc0 .LBB46_1027
; %bb.1020:
	v_bfe_i32 v3, v2, 0, 8
	v_cvt_f32_i32_sdwa v3, sext(v3) dst_sel:DWORD dst_unused:UNUSED_PAD src0_sel:WORD_0
	s_movk_i32 s0, 0x7fff
	s_mov_b64 s[40:41], -1
	v_bfe_u32 v4, v3, 16, 1
	v_add3_u32 v3, v3, v4, s0
	v_lshrrev_b32_e32 v3, 16, v3
	global_store_dword v[0:1], v3, off
	s_mov_b64 s[0:1], 0
	s_branch .LBB46_1027
.LBB46_1021:
	s_mov_b64 s[42:43], 0
                                        ; implicit-def: $vgpr14
	s_mov_b64 s[0:1], s[28:29]
	s_branch .LBB46_1137
.LBB46_1022:
	s_mov_b64 s[42:43], -1
	s_mov_b64 s[40:41], 0
	s_mov_b64 s[0:1], s[28:29]
	s_branch .LBB46_1096
.LBB46_1023:
	s_mov_b64 s[42:43], -1
	s_mov_b64 s[40:41], 0
	s_mov_b64 s[0:1], s[28:29]
	s_branch .LBB46_1054
.LBB46_1024:
	s_mov_b64 s[42:43], -1
	s_mov_b64 s[40:41], 0
	s_mov_b64 s[0:1], s[28:29]
	s_branch .LBB46_1037
.LBB46_1025:
	s_mov_b64 s[42:43], -1
	s_mov_b64 s[40:41], 0
	s_mov_b64 s[0:1], s[28:29]
	s_branch .LBB46_1033
.LBB46_1026:
	s_mov_b64 s[42:43], -1
	s_mov_b64 s[40:41], 0
	s_mov_b64 s[0:1], s[28:29]
.LBB46_1027:
	s_and_b64 vcc, exec, s[42:43]
	s_cbranch_vccz .LBB46_1032
; %bb.1028:
	s_cmp_eq_u32 s47, 44
	s_mov_b64 s[0:1], -1
	s_cbranch_scc0 .LBB46_1032
; %bb.1029:
	v_bfe_i32 v3, v2, 0, 8
	v_cvt_f32_i32_sdwa v3, sext(v3) dst_sel:DWORD dst_unused:UNUSED_PAD src0_sel:WORD_0
	s_movk_i32 s0, 0xff
	v_mov_b32_e32 v5, 0xff
	v_bfe_u32 v4, v3, 23, 8
	v_cmp_ne_u32_e32 vcc, s0, v4
	s_and_saveexec_b64 s[40:41], vcc
; %bb.1030:
	s_mov_b32 s0, 0x3fffff
	v_lshrrev_b32_e32 v5, 23, v3
	v_and_b32_e32 v6, 0x400000, v3
	v_and_or_b32 v3, v3, s0, v4
	v_cmp_ne_u32_e32 vcc, 0, v6
	v_cmp_ne_u32_e64 s[0:1], 0, v3
	s_and_b64 s[0:1], vcc, s[0:1]
	v_cndmask_b32_e64 v3, 0, 1, s[0:1]
	v_add_u32_e32 v5, v5, v3
; %bb.1031:
	s_or_b64 exec, exec, s[40:41]
	s_mov_b64 s[40:41], -1
	s_mov_b64 s[0:1], 0
	global_store_byte v[0:1], v5, off
.LBB46_1032:
	s_mov_b64 s[42:43], 0
.LBB46_1033:
	s_and_b64 vcc, exec, s[42:43]
	s_cbranch_vccz .LBB46_1036
; %bb.1034:
	s_cmp_eq_u32 s47, 29
	s_mov_b64 s[0:1], -1
	s_cbranch_scc0 .LBB46_1036
; %bb.1035:
	v_bfe_i32 v3, v2, 0, 8
	v_ashrrev_i32_e32 v4, 31, v3
	global_store_dwordx2 v[0:1], v[3:4], off
	s_mov_b64 s[40:41], -1
	s_mov_b64 s[0:1], 0
.LBB46_1036:
	s_mov_b64 s[42:43], 0
.LBB46_1037:
	s_and_b64 vcc, exec, s[42:43]
	s_cbranch_vccz .LBB46_1053
; %bb.1038:
	s_cmp_lt_i32 s47, 27
	s_mov_b64 s[40:41], -1
	s_cbranch_scc1 .LBB46_1044
; %bb.1039:
	s_cmp_gt_i32 s47, 27
	s_cbranch_scc0 .LBB46_1041
; %bb.1040:
	v_bfe_i32 v3, v2, 0, 8
	s_mov_b64 s[40:41], 0
	global_store_dword v[0:1], v3, off
.LBB46_1041:
	s_andn2_b64 vcc, exec, s[40:41]
	s_cbranch_vccnz .LBB46_1043
; %bb.1042:
	v_bfe_i32 v3, v2, 0, 8
	global_store_short v[0:1], v3, off
.LBB46_1043:
	s_mov_b64 s[40:41], 0
.LBB46_1044:
	s_andn2_b64 vcc, exec, s[40:41]
	s_cbranch_vccnz .LBB46_1052
; %bb.1045:
	v_bfe_i32 v3, v2, 0, 8
	v_cvt_f32_i32_sdwa v3, sext(v3) dst_sel:DWORD dst_unused:UNUSED_PAD src0_sel:WORD_0
	s_mov_b32 s40, 0x43800000
	v_mov_b32_e32 v5, 0x80
	v_and_b32_e32 v4, 0x7fffffff, v3
	v_cmp_gt_u32_e32 vcc, s40, v4
	s_and_saveexec_b64 s[40:41], vcc
	s_cbranch_execz .LBB46_1051
; %bb.1046:
	s_mov_b32 s42, 0x3bffffff
	v_cmp_lt_u32_e32 vcc, s42, v4
	s_mov_b64 s[42:43], 0
                                        ; implicit-def: $vgpr4
	s_and_saveexec_b64 s[44:45], vcc
	s_xor_b64 s[44:45], exec, s[44:45]
	s_cbranch_execz .LBB46_1153
; %bb.1047:
	v_bfe_u32 v4, v3, 20, 1
	s_mov_b32 s49, 0x487ffff
	v_add3_u32 v4, v3, v4, s49
	s_mov_b64 s[42:43], exec
	v_lshrrev_b32_e32 v4, 20, v4
	s_andn2_saveexec_b64 s[44:45], s[44:45]
	s_cbranch_execnz .LBB46_1154
.LBB46_1048:
	s_or_b64 exec, exec, s[44:45]
	v_mov_b32_e32 v5, 0
	s_and_saveexec_b64 s[44:45], s[42:43]
.LBB46_1049:
	v_lshrrev_b32_e32 v3, 24, v3
	s_movk_i32 s42, 0x80
	v_and_or_b32 v5, v3, s42, v4
.LBB46_1050:
	s_or_b64 exec, exec, s[44:45]
.LBB46_1051:
	s_or_b64 exec, exec, s[40:41]
	global_store_byte v[0:1], v5, off
.LBB46_1052:
	s_mov_b64 s[40:41], -1
.LBB46_1053:
	s_mov_b64 s[42:43], 0
.LBB46_1054:
	s_and_b64 vcc, exec, s[42:43]
	s_cbranch_vccz .LBB46_1095
; %bb.1055:
	s_cmp_gt_i32 s47, 22
	s_mov_b64 s[42:43], -1
	s_cbranch_scc0 .LBB46_1087
; %bb.1056:
	s_cmp_lt_i32 s47, 24
	s_mov_b64 s[40:41], -1
	s_cbranch_scc1 .LBB46_1076
; %bb.1057:
	s_cmp_gt_i32 s47, 24
	s_cbranch_scc0 .LBB46_1065
; %bb.1058:
	v_bfe_i32 v3, v2, 0, 8
	v_cvt_f32_i32_sdwa v3, sext(v3) dst_sel:DWORD dst_unused:UNUSED_PAD src0_sel:WORD_0
	s_mov_b32 s40, 0x47800000
	v_mov_b32_e32 v5, 0x80
	v_and_b32_e32 v4, 0x7fffffff, v3
	v_cmp_gt_u32_e32 vcc, s40, v4
	s_and_saveexec_b64 s[40:41], vcc
	s_cbranch_execz .LBB46_1064
; %bb.1059:
	s_mov_b32 s42, 0x37ffffff
	v_cmp_lt_u32_e32 vcc, s42, v4
	s_mov_b64 s[42:43], 0
                                        ; implicit-def: $vgpr4
	s_and_saveexec_b64 s[44:45], vcc
	s_xor_b64 s[44:45], exec, s[44:45]
	s_cbranch_execz .LBB46_2147
; %bb.1060:
	v_bfe_u32 v4, v3, 21, 1
	s_mov_b32 s49, 0x88fffff
	v_add3_u32 v4, v3, v4, s49
	s_mov_b64 s[42:43], exec
	v_lshrrev_b32_e32 v4, 21, v4
	s_andn2_saveexec_b64 s[44:45], s[44:45]
	s_cbranch_execnz .LBB46_2148
.LBB46_1061:
	s_or_b64 exec, exec, s[44:45]
	v_mov_b32_e32 v5, 0
	s_and_saveexec_b64 s[44:45], s[42:43]
.LBB46_1062:
	v_lshrrev_b32_e32 v3, 24, v3
	s_movk_i32 s42, 0x80
	v_and_or_b32 v5, v3, s42, v4
.LBB46_1063:
	s_or_b64 exec, exec, s[44:45]
.LBB46_1064:
	s_or_b64 exec, exec, s[40:41]
	s_mov_b64 s[40:41], 0
	global_store_byte v[0:1], v5, off
.LBB46_1065:
	s_and_b64 vcc, exec, s[40:41]
	s_cbranch_vccz .LBB46_1075
; %bb.1066:
	v_bfe_i32 v3, v2, 0, 8
	v_cvt_f32_i32_sdwa v3, sext(v3) dst_sel:DWORD dst_unused:UNUSED_PAD src0_sel:WORD_0
	s_mov_b32 s40, 0x43f00000
                                        ; implicit-def: $vgpr4
	v_and_b32_e32 v5, 0x7fffffff, v3
	v_cmp_gt_u32_e32 vcc, s40, v5
	s_and_saveexec_b64 s[40:41], vcc
	s_xor_b64 s[40:41], exec, s[40:41]
	s_cbranch_execz .LBB46_1072
; %bb.1067:
	s_mov_b32 s42, 0x3c7fffff
	v_cmp_lt_u32_e32 vcc, s42, v5
                                        ; implicit-def: $vgpr4
	s_and_saveexec_b64 s[42:43], vcc
	s_xor_b64 s[42:43], exec, s[42:43]
; %bb.1068:
	v_bfe_u32 v4, v3, 20, 1
	s_mov_b32 s44, 0x407ffff
	v_add3_u32 v4, v3, v4, s44
	v_lshrrev_b32_e32 v5, 20, v4
	v_and_b32_e32 v4, 0xff00000, v4
	s_mov_b32 s44, 0x7f00000
	v_mov_b32_e32 v6, 0x7e
	v_cmp_ne_u32_e32 vcc, s44, v4
	v_cndmask_b32_e32 v4, v6, v5, vcc
; %bb.1069:
	s_andn2_saveexec_b64 s[42:43], s[42:43]
; %bb.1070:
	s_mov_b32 s44, 0x46800000
	v_add_f32_e64 v4, |v3|, s44
; %bb.1071:
	s_or_b64 exec, exec, s[42:43]
                                        ; implicit-def: $vgpr5
.LBB46_1072:
	s_andn2_saveexec_b64 s[40:41], s[40:41]
; %bb.1073:
	s_mov_b32 s42, 0x7f800000
	v_mov_b32_e32 v4, 0x7e
	v_mov_b32_e32 v6, 0x7f
	v_cmp_lt_u32_e32 vcc, s42, v5
	v_cndmask_b32_e32 v4, v4, v6, vcc
; %bb.1074:
	s_or_b64 exec, exec, s[40:41]
	v_lshrrev_b32_e32 v3, 24, v3
	s_movk_i32 s40, 0x80
	v_and_or_b32 v3, v3, s40, v4
	global_store_byte v[0:1], v3, off
.LBB46_1075:
	s_mov_b64 s[40:41], 0
.LBB46_1076:
	s_andn2_b64 vcc, exec, s[40:41]
	s_cbranch_vccnz .LBB46_1086
; %bb.1077:
	v_bfe_i32 v3, v2, 0, 8
	v_cvt_f32_i32_sdwa v3, sext(v3) dst_sel:DWORD dst_unused:UNUSED_PAD src0_sel:WORD_0
	s_mov_b32 s40, 0x47800000
                                        ; implicit-def: $vgpr4
	v_and_b32_e32 v5, 0x7fffffff, v3
	v_cmp_gt_u32_e32 vcc, s40, v5
	s_and_saveexec_b64 s[40:41], vcc
	s_xor_b64 s[40:41], exec, s[40:41]
	s_cbranch_execz .LBB46_1083
; %bb.1078:
	s_mov_b32 s42, 0x387fffff
	v_cmp_lt_u32_e32 vcc, s42, v5
                                        ; implicit-def: $vgpr4
	s_and_saveexec_b64 s[42:43], vcc
	s_xor_b64 s[42:43], exec, s[42:43]
; %bb.1079:
	v_bfe_u32 v4, v3, 21, 1
	s_mov_b32 s44, 0x80fffff
	v_add3_u32 v4, v3, v4, s44
	v_lshrrev_b32_e32 v4, 21, v4
; %bb.1080:
	s_andn2_saveexec_b64 s[42:43], s[42:43]
; %bb.1081:
	s_mov_b32 s44, 0x43000000
	v_add_f32_e64 v4, |v3|, s44
; %bb.1082:
	s_or_b64 exec, exec, s[42:43]
                                        ; implicit-def: $vgpr5
.LBB46_1083:
	s_andn2_saveexec_b64 s[40:41], s[40:41]
; %bb.1084:
	s_mov_b32 s42, 0x7f800000
	v_mov_b32_e32 v4, 0x7c
	v_mov_b32_e32 v6, 0x7f
	v_cmp_lt_u32_e32 vcc, s42, v5
	v_cndmask_b32_e32 v4, v4, v6, vcc
; %bb.1085:
	s_or_b64 exec, exec, s[40:41]
	v_lshrrev_b32_e32 v3, 24, v3
	s_movk_i32 s40, 0x80
	v_and_or_b32 v3, v3, s40, v4
	global_store_byte v[0:1], v3, off
.LBB46_1086:
	s_mov_b64 s[42:43], 0
	s_mov_b64 s[40:41], -1
.LBB46_1087:
	s_andn2_b64 vcc, exec, s[42:43]
	s_cbranch_vccnz .LBB46_1095
; %bb.1088:
	s_cmp_gt_i32 s47, 14
	s_mov_b64 s[42:43], -1
	s_cbranch_scc0 .LBB46_1092
; %bb.1089:
	s_cmp_eq_u32 s47, 15
	s_mov_b64 s[0:1], -1
	s_cbranch_scc0 .LBB46_1091
; %bb.1090:
	v_bfe_i32 v3, v2, 0, 8
	v_cvt_f32_i32_sdwa v3, sext(v3) dst_sel:DWORD dst_unused:UNUSED_PAD src0_sel:WORD_0
	s_movk_i32 s0, 0x7fff
	s_mov_b64 s[40:41], -1
	v_bfe_u32 v4, v3, 16, 1
	v_add3_u32 v3, v3, v4, s0
	global_store_short_d16_hi v[0:1], v3, off
	s_mov_b64 s[0:1], 0
.LBB46_1091:
	s_mov_b64 s[42:43], 0
.LBB46_1092:
	s_and_b64 vcc, exec, s[42:43]
	s_cbranch_vccz .LBB46_1095
; %bb.1093:
	s_cmp_eq_u32 s47, 11
	s_mov_b64 s[0:1], -1
	s_cbranch_scc0 .LBB46_1095
; %bb.1094:
	v_mov_b32_e32 v3, 0
	v_cmp_ne_u16_sdwa s[0:1], v2, v3 src0_sel:BYTE_0 src1_sel:DWORD
	v_cndmask_b32_e64 v3, 0, 1, s[0:1]
	s_mov_b64 s[40:41], -1
	s_mov_b64 s[0:1], 0
	global_store_byte v[0:1], v3, off
.LBB46_1095:
	s_mov_b64 s[42:43], 0
.LBB46_1096:
	s_and_b64 vcc, exec, s[42:43]
	s_cbranch_vccz .LBB46_1135
; %bb.1097:
	s_and_b32 s42, 0xffff, s46
	s_cmp_lt_i32 s42, 5
	s_mov_b64 s[40:41], -1
	s_cbranch_scc1 .LBB46_1118
; %bb.1098:
	s_cmp_lt_i32 s42, 8
	s_cbranch_scc1 .LBB46_1108
; %bb.1099:
	s_cmp_lt_i32 s42, 9
	s_cbranch_scc1 .LBB46_1105
; %bb.1100:
	s_cmp_gt_i32 s42, 9
	s_cbranch_scc0 .LBB46_1102
; %bb.1101:
	v_bfe_i32 v3, v2, 0, 8
	v_bfe_i32 v3, v3, 0, 16
	v_cvt_f64_i32_e32 v[3:4], v3
	v_mov_b32_e32 v5, 0
	v_mov_b32_e32 v6, v5
	s_mov_b64 s[40:41], 0
	global_store_dwordx4 v[0:1], v[3:6], off
.LBB46_1102:
	s_andn2_b64 vcc, exec, s[40:41]
	s_cbranch_vccnz .LBB46_1104
; %bb.1103:
	v_bfe_i32 v3, v2, 0, 8
	v_cvt_f32_i32_sdwa v3, sext(v3) dst_sel:DWORD dst_unused:UNUSED_PAD src0_sel:WORD_0
	v_mov_b32_e32 v4, 0
	global_store_dwordx2 v[0:1], v[3:4], off
.LBB46_1104:
	s_mov_b64 s[40:41], 0
.LBB46_1105:
	s_andn2_b64 vcc, exec, s[40:41]
	s_cbranch_vccnz .LBB46_1107
; %bb.1106:
	v_cvt_f16_i16_sdwa v3, sext(v2) dst_sel:DWORD dst_unused:UNUSED_PAD src0_sel:BYTE_0
	global_store_dword v[0:1], v3, off
.LBB46_1107:
	s_mov_b64 s[40:41], 0
.LBB46_1108:
	s_andn2_b64 vcc, exec, s[40:41]
	s_cbranch_vccnz .LBB46_1117
; %bb.1109:
	s_cmp_lt_i32 s42, 6
	s_mov_b64 s[40:41], -1
	s_cbranch_scc1 .LBB46_1115
; %bb.1110:
	s_cmp_gt_i32 s42, 6
	s_cbranch_scc0 .LBB46_1112
; %bb.1111:
	v_bfe_i32 v3, v2, 0, 8
	v_bfe_i32 v3, v3, 0, 16
	v_cvt_f64_i32_e32 v[3:4], v3
	s_mov_b64 s[40:41], 0
	global_store_dwordx2 v[0:1], v[3:4], off
.LBB46_1112:
	s_andn2_b64 vcc, exec, s[40:41]
	s_cbranch_vccnz .LBB46_1114
; %bb.1113:
	v_bfe_i32 v3, v2, 0, 8
	v_cvt_f32_i32_sdwa v3, sext(v3) dst_sel:DWORD dst_unused:UNUSED_PAD src0_sel:WORD_0
	global_store_dword v[0:1], v3, off
.LBB46_1114:
	s_mov_b64 s[40:41], 0
.LBB46_1115:
	s_andn2_b64 vcc, exec, s[40:41]
	s_cbranch_vccnz .LBB46_1117
; %bb.1116:
	v_cvt_f16_i16_sdwa v3, sext(v2) dst_sel:DWORD dst_unused:UNUSED_PAD src0_sel:BYTE_0
	global_store_short v[0:1], v3, off
.LBB46_1117:
	s_mov_b64 s[40:41], 0
.LBB46_1118:
	s_andn2_b64 vcc, exec, s[40:41]
	s_cbranch_vccnz .LBB46_1134
; %bb.1119:
	s_cmp_lt_i32 s42, 2
	s_mov_b64 s[40:41], -1
	s_cbranch_scc1 .LBB46_1129
; %bb.1120:
	s_cmp_lt_i32 s42, 3
	s_cbranch_scc1 .LBB46_1126
; %bb.1121:
	s_cmp_gt_i32 s42, 3
	s_cbranch_scc0 .LBB46_1123
; %bb.1122:
	v_bfe_i32 v3, v2, 0, 8
	v_ashrrev_i32_e32 v4, 31, v3
	s_mov_b64 s[40:41], 0
	global_store_dwordx2 v[0:1], v[3:4], off
.LBB46_1123:
	s_andn2_b64 vcc, exec, s[40:41]
	s_cbranch_vccnz .LBB46_1125
; %bb.1124:
	v_bfe_i32 v3, v2, 0, 8
	global_store_dword v[0:1], v3, off
.LBB46_1125:
	s_mov_b64 s[40:41], 0
.LBB46_1126:
	s_andn2_b64 vcc, exec, s[40:41]
	s_cbranch_vccnz .LBB46_1128
; %bb.1127:
	v_bfe_i32 v3, v2, 0, 8
	global_store_short v[0:1], v3, off
.LBB46_1128:
	s_mov_b64 s[40:41], 0
.LBB46_1129:
	s_andn2_b64 vcc, exec, s[40:41]
	s_cbranch_vccnz .LBB46_1134
; %bb.1130:
	s_cmp_gt_i32 s42, 0
	s_mov_b64 s[40:41], -1
	s_cbranch_scc0 .LBB46_1132
; %bb.1131:
	s_mov_b64 s[40:41], 0
	global_store_byte v[0:1], v2, off
.LBB46_1132:
	s_andn2_b64 vcc, exec, s[40:41]
	s_cbranch_vccnz .LBB46_1134
; %bb.1133:
	global_store_byte v[0:1], v2, off
.LBB46_1134:
	s_mov_b64 s[40:41], -1
.LBB46_1135:
	s_andn2_b64 vcc, exec, s[40:41]
	s_cbranch_vccnz .LBB46_1148
; %bb.1136:
	v_add_u32_e32 v14, 0x80, v14
	s_mov_b64 s[42:43], -1
.LBB46_1137:
	s_andn2_b64 s[40:41], s[28:29], exec
	s_and_b64 s[0:1], s[0:1], exec
	s_or_b64 s[40:41], s[40:41], s[0:1]
	s_andn2_b64 s[0:1], s[26:27], exec
	s_and_b64 s[38:39], s[38:39], exec
	s_or_b64 s[38:39], s[0:1], s[38:39]
	;; [unrolled: 3-line block ×3, first 2 shown]
	s_orn2_b64 s[46:47], s[42:43], exec
.LBB46_1138:
	s_or_b64 exec, exec, s[34:35]
	s_mov_b64 s[42:43], 0
	s_mov_b64 s[36:37], 0
	;; [unrolled: 1-line block ×3, first 2 shown]
                                        ; implicit-def: $vgpr2_vgpr3
                                        ; implicit-def: $vgpr0
	s_and_saveexec_b64 s[34:35], s[46:47]
	s_cbranch_execz .LBB46_1218
; %bb.1139:
	v_cmp_gt_i32_e32 vcc, s48, v14
	s_mov_b64 s[46:47], 0
	s_mov_b64 s[48:49], s[0:1]
	;; [unrolled: 1-line block ×4, first 2 shown]
                                        ; implicit-def: $vgpr2_vgpr3
                                        ; implicit-def: $vgpr0
	s_and_saveexec_b64 s[36:37], vcc
	s_cbranch_execz .LBB46_1217
; %bb.1140:
	s_waitcnt vmcnt(0)
	v_mul_lo_u32 v0, v14, s13
	v_mov_b32_e32 v1, s11
	s_and_b32 s50, 0xffff, s56
	s_cmp_lt_i32 s50, 11
	v_ashrrev_i32_e32 v3, 31, v0
	v_add_co_u32_e32 v2, vcc, s10, v0
	v_addc_co_u32_e32 v3, vcc, v1, v3, vcc
	s_cbranch_scc1 .LBB46_1147
; %bb.1141:
	s_cmp_gt_i32 s50, 25
	s_cbranch_scc0 .LBB46_1149
; %bb.1142:
	s_cmp_gt_i32 s50, 28
	s_cbranch_scc0 .LBB46_1150
	;; [unrolled: 3-line block ×4, first 2 shown]
; %bb.1145:
	s_cmp_eq_u32 s50, 46
	s_mov_b64 s[48:49], 0
	s_cbranch_scc0 .LBB46_1155
; %bb.1146:
	global_load_dword v0, v[2:3], off
	s_mov_b64 s[46:47], -1
	s_waitcnt vmcnt(0)
	v_lshlrev_b32_e32 v0, 16, v0
	v_cvt_i32_f32_e32 v0, v0
	s_branch .LBB46_1157
.LBB46_1147:
	s_mov_b64 s[48:49], -1
                                        ; implicit-def: $vgpr0
	s_mov_b64 s[42:43], s[0:1]
	s_branch .LBB46_1216
.LBB46_1148:
	s_mov_b64 s[42:43], 0
	s_branch .LBB46_894
.LBB46_1149:
	s_mov_b64 s[48:49], -1
	s_mov_b64 s[42:43], s[0:1]
                                        ; implicit-def: $vgpr0
	s_branch .LBB46_1184
.LBB46_1150:
	s_mov_b64 s[48:49], -1
	s_mov_b64 s[42:43], s[0:1]
                                        ; implicit-def: $vgpr0
	s_branch .LBB46_1167
.LBB46_1151:
	s_mov_b64 s[48:49], -1
	s_mov_b64 s[42:43], s[0:1]
                                        ; implicit-def: $vgpr0
	s_branch .LBB46_1162
.LBB46_1152:
	s_mov_b64 s[48:49], -1
	s_mov_b64 s[42:43], s[0:1]
	s_branch .LBB46_1156
.LBB46_1153:
	s_andn2_saveexec_b64 s[44:45], s[44:45]
	s_cbranch_execz .LBB46_1048
.LBB46_1154:
	s_mov_b32 s49, 0x46000000
	v_add_f32_e64 v4, |v3|, s49
	v_and_b32_e32 v4, 0xff, v4
	v_cmp_ne_u32_e32 vcc, 0, v4
	s_andn2_b64 s[42:43], s[42:43], exec
	s_and_b64 s[50:51], vcc, exec
	s_or_b64 s[42:43], s[42:43], s[50:51]
	s_or_b64 exec, exec, s[44:45]
	v_mov_b32_e32 v5, 0
	s_and_saveexec_b64 s[44:45], s[42:43]
	s_cbranch_execnz .LBB46_1049
	s_branch .LBB46_1050
.LBB46_1155:
	s_mov_b64 s[42:43], -1
.LBB46_1156:
                                        ; implicit-def: $vgpr0
.LBB46_1157:
	s_and_b64 vcc, exec, s[48:49]
	s_cbranch_vccz .LBB46_1161
; %bb.1158:
	s_cmp_eq_u32 s50, 44
	s_cbranch_scc0 .LBB46_1160
; %bb.1159:
	global_load_ubyte v0, v[2:3], off
	s_mov_b64 s[42:43], 0
	s_mov_b64 s[46:47], -1
	s_waitcnt vmcnt(0)
	v_lshlrev_b32_e32 v1, 23, v0
	v_cvt_i32_f32_e32 v1, v1
	v_cmp_ne_u32_e32 vcc, 0, v0
	v_cndmask_b32_e32 v0, 0, v1, vcc
	s_branch .LBB46_1161
.LBB46_1160:
	s_mov_b64 s[42:43], -1
                                        ; implicit-def: $vgpr0
.LBB46_1161:
	s_mov_b64 s[48:49], 0
.LBB46_1162:
	s_and_b64 vcc, exec, s[48:49]
	s_cbranch_vccz .LBB46_1166
; %bb.1163:
	s_cmp_eq_u32 s50, 29
	s_cbranch_scc0 .LBB46_1165
; %bb.1164:
	global_load_dwordx2 v[0:1], v[2:3], off
	s_mov_b64 s[42:43], 0
	s_mov_b64 s[46:47], -1
	s_branch .LBB46_1166
.LBB46_1165:
	s_mov_b64 s[42:43], -1
                                        ; implicit-def: $vgpr0
.LBB46_1166:
	s_mov_b64 s[48:49], 0
.LBB46_1167:
	s_and_b64 vcc, exec, s[48:49]
	s_cbranch_vccz .LBB46_1183
; %bb.1168:
	s_cmp_lt_i32 s50, 27
	s_cbranch_scc1 .LBB46_1171
; %bb.1169:
	s_cmp_gt_i32 s50, 27
	s_cbranch_scc0 .LBB46_1172
; %bb.1170:
	global_load_dword v0, v[2:3], off
	s_mov_b64 s[46:47], 0
	s_branch .LBB46_1173
.LBB46_1171:
	s_mov_b64 s[46:47], -1
                                        ; implicit-def: $vgpr0
	s_branch .LBB46_1176
.LBB46_1172:
	s_mov_b64 s[46:47], -1
                                        ; implicit-def: $vgpr0
.LBB46_1173:
	s_andn2_b64 vcc, exec, s[46:47]
	s_cbranch_vccnz .LBB46_1175
; %bb.1174:
	global_load_ushort v0, v[2:3], off
.LBB46_1175:
	s_mov_b64 s[46:47], 0
.LBB46_1176:
	s_andn2_b64 vcc, exec, s[46:47]
	s_cbranch_vccnz .LBB46_1182
; %bb.1177:
	global_load_ubyte v1, v[2:3], off
	s_movk_i32 s46, 0x7f
	s_mov_b64 s[48:49], 0
	s_waitcnt vmcnt(0)
	v_cmp_lt_i16_e32 vcc, s46, v1
	s_and_saveexec_b64 s[46:47], vcc
	s_xor_b64 s[46:47], exec, s[46:47]
	s_cbranch_execz .LBB46_1194
; %bb.1178:
	s_movk_i32 s48, 0x80
	v_cmp_ne_u16_e32 vcc, s48, v1
	s_and_b64 s[48:49], vcc, exec
	s_andn2_saveexec_b64 s[46:47], s[46:47]
	s_cbranch_execnz .LBB46_1195
.LBB46_1179:
	s_or_b64 exec, exec, s[46:47]
	v_mov_b32_e32 v0, 0
	s_and_saveexec_b64 s[46:47], s[48:49]
	s_cbranch_execz .LBB46_1181
.LBB46_1180:
	v_lshlrev_b32_e32 v0, 24, v1
	v_and_b32_e32 v1, 0xffff, v1
	v_and_b32_e32 v4, 7, v1
	v_ffbh_u32_e32 v6, v4
	v_min_u32_e32 v6, 32, v6
	v_subrev_u32_e32 v7, 28, v6
	v_bfe_u32 v5, v1, 3, 4
	v_lshlrev_b32_e32 v1, v7, v1
	v_sub_u32_e32 v6, 29, v6
	v_and_b32_e32 v1, 7, v1
	v_cmp_eq_u32_e32 vcc, 0, v5
	v_cndmask_b32_e32 v5, v5, v6, vcc
	v_cndmask_b32_e32 v1, v4, v1, vcc
	v_mov_b32_e32 v4, 0x3b800000
	v_lshlrev_b32_e32 v1, 20, v1
	v_and_b32_e32 v0, 0x80000000, v0
	v_lshl_add_u32 v4, v5, 23, v4
	v_or3_b32 v0, v0, v4, v1
	v_cvt_i32_f32_e32 v0, v0
.LBB46_1181:
	s_or_b64 exec, exec, s[46:47]
.LBB46_1182:
	s_mov_b64 s[46:47], -1
.LBB46_1183:
	s_mov_b64 s[48:49], 0
.LBB46_1184:
	s_and_b64 vcc, exec, s[48:49]
	s_cbranch_vccz .LBB46_1215
; %bb.1185:
	s_cmp_gt_i32 s50, 22
	s_cbranch_scc0 .LBB46_1193
; %bb.1186:
	s_cmp_lt_i32 s50, 24
	s_cbranch_scc1 .LBB46_1196
; %bb.1187:
	s_cmp_gt_i32 s50, 24
	s_cbranch_scc0 .LBB46_1197
; %bb.1188:
	global_load_ubyte v1, v[2:3], off
	s_movk_i32 s44, 0x7f
	s_mov_b64 s[46:47], 0
	s_waitcnt vmcnt(0)
	v_cmp_lt_i16_e32 vcc, s44, v1
	s_and_saveexec_b64 s[44:45], vcc
	s_xor_b64 s[44:45], exec, s[44:45]
	s_cbranch_execz .LBB46_1209
; %bb.1189:
	s_movk_i32 s46, 0x80
	v_cmp_ne_u16_e32 vcc, s46, v1
	s_and_b64 s[46:47], vcc, exec
	s_andn2_saveexec_b64 s[44:45], s[44:45]
	s_cbranch_execnz .LBB46_1210
.LBB46_1190:
	s_or_b64 exec, exec, s[44:45]
	v_mov_b32_e32 v0, 0
	s_and_saveexec_b64 s[44:45], s[46:47]
	s_cbranch_execz .LBB46_1192
.LBB46_1191:
	v_lshlrev_b32_e32 v0, 24, v1
	v_and_b32_e32 v1, 0xffff, v1
	v_and_b32_e32 v4, 3, v1
	v_ffbh_u32_e32 v6, v4
	v_min_u32_e32 v6, 32, v6
	v_subrev_u32_e32 v7, 29, v6
	v_bfe_u32 v5, v1, 2, 5
	v_lshlrev_b32_e32 v1, v7, v1
	v_sub_u32_e32 v6, 30, v6
	v_and_b32_e32 v1, 3, v1
	v_cmp_eq_u32_e32 vcc, 0, v5
	v_cndmask_b32_e32 v5, v5, v6, vcc
	v_cndmask_b32_e32 v1, v4, v1, vcc
	v_mov_b32_e32 v4, 0x37800000
	v_lshlrev_b32_e32 v1, 21, v1
	v_and_b32_e32 v0, 0x80000000, v0
	v_lshl_add_u32 v4, v5, 23, v4
	v_or3_b32 v0, v0, v4, v1
	v_cvt_i32_f32_e32 v0, v0
.LBB46_1192:
	s_or_b64 exec, exec, s[44:45]
	s_mov_b64 s[44:45], 0
	s_branch .LBB46_1198
.LBB46_1193:
	s_mov_b64 s[44:45], -1
                                        ; implicit-def: $vgpr0
	s_branch .LBB46_1204
.LBB46_1194:
	s_andn2_saveexec_b64 s[46:47], s[46:47]
	s_cbranch_execz .LBB46_1179
.LBB46_1195:
	v_cmp_ne_u16_e32 vcc, 0, v1
	s_andn2_b64 s[48:49], s[48:49], exec
	s_and_b64 s[52:53], vcc, exec
	s_or_b64 s[48:49], s[48:49], s[52:53]
	s_or_b64 exec, exec, s[46:47]
	v_mov_b32_e32 v0, 0
	s_and_saveexec_b64 s[46:47], s[48:49]
	s_cbranch_execnz .LBB46_1180
	s_branch .LBB46_1181
.LBB46_1196:
	s_mov_b64 s[44:45], -1
                                        ; implicit-def: $vgpr0
	s_branch .LBB46_1201
.LBB46_1197:
	s_mov_b64 s[44:45], -1
                                        ; implicit-def: $vgpr0
.LBB46_1198:
	s_and_b64 vcc, exec, s[44:45]
	s_cbranch_vccz .LBB46_1200
; %bb.1199:
	global_load_ubyte v0, v[2:3], off
	s_mov_b32 s44, 0x7f800000
	s_waitcnt vmcnt(0)
	v_lshlrev_b32_e32 v0, 24, v0
	v_and_b32_e32 v1, 0x7f000000, v0
	v_ffbh_u32_e32 v4, v1
	v_min_u32_e32 v4, 32, v4
	v_sub_u32_e64 v4, v4, 4 clamp
	v_lshlrev_b32_e32 v6, v4, v1
	v_lshlrev_b32_e32 v4, 23, v4
	v_lshrrev_b32_e32 v6, 4, v6
	v_add_u32_e32 v5, 0x1000000, v1
	v_sub_u32_e32 v4, v6, v4
	v_ashrrev_i32_e32 v5, 8, v5
	v_add_u32_e32 v4, 0x3c000000, v4
	v_and_or_b32 v4, v5, s44, v4
	v_cmp_ne_u32_e32 vcc, 0, v1
	v_cndmask_b32_e32 v1, 0, v4, vcc
	s_brev_b32 s44, 1
	v_and_or_b32 v0, v0, s44, v1
	v_cvt_i32_f32_e32 v0, v0
.LBB46_1200:
	s_mov_b64 s[44:45], 0
.LBB46_1201:
	s_andn2_b64 vcc, exec, s[44:45]
	s_cbranch_vccnz .LBB46_1203
; %bb.1202:
	global_load_ubyte v0, v[2:3], off
	s_movk_i32 s44, 0x7f00
	s_brev_b32 s45, 16
	s_waitcnt vmcnt(0)
	v_lshlrev_b16_e32 v1, 8, v0
	v_lshlrev_b32_e32 v0, 25, v0
	v_lshrrev_b32_e32 v4, 4, v0
	v_and_or_b32 v5, v1, s44, 0.5
	v_or_b32_e32 v4, 0x70000000, v4
	v_add_f32_e32 v5, -0.5, v5
	v_mul_f32_e32 v4, 0x7800000, v4
	v_cmp_gt_u32_e32 vcc, s45, v0
	v_bfe_i32 v1, v1, 0, 16
	v_cndmask_b32_e32 v0, v4, v5, vcc
	s_brev_b32 s44, 1
	v_and_or_b32 v0, v1, s44, v0
	v_cvt_i32_f32_e32 v0, v0
.LBB46_1203:
	s_mov_b64 s[44:45], 0
	s_mov_b64 s[46:47], -1
.LBB46_1204:
	s_andn2_b64 vcc, exec, s[44:45]
	s_mov_b64 s[44:45], 0
	s_cbranch_vccnz .LBB46_1215
; %bb.1205:
	s_cmp_gt_i32 s50, 14
	s_cbranch_scc0 .LBB46_1208
; %bb.1206:
	s_cmp_eq_u32 s50, 15
	s_cbranch_scc0 .LBB46_1211
; %bb.1207:
	global_load_ushort v0, v[2:3], off
	s_mov_b64 s[42:43], 0
	s_mov_b64 s[46:47], -1
	s_waitcnt vmcnt(0)
	v_lshlrev_b32_e32 v0, 16, v0
	v_cvt_i32_f32_e32 v0, v0
	s_branch .LBB46_1212
.LBB46_1208:
	s_mov_b64 s[48:49], -1
                                        ; implicit-def: $vgpr0
	s_branch .LBB46_1213
.LBB46_1209:
	s_andn2_saveexec_b64 s[44:45], s[44:45]
	s_cbranch_execz .LBB46_1190
.LBB46_1210:
	v_cmp_ne_u16_e32 vcc, 0, v1
	s_andn2_b64 s[46:47], s[46:47], exec
	s_and_b64 s[48:49], vcc, exec
	s_or_b64 s[46:47], s[46:47], s[48:49]
	s_or_b64 exec, exec, s[44:45]
	v_mov_b32_e32 v0, 0
	s_and_saveexec_b64 s[44:45], s[46:47]
	s_cbranch_execnz .LBB46_1191
	s_branch .LBB46_1192
.LBB46_1211:
	s_mov_b64 s[42:43], -1
                                        ; implicit-def: $vgpr0
.LBB46_1212:
	s_mov_b64 s[48:49], 0
.LBB46_1213:
	s_and_b64 vcc, exec, s[48:49]
	s_cbranch_vccz .LBB46_1215
; %bb.1214:
	s_cmp_lg_u32 s50, 11
	s_cselect_b64 s[48:49], -1, 0
	s_andn2_b64 s[42:43], s[42:43], exec
	s_and_b64 s[48:49], s[48:49], exec
	s_mov_b64 s[44:45], -1
	s_or_b64 s[42:43], s[42:43], s[48:49]
.LBB46_1215:
	s_mov_b64 s[48:49], 0
.LBB46_1216:
	s_and_b64 s[52:53], s[46:47], exec
	s_and_b64 s[46:47], s[44:45], exec
	s_andn2_b64 s[44:45], s[0:1], exec
	s_and_b64 s[42:43], s[42:43], exec
	s_and_b64 s[50:51], s[48:49], exec
	s_or_b64 s[48:49], s[44:45], s[42:43]
.LBB46_1217:
	s_or_b64 exec, exec, s[36:37]
	s_and_b64 s[42:43], s[46:47], exec
	s_andn2_b64 s[0:1], s[0:1], exec
	s_and_b64 s[46:47], s[48:49], exec
	s_and_b64 s[44:45], s[52:53], exec
	;; [unrolled: 1-line block ×3, first 2 shown]
	s_or_b64 s[0:1], s[0:1], s[46:47]
.LBB46_1218:
	s_or_b64 exec, exec, s[34:35]
	s_andn2_b64 s[28:29], s[28:29], exec
	s_and_b64 s[34:35], s[40:41], exec
	s_or_b64 s[28:29], s[28:29], s[34:35]
	s_andn2_b64 s[26:27], s[26:27], exec
	s_and_b64 s[34:35], s[38:39], exec
	s_andn2_b64 s[24:25], s[24:25], exec
	s_and_b64 s[0:1], s[0:1], exec
	s_or_b64 s[26:27], s[26:27], s[34:35]
	s_and_b64 s[38:39], s[44:45], exec
	s_and_b64 s[36:37], s[36:37], exec
	;; [unrolled: 1-line block ×3, first 2 shown]
	s_or_b64 s[24:25], s[24:25], s[0:1]
.LBB46_1219:
	s_or_b64 exec, exec, s[30:31]
	s_andn2_b64 s[0:1], s[16:17], exec
	s_and_b64 s[16:17], s[28:29], exec
	s_or_b64 s[16:17], s[0:1], s[16:17]
	s_andn2_b64 s[0:1], s[18:19], exec
	s_and_b64 s[18:19], s[26:27], exec
	s_or_b64 s[18:19], s[0:1], s[18:19]
	s_andn2_b64 s[0:1], s[20:21], exec
	s_and_b64 s[20:21], s[24:25], exec
	s_and_b64 s[28:29], s[38:39], exec
	;; [unrolled: 1-line block ×4, first 2 shown]
	s_or_b64 s[20:21], s[0:1], s[20:21]
	s_or_b64 exec, exec, s[22:23]
	s_mov_b64 s[22:23], 0
	s_and_saveexec_b64 s[0:1], s[20:21]
	s_cbranch_execz .LBB46_385
.LBB46_1220:
	s_mov_b64 s[22:23], exec
	s_andn2_b64 s[26:27], s[26:27], exec
	s_trap 2
	s_or_b64 exec, exec, s[0:1]
	s_and_saveexec_b64 s[0:1], s[26:27]
	s_xor_b64 s[0:1], exec, s[0:1]
	s_cbranch_execnz .LBB46_386
.LBB46_1221:
	s_or_b64 exec, exec, s[0:1]
	s_and_saveexec_b64 s[0:1], s[30:31]
	s_cbranch_execz .LBB46_1267
.LBB46_1222:
	s_sext_i32_i16 s20, s56
	s_cmp_lt_i32 s20, 5
	s_cbranch_scc1 .LBB46_1227
; %bb.1223:
	s_cmp_lt_i32 s20, 8
	s_cbranch_scc1 .LBB46_1228
; %bb.1224:
	s_cmp_lt_i32 s20, 9
	s_cbranch_scc1 .LBB46_1229
; %bb.1225:
	s_cmp_gt_i32 s20, 9
	s_cbranch_scc0 .LBB46_1230
; %bb.1226:
	s_waitcnt vmcnt(0)
	global_load_dwordx2 v[0:1], v[2:3], off
	s_mov_b64 s[20:21], 0
	s_waitcnt vmcnt(0)
	v_cvt_i32_f64_e32 v0, v[0:1]
	s_branch .LBB46_1231
.LBB46_1227:
                                        ; implicit-def: $vgpr0
	s_branch .LBB46_1248
.LBB46_1228:
                                        ; implicit-def: $vgpr0
	s_branch .LBB46_1237
.LBB46_1229:
	s_mov_b64 s[20:21], -1
                                        ; implicit-def: $vgpr0
	s_branch .LBB46_1234
.LBB46_1230:
	s_mov_b64 s[20:21], -1
                                        ; implicit-def: $vgpr0
.LBB46_1231:
	s_andn2_b64 vcc, exec, s[20:21]
	s_cbranch_vccnz .LBB46_1233
; %bb.1232:
	s_waitcnt vmcnt(0)
	global_load_dword v0, v[2:3], off
	s_waitcnt vmcnt(0)
	v_cvt_i32_f32_e32 v0, v0
.LBB46_1233:
	s_mov_b64 s[20:21], 0
.LBB46_1234:
	s_andn2_b64 vcc, exec, s[20:21]
	s_cbranch_vccnz .LBB46_1236
; %bb.1235:
	s_waitcnt vmcnt(0)
	global_load_dword v0, v[2:3], off
	s_waitcnt vmcnt(0)
	v_cvt_i16_f16_e32 v0, v0
.LBB46_1236:
	s_cbranch_execnz .LBB46_1247
.LBB46_1237:
	s_sext_i32_i16 s20, s56
	s_cmp_lt_i32 s20, 6
	s_cbranch_scc1 .LBB46_1240
; %bb.1238:
	s_cmp_gt_i32 s20, 6
	s_cbranch_scc0 .LBB46_1241
; %bb.1239:
	s_waitcnt vmcnt(0)
	global_load_dwordx2 v[0:1], v[2:3], off
	s_mov_b64 s[20:21], 0
	s_waitcnt vmcnt(0)
	v_cvt_i32_f64_e32 v0, v[0:1]
	s_branch .LBB46_1242
.LBB46_1240:
	s_mov_b64 s[20:21], -1
                                        ; implicit-def: $vgpr0
	s_branch .LBB46_1245
.LBB46_1241:
	s_mov_b64 s[20:21], -1
                                        ; implicit-def: $vgpr0
.LBB46_1242:
	s_andn2_b64 vcc, exec, s[20:21]
	s_cbranch_vccnz .LBB46_1244
; %bb.1243:
	s_waitcnt vmcnt(0)
	global_load_dword v0, v[2:3], off
	s_waitcnt vmcnt(0)
	v_cvt_i32_f32_e32 v0, v0
.LBB46_1244:
	s_mov_b64 s[20:21], 0
.LBB46_1245:
	s_andn2_b64 vcc, exec, s[20:21]
	s_cbranch_vccnz .LBB46_1247
; %bb.1246:
	s_waitcnt vmcnt(0)
	global_load_ushort v0, v[2:3], off
	s_waitcnt vmcnt(0)
	v_cvt_i16_f16_e32 v0, v0
.LBB46_1247:
	s_cbranch_execnz .LBB46_1266
.LBB46_1248:
	s_sext_i32_i16 s20, s56
	s_cmp_lt_i32 s20, 2
	s_cbranch_scc1 .LBB46_1252
; %bb.1249:
	s_cmp_lt_i32 s20, 3
	s_cbranch_scc1 .LBB46_1253
; %bb.1250:
	s_cmp_gt_i32 s20, 3
	s_cbranch_scc0 .LBB46_1254
; %bb.1251:
	s_waitcnt vmcnt(0)
	global_load_dwordx2 v[0:1], v[2:3], off
	s_mov_b64 s[20:21], 0
	s_branch .LBB46_1255
.LBB46_1252:
                                        ; implicit-def: $vgpr0
	s_branch .LBB46_1261
.LBB46_1253:
	s_mov_b64 s[20:21], -1
                                        ; implicit-def: $vgpr0
	s_branch .LBB46_1258
.LBB46_1254:
	s_mov_b64 s[20:21], -1
                                        ; implicit-def: $vgpr0
.LBB46_1255:
	s_andn2_b64 vcc, exec, s[20:21]
	s_cbranch_vccnz .LBB46_1257
; %bb.1256:
	s_waitcnt vmcnt(0)
	global_load_dword v0, v[2:3], off
.LBB46_1257:
	s_mov_b64 s[20:21], 0
.LBB46_1258:
	s_andn2_b64 vcc, exec, s[20:21]
	s_cbranch_vccnz .LBB46_1260
; %bb.1259:
	s_waitcnt vmcnt(0)
	global_load_ushort v0, v[2:3], off
.LBB46_1260:
	s_cbranch_execnz .LBB46_1266
.LBB46_1261:
	s_sext_i32_i16 s20, s56
	s_cmp_gt_i32 s20, 0
	s_cbranch_scc0 .LBB46_1263
; %bb.1262:
	s_waitcnt vmcnt(0)
	global_load_ubyte v0, v[2:3], off
	s_mov_b64 s[20:21], 0
	s_branch .LBB46_1264
.LBB46_1263:
	s_mov_b64 s[20:21], -1
                                        ; implicit-def: $vgpr0
.LBB46_1264:
	s_andn2_b64 vcc, exec, s[20:21]
	s_cbranch_vccnz .LBB46_1266
; %bb.1265:
	s_waitcnt vmcnt(0)
	global_load_ubyte v0, v[2:3], off
.LBB46_1266:
	s_or_b64 s[28:29], s[28:29], exec
.LBB46_1267:
	s_or_b64 exec, exec, s[0:1]
	s_mov_b64 s[26:27], 0
	s_mov_b64 s[30:31], 0
	s_mov_b64 s[24:25], 0
                                        ; implicit-def: $sgpr34
                                        ; implicit-def: $vgpr1_vgpr2
                                        ; implicit-def: $vgpr3
	s_and_saveexec_b64 s[0:1], s[28:29]
	s_cbranch_execz .LBB46_1275
; %bb.1268:
	s_waitcnt vmcnt(0)
	v_mul_lo_u32 v1, v14, s14
	v_mov_b32_e32 v2, s3
	s_and_b32 s34, s15, 0xff
	s_cmp_lt_i32 s34, 11
	v_ashrrev_i32_e32 v3, 31, v1
	v_add_co_u32_e32 v1, vcc, s2, v1
	v_addc_co_u32_e32 v2, vcc, v2, v3, vcc
	s_cbranch_scc1 .LBB46_1278
; %bb.1269:
	s_and_b32 s30, 0xffff, s34
	s_cmp_gt_i32 s30, 25
	s_cbranch_scc0 .LBB46_1279
; %bb.1270:
	s_cmp_gt_i32 s30, 28
	s_cbranch_scc0 .LBB46_1280
; %bb.1271:
	s_cmp_gt_i32 s30, 43
	s_cbranch_scc0 .LBB46_1281
; %bb.1272:
	s_cmp_gt_i32 s30, 45
	s_cbranch_scc0 .LBB46_1282
; %bb.1273:
	s_cmp_eq_u32 s30, 46
	s_mov_b64 s[28:29], 0
	s_cbranch_scc0 .LBB46_1283
; %bb.1274:
	global_load_dword v3, v[1:2], off
	s_mov_b64 s[20:21], 0
	s_mov_b64 s[24:25], -1
	s_waitcnt vmcnt(0)
	v_lshlrev_b32_e32 v3, 16, v3
	v_cvt_i32_f32_e32 v3, v3
	s_branch .LBB46_1285
.LBB46_1275:
	s_or_b64 exec, exec, s[0:1]
	s_and_saveexec_b64 s[0:1], s[18:19]
	s_cbranch_execnz .LBB46_1344
.LBB46_1276:
	s_or_b64 exec, exec, s[0:1]
	s_and_saveexec_b64 s[0:1], s[26:27]
	s_xor_b64 s[0:1], exec, s[0:1]
	s_cbranch_execz .LBB46_1345
.LBB46_1277:
	s_waitcnt vmcnt(0)
	global_load_ubyte v3, v[1:2], off
	s_or_b64 s[24:25], s[24:25], exec
	s_waitcnt vmcnt(0)
	v_cmp_ne_u16_e32 vcc, 0, v3
	v_cndmask_b32_e64 v3, 0, 1, vcc
	s_or_b64 exec, exec, s[0:1]
	s_and_saveexec_b64 s[0:1], s[30:31]
	s_cbranch_execz .LBB46_1391
	s_branch .LBB46_1346
.LBB46_1278:
	s_mov_b64 s[28:29], -1
                                        ; implicit-def: $vgpr3
	s_mov_b64 s[20:21], s[18:19]
	s_branch .LBB46_1343
.LBB46_1279:
	s_mov_b64 s[20:21], s[18:19]
                                        ; implicit-def: $vgpr3
	s_cbranch_execnz .LBB46_1312
	s_branch .LBB46_1342
.LBB46_1280:
	s_mov_b64 s[28:29], -1
	s_mov_b64 s[20:21], s[18:19]
                                        ; implicit-def: $vgpr3
	s_branch .LBB46_1295
.LBB46_1281:
	s_mov_b64 s[28:29], -1
	s_mov_b64 s[20:21], s[18:19]
                                        ; implicit-def: $vgpr3
	s_branch .LBB46_1290
.LBB46_1282:
	s_mov_b64 s[28:29], -1
	s_mov_b64 s[20:21], s[18:19]
	s_branch .LBB46_1284
.LBB46_1283:
	s_mov_b64 s[20:21], -1
.LBB46_1284:
                                        ; implicit-def: $vgpr3
.LBB46_1285:
	s_and_b64 vcc, exec, s[28:29]
	s_cbranch_vccz .LBB46_1289
; %bb.1286:
	s_cmp_eq_u32 s30, 44
	s_cbranch_scc0 .LBB46_1288
; %bb.1287:
	global_load_ubyte v3, v[1:2], off
	s_mov_b64 s[20:21], 0
	s_mov_b64 s[24:25], -1
	s_waitcnt vmcnt(0)
	v_lshlrev_b32_e32 v4, 23, v3
	v_cvt_i32_f32_e32 v4, v4
	v_cmp_ne_u32_e32 vcc, 0, v3
	v_cndmask_b32_e32 v3, 0, v4, vcc
	s_branch .LBB46_1289
.LBB46_1288:
	s_mov_b64 s[20:21], -1
                                        ; implicit-def: $vgpr3
.LBB46_1289:
	s_mov_b64 s[28:29], 0
.LBB46_1290:
	s_and_b64 vcc, exec, s[28:29]
	s_cbranch_vccz .LBB46_1294
; %bb.1291:
	s_cmp_eq_u32 s30, 29
	s_cbranch_scc0 .LBB46_1293
; %bb.1292:
	global_load_dwordx2 v[3:4], v[1:2], off
	s_mov_b64 s[20:21], 0
	s_mov_b64 s[24:25], -1
	s_branch .LBB46_1294
.LBB46_1293:
	s_mov_b64 s[20:21], -1
                                        ; implicit-def: $vgpr3
.LBB46_1294:
	s_mov_b64 s[28:29], 0
.LBB46_1295:
	s_and_b64 vcc, exec, s[28:29]
	s_cbranch_vccz .LBB46_1311
; %bb.1296:
	s_cmp_lt_i32 s30, 27
	s_cbranch_scc1 .LBB46_1299
; %bb.1297:
	s_cmp_gt_i32 s30, 27
	s_cbranch_scc0 .LBB46_1300
; %bb.1298:
	global_load_dword v3, v[1:2], off
	s_mov_b64 s[24:25], 0
	s_branch .LBB46_1301
.LBB46_1299:
	s_mov_b64 s[24:25], -1
                                        ; implicit-def: $vgpr3
	s_branch .LBB46_1304
.LBB46_1300:
	s_mov_b64 s[24:25], -1
                                        ; implicit-def: $vgpr3
.LBB46_1301:
	s_andn2_b64 vcc, exec, s[24:25]
	s_cbranch_vccnz .LBB46_1303
; %bb.1302:
	global_load_ushort v3, v[1:2], off
.LBB46_1303:
	s_mov_b64 s[24:25], 0
.LBB46_1304:
	s_andn2_b64 vcc, exec, s[24:25]
	s_cbranch_vccnz .LBB46_1310
; %bb.1305:
	global_load_ubyte v4, v[1:2], off
	s_movk_i32 s24, 0x7f
	s_mov_b64 s[28:29], 0
	s_waitcnt vmcnt(0)
	v_cmp_lt_i16_e32 vcc, s24, v4
	s_and_saveexec_b64 s[24:25], vcc
	s_xor_b64 s[24:25], exec, s[24:25]
	s_cbranch_execz .LBB46_1321
; %bb.1306:
	s_movk_i32 s28, 0x80
	v_cmp_ne_u16_e32 vcc, s28, v4
	s_and_b64 s[28:29], vcc, exec
	s_andn2_saveexec_b64 s[24:25], s[24:25]
	s_cbranch_execnz .LBB46_1322
.LBB46_1307:
	s_or_b64 exec, exec, s[24:25]
	v_mov_b32_e32 v3, 0
	s_and_saveexec_b64 s[24:25], s[28:29]
	s_cbranch_execz .LBB46_1309
.LBB46_1308:
	v_lshlrev_b32_e32 v3, 24, v4
	v_and_b32_e32 v4, 0xffff, v4
	v_and_b32_e32 v5, 7, v4
	v_ffbh_u32_e32 v7, v5
	v_min_u32_e32 v7, 32, v7
	v_subrev_u32_e32 v8, 28, v7
	v_bfe_u32 v6, v4, 3, 4
	v_lshlrev_b32_e32 v4, v8, v4
	v_sub_u32_e32 v7, 29, v7
	v_and_b32_e32 v4, 7, v4
	v_cmp_eq_u32_e32 vcc, 0, v6
	v_cndmask_b32_e32 v6, v6, v7, vcc
	v_cndmask_b32_e32 v4, v5, v4, vcc
	v_mov_b32_e32 v5, 0x3b800000
	v_lshlrev_b32_e32 v4, 20, v4
	v_and_b32_e32 v3, 0x80000000, v3
	v_lshl_add_u32 v5, v6, 23, v5
	v_or3_b32 v3, v3, v5, v4
	v_cvt_i32_f32_e32 v3, v3
.LBB46_1309:
	s_or_b64 exec, exec, s[24:25]
.LBB46_1310:
	s_mov_b64 s[24:25], -1
.LBB46_1311:
	s_branch .LBB46_1342
.LBB46_1312:
	s_cmp_gt_i32 s30, 22
	s_cbranch_scc0 .LBB46_1320
; %bb.1313:
	s_cmp_lt_i32 s30, 24
	s_cbranch_scc1 .LBB46_1323
; %bb.1314:
	s_cmp_gt_i32 s30, 24
	s_cbranch_scc0 .LBB46_1324
; %bb.1315:
	global_load_ubyte v4, v[1:2], off
	s_movk_i32 s24, 0x7f
	s_waitcnt vmcnt(0)
	v_cmp_lt_i16_e32 vcc, s24, v4
	s_and_saveexec_b64 s[24:25], vcc
	s_xor_b64 s[24:25], exec, s[24:25]
	s_cbranch_execz .LBB46_1336
; %bb.1316:
	s_movk_i32 s26, 0x80
	v_cmp_ne_u16_e32 vcc, s26, v4
	s_and_b64 s[26:27], vcc, exec
	s_andn2_saveexec_b64 s[24:25], s[24:25]
	s_cbranch_execnz .LBB46_1337
.LBB46_1317:
	s_or_b64 exec, exec, s[24:25]
	v_mov_b32_e32 v3, 0
	s_and_saveexec_b64 s[24:25], s[26:27]
	s_cbranch_execz .LBB46_1319
.LBB46_1318:
	v_lshlrev_b32_e32 v3, 24, v4
	v_and_b32_e32 v4, 0xffff, v4
	v_and_b32_e32 v5, 3, v4
	v_ffbh_u32_e32 v7, v5
	v_min_u32_e32 v7, 32, v7
	v_subrev_u32_e32 v8, 29, v7
	v_bfe_u32 v6, v4, 2, 5
	v_lshlrev_b32_e32 v4, v8, v4
	v_sub_u32_e32 v7, 30, v7
	v_and_b32_e32 v4, 3, v4
	v_cmp_eq_u32_e32 vcc, 0, v6
	v_cndmask_b32_e32 v6, v6, v7, vcc
	v_cndmask_b32_e32 v4, v5, v4, vcc
	v_mov_b32_e32 v5, 0x37800000
	v_lshlrev_b32_e32 v4, 21, v4
	v_and_b32_e32 v3, 0x80000000, v3
	v_lshl_add_u32 v5, v6, 23, v5
	v_or3_b32 v3, v3, v5, v4
	v_cvt_i32_f32_e32 v3, v3
.LBB46_1319:
	s_or_b64 exec, exec, s[24:25]
	s_mov_b64 s[24:25], 0
	s_branch .LBB46_1325
.LBB46_1320:
	s_mov_b64 s[26:27], -1
                                        ; implicit-def: $vgpr3
	s_branch .LBB46_1331
.LBB46_1321:
	s_andn2_saveexec_b64 s[24:25], s[24:25]
	s_cbranch_execz .LBB46_1307
.LBB46_1322:
	v_cmp_ne_u16_e32 vcc, 0, v4
	s_andn2_b64 s[28:29], s[28:29], exec
	s_and_b64 s[36:37], vcc, exec
	s_or_b64 s[28:29], s[28:29], s[36:37]
	s_or_b64 exec, exec, s[24:25]
	v_mov_b32_e32 v3, 0
	s_and_saveexec_b64 s[24:25], s[28:29]
	s_cbranch_execnz .LBB46_1308
	s_branch .LBB46_1309
.LBB46_1323:
	s_mov_b64 s[24:25], -1
                                        ; implicit-def: $vgpr3
	s_branch .LBB46_1328
.LBB46_1324:
	s_mov_b64 s[24:25], -1
                                        ; implicit-def: $vgpr3
.LBB46_1325:
	s_and_b64 vcc, exec, s[24:25]
	s_cbranch_vccz .LBB46_1327
; %bb.1326:
	global_load_ubyte v3, v[1:2], off
	s_mov_b32 s24, 0x7f800000
	s_waitcnt vmcnt(0)
	v_lshlrev_b32_e32 v3, 24, v3
	v_and_b32_e32 v4, 0x7f000000, v3
	v_ffbh_u32_e32 v5, v4
	v_min_u32_e32 v5, 32, v5
	v_sub_u32_e64 v5, v5, 4 clamp
	v_lshlrev_b32_e32 v7, v5, v4
	v_lshlrev_b32_e32 v5, 23, v5
	v_lshrrev_b32_e32 v7, 4, v7
	v_add_u32_e32 v6, 0x1000000, v4
	v_sub_u32_e32 v5, v7, v5
	v_ashrrev_i32_e32 v6, 8, v6
	v_add_u32_e32 v5, 0x3c000000, v5
	v_and_or_b32 v5, v6, s24, v5
	v_cmp_ne_u32_e32 vcc, 0, v4
	v_cndmask_b32_e32 v4, 0, v5, vcc
	s_brev_b32 s24, 1
	v_and_or_b32 v3, v3, s24, v4
	v_cvt_i32_f32_e32 v3, v3
.LBB46_1327:
	s_mov_b64 s[24:25], 0
.LBB46_1328:
	s_andn2_b64 vcc, exec, s[24:25]
	s_cbranch_vccnz .LBB46_1330
; %bb.1329:
	global_load_ubyte v3, v[1:2], off
	s_movk_i32 s24, 0x7f00
	s_brev_b32 s25, 16
	s_waitcnt vmcnt(0)
	v_lshlrev_b16_e32 v4, 8, v3
	v_lshlrev_b32_e32 v3, 25, v3
	v_lshrrev_b32_e32 v5, 4, v3
	v_and_or_b32 v6, v4, s24, 0.5
	v_or_b32_e32 v5, 0x70000000, v5
	v_add_f32_e32 v6, -0.5, v6
	v_mul_f32_e32 v5, 0x7800000, v5
	v_cmp_gt_u32_e32 vcc, s25, v3
	v_bfe_i32 v4, v4, 0, 16
	v_cndmask_b32_e32 v3, v5, v6, vcc
	s_brev_b32 s24, 1
	v_and_or_b32 v3, v4, s24, v3
	v_cvt_i32_f32_e32 v3, v3
.LBB46_1330:
	s_mov_b64 s[26:27], 0
	s_mov_b64 s[24:25], -1
.LBB46_1331:
	s_andn2_b64 vcc, exec, s[26:27]
	s_mov_b64 s[26:27], 0
	s_cbranch_vccnz .LBB46_1342
; %bb.1332:
	s_cmp_gt_i32 s30, 14
	s_cbranch_scc0 .LBB46_1335
; %bb.1333:
	s_cmp_eq_u32 s30, 15
	s_cbranch_scc0 .LBB46_1338
; %bb.1334:
	global_load_ushort v3, v[1:2], off
	s_mov_b64 s[20:21], 0
	s_mov_b64 s[24:25], -1
	s_waitcnt vmcnt(0)
	v_lshlrev_b32_e32 v3, 16, v3
	v_cvt_i32_f32_e32 v3, v3
	s_branch .LBB46_1339
.LBB46_1335:
	s_mov_b64 s[28:29], -1
                                        ; implicit-def: $vgpr3
	s_branch .LBB46_1340
.LBB46_1336:
	s_andn2_saveexec_b64 s[24:25], s[24:25]
	s_cbranch_execz .LBB46_1317
.LBB46_1337:
	v_cmp_ne_u16_e32 vcc, 0, v4
	s_andn2_b64 s[26:27], s[26:27], exec
	s_and_b64 s[28:29], vcc, exec
	s_or_b64 s[26:27], s[26:27], s[28:29]
	s_or_b64 exec, exec, s[24:25]
	v_mov_b32_e32 v3, 0
	s_and_saveexec_b64 s[24:25], s[26:27]
	s_cbranch_execnz .LBB46_1318
	s_branch .LBB46_1319
.LBB46_1338:
	s_mov_b64 s[20:21], -1
                                        ; implicit-def: $vgpr3
.LBB46_1339:
	s_mov_b64 s[28:29], 0
.LBB46_1340:
	s_and_b64 vcc, exec, s[28:29]
	s_cbranch_vccz .LBB46_1342
; %bb.1341:
	s_cmp_lg_u32 s30, 11
	s_cselect_b64 s[28:29], -1, 0
	s_andn2_b64 s[20:21], s[20:21], exec
	s_and_b64 s[28:29], s[28:29], exec
	s_mov_b64 s[26:27], -1
	s_or_b64 s[20:21], s[20:21], s[28:29]
.LBB46_1342:
	s_mov_b64 s[28:29], 0
.LBB46_1343:
	s_andn2_b64 s[18:19], s[18:19], exec
	s_and_b64 s[20:21], s[20:21], exec
	s_and_b64 s[24:25], s[24:25], exec
	;; [unrolled: 1-line block ×4, first 2 shown]
	s_or_b64 s[18:19], s[18:19], s[20:21]
	s_or_b64 exec, exec, s[0:1]
	s_and_saveexec_b64 s[0:1], s[18:19]
	s_cbranch_execz .LBB46_1276
.LBB46_1344:
	s_or_b64 s[22:23], s[22:23], exec
	s_andn2_b64 s[26:27], s[26:27], exec
	s_trap 2
	s_or_b64 exec, exec, s[0:1]
	s_and_saveexec_b64 s[0:1], s[26:27]
	s_xor_b64 s[0:1], exec, s[0:1]
	s_cbranch_execnz .LBB46_1277
.LBB46_1345:
	s_or_b64 exec, exec, s[0:1]
	s_and_saveexec_b64 s[0:1], s[30:31]
	s_cbranch_execz .LBB46_1391
.LBB46_1346:
	s_sext_i32_i16 s18, s34
	s_cmp_lt_i32 s18, 5
	s_cbranch_scc1 .LBB46_1351
; %bb.1347:
	s_cmp_lt_i32 s18, 8
	s_cbranch_scc1 .LBB46_1352
; %bb.1348:
	;; [unrolled: 3-line block ×3, first 2 shown]
	s_cmp_gt_i32 s18, 9
	s_cbranch_scc0 .LBB46_1354
; %bb.1350:
	s_waitcnt vmcnt(0)
	global_load_dwordx2 v[3:4], v[1:2], off
	s_mov_b64 s[18:19], 0
	s_waitcnt vmcnt(0)
	v_cvt_i32_f64_e32 v3, v[3:4]
	s_branch .LBB46_1355
.LBB46_1351:
                                        ; implicit-def: $vgpr3
	s_branch .LBB46_1372
.LBB46_1352:
                                        ; implicit-def: $vgpr3
	s_branch .LBB46_1361
.LBB46_1353:
	s_mov_b64 s[18:19], -1
                                        ; implicit-def: $vgpr3
	s_branch .LBB46_1358
.LBB46_1354:
	s_mov_b64 s[18:19], -1
                                        ; implicit-def: $vgpr3
.LBB46_1355:
	s_andn2_b64 vcc, exec, s[18:19]
	s_cbranch_vccnz .LBB46_1357
; %bb.1356:
	s_waitcnt vmcnt(0)
	global_load_dword v3, v[1:2], off
	s_waitcnt vmcnt(0)
	v_cvt_i32_f32_e32 v3, v3
.LBB46_1357:
	s_mov_b64 s[18:19], 0
.LBB46_1358:
	s_andn2_b64 vcc, exec, s[18:19]
	s_cbranch_vccnz .LBB46_1360
; %bb.1359:
	s_waitcnt vmcnt(0)
	global_load_dword v3, v[1:2], off
	s_waitcnt vmcnt(0)
	v_cvt_i16_f16_e32 v3, v3
.LBB46_1360:
	s_cbranch_execnz .LBB46_1371
.LBB46_1361:
	s_sext_i32_i16 s18, s34
	s_cmp_lt_i32 s18, 6
	s_cbranch_scc1 .LBB46_1364
; %bb.1362:
	s_cmp_gt_i32 s18, 6
	s_cbranch_scc0 .LBB46_1365
; %bb.1363:
	s_waitcnt vmcnt(0)
	global_load_dwordx2 v[3:4], v[1:2], off
	s_mov_b64 s[18:19], 0
	s_waitcnt vmcnt(0)
	v_cvt_i32_f64_e32 v3, v[3:4]
	s_branch .LBB46_1366
.LBB46_1364:
	s_mov_b64 s[18:19], -1
                                        ; implicit-def: $vgpr3
	s_branch .LBB46_1369
.LBB46_1365:
	s_mov_b64 s[18:19], -1
                                        ; implicit-def: $vgpr3
.LBB46_1366:
	s_andn2_b64 vcc, exec, s[18:19]
	s_cbranch_vccnz .LBB46_1368
; %bb.1367:
	s_waitcnt vmcnt(0)
	global_load_dword v3, v[1:2], off
	s_waitcnt vmcnt(0)
	v_cvt_i32_f32_e32 v3, v3
.LBB46_1368:
	s_mov_b64 s[18:19], 0
.LBB46_1369:
	s_andn2_b64 vcc, exec, s[18:19]
	s_cbranch_vccnz .LBB46_1371
; %bb.1370:
	s_waitcnt vmcnt(0)
	global_load_ushort v3, v[1:2], off
	s_waitcnt vmcnt(0)
	v_cvt_i16_f16_e32 v3, v3
.LBB46_1371:
	s_cbranch_execnz .LBB46_1390
.LBB46_1372:
	s_sext_i32_i16 s18, s34
	s_cmp_lt_i32 s18, 2
	s_cbranch_scc1 .LBB46_1376
; %bb.1373:
	s_cmp_lt_i32 s18, 3
	s_cbranch_scc1 .LBB46_1377
; %bb.1374:
	s_cmp_gt_i32 s18, 3
	s_cbranch_scc0 .LBB46_1378
; %bb.1375:
	s_waitcnt vmcnt(0)
	global_load_dwordx2 v[3:4], v[1:2], off
	s_mov_b64 s[18:19], 0
	s_branch .LBB46_1379
.LBB46_1376:
                                        ; implicit-def: $vgpr3
	s_branch .LBB46_1385
.LBB46_1377:
	s_mov_b64 s[18:19], -1
                                        ; implicit-def: $vgpr3
	s_branch .LBB46_1382
.LBB46_1378:
	s_mov_b64 s[18:19], -1
                                        ; implicit-def: $vgpr3
.LBB46_1379:
	s_andn2_b64 vcc, exec, s[18:19]
	s_cbranch_vccnz .LBB46_1381
; %bb.1380:
	s_waitcnt vmcnt(0)
	global_load_dword v3, v[1:2], off
.LBB46_1381:
	s_mov_b64 s[18:19], 0
.LBB46_1382:
	s_andn2_b64 vcc, exec, s[18:19]
	s_cbranch_vccnz .LBB46_1384
; %bb.1383:
	s_waitcnt vmcnt(0)
	global_load_ushort v3, v[1:2], off
.LBB46_1384:
	s_cbranch_execnz .LBB46_1390
.LBB46_1385:
	s_sext_i32_i16 s18, s34
	s_cmp_gt_i32 s18, 0
	s_cbranch_scc0 .LBB46_1387
; %bb.1386:
	s_waitcnt vmcnt(0)
	global_load_ubyte v3, v[1:2], off
	s_mov_b64 s[18:19], 0
	s_branch .LBB46_1388
.LBB46_1387:
	s_mov_b64 s[18:19], -1
                                        ; implicit-def: $vgpr3
.LBB46_1388:
	s_andn2_b64 vcc, exec, s[18:19]
	s_cbranch_vccnz .LBB46_1390
; %bb.1389:
	s_waitcnt vmcnt(0)
	global_load_ubyte v3, v[1:2], off
.LBB46_1390:
	s_or_b64 s[24:25], s[24:25], exec
.LBB46_1391:
	s_or_b64 exec, exec, s[0:1]
	s_mov_b64 s[26:27], 0
	s_mov_b64 s[20:21], 0
                                        ; implicit-def: $sgpr30
                                        ; implicit-def: $vgpr1_vgpr2
                                        ; implicit-def: $vgpr4
	s_and_saveexec_b64 s[18:19], s[24:25]
	s_cbranch_execz .LBB46_1399
; %bb.1392:
	s_waitcnt vmcnt(0)
	v_mul_lo_u32 v1, v14, s12
	v_mov_b32_e32 v2, s54
	v_cmp_gt_i16_sdwa vcc, sext(v0), s33 src0_sel:BYTE_0 src1_sel:DWORD
	v_cndmask_b32_e32 v4, v2, v3, vcc
	v_ashrrev_i32_e32 v0, 31, v1
	v_mov_b32_e32 v2, s9
	s_and_b32 s30, s55, 0xff
	v_add_co_u32_e32 v1, vcc, s8, v1
	s_cmp_lt_i32 s30, 11
	v_addc_co_u32_e32 v2, vcc, v2, v0, vcc
	s_cbranch_scc1 .LBB46_1402
; %bb.1393:
	s_and_b32 s31, 0xffff, s30
	s_mov_b64 s[24:25], -1
	s_cmp_gt_i32 s31, 25
	s_mov_b64 s[0:1], s[16:17]
	s_cbranch_scc0 .LBB46_1430
; %bb.1394:
	s_mov_b64 s[20:21], -1
	s_cmp_gt_i32 s31, 28
	s_mov_b64 s[0:1], s[16:17]
	s_cbranch_scc0 .LBB46_1414
; %bb.1395:
	s_cmp_gt_i32 s31, 43
	s_mov_b64 s[0:1], s[16:17]
	s_cbranch_scc0 .LBB46_1410
; %bb.1396:
	;; [unrolled: 4-line block ×3, first 2 shown]
	s_cmp_eq_u32 s31, 46
	s_mov_b64 s[0:1], -1
	s_cbranch_scc0 .LBB46_1403
; %bb.1398:
	v_bfe_i32 v0, v4, 0, 8
	v_cvt_f32_i32_sdwa v0, sext(v0) dst_sel:DWORD dst_unused:UNUSED_PAD src0_sel:WORD_0
	s_movk_i32 s0, 0x7fff
	s_mov_b64 s[20:21], 0
	v_bfe_u32 v3, v0, 16, 1
	v_add3_u32 v0, v0, v3, s0
	v_lshrrev_b32_e32 v0, 16, v0
	global_store_dword v[1:2], v0, off
	s_mov_b64 s[0:1], 0
	s_branch .LBB46_1404
.LBB46_1399:
	s_or_b64 exec, exec, s[18:19]
	s_and_saveexec_b64 s[0:1], s[16:17]
	s_cbranch_execnz .LBB46_1472
.LBB46_1400:
	s_or_b64 exec, exec, s[0:1]
	s_and_saveexec_b64 s[0:1], s[26:27]
	s_xor_b64 s[0:1], exec, s[0:1]
	s_cbranch_execz .LBB46_1473
.LBB46_1401:
	s_waitcnt vmcnt(0)
	v_mov_b32_e32 v0, 0
	v_cmp_ne_u16_sdwa s[16:17], v4, v0 src0_sel:BYTE_0 src1_sel:DWORD
	v_cndmask_b32_e64 v0, 0, 1, s[16:17]
	global_store_byte v[1:2], v0, off
	s_or_b64 exec, exec, s[0:1]
	s_and_saveexec_b64 s[0:1], s[20:21]
	s_xor_b64 s[0:1], exec, s[0:1]
	s_cbranch_execz .LBB46_1511
	s_branch .LBB46_1474
.LBB46_1402:
	s_mov_b64 s[24:25], 0
	s_mov_b64 s[20:21], -1
	s_mov_b64 s[0:1], s[16:17]
	s_branch .LBB46_1471
.LBB46_1403:
	s_mov_b64 s[20:21], 0
.LBB46_1404:
	s_and_b64 vcc, exec, s[20:21]
	s_cbranch_vccz .LBB46_1409
; %bb.1405:
	s_cmp_eq_u32 s31, 44
	s_mov_b64 s[0:1], -1
	s_cbranch_scc0 .LBB46_1409
; %bb.1406:
	v_bfe_i32 v0, v4, 0, 8
	v_cvt_f32_i32_sdwa v0, sext(v0) dst_sel:DWORD dst_unused:UNUSED_PAD src0_sel:WORD_0
	s_movk_i32 s0, 0xff
	v_mov_b32_e32 v5, 0xff
	v_bfe_u32 v3, v0, 23, 8
	v_cmp_ne_u32_e32 vcc, s0, v3
	s_and_saveexec_b64 s[20:21], vcc
; %bb.1407:
	s_mov_b32 s0, 0x3fffff
	v_lshrrev_b32_e32 v5, 23, v0
	v_and_b32_e32 v6, 0x400000, v0
	v_and_or_b32 v0, v0, s0, v3
	v_cmp_ne_u32_e32 vcc, 0, v6
	v_cmp_ne_u32_e64 s[0:1], 0, v0
	s_and_b64 s[0:1], vcc, s[0:1]
	v_cndmask_b32_e64 v0, 0, 1, s[0:1]
	v_add_u32_e32 v5, v5, v0
; %bb.1408:
	s_or_b64 exec, exec, s[20:21]
	s_mov_b64 s[0:1], 0
	global_store_byte v[1:2], v5, off
.LBB46_1409:
	s_mov_b64 s[20:21], 0
.LBB46_1410:
	s_and_b64 vcc, exec, s[20:21]
	s_cbranch_vccz .LBB46_1413
; %bb.1411:
	s_cmp_eq_u32 s31, 29
	s_mov_b64 s[0:1], -1
	s_cbranch_scc0 .LBB46_1413
; %bb.1412:
	v_bfe_i32 v5, v4, 0, 8
	v_ashrrev_i32_e32 v6, 31, v5
	global_store_dwordx2 v[1:2], v[5:6], off
	s_mov_b64 s[0:1], 0
.LBB46_1413:
	s_mov_b64 s[20:21], 0
.LBB46_1414:
	s_and_b64 vcc, exec, s[20:21]
	s_cbranch_vccz .LBB46_1429
; %bb.1415:
	s_cmp_lt_i32 s31, 27
	s_mov_b64 s[20:21], -1
	s_cbranch_scc1 .LBB46_1421
; %bb.1416:
	s_cmp_gt_i32 s31, 27
	s_cbranch_scc0 .LBB46_1418
; %bb.1417:
	v_bfe_i32 v0, v4, 0, 8
	s_mov_b64 s[20:21], 0
	global_store_dword v[1:2], v0, off
.LBB46_1418:
	s_andn2_b64 vcc, exec, s[20:21]
	s_cbranch_vccnz .LBB46_1420
; %bb.1419:
	v_bfe_i32 v0, v4, 0, 8
	global_store_short v[1:2], v0, off
.LBB46_1420:
	s_mov_b64 s[20:21], 0
.LBB46_1421:
	s_andn2_b64 vcc, exec, s[20:21]
	s_cbranch_vccnz .LBB46_1429
; %bb.1422:
	v_bfe_i32 v0, v4, 0, 8
	v_cvt_f32_i32_sdwa v0, sext(v0) dst_sel:DWORD dst_unused:UNUSED_PAD src0_sel:WORD_0
	s_mov_b32 s20, 0x43800000
	v_mov_b32_e32 v5, 0x80
	v_and_b32_e32 v3, 0x7fffffff, v0
	v_cmp_gt_u32_e32 vcc, s20, v3
	s_and_saveexec_b64 s[20:21], vcc
	s_cbranch_execz .LBB46_1428
; %bb.1423:
	s_mov_b32 s24, 0x3bffffff
	v_cmp_lt_u32_e32 vcc, s24, v3
	s_mov_b64 s[24:25], 0
                                        ; implicit-def: $vgpr3
	s_and_saveexec_b64 s[26:27], vcc
	s_xor_b64 s[26:27], exec, s[26:27]
	s_cbranch_execz .LBB46_1526
; %bb.1424:
	v_bfe_u32 v3, v0, 20, 1
	s_mov_b32 s28, 0x487ffff
	v_add3_u32 v3, v0, v3, s28
	s_mov_b64 s[24:25], exec
	v_lshrrev_b32_e32 v3, 20, v3
	s_andn2_saveexec_b64 s[26:27], s[26:27]
	s_cbranch_execnz .LBB46_1527
.LBB46_1425:
	s_or_b64 exec, exec, s[26:27]
	v_mov_b32_e32 v5, 0
	s_and_saveexec_b64 s[26:27], s[24:25]
.LBB46_1426:
	v_lshrrev_b32_e32 v0, 24, v0
	s_movk_i32 s24, 0x80
	v_and_or_b32 v5, v0, s24, v3
.LBB46_1427:
	s_or_b64 exec, exec, s[26:27]
.LBB46_1428:
	s_or_b64 exec, exec, s[20:21]
	global_store_byte v[1:2], v5, off
.LBB46_1429:
	s_mov_b64 s[24:25], 0
.LBB46_1430:
	s_mov_b64 s[20:21], 0
	s_and_b64 vcc, exec, s[24:25]
	s_cbranch_vccz .LBB46_1470
; %bb.1431:
	s_cmp_gt_i32 s31, 22
	s_mov_b64 s[24:25], -1
	s_cbranch_scc0 .LBB46_1463
; %bb.1432:
	s_cmp_lt_i32 s31, 24
	s_cbranch_scc1 .LBB46_1452
; %bb.1433:
	s_cmp_gt_i32 s31, 24
	s_cbranch_scc0 .LBB46_1441
; %bb.1434:
	v_bfe_i32 v0, v4, 0, 8
	v_cvt_f32_i32_sdwa v0, sext(v0) dst_sel:DWORD dst_unused:UNUSED_PAD src0_sel:WORD_0
	s_mov_b32 s24, 0x47800000
	v_mov_b32_e32 v5, 0x80
	v_and_b32_e32 v3, 0x7fffffff, v0
	v_cmp_gt_u32_e32 vcc, s24, v3
	s_and_saveexec_b64 s[24:25], vcc
	s_cbranch_execz .LBB46_1440
; %bb.1435:
	s_mov_b32 s26, 0x37ffffff
	v_cmp_lt_u32_e32 vcc, s26, v3
	s_mov_b64 s[26:27], 0
                                        ; implicit-def: $vgpr3
	s_and_saveexec_b64 s[28:29], vcc
	s_xor_b64 s[28:29], exec, s[28:29]
	s_cbranch_execz .LBB46_1646
; %bb.1436:
	v_bfe_u32 v3, v0, 21, 1
	s_mov_b32 s34, 0x88fffff
	v_add3_u32 v3, v0, v3, s34
	s_mov_b64 s[26:27], exec
	v_lshrrev_b32_e32 v3, 21, v3
	s_andn2_saveexec_b64 s[28:29], s[28:29]
	s_cbranch_execnz .LBB46_1647
.LBB46_1437:
	s_or_b64 exec, exec, s[28:29]
	v_mov_b32_e32 v5, 0
	s_and_saveexec_b64 s[28:29], s[26:27]
.LBB46_1438:
	v_lshrrev_b32_e32 v0, 24, v0
	s_movk_i32 s26, 0x80
	v_and_or_b32 v5, v0, s26, v3
.LBB46_1439:
	s_or_b64 exec, exec, s[28:29]
.LBB46_1440:
	s_or_b64 exec, exec, s[24:25]
	s_mov_b64 s[24:25], 0
	global_store_byte v[1:2], v5, off
.LBB46_1441:
	s_and_b64 vcc, exec, s[24:25]
	s_cbranch_vccz .LBB46_1451
; %bb.1442:
	v_bfe_i32 v0, v4, 0, 8
	v_cvt_f32_i32_sdwa v0, sext(v0) dst_sel:DWORD dst_unused:UNUSED_PAD src0_sel:WORD_0
	s_mov_b32 s24, 0x43f00000
                                        ; implicit-def: $vgpr3
	v_and_b32_e32 v5, 0x7fffffff, v0
	v_cmp_gt_u32_e32 vcc, s24, v5
	s_and_saveexec_b64 s[24:25], vcc
	s_xor_b64 s[24:25], exec, s[24:25]
	s_cbranch_execz .LBB46_1448
; %bb.1443:
	s_mov_b32 s26, 0x3c7fffff
	v_cmp_lt_u32_e32 vcc, s26, v5
                                        ; implicit-def: $vgpr3
	s_and_saveexec_b64 s[26:27], vcc
	s_xor_b64 s[26:27], exec, s[26:27]
; %bb.1444:
	v_bfe_u32 v3, v0, 20, 1
	s_mov_b32 s28, 0x407ffff
	v_add3_u32 v3, v0, v3, s28
	v_lshrrev_b32_e32 v5, 20, v3
	v_and_b32_e32 v3, 0xff00000, v3
	s_mov_b32 s28, 0x7f00000
	v_mov_b32_e32 v6, 0x7e
	v_cmp_ne_u32_e32 vcc, s28, v3
	v_cndmask_b32_e32 v3, v6, v5, vcc
; %bb.1445:
	s_andn2_saveexec_b64 s[26:27], s[26:27]
; %bb.1446:
	s_mov_b32 s28, 0x46800000
	v_add_f32_e64 v3, |v0|, s28
; %bb.1447:
	s_or_b64 exec, exec, s[26:27]
                                        ; implicit-def: $vgpr5
.LBB46_1448:
	s_andn2_saveexec_b64 s[24:25], s[24:25]
; %bb.1449:
	s_mov_b32 s26, 0x7f800000
	v_mov_b32_e32 v3, 0x7e
	v_mov_b32_e32 v6, 0x7f
	v_cmp_lt_u32_e32 vcc, s26, v5
	v_cndmask_b32_e32 v3, v3, v6, vcc
; %bb.1450:
	s_or_b64 exec, exec, s[24:25]
	v_lshrrev_b32_e32 v0, 24, v0
	s_movk_i32 s24, 0x80
	v_and_or_b32 v0, v0, s24, v3
	global_store_byte v[1:2], v0, off
.LBB46_1451:
	s_mov_b64 s[24:25], 0
.LBB46_1452:
	s_andn2_b64 vcc, exec, s[24:25]
	s_cbranch_vccnz .LBB46_1462
; %bb.1453:
	v_bfe_i32 v0, v4, 0, 8
	v_cvt_f32_i32_sdwa v0, sext(v0) dst_sel:DWORD dst_unused:UNUSED_PAD src0_sel:WORD_0
	s_mov_b32 s24, 0x47800000
                                        ; implicit-def: $vgpr3
	v_and_b32_e32 v5, 0x7fffffff, v0
	v_cmp_gt_u32_e32 vcc, s24, v5
	s_and_saveexec_b64 s[24:25], vcc
	s_xor_b64 s[24:25], exec, s[24:25]
	s_cbranch_execz .LBB46_1459
; %bb.1454:
	s_mov_b32 s26, 0x387fffff
	v_cmp_lt_u32_e32 vcc, s26, v5
                                        ; implicit-def: $vgpr3
	s_and_saveexec_b64 s[26:27], vcc
	s_xor_b64 s[26:27], exec, s[26:27]
; %bb.1455:
	v_bfe_u32 v3, v0, 21, 1
	s_mov_b32 s28, 0x80fffff
	v_add3_u32 v3, v0, v3, s28
	v_lshrrev_b32_e32 v3, 21, v3
; %bb.1456:
	s_andn2_saveexec_b64 s[26:27], s[26:27]
; %bb.1457:
	s_mov_b32 s28, 0x43000000
	v_add_f32_e64 v3, |v0|, s28
; %bb.1458:
	s_or_b64 exec, exec, s[26:27]
                                        ; implicit-def: $vgpr5
.LBB46_1459:
	s_andn2_saveexec_b64 s[24:25], s[24:25]
; %bb.1460:
	s_mov_b32 s26, 0x7f800000
	v_mov_b32_e32 v3, 0x7c
	v_mov_b32_e32 v6, 0x7f
	v_cmp_lt_u32_e32 vcc, s26, v5
	v_cndmask_b32_e32 v3, v3, v6, vcc
; %bb.1461:
	s_or_b64 exec, exec, s[24:25]
	v_lshrrev_b32_e32 v0, 24, v0
	s_movk_i32 s24, 0x80
	v_and_or_b32 v0, v0, s24, v3
	global_store_byte v[1:2], v0, off
.LBB46_1462:
	s_mov_b64 s[24:25], 0
.LBB46_1463:
	s_andn2_b64 vcc, exec, s[24:25]
	s_mov_b64 s[24:25], 0
	s_cbranch_vccnz .LBB46_1471
; %bb.1464:
	s_cmp_gt_i32 s31, 14
	s_mov_b64 s[26:27], -1
	s_cbranch_scc0 .LBB46_1468
; %bb.1465:
	s_cmp_eq_u32 s31, 15
	s_mov_b64 s[0:1], -1
	s_cbranch_scc0 .LBB46_1467
; %bb.1466:
	v_bfe_i32 v0, v4, 0, 8
	v_cvt_f32_i32_sdwa v0, sext(v0) dst_sel:DWORD dst_unused:UNUSED_PAD src0_sel:WORD_0
	s_movk_i32 s0, 0x7fff
	v_bfe_u32 v3, v0, 16, 1
	v_add3_u32 v0, v0, v3, s0
	global_store_short_d16_hi v[1:2], v0, off
	s_mov_b64 s[0:1], 0
.LBB46_1467:
	s_mov_b64 s[26:27], 0
.LBB46_1468:
	s_and_b64 vcc, exec, s[26:27]
	s_cbranch_vccz .LBB46_1471
; %bb.1469:
	s_cmp_lg_u32 s31, 11
	s_cselect_b64 s[26:27], -1, 0
	s_andn2_b64 s[0:1], s[0:1], exec
	s_and_b64 s[26:27], s[26:27], exec
	s_mov_b64 s[24:25], -1
	s_or_b64 s[0:1], s[0:1], s[26:27]
	s_branch .LBB46_1471
.LBB46_1470:
	s_mov_b64 s[24:25], 0
.LBB46_1471:
	s_andn2_b64 s[16:17], s[16:17], exec
	s_and_b64 s[0:1], s[0:1], exec
	s_and_b64 s[20:21], s[20:21], exec
	;; [unrolled: 1-line block ×3, first 2 shown]
	s_or_b64 s[16:17], s[16:17], s[0:1]
	s_or_b64 exec, exec, s[18:19]
	s_and_saveexec_b64 s[0:1], s[16:17]
	s_cbranch_execz .LBB46_1400
.LBB46_1472:
	s_or_b64 s[22:23], s[22:23], exec
	s_andn2_b64 s[26:27], s[26:27], exec
	s_trap 2
	s_or_b64 exec, exec, s[0:1]
	s_and_saveexec_b64 s[0:1], s[26:27]
	s_xor_b64 s[0:1], exec, s[0:1]
	s_cbranch_execnz .LBB46_1401
.LBB46_1473:
	s_or_b64 exec, exec, s[0:1]
	s_and_saveexec_b64 s[0:1], s[20:21]
	s_xor_b64 s[0:1], exec, s[0:1]
	s_cbranch_execz .LBB46_1511
.LBB46_1474:
	s_sext_i32_i16 s18, s30
	s_cmp_lt_i32 s18, 5
	s_mov_b64 s[16:17], -1
	s_cbranch_scc1 .LBB46_1495
; %bb.1475:
	s_cmp_lt_i32 s18, 8
	s_cbranch_scc1 .LBB46_1485
; %bb.1476:
	s_cmp_lt_i32 s18, 9
	s_cbranch_scc1 .LBB46_1482
; %bb.1477:
	s_cmp_gt_i32 s18, 9
	s_cbranch_scc0 .LBB46_1479
; %bb.1478:
	s_waitcnt vmcnt(0)
	v_bfe_i32 v0, v4, 0, 8
	v_bfe_i32 v0, v0, 0, 16
	v_cvt_f64_i32_e32 v[5:6], v0
	v_mov_b32_e32 v7, 0
	v_mov_b32_e32 v8, v7
	s_mov_b64 s[16:17], 0
	global_store_dwordx4 v[1:2], v[5:8], off
.LBB46_1479:
	s_andn2_b64 vcc, exec, s[16:17]
	s_cbranch_vccnz .LBB46_1481
; %bb.1480:
	s_waitcnt vmcnt(0)
	v_bfe_i32 v0, v4, 0, 8
	v_cvt_f32_i32_sdwa v5, sext(v0) dst_sel:DWORD dst_unused:UNUSED_PAD src0_sel:WORD_0
	v_mov_b32_e32 v6, 0
	global_store_dwordx2 v[1:2], v[5:6], off
.LBB46_1481:
	s_mov_b64 s[16:17], 0
.LBB46_1482:
	s_andn2_b64 vcc, exec, s[16:17]
	s_cbranch_vccnz .LBB46_1484
; %bb.1483:
	s_waitcnt vmcnt(0)
	v_cvt_f16_i16_sdwa v0, sext(v4) dst_sel:DWORD dst_unused:UNUSED_PAD src0_sel:BYTE_0
	global_store_dword v[1:2], v0, off
.LBB46_1484:
	s_mov_b64 s[16:17], 0
.LBB46_1485:
	s_andn2_b64 vcc, exec, s[16:17]
	s_cbranch_vccnz .LBB46_1494
; %bb.1486:
	s_sext_i32_i16 s18, s30
	s_cmp_lt_i32 s18, 6
	s_mov_b64 s[16:17], -1
	s_cbranch_scc1 .LBB46_1492
; %bb.1487:
	s_cmp_gt_i32 s18, 6
	s_cbranch_scc0 .LBB46_1489
; %bb.1488:
	s_waitcnt vmcnt(0)
	v_bfe_i32 v0, v4, 0, 8
	v_bfe_i32 v0, v0, 0, 16
	v_cvt_f64_i32_e32 v[5:6], v0
	s_mov_b64 s[16:17], 0
	global_store_dwordx2 v[1:2], v[5:6], off
.LBB46_1489:
	s_andn2_b64 vcc, exec, s[16:17]
	s_cbranch_vccnz .LBB46_1491
; %bb.1490:
	s_waitcnt vmcnt(0)
	v_bfe_i32 v0, v4, 0, 8
	v_cvt_f32_i32_sdwa v0, sext(v0) dst_sel:DWORD dst_unused:UNUSED_PAD src0_sel:WORD_0
	global_store_dword v[1:2], v0, off
.LBB46_1491:
	s_mov_b64 s[16:17], 0
.LBB46_1492:
	s_andn2_b64 vcc, exec, s[16:17]
	s_cbranch_vccnz .LBB46_1494
; %bb.1493:
	s_waitcnt vmcnt(0)
	v_cvt_f16_i16_sdwa v0, sext(v4) dst_sel:DWORD dst_unused:UNUSED_PAD src0_sel:BYTE_0
	global_store_short v[1:2], v0, off
.LBB46_1494:
	s_mov_b64 s[16:17], 0
.LBB46_1495:
	s_andn2_b64 vcc, exec, s[16:17]
	s_cbranch_vccnz .LBB46_1511
; %bb.1496:
	s_sext_i32_i16 s18, s30
	s_cmp_lt_i32 s18, 2
	s_mov_b64 s[16:17], -1
	s_cbranch_scc1 .LBB46_1506
; %bb.1497:
	s_cmp_lt_i32 s18, 3
	s_cbranch_scc1 .LBB46_1503
; %bb.1498:
	s_cmp_gt_i32 s18, 3
	s_cbranch_scc0 .LBB46_1500
; %bb.1499:
	s_waitcnt vmcnt(0)
	v_bfe_i32 v5, v4, 0, 8
	v_ashrrev_i32_e32 v6, 31, v5
	s_mov_b64 s[16:17], 0
	global_store_dwordx2 v[1:2], v[5:6], off
.LBB46_1500:
	s_andn2_b64 vcc, exec, s[16:17]
	s_cbranch_vccnz .LBB46_1502
; %bb.1501:
	s_waitcnt vmcnt(0)
	v_bfe_i32 v0, v4, 0, 8
	global_store_dword v[1:2], v0, off
.LBB46_1502:
	s_mov_b64 s[16:17], 0
.LBB46_1503:
	s_andn2_b64 vcc, exec, s[16:17]
	s_cbranch_vccnz .LBB46_1505
; %bb.1504:
	s_waitcnt vmcnt(0)
	v_bfe_i32 v0, v4, 0, 8
	global_store_short v[1:2], v0, off
.LBB46_1505:
	s_mov_b64 s[16:17], 0
.LBB46_1506:
	s_andn2_b64 vcc, exec, s[16:17]
	s_cbranch_vccnz .LBB46_1511
; %bb.1507:
	s_sext_i32_i16 s16, s30
	s_cmp_gt_i32 s16, 0
	s_mov_b64 s[16:17], -1
	s_cbranch_scc0 .LBB46_1509
; %bb.1508:
	s_mov_b64 s[16:17], 0
	s_waitcnt vmcnt(0)
	global_store_byte v[1:2], v4, off
.LBB46_1509:
	s_andn2_b64 vcc, exec, s[16:17]
	s_cbranch_vccnz .LBB46_1511
; %bb.1510:
	s_waitcnt vmcnt(0)
	global_store_byte v[1:2], v4, off
.LBB46_1511:
	s_or_b64 exec, exec, s[0:1]
	s_and_b64 s[16:17], s[22:23], exec
                                        ; implicit-def: $vgpr14
.LBB46_1512:
	s_or_saveexec_b64 s[6:7], s[6:7]
	s_mov_b64 s[0:1], 0
                                        ; implicit-def: $sgpr20
                                        ; implicit-def: $vgpr0_vgpr1
                                        ; implicit-def: $vgpr2
	s_xor_b64 exec, exec, s[6:7]
	s_cbranch_execz .LBB46_2949
; %bb.1513:
	v_mul_lo_u32 v5, s13, v14
	s_waitcnt vmcnt(0)
	v_mov_b32_e32 v0, s11
	s_and_b32 s24, 0xffff, s56
	s_cmp_lt_i32 s24, 11
	v_ashrrev_i32_e32 v1, 31, v5
	v_add_co_u32_e32 v2, vcc, s10, v5
	v_addc_co_u32_e32 v3, vcc, v0, v1, vcc
	s_cbranch_scc1 .LBB46_1520
; %bb.1514:
	s_cmp_gt_i32 s24, 25
	s_cbranch_scc0 .LBB46_1522
; %bb.1515:
	s_cmp_gt_i32 s24, 28
	s_cbranch_scc0 .LBB46_1523
	;; [unrolled: 3-line block ×4, first 2 shown]
; %bb.1518:
	s_cmp_eq_u32 s24, 46
	s_mov_b64 s[18:19], 0
	s_cbranch_scc0 .LBB46_1528
; %bb.1519:
	global_load_dword v0, v[2:3], off
	s_mov_b64 s[20:21], -1
	s_waitcnt vmcnt(0)
	v_lshlrev_b32_e32 v0, 16, v0
	v_cvt_i32_f32_e32 v0, v0
	s_branch .LBB46_1529
.LBB46_1520:
	s_mov_b64 s[20:21], 0
                                        ; implicit-def: $vgpr0
	s_mov_b64 s[18:19], s[16:17]
	s_cbranch_execnz .LBB46_1587
.LBB46_1521:
	s_andn2_b64 vcc, exec, s[20:21]
	s_cbranch_vccz .LBB46_1632
	s_branch .LBB46_2947
.LBB46_1522:
	s_mov_b64 s[20:21], 0
                                        ; implicit-def: $vgpr0
	s_cbranch_execnz .LBB46_1554
	s_branch .LBB46_1583
.LBB46_1523:
	s_mov_b64 s[20:21], 0
                                        ; implicit-def: $vgpr0
	s_cbranch_execz .LBB46_1553
	s_branch .LBB46_1538
.LBB46_1524:
	s_mov_b64 s[20:21], 0
                                        ; implicit-def: $vgpr0
	s_cbranch_execnz .LBB46_1534
	s_branch .LBB46_1537
.LBB46_1525:
	s_mov_b64 s[18:19], -1
	s_mov_b64 s[20:21], 0
                                        ; implicit-def: $vgpr0
	s_branch .LBB46_1529
.LBB46_1526:
	s_andn2_saveexec_b64 s[26:27], s[26:27]
	s_cbranch_execz .LBB46_1425
.LBB46_1527:
	s_mov_b32 s28, 0x46000000
	v_add_f32_e64 v3, |v0|, s28
	v_and_b32_e32 v3, 0xff, v3
	v_cmp_ne_u32_e32 vcc, 0, v3
	s_andn2_b64 s[24:25], s[24:25], exec
	s_and_b64 s[28:29], vcc, exec
	s_or_b64 s[24:25], s[24:25], s[28:29]
	s_or_b64 exec, exec, s[26:27]
	v_mov_b32_e32 v5, 0
	s_and_saveexec_b64 s[26:27], s[24:25]
	s_cbranch_execnz .LBB46_1426
	s_branch .LBB46_1427
.LBB46_1528:
	s_mov_b64 s[0:1], -1
                                        ; implicit-def: $vgpr0
	s_mov_b64 s[20:21], 0
.LBB46_1529:
	s_and_b64 vcc, exec, s[18:19]
	s_cbranch_vccz .LBB46_1532
; %bb.1530:
	s_cmp_eq_u32 s24, 44
	s_cbranch_scc0 .LBB46_1533
; %bb.1531:
	global_load_ubyte v0, v[2:3], off
	s_mov_b64 s[0:1], 0
	s_mov_b64 s[20:21], -1
	s_waitcnt vmcnt(0)
	v_lshlrev_b32_e32 v1, 23, v0
	v_cvt_i32_f32_e32 v1, v1
	v_cmp_ne_u32_e32 vcc, 0, v0
	v_cndmask_b32_e32 v0, 0, v1, vcc
.LBB46_1532:
	s_branch .LBB46_1537
.LBB46_1533:
	s_mov_b64 s[0:1], -1
                                        ; implicit-def: $vgpr0
	s_branch .LBB46_1537
.LBB46_1534:
	s_cmp_eq_u32 s24, 29
	s_cbranch_scc0 .LBB46_1536
; %bb.1535:
	global_load_dwordx2 v[0:1], v[2:3], off
	s_mov_b64 s[0:1], 0
	s_mov_b64 s[20:21], -1
	s_branch .LBB46_1537
.LBB46_1536:
	s_mov_b64 s[0:1], -1
                                        ; implicit-def: $vgpr0
.LBB46_1537:
	s_branch .LBB46_1553
.LBB46_1538:
	s_cmp_lt_i32 s24, 27
	s_cbranch_scc1 .LBB46_1541
; %bb.1539:
	s_cmp_gt_i32 s24, 27
	s_cbranch_scc0 .LBB46_1542
; %bb.1540:
	global_load_dword v0, v[2:3], off
	s_mov_b64 s[18:19], 0
	s_branch .LBB46_1543
.LBB46_1541:
	s_mov_b64 s[18:19], -1
                                        ; implicit-def: $vgpr0
	s_branch .LBB46_1546
.LBB46_1542:
	s_mov_b64 s[18:19], -1
                                        ; implicit-def: $vgpr0
.LBB46_1543:
	s_andn2_b64 vcc, exec, s[18:19]
	s_cbranch_vccnz .LBB46_1545
; %bb.1544:
	global_load_ushort v0, v[2:3], off
.LBB46_1545:
	s_mov_b64 s[18:19], 0
.LBB46_1546:
	s_andn2_b64 vcc, exec, s[18:19]
	s_cbranch_vccnz .LBB46_1552
; %bb.1547:
	global_load_ubyte v1, v[2:3], off
	s_movk_i32 s18, 0x7f
	s_mov_b64 s[20:21], 0
	s_waitcnt vmcnt(0)
	v_cmp_lt_i16_e32 vcc, s18, v1
	s_and_saveexec_b64 s[18:19], vcc
	s_xor_b64 s[18:19], exec, s[18:19]
	s_cbranch_execz .LBB46_1563
; %bb.1548:
	s_movk_i32 s20, 0x80
	v_cmp_ne_u16_e32 vcc, s20, v1
	s_and_b64 s[20:21], vcc, exec
	s_andn2_saveexec_b64 s[18:19], s[18:19]
	s_cbranch_execnz .LBB46_1564
.LBB46_1549:
	s_or_b64 exec, exec, s[18:19]
	v_mov_b32_e32 v0, 0
	s_and_saveexec_b64 s[18:19], s[20:21]
	s_cbranch_execz .LBB46_1551
.LBB46_1550:
	v_lshlrev_b32_e32 v0, 24, v1
	v_and_b32_e32 v1, 0xffff, v1
	v_and_b32_e32 v4, 7, v1
	v_ffbh_u32_e32 v7, v4
	v_min_u32_e32 v7, 32, v7
	v_subrev_u32_e32 v8, 28, v7
	v_bfe_u32 v6, v1, 3, 4
	v_lshlrev_b32_e32 v1, v8, v1
	v_sub_u32_e32 v7, 29, v7
	v_and_b32_e32 v1, 7, v1
	v_cmp_eq_u32_e32 vcc, 0, v6
	v_cndmask_b32_e32 v6, v6, v7, vcc
	v_cndmask_b32_e32 v1, v4, v1, vcc
	v_mov_b32_e32 v4, 0x3b800000
	v_lshlrev_b32_e32 v1, 20, v1
	v_and_b32_e32 v0, 0x80000000, v0
	v_lshl_add_u32 v4, v6, 23, v4
	v_or3_b32 v0, v0, v4, v1
	v_cvt_i32_f32_e32 v0, v0
.LBB46_1551:
	s_or_b64 exec, exec, s[18:19]
.LBB46_1552:
	s_mov_b64 s[20:21], -1
.LBB46_1553:
	s_branch .LBB46_1583
.LBB46_1554:
	s_cmp_gt_i32 s24, 22
	s_cbranch_scc0 .LBB46_1562
; %bb.1555:
	s_cmp_lt_i32 s24, 24
	s_cbranch_scc1 .LBB46_1565
; %bb.1556:
	s_cmp_gt_i32 s24, 24
	s_cbranch_scc0 .LBB46_1566
; %bb.1557:
	global_load_ubyte v1, v[2:3], off
	s_movk_i32 s4, 0x7f
	s_mov_b64 s[18:19], 0
	s_waitcnt vmcnt(0)
	v_cmp_lt_i16_e32 vcc, s4, v1
	s_and_saveexec_b64 s[4:5], vcc
	s_xor_b64 s[4:5], exec, s[4:5]
	s_cbranch_execz .LBB46_1577
; %bb.1558:
	s_movk_i32 s18, 0x80
	v_cmp_ne_u16_e32 vcc, s18, v1
	s_and_b64 s[18:19], vcc, exec
	s_andn2_saveexec_b64 s[4:5], s[4:5]
	s_cbranch_execnz .LBB46_1578
.LBB46_1559:
	s_or_b64 exec, exec, s[4:5]
	v_mov_b32_e32 v0, 0
	s_and_saveexec_b64 s[4:5], s[18:19]
	s_cbranch_execz .LBB46_1561
.LBB46_1560:
	v_lshlrev_b32_e32 v0, 24, v1
	v_and_b32_e32 v1, 0xffff, v1
	v_and_b32_e32 v4, 3, v1
	v_ffbh_u32_e32 v7, v4
	v_min_u32_e32 v7, 32, v7
	v_subrev_u32_e32 v8, 29, v7
	v_bfe_u32 v6, v1, 2, 5
	v_lshlrev_b32_e32 v1, v8, v1
	v_sub_u32_e32 v7, 30, v7
	v_and_b32_e32 v1, 3, v1
	v_cmp_eq_u32_e32 vcc, 0, v6
	v_cndmask_b32_e32 v6, v6, v7, vcc
	v_cndmask_b32_e32 v1, v4, v1, vcc
	v_mov_b32_e32 v4, 0x37800000
	v_lshlrev_b32_e32 v1, 21, v1
	v_and_b32_e32 v0, 0x80000000, v0
	v_lshl_add_u32 v4, v6, 23, v4
	v_or3_b32 v0, v0, v4, v1
	v_cvt_i32_f32_e32 v0, v0
.LBB46_1561:
	s_or_b64 exec, exec, s[4:5]
	s_mov_b64 s[4:5], 0
	s_branch .LBB46_1567
.LBB46_1562:
                                        ; implicit-def: $vgpr0
	s_mov_b64 s[4:5], 0
	s_branch .LBB46_1573
.LBB46_1563:
	s_andn2_saveexec_b64 s[18:19], s[18:19]
	s_cbranch_execz .LBB46_1549
.LBB46_1564:
	v_cmp_ne_u16_e32 vcc, 0, v1
	s_andn2_b64 s[20:21], s[20:21], exec
	s_and_b64 s[22:23], vcc, exec
	s_or_b64 s[20:21], s[20:21], s[22:23]
	s_or_b64 exec, exec, s[18:19]
	v_mov_b32_e32 v0, 0
	s_and_saveexec_b64 s[18:19], s[20:21]
	s_cbranch_execnz .LBB46_1550
	s_branch .LBB46_1551
.LBB46_1565:
	s_mov_b64 s[4:5], -1
                                        ; implicit-def: $vgpr0
	s_branch .LBB46_1570
.LBB46_1566:
	s_mov_b64 s[4:5], -1
                                        ; implicit-def: $vgpr0
.LBB46_1567:
	s_and_b64 vcc, exec, s[4:5]
	s_cbranch_vccz .LBB46_1569
; %bb.1568:
	global_load_ubyte v0, v[2:3], off
	s_mov_b32 s4, 0x7f800000
	s_waitcnt vmcnt(0)
	v_lshlrev_b32_e32 v0, 24, v0
	v_and_b32_e32 v1, 0x7f000000, v0
	v_ffbh_u32_e32 v4, v1
	v_min_u32_e32 v4, 32, v4
	v_sub_u32_e64 v4, v4, 4 clamp
	v_lshlrev_b32_e32 v7, v4, v1
	v_lshlrev_b32_e32 v4, 23, v4
	v_lshrrev_b32_e32 v7, 4, v7
	v_add_u32_e32 v6, 0x1000000, v1
	v_sub_u32_e32 v4, v7, v4
	v_ashrrev_i32_e32 v6, 8, v6
	v_add_u32_e32 v4, 0x3c000000, v4
	v_and_or_b32 v4, v6, s4, v4
	v_cmp_ne_u32_e32 vcc, 0, v1
	v_cndmask_b32_e32 v1, 0, v4, vcc
	s_brev_b32 s4, 1
	v_and_or_b32 v0, v0, s4, v1
	v_cvt_i32_f32_e32 v0, v0
.LBB46_1569:
	s_mov_b64 s[4:5], 0
.LBB46_1570:
	s_andn2_b64 vcc, exec, s[4:5]
	s_cbranch_vccnz .LBB46_1572
; %bb.1571:
	global_load_ubyte v0, v[2:3], off
	s_movk_i32 s4, 0x7f00
	s_brev_b32 s5, 16
	s_waitcnt vmcnt(0)
	v_lshlrev_b16_e32 v1, 8, v0
	v_lshlrev_b32_e32 v0, 25, v0
	v_lshrrev_b32_e32 v4, 4, v0
	v_and_or_b32 v6, v1, s4, 0.5
	v_or_b32_e32 v4, 0x70000000, v4
	v_add_f32_e32 v6, -0.5, v6
	v_mul_f32_e32 v4, 0x7800000, v4
	v_cmp_gt_u32_e32 vcc, s5, v0
	v_bfe_i32 v1, v1, 0, 16
	v_cndmask_b32_e32 v0, v4, v6, vcc
	s_brev_b32 s4, 1
	v_and_or_b32 v0, v1, s4, v0
	v_cvt_i32_f32_e32 v0, v0
.LBB46_1572:
	s_mov_b64 s[20:21], -1
	s_mov_b64 s[4:5], 0
	s_cbranch_execnz .LBB46_1583
.LBB46_1573:
	s_cmp_gt_i32 s24, 14
	s_cbranch_scc0 .LBB46_1576
; %bb.1574:
	s_cmp_eq_u32 s24, 15
	s_cbranch_scc0 .LBB46_1579
; %bb.1575:
	global_load_ushort v0, v[2:3], off
	s_mov_b64 s[0:1], 0
	s_mov_b64 s[20:21], -1
	s_waitcnt vmcnt(0)
	v_lshlrev_b32_e32 v0, 16, v0
	v_cvt_i32_f32_e32 v0, v0
	s_branch .LBB46_1580
.LBB46_1576:
	s_mov_b64 s[18:19], -1
                                        ; implicit-def: $vgpr0
	s_branch .LBB46_1581
.LBB46_1577:
	s_andn2_saveexec_b64 s[4:5], s[4:5]
	s_cbranch_execz .LBB46_1559
.LBB46_1578:
	v_cmp_ne_u16_e32 vcc, 0, v1
	s_andn2_b64 s[18:19], s[18:19], exec
	s_and_b64 s[20:21], vcc, exec
	s_or_b64 s[18:19], s[18:19], s[20:21]
	s_or_b64 exec, exec, s[4:5]
	v_mov_b32_e32 v0, 0
	s_and_saveexec_b64 s[4:5], s[18:19]
	s_cbranch_execnz .LBB46_1560
	s_branch .LBB46_1561
.LBB46_1579:
	s_mov_b64 s[0:1], -1
                                        ; implicit-def: $vgpr0
.LBB46_1580:
	s_mov_b64 s[18:19], 0
.LBB46_1581:
	s_and_b64 vcc, exec, s[18:19]
	s_cbranch_vccz .LBB46_1583
; %bb.1582:
	s_cmp_lg_u32 s24, 11
	s_mov_b64 s[4:5], -1
	s_cselect_b64 s[0:1], -1, 0
.LBB46_1583:
	s_and_b64 vcc, exec, s[0:1]
	s_mov_b64 s[18:19], s[16:17]
	s_cbranch_vccnz .LBB46_1644
; %bb.1584:
	s_andn2_b64 vcc, exec, s[4:5]
	s_cbranch_vccnz .LBB46_1586
.LBB46_1585:
	global_load_ubyte v0, v[2:3], off
	s_mov_b64 s[20:21], -1
	s_waitcnt vmcnt(0)
	v_cmp_ne_u16_e32 vcc, 0, v0
	v_cndmask_b32_e64 v0, 0, 1, vcc
.LBB46_1586:
	s_branch .LBB46_1521
.LBB46_1587:
	s_cmp_lt_i32 s24, 5
	s_cbranch_scc1 .LBB46_1592
; %bb.1588:
	s_cmp_lt_i32 s24, 8
	s_cbranch_scc1 .LBB46_1593
; %bb.1589:
	;; [unrolled: 3-line block ×3, first 2 shown]
	s_cmp_gt_i32 s24, 9
	s_cbranch_scc0 .LBB46_1595
; %bb.1591:
	global_load_dwordx2 v[0:1], v[2:3], off
	s_mov_b64 s[0:1], 0
	s_waitcnt vmcnt(0)
	v_cvt_i32_f64_e32 v0, v[0:1]
	s_branch .LBB46_1596
.LBB46_1592:
                                        ; implicit-def: $vgpr0
	s_branch .LBB46_1613
.LBB46_1593:
                                        ; implicit-def: $vgpr0
	s_branch .LBB46_1602
.LBB46_1594:
	s_mov_b64 s[0:1], -1
                                        ; implicit-def: $vgpr0
	s_branch .LBB46_1599
.LBB46_1595:
	s_mov_b64 s[0:1], -1
                                        ; implicit-def: $vgpr0
.LBB46_1596:
	s_andn2_b64 vcc, exec, s[0:1]
	s_cbranch_vccnz .LBB46_1598
; %bb.1597:
	global_load_dword v0, v[2:3], off
	s_waitcnt vmcnt(0)
	v_cvt_i32_f32_e32 v0, v0
.LBB46_1598:
	s_mov_b64 s[0:1], 0
.LBB46_1599:
	s_andn2_b64 vcc, exec, s[0:1]
	s_cbranch_vccnz .LBB46_1601
; %bb.1600:
	global_load_dword v0, v[2:3], off
	s_waitcnt vmcnt(0)
	v_cvt_i16_f16_e32 v0, v0
.LBB46_1601:
	s_cbranch_execnz .LBB46_1612
.LBB46_1602:
	s_cmp_lt_i32 s24, 6
	s_cbranch_scc1 .LBB46_1605
; %bb.1603:
	s_cmp_gt_i32 s24, 6
	s_cbranch_scc0 .LBB46_1606
; %bb.1604:
	global_load_dwordx2 v[0:1], v[2:3], off
	s_mov_b64 s[0:1], 0
	s_waitcnt vmcnt(0)
	v_cvt_i32_f64_e32 v0, v[0:1]
	s_branch .LBB46_1607
.LBB46_1605:
	s_mov_b64 s[0:1], -1
                                        ; implicit-def: $vgpr0
	s_branch .LBB46_1610
.LBB46_1606:
	s_mov_b64 s[0:1], -1
                                        ; implicit-def: $vgpr0
.LBB46_1607:
	s_andn2_b64 vcc, exec, s[0:1]
	s_cbranch_vccnz .LBB46_1609
; %bb.1608:
	global_load_dword v0, v[2:3], off
	s_waitcnt vmcnt(0)
	v_cvt_i32_f32_e32 v0, v0
.LBB46_1609:
	s_mov_b64 s[0:1], 0
.LBB46_1610:
	s_andn2_b64 vcc, exec, s[0:1]
	s_cbranch_vccnz .LBB46_1612
; %bb.1611:
	global_load_ushort v0, v[2:3], off
	s_waitcnt vmcnt(0)
	v_cvt_i16_f16_e32 v0, v0
.LBB46_1612:
	s_cbranch_execnz .LBB46_1631
.LBB46_1613:
	s_cmp_lt_i32 s24, 2
	s_cbranch_scc1 .LBB46_1617
; %bb.1614:
	s_cmp_lt_i32 s24, 3
	s_cbranch_scc1 .LBB46_1618
; %bb.1615:
	s_cmp_gt_i32 s24, 3
	s_cbranch_scc0 .LBB46_1619
; %bb.1616:
	global_load_dwordx2 v[0:1], v[2:3], off
	s_mov_b64 s[0:1], 0
	s_branch .LBB46_1620
.LBB46_1617:
                                        ; implicit-def: $vgpr0
	s_branch .LBB46_1626
.LBB46_1618:
	s_mov_b64 s[0:1], -1
                                        ; implicit-def: $vgpr0
	s_branch .LBB46_1623
.LBB46_1619:
	s_mov_b64 s[0:1], -1
                                        ; implicit-def: $vgpr0
.LBB46_1620:
	s_andn2_b64 vcc, exec, s[0:1]
	s_cbranch_vccnz .LBB46_1622
; %bb.1621:
	global_load_dword v0, v[2:3], off
.LBB46_1622:
	s_mov_b64 s[0:1], 0
.LBB46_1623:
	s_andn2_b64 vcc, exec, s[0:1]
	s_cbranch_vccnz .LBB46_1625
; %bb.1624:
	global_load_ushort v0, v[2:3], off
.LBB46_1625:
	s_cbranch_execnz .LBB46_1631
.LBB46_1626:
	s_cmp_gt_i32 s24, 0
	s_cbranch_scc0 .LBB46_1628
; %bb.1627:
	global_load_ubyte v0, v[2:3], off
	s_mov_b64 s[0:1], 0
	s_branch .LBB46_1629
.LBB46_1628:
	s_mov_b64 s[0:1], -1
                                        ; implicit-def: $vgpr0
.LBB46_1629:
	s_andn2_b64 vcc, exec, s[0:1]
	s_cbranch_vccnz .LBB46_1631
; %bb.1630:
	global_load_ubyte v0, v[2:3], off
.LBB46_1631:
.LBB46_1632:
	v_mul_lo_u32 v6, s14, v14
	v_mov_b32_e32 v2, s3
	s_and_b32 s25, s15, 0xff
	s_cmp_lt_i32 s25, 11
	v_ashrrev_i32_e32 v3, 31, v6
	s_waitcnt vmcnt(0)
	v_add_co_u32_e32 v1, vcc, s2, v6
	v_addc_co_u32_e32 v2, vcc, v2, v3, vcc
	s_cbranch_scc1 .LBB46_1639
; %bb.1633:
	s_and_b32 s15, 0xffff, s25
	s_cmp_gt_i32 s15, 25
	s_mov_b64 s[4:5], 0
	s_cbranch_scc0 .LBB46_1641
; %bb.1634:
	s_cmp_gt_i32 s15, 28
	s_cbranch_scc0 .LBB46_1642
; %bb.1635:
	s_cmp_gt_i32 s15, 43
	;; [unrolled: 3-line block ×3, first 2 shown]
	s_cbranch_scc0 .LBB46_1645
; %bb.1637:
	s_cmp_eq_u32 s15, 46
	s_mov_b64 s[22:23], 0
	s_cbranch_scc0 .LBB46_1648
; %bb.1638:
	global_load_dword v3, v[1:2], off
	s_mov_b64 s[0:1], 0
	s_mov_b64 s[20:21], -1
	s_waitcnt vmcnt(0)
	v_lshlrev_b32_e32 v3, 16, v3
	v_cvt_i32_f32_e32 v3, v3
	s_branch .LBB46_1649
.LBB46_1639:
	s_mov_b64 s[20:21], 0
                                        ; implicit-def: $vgpr3
	s_cbranch_execnz .LBB46_1710
.LBB46_1640:
	s_andn2_b64 vcc, exec, s[20:21]
	s_cbranch_vccnz .LBB46_2947
	s_branch .LBB46_1757
.LBB46_1641:
	s_mov_b64 s[20:21], 0
	s_mov_b64 s[0:1], 0
                                        ; implicit-def: $vgpr3
	s_cbranch_execnz .LBB46_1676
	s_branch .LBB46_1706
.LBB46_1642:
	s_mov_b64 s[22:23], -1
	s_mov_b64 s[20:21], 0
	s_mov_b64 s[0:1], 0
                                        ; implicit-def: $vgpr3
	s_branch .LBB46_1659
.LBB46_1643:
	s_mov_b64 s[22:23], -1
	s_mov_b64 s[20:21], 0
	s_mov_b64 s[0:1], 0
                                        ; implicit-def: $vgpr3
	s_branch .LBB46_1654
.LBB46_1644:
	s_or_b64 s[18:19], s[16:17], exec
	s_trap 2
	s_cbranch_execz .LBB46_1585
	s_branch .LBB46_1586
.LBB46_1645:
	s_mov_b64 s[22:23], -1
	s_mov_b64 s[20:21], 0
	s_mov_b64 s[0:1], 0
                                        ; implicit-def: $vgpr3
	s_branch .LBB46_1649
.LBB46_1646:
	s_andn2_saveexec_b64 s[28:29], s[28:29]
	s_cbranch_execz .LBB46_1437
.LBB46_1647:
	s_mov_b32 s34, 0x42800000
	v_add_f32_e64 v3, |v0|, s34
	v_and_b32_e32 v3, 0xff, v3
	v_cmp_ne_u32_e32 vcc, 0, v3
	s_andn2_b64 s[26:27], s[26:27], exec
	s_and_b64 s[34:35], vcc, exec
	s_or_b64 s[26:27], s[26:27], s[34:35]
	s_or_b64 exec, exec, s[28:29]
	v_mov_b32_e32 v5, 0
	s_and_saveexec_b64 s[28:29], s[26:27]
	s_cbranch_execnz .LBB46_1438
	s_branch .LBB46_1439
.LBB46_1648:
	s_mov_b64 s[0:1], -1
                                        ; implicit-def: $vgpr3
	s_mov_b64 s[20:21], 0
.LBB46_1649:
	s_and_b64 vcc, exec, s[22:23]
	s_cbranch_vccz .LBB46_1653
; %bb.1650:
	s_cmp_eq_u32 s15, 44
	s_cbranch_scc0 .LBB46_1652
; %bb.1651:
	global_load_ubyte v3, v[1:2], off
	s_mov_b64 s[0:1], 0
	s_mov_b64 s[20:21], -1
	s_waitcnt vmcnt(0)
	v_lshlrev_b32_e32 v4, 23, v3
	v_cvt_i32_f32_e32 v4, v4
	v_cmp_ne_u32_e32 vcc, 0, v3
	v_cndmask_b32_e32 v3, 0, v4, vcc
	s_branch .LBB46_1653
.LBB46_1652:
	s_mov_b64 s[0:1], -1
                                        ; implicit-def: $vgpr3
.LBB46_1653:
	s_mov_b64 s[22:23], 0
.LBB46_1654:
	s_and_b64 vcc, exec, s[22:23]
	s_cbranch_vccz .LBB46_1658
; %bb.1655:
	s_cmp_eq_u32 s15, 29
	s_cbranch_scc0 .LBB46_1657
; %bb.1656:
	global_load_dwordx2 v[3:4], v[1:2], off
	s_mov_b64 s[0:1], 0
	s_mov_b64 s[20:21], -1
	s_branch .LBB46_1658
.LBB46_1657:
	s_mov_b64 s[0:1], -1
                                        ; implicit-def: $vgpr3
.LBB46_1658:
	s_mov_b64 s[22:23], 0
.LBB46_1659:
	s_and_b64 vcc, exec, s[22:23]
	s_cbranch_vccz .LBB46_1675
; %bb.1660:
	s_cmp_lt_i32 s15, 27
	s_cbranch_scc1 .LBB46_1663
; %bb.1661:
	s_cmp_gt_i32 s15, 27
	s_cbranch_scc0 .LBB46_1664
; %bb.1662:
	global_load_dword v3, v[1:2], off
	s_mov_b64 s[20:21], 0
	s_branch .LBB46_1665
.LBB46_1663:
	s_mov_b64 s[20:21], -1
                                        ; implicit-def: $vgpr3
	s_branch .LBB46_1668
.LBB46_1664:
	s_mov_b64 s[20:21], -1
                                        ; implicit-def: $vgpr3
.LBB46_1665:
	s_andn2_b64 vcc, exec, s[20:21]
	s_cbranch_vccnz .LBB46_1667
; %bb.1666:
	global_load_ushort v3, v[1:2], off
.LBB46_1667:
	s_mov_b64 s[20:21], 0
.LBB46_1668:
	s_andn2_b64 vcc, exec, s[20:21]
	s_cbranch_vccnz .LBB46_1674
; %bb.1669:
	global_load_ubyte v4, v[1:2], off
	s_movk_i32 s20, 0x7f
	s_mov_b64 s[22:23], 0
	s_waitcnt vmcnt(0)
	v_cmp_lt_i16_e32 vcc, s20, v4
	s_and_saveexec_b64 s[20:21], vcc
	s_xor_b64 s[20:21], exec, s[20:21]
	s_cbranch_execz .LBB46_1685
; %bb.1670:
	s_movk_i32 s22, 0x80
	v_cmp_ne_u16_e32 vcc, s22, v4
	s_and_b64 s[22:23], vcc, exec
	s_andn2_saveexec_b64 s[20:21], s[20:21]
	s_cbranch_execnz .LBB46_1686
.LBB46_1671:
	s_or_b64 exec, exec, s[20:21]
	v_mov_b32_e32 v3, 0
	s_and_saveexec_b64 s[20:21], s[22:23]
	s_cbranch_execz .LBB46_1673
.LBB46_1672:
	v_lshlrev_b32_e32 v3, 24, v4
	v_and_b32_e32 v4, 0xffff, v4
	v_and_b32_e32 v7, 7, v4
	v_ffbh_u32_e32 v9, v7
	v_min_u32_e32 v9, 32, v9
	v_subrev_u32_e32 v10, 28, v9
	v_bfe_u32 v8, v4, 3, 4
	v_lshlrev_b32_e32 v4, v10, v4
	v_sub_u32_e32 v9, 29, v9
	v_and_b32_e32 v4, 7, v4
	v_cmp_eq_u32_e32 vcc, 0, v8
	v_cndmask_b32_e32 v8, v8, v9, vcc
	v_cndmask_b32_e32 v4, v7, v4, vcc
	v_mov_b32_e32 v7, 0x3b800000
	v_lshlrev_b32_e32 v4, 20, v4
	v_and_b32_e32 v3, 0x80000000, v3
	v_lshl_add_u32 v7, v8, 23, v7
	v_or3_b32 v3, v3, v7, v4
	v_cvt_i32_f32_e32 v3, v3
.LBB46_1673:
	s_or_b64 exec, exec, s[20:21]
.LBB46_1674:
	s_mov_b64 s[20:21], -1
.LBB46_1675:
	s_branch .LBB46_1706
.LBB46_1676:
	s_cmp_gt_i32 s15, 22
	s_cbranch_scc0 .LBB46_1684
; %bb.1677:
	s_cmp_lt_i32 s15, 24
	s_cbranch_scc1 .LBB46_1687
; %bb.1678:
	s_cmp_gt_i32 s15, 24
	s_cbranch_scc0 .LBB46_1688
; %bb.1679:
	global_load_ubyte v4, v[1:2], off
	s_movk_i32 s4, 0x7f
	s_mov_b64 s[20:21], 0
	s_waitcnt vmcnt(0)
	v_cmp_lt_i16_e32 vcc, s4, v4
	s_and_saveexec_b64 s[4:5], vcc
	s_xor_b64 s[4:5], exec, s[4:5]
	s_cbranch_execz .LBB46_1700
; %bb.1680:
	s_movk_i32 s20, 0x80
	v_cmp_ne_u16_e32 vcc, s20, v4
	s_and_b64 s[20:21], vcc, exec
	s_andn2_saveexec_b64 s[4:5], s[4:5]
	s_cbranch_execnz .LBB46_1701
.LBB46_1681:
	s_or_b64 exec, exec, s[4:5]
	v_mov_b32_e32 v3, 0
	s_and_saveexec_b64 s[4:5], s[20:21]
	s_cbranch_execz .LBB46_1683
.LBB46_1682:
	v_lshlrev_b32_e32 v3, 24, v4
	v_and_b32_e32 v4, 0xffff, v4
	v_and_b32_e32 v7, 3, v4
	v_ffbh_u32_e32 v9, v7
	v_min_u32_e32 v9, 32, v9
	v_subrev_u32_e32 v10, 29, v9
	v_bfe_u32 v8, v4, 2, 5
	v_lshlrev_b32_e32 v4, v10, v4
	v_sub_u32_e32 v9, 30, v9
	v_and_b32_e32 v4, 3, v4
	v_cmp_eq_u32_e32 vcc, 0, v8
	v_cndmask_b32_e32 v8, v8, v9, vcc
	v_cndmask_b32_e32 v4, v7, v4, vcc
	v_mov_b32_e32 v7, 0x37800000
	v_lshlrev_b32_e32 v4, 21, v4
	v_and_b32_e32 v3, 0x80000000, v3
	v_lshl_add_u32 v7, v8, 23, v7
	v_or3_b32 v3, v3, v7, v4
	v_cvt_i32_f32_e32 v3, v3
.LBB46_1683:
	s_or_b64 exec, exec, s[4:5]
	s_mov_b64 s[4:5], 0
	s_branch .LBB46_1689
.LBB46_1684:
	s_mov_b64 s[4:5], -1
                                        ; implicit-def: $vgpr3
	s_branch .LBB46_1695
.LBB46_1685:
	s_andn2_saveexec_b64 s[20:21], s[20:21]
	s_cbranch_execz .LBB46_1671
.LBB46_1686:
	v_cmp_ne_u16_e32 vcc, 0, v4
	s_andn2_b64 s[22:23], s[22:23], exec
	s_and_b64 s[26:27], vcc, exec
	s_or_b64 s[22:23], s[22:23], s[26:27]
	s_or_b64 exec, exec, s[20:21]
	v_mov_b32_e32 v3, 0
	s_and_saveexec_b64 s[20:21], s[22:23]
	s_cbranch_execnz .LBB46_1672
	s_branch .LBB46_1673
.LBB46_1687:
	s_mov_b64 s[4:5], -1
                                        ; implicit-def: $vgpr3
	s_branch .LBB46_1692
.LBB46_1688:
	s_mov_b64 s[4:5], -1
                                        ; implicit-def: $vgpr3
.LBB46_1689:
	s_and_b64 vcc, exec, s[4:5]
	s_cbranch_vccz .LBB46_1691
; %bb.1690:
	global_load_ubyte v3, v[1:2], off
	s_mov_b32 s4, 0x7f800000
	s_waitcnt vmcnt(0)
	v_lshlrev_b32_e32 v3, 24, v3
	v_and_b32_e32 v4, 0x7f000000, v3
	v_ffbh_u32_e32 v7, v4
	v_min_u32_e32 v7, 32, v7
	v_sub_u32_e64 v7, v7, 4 clamp
	v_lshlrev_b32_e32 v9, v7, v4
	v_lshlrev_b32_e32 v7, 23, v7
	v_lshrrev_b32_e32 v9, 4, v9
	v_add_u32_e32 v8, 0x1000000, v4
	v_sub_u32_e32 v7, v9, v7
	v_ashrrev_i32_e32 v8, 8, v8
	v_add_u32_e32 v7, 0x3c000000, v7
	v_and_or_b32 v7, v8, s4, v7
	v_cmp_ne_u32_e32 vcc, 0, v4
	v_cndmask_b32_e32 v4, 0, v7, vcc
	s_brev_b32 s4, 1
	v_and_or_b32 v3, v3, s4, v4
	v_cvt_i32_f32_e32 v3, v3
.LBB46_1691:
	s_mov_b64 s[4:5], 0
.LBB46_1692:
	s_andn2_b64 vcc, exec, s[4:5]
	s_cbranch_vccnz .LBB46_1694
; %bb.1693:
	global_load_ubyte v3, v[1:2], off
	s_movk_i32 s4, 0x7f00
	s_brev_b32 s5, 16
	s_waitcnt vmcnt(0)
	v_lshlrev_b16_e32 v4, 8, v3
	v_lshlrev_b32_e32 v3, 25, v3
	v_lshrrev_b32_e32 v7, 4, v3
	v_and_or_b32 v8, v4, s4, 0.5
	v_or_b32_e32 v7, 0x70000000, v7
	v_add_f32_e32 v8, -0.5, v8
	v_mul_f32_e32 v7, 0x7800000, v7
	v_cmp_gt_u32_e32 vcc, s5, v3
	v_bfe_i32 v4, v4, 0, 16
	v_cndmask_b32_e32 v3, v7, v8, vcc
	s_brev_b32 s4, 1
	v_and_or_b32 v3, v4, s4, v3
	v_cvt_i32_f32_e32 v3, v3
.LBB46_1694:
	s_mov_b64 s[4:5], 0
	s_mov_b64 s[20:21], -1
.LBB46_1695:
	s_andn2_b64 vcc, exec, s[4:5]
	s_mov_b64 s[4:5], 0
	s_cbranch_vccnz .LBB46_1706
; %bb.1696:
	s_cmp_gt_i32 s15, 14
	s_cbranch_scc0 .LBB46_1699
; %bb.1697:
	s_cmp_eq_u32 s15, 15
	s_cbranch_scc0 .LBB46_1702
; %bb.1698:
	global_load_ushort v3, v[1:2], off
	s_mov_b64 s[0:1], 0
	s_mov_b64 s[20:21], -1
	s_waitcnt vmcnt(0)
	v_lshlrev_b32_e32 v3, 16, v3
	v_cvt_i32_f32_e32 v3, v3
	s_branch .LBB46_1703
.LBB46_1699:
	s_mov_b64 s[22:23], -1
                                        ; implicit-def: $vgpr3
	s_branch .LBB46_1704
.LBB46_1700:
	s_andn2_saveexec_b64 s[4:5], s[4:5]
	s_cbranch_execz .LBB46_1681
.LBB46_1701:
	v_cmp_ne_u16_e32 vcc, 0, v4
	s_andn2_b64 s[20:21], s[20:21], exec
	s_and_b64 s[22:23], vcc, exec
	s_or_b64 s[20:21], s[20:21], s[22:23]
	s_or_b64 exec, exec, s[4:5]
	v_mov_b32_e32 v3, 0
	s_and_saveexec_b64 s[4:5], s[20:21]
	s_cbranch_execnz .LBB46_1682
	s_branch .LBB46_1683
.LBB46_1702:
	s_mov_b64 s[0:1], -1
                                        ; implicit-def: $vgpr3
.LBB46_1703:
	s_mov_b64 s[22:23], 0
.LBB46_1704:
	s_and_b64 vcc, exec, s[22:23]
	s_cbranch_vccz .LBB46_1706
; %bb.1705:
	s_cmp_lg_u32 s15, 11
	s_mov_b64 s[4:5], -1
	s_cselect_b64 s[0:1], -1, 0
.LBB46_1706:
	s_and_b64 vcc, exec, s[0:1]
	s_cbranch_vccnz .LBB46_1769
; %bb.1707:
	s_andn2_b64 vcc, exec, s[4:5]
	s_cbranch_vccnz .LBB46_1709
.LBB46_1708:
	global_load_ubyte v3, v[1:2], off
	s_mov_b64 s[20:21], -1
	s_waitcnt vmcnt(0)
	v_cmp_ne_u16_e32 vcc, 0, v3
	v_cndmask_b32_e64 v3, 0, 1, vcc
.LBB46_1709:
	s_branch .LBB46_1640
.LBB46_1710:
	s_and_b32 s4, 0xffff, s25
	s_cmp_lt_i32 s4, 5
	s_cbranch_scc1 .LBB46_1715
; %bb.1711:
	s_cmp_lt_i32 s4, 8
	s_cbranch_scc1 .LBB46_1716
; %bb.1712:
	;; [unrolled: 3-line block ×3, first 2 shown]
	s_cmp_gt_i32 s4, 9
	s_cbranch_scc0 .LBB46_1718
; %bb.1714:
	global_load_dwordx2 v[3:4], v[1:2], off
	s_mov_b64 s[0:1], 0
	s_waitcnt vmcnt(0)
	v_cvt_i32_f64_e32 v3, v[3:4]
	s_branch .LBB46_1719
.LBB46_1715:
                                        ; implicit-def: $vgpr3
	s_branch .LBB46_1737
.LBB46_1716:
	s_mov_b64 s[0:1], -1
                                        ; implicit-def: $vgpr3
	s_branch .LBB46_1725
.LBB46_1717:
	s_mov_b64 s[0:1], -1
                                        ; implicit-def: $vgpr3
	s_branch .LBB46_1722
.LBB46_1718:
	s_mov_b64 s[0:1], -1
                                        ; implicit-def: $vgpr3
.LBB46_1719:
	s_andn2_b64 vcc, exec, s[0:1]
	s_cbranch_vccnz .LBB46_1721
; %bb.1720:
	global_load_dword v3, v[1:2], off
	s_waitcnt vmcnt(0)
	v_cvt_i32_f32_e32 v3, v3
.LBB46_1721:
	s_mov_b64 s[0:1], 0
.LBB46_1722:
	s_andn2_b64 vcc, exec, s[0:1]
	s_cbranch_vccnz .LBB46_1724
; %bb.1723:
	global_load_dword v3, v[1:2], off
	s_waitcnt vmcnt(0)
	v_cvt_i16_f16_e32 v3, v3
.LBB46_1724:
	s_mov_b64 s[0:1], 0
.LBB46_1725:
	s_andn2_b64 vcc, exec, s[0:1]
	s_cbranch_vccnz .LBB46_1736
; %bb.1726:
	s_cmp_lt_i32 s4, 6
	s_cbranch_scc1 .LBB46_1729
; %bb.1727:
	s_cmp_gt_i32 s4, 6
	s_cbranch_scc0 .LBB46_1730
; %bb.1728:
	global_load_dwordx2 v[3:4], v[1:2], off
	s_mov_b64 s[0:1], 0
	s_waitcnt vmcnt(0)
	v_cvt_i32_f64_e32 v3, v[3:4]
	s_branch .LBB46_1731
.LBB46_1729:
	s_mov_b64 s[0:1], -1
                                        ; implicit-def: $vgpr3
	s_branch .LBB46_1734
.LBB46_1730:
	s_mov_b64 s[0:1], -1
                                        ; implicit-def: $vgpr3
.LBB46_1731:
	s_andn2_b64 vcc, exec, s[0:1]
	s_cbranch_vccnz .LBB46_1733
; %bb.1732:
	global_load_dword v3, v[1:2], off
	s_waitcnt vmcnt(0)
	v_cvt_i32_f32_e32 v3, v3
.LBB46_1733:
	s_mov_b64 s[0:1], 0
.LBB46_1734:
	s_andn2_b64 vcc, exec, s[0:1]
	s_cbranch_vccnz .LBB46_1736
; %bb.1735:
	global_load_ushort v3, v[1:2], off
	s_waitcnt vmcnt(0)
	v_cvt_i16_f16_e32 v3, v3
.LBB46_1736:
	s_cbranch_execnz .LBB46_1756
.LBB46_1737:
	s_cmp_lt_i32 s4, 2
	s_cbranch_scc1 .LBB46_1741
; %bb.1738:
	s_cmp_lt_i32 s4, 3
	s_cbranch_scc1 .LBB46_1742
; %bb.1739:
	s_cmp_gt_i32 s4, 3
	s_cbranch_scc0 .LBB46_1743
; %bb.1740:
	global_load_dwordx2 v[3:4], v[1:2], off
	s_mov_b64 s[0:1], 0
	s_branch .LBB46_1744
.LBB46_1741:
	s_mov_b64 s[0:1], -1
                                        ; implicit-def: $vgpr3
	s_branch .LBB46_1750
.LBB46_1742:
	s_mov_b64 s[0:1], -1
                                        ; implicit-def: $vgpr3
	s_branch .LBB46_1747
.LBB46_1743:
	s_mov_b64 s[0:1], -1
                                        ; implicit-def: $vgpr3
.LBB46_1744:
	s_andn2_b64 vcc, exec, s[0:1]
	s_cbranch_vccnz .LBB46_1746
; %bb.1745:
	global_load_dword v3, v[1:2], off
.LBB46_1746:
	s_mov_b64 s[0:1], 0
.LBB46_1747:
	s_andn2_b64 vcc, exec, s[0:1]
	s_cbranch_vccnz .LBB46_1749
; %bb.1748:
	global_load_ushort v3, v[1:2], off
.LBB46_1749:
	s_mov_b64 s[0:1], 0
.LBB46_1750:
	s_andn2_b64 vcc, exec, s[0:1]
	s_cbranch_vccnz .LBB46_1756
; %bb.1751:
	s_cmp_gt_i32 s4, 0
	s_cbranch_scc0 .LBB46_1753
; %bb.1752:
	global_load_ubyte v3, v[1:2], off
	s_mov_b64 s[0:1], 0
	s_branch .LBB46_1754
.LBB46_1753:
	s_mov_b64 s[0:1], -1
                                        ; implicit-def: $vgpr3
.LBB46_1754:
	s_andn2_b64 vcc, exec, s[0:1]
	s_cbranch_vccnz .LBB46_1756
; %bb.1755:
	global_load_ubyte v3, v[1:2], off
.LBB46_1756:
.LBB46_1757:
	s_lshl_b32 s13, s13, 7
	v_add_u32_e32 v8, s13, v5
	v_ashrrev_i32_e32 v1, 31, v8
	v_mov_b32_e32 v2, s11
	s_waitcnt vmcnt(0)
	v_add_co_u32_e32 v4, vcc, s10, v8
	s_cmp_lt_i32 s24, 11
	v_addc_co_u32_e32 v5, vcc, v2, v1, vcc
	s_cbranch_scc1 .LBB46_1764
; %bb.1758:
	s_cmp_gt_i32 s24, 25
	s_mov_b64 s[4:5], 0
	s_cbranch_scc0 .LBB46_1766
; %bb.1759:
	s_cmp_gt_i32 s24, 28
	s_cbranch_scc0 .LBB46_1767
; %bb.1760:
	s_cmp_gt_i32 s24, 43
	;; [unrolled: 3-line block ×3, first 2 shown]
	s_cbranch_scc0 .LBB46_1770
; %bb.1762:
	s_cmp_eq_u32 s24, 46
	s_mov_b64 s[22:23], 0
	s_cbranch_scc0 .LBB46_1771
; %bb.1763:
	global_load_dword v1, v[4:5], off
	s_mov_b64 s[0:1], 0
	s_mov_b64 s[20:21], -1
	s_waitcnt vmcnt(0)
	v_lshlrev_b32_e32 v1, 16, v1
	v_cvt_i32_f32_e32 v1, v1
	s_branch .LBB46_1772
.LBB46_1764:
	s_mov_b64 s[20:21], 0
                                        ; implicit-def: $vgpr1
	s_cbranch_execnz .LBB46_1834
.LBB46_1765:
	s_andn2_b64 vcc, exec, s[20:21]
	s_cbranch_vccnz .LBB46_2947
	s_branch .LBB46_1882
.LBB46_1766:
	s_mov_b64 s[22:23], -1
	s_mov_b64 s[20:21], 0
	s_mov_b64 s[0:1], 0
                                        ; implicit-def: $vgpr1
	s_branch .LBB46_1799
.LBB46_1767:
	s_mov_b64 s[22:23], -1
	s_mov_b64 s[20:21], 0
	s_mov_b64 s[0:1], 0
                                        ; implicit-def: $vgpr1
	s_branch .LBB46_1782
.LBB46_1768:
	s_mov_b64 s[22:23], -1
	s_mov_b64 s[20:21], 0
	s_mov_b64 s[0:1], 0
                                        ; implicit-def: $vgpr1
	s_branch .LBB46_1777
.LBB46_1769:
	s_trap 2
	s_or_b64 s[18:19], s[18:19], exec
	s_cbranch_execz .LBB46_1708
	s_branch .LBB46_1709
.LBB46_1770:
	s_mov_b64 s[22:23], -1
	s_mov_b64 s[20:21], 0
	s_mov_b64 s[0:1], 0
                                        ; implicit-def: $vgpr1
	s_branch .LBB46_1772
.LBB46_1771:
	s_mov_b64 s[0:1], -1
                                        ; implicit-def: $vgpr1
	s_mov_b64 s[20:21], 0
.LBB46_1772:
	s_and_b64 vcc, exec, s[22:23]
	s_cbranch_vccz .LBB46_1776
; %bb.1773:
	s_cmp_eq_u32 s24, 44
	s_cbranch_scc0 .LBB46_1775
; %bb.1774:
	global_load_ubyte v1, v[4:5], off
	s_mov_b64 s[0:1], 0
	s_mov_b64 s[20:21], -1
	s_waitcnt vmcnt(0)
	v_lshlrev_b32_e32 v2, 23, v1
	v_cvt_i32_f32_e32 v2, v2
	v_cmp_ne_u32_e32 vcc, 0, v1
	v_cndmask_b32_e32 v1, 0, v2, vcc
	s_branch .LBB46_1776
.LBB46_1775:
	s_mov_b64 s[0:1], -1
                                        ; implicit-def: $vgpr1
.LBB46_1776:
	s_mov_b64 s[22:23], 0
.LBB46_1777:
	s_and_b64 vcc, exec, s[22:23]
	s_cbranch_vccz .LBB46_1781
; %bb.1778:
	s_cmp_eq_u32 s24, 29
	s_cbranch_scc0 .LBB46_1780
; %bb.1779:
	global_load_dwordx2 v[1:2], v[4:5], off
	s_mov_b64 s[0:1], 0
	s_mov_b64 s[20:21], -1
	s_branch .LBB46_1781
.LBB46_1780:
	s_mov_b64 s[0:1], -1
                                        ; implicit-def: $vgpr1
.LBB46_1781:
	s_mov_b64 s[22:23], 0
.LBB46_1782:
	s_and_b64 vcc, exec, s[22:23]
	s_cbranch_vccz .LBB46_1798
; %bb.1783:
	s_cmp_lt_i32 s24, 27
	s_cbranch_scc1 .LBB46_1786
; %bb.1784:
	s_cmp_gt_i32 s24, 27
	s_cbranch_scc0 .LBB46_1787
; %bb.1785:
	global_load_dword v1, v[4:5], off
	s_mov_b64 s[20:21], 0
	s_branch .LBB46_1788
.LBB46_1786:
	s_mov_b64 s[20:21], -1
                                        ; implicit-def: $vgpr1
	s_branch .LBB46_1791
.LBB46_1787:
	s_mov_b64 s[20:21], -1
                                        ; implicit-def: $vgpr1
.LBB46_1788:
	s_andn2_b64 vcc, exec, s[20:21]
	s_cbranch_vccnz .LBB46_1790
; %bb.1789:
	global_load_ushort v1, v[4:5], off
.LBB46_1790:
	s_mov_b64 s[20:21], 0
.LBB46_1791:
	s_andn2_b64 vcc, exec, s[20:21]
	s_cbranch_vccnz .LBB46_1797
; %bb.1792:
	global_load_ubyte v2, v[4:5], off
	s_movk_i32 s15, 0x7f
	s_mov_b64 s[22:23], 0
	s_waitcnt vmcnt(0)
	v_cmp_lt_i16_e32 vcc, s15, v2
	s_and_saveexec_b64 s[20:21], vcc
	s_xor_b64 s[20:21], exec, s[20:21]
	s_cbranch_execz .LBB46_1809
; %bb.1793:
	s_movk_i32 s15, 0x80
	v_cmp_ne_u16_e32 vcc, s15, v2
	s_and_b64 s[22:23], vcc, exec
	s_andn2_saveexec_b64 s[20:21], s[20:21]
	s_cbranch_execnz .LBB46_1810
.LBB46_1794:
	s_or_b64 exec, exec, s[20:21]
	v_mov_b32_e32 v1, 0
	s_and_saveexec_b64 s[20:21], s[22:23]
	s_cbranch_execz .LBB46_1796
.LBB46_1795:
	v_lshlrev_b32_e32 v1, 24, v2
	v_and_b32_e32 v2, 0xffff, v2
	v_and_b32_e32 v7, 7, v2
	v_ffbh_u32_e32 v10, v7
	v_min_u32_e32 v10, 32, v10
	v_subrev_u32_e32 v11, 28, v10
	v_bfe_u32 v9, v2, 3, 4
	v_lshlrev_b32_e32 v2, v11, v2
	v_sub_u32_e32 v10, 29, v10
	v_and_b32_e32 v2, 7, v2
	v_cmp_eq_u32_e32 vcc, 0, v9
	v_cndmask_b32_e32 v9, v9, v10, vcc
	v_cndmask_b32_e32 v2, v7, v2, vcc
	v_mov_b32_e32 v7, 0x3b800000
	v_lshlrev_b32_e32 v2, 20, v2
	v_and_b32_e32 v1, 0x80000000, v1
	v_lshl_add_u32 v7, v9, 23, v7
	v_or3_b32 v1, v1, v7, v2
	v_cvt_i32_f32_e32 v1, v1
.LBB46_1796:
	s_or_b64 exec, exec, s[20:21]
.LBB46_1797:
	s_mov_b64 s[20:21], -1
.LBB46_1798:
	s_mov_b64 s[22:23], 0
.LBB46_1799:
	s_and_b64 vcc, exec, s[22:23]
	s_cbranch_vccz .LBB46_1830
; %bb.1800:
	s_cmp_gt_i32 s24, 22
	s_cbranch_scc0 .LBB46_1808
; %bb.1801:
	s_cmp_lt_i32 s24, 24
	s_cbranch_scc1 .LBB46_1811
; %bb.1802:
	s_cmp_gt_i32 s24, 24
	s_cbranch_scc0 .LBB46_1812
; %bb.1803:
	global_load_ubyte v2, v[4:5], off
	s_movk_i32 s4, 0x7f
	s_mov_b64 s[20:21], 0
	s_waitcnt vmcnt(0)
	v_cmp_lt_i16_e32 vcc, s4, v2
	s_and_saveexec_b64 s[4:5], vcc
	s_xor_b64 s[4:5], exec, s[4:5]
	s_cbranch_execz .LBB46_1824
; %bb.1804:
	s_movk_i32 s15, 0x80
	v_cmp_ne_u16_e32 vcc, s15, v2
	s_and_b64 s[20:21], vcc, exec
	s_andn2_saveexec_b64 s[4:5], s[4:5]
	s_cbranch_execnz .LBB46_1825
.LBB46_1805:
	s_or_b64 exec, exec, s[4:5]
	v_mov_b32_e32 v1, 0
	s_and_saveexec_b64 s[4:5], s[20:21]
	s_cbranch_execz .LBB46_1807
.LBB46_1806:
	v_lshlrev_b32_e32 v1, 24, v2
	v_and_b32_e32 v2, 0xffff, v2
	v_and_b32_e32 v7, 3, v2
	v_ffbh_u32_e32 v10, v7
	v_min_u32_e32 v10, 32, v10
	v_subrev_u32_e32 v11, 29, v10
	v_bfe_u32 v9, v2, 2, 5
	v_lshlrev_b32_e32 v2, v11, v2
	v_sub_u32_e32 v10, 30, v10
	v_and_b32_e32 v2, 3, v2
	v_cmp_eq_u32_e32 vcc, 0, v9
	v_cndmask_b32_e32 v9, v9, v10, vcc
	v_cndmask_b32_e32 v2, v7, v2, vcc
	v_mov_b32_e32 v7, 0x37800000
	v_lshlrev_b32_e32 v2, 21, v2
	v_and_b32_e32 v1, 0x80000000, v1
	v_lshl_add_u32 v7, v9, 23, v7
	v_or3_b32 v1, v1, v7, v2
	v_cvt_i32_f32_e32 v1, v1
.LBB46_1807:
	s_or_b64 exec, exec, s[4:5]
	s_mov_b64 s[4:5], 0
	s_branch .LBB46_1813
.LBB46_1808:
	s_mov_b64 s[4:5], -1
                                        ; implicit-def: $vgpr1
	s_branch .LBB46_1819
.LBB46_1809:
	s_andn2_saveexec_b64 s[20:21], s[20:21]
	s_cbranch_execz .LBB46_1794
.LBB46_1810:
	v_cmp_ne_u16_e32 vcc, 0, v2
	s_andn2_b64 s[22:23], s[22:23], exec
	s_and_b64 s[26:27], vcc, exec
	s_or_b64 s[22:23], s[22:23], s[26:27]
	s_or_b64 exec, exec, s[20:21]
	v_mov_b32_e32 v1, 0
	s_and_saveexec_b64 s[20:21], s[22:23]
	s_cbranch_execnz .LBB46_1795
	s_branch .LBB46_1796
.LBB46_1811:
	s_mov_b64 s[4:5], -1
                                        ; implicit-def: $vgpr1
	s_branch .LBB46_1816
.LBB46_1812:
	s_mov_b64 s[4:5], -1
                                        ; implicit-def: $vgpr1
.LBB46_1813:
	s_and_b64 vcc, exec, s[4:5]
	s_cbranch_vccz .LBB46_1815
; %bb.1814:
	global_load_ubyte v1, v[4:5], off
	s_mov_b32 s4, 0x7f800000
	s_waitcnt vmcnt(0)
	v_lshlrev_b32_e32 v1, 24, v1
	v_and_b32_e32 v2, 0x7f000000, v1
	v_ffbh_u32_e32 v7, v2
	v_min_u32_e32 v7, 32, v7
	v_sub_u32_e64 v7, v7, 4 clamp
	v_lshlrev_b32_e32 v10, v7, v2
	v_lshlrev_b32_e32 v7, 23, v7
	v_lshrrev_b32_e32 v10, 4, v10
	v_add_u32_e32 v9, 0x1000000, v2
	v_sub_u32_e32 v7, v10, v7
	v_ashrrev_i32_e32 v9, 8, v9
	v_add_u32_e32 v7, 0x3c000000, v7
	v_and_or_b32 v7, v9, s4, v7
	v_cmp_ne_u32_e32 vcc, 0, v2
	v_cndmask_b32_e32 v2, 0, v7, vcc
	s_brev_b32 s4, 1
	v_and_or_b32 v1, v1, s4, v2
	v_cvt_i32_f32_e32 v1, v1
.LBB46_1815:
	s_mov_b64 s[4:5], 0
.LBB46_1816:
	s_andn2_b64 vcc, exec, s[4:5]
	s_cbranch_vccnz .LBB46_1818
; %bb.1817:
	global_load_ubyte v1, v[4:5], off
	s_movk_i32 s4, 0x7f00
	s_brev_b32 s5, 16
	s_waitcnt vmcnt(0)
	v_lshlrev_b16_e32 v2, 8, v1
	v_lshlrev_b32_e32 v1, 25, v1
	v_lshrrev_b32_e32 v7, 4, v1
	v_and_or_b32 v9, v2, s4, 0.5
	v_or_b32_e32 v7, 0x70000000, v7
	v_add_f32_e32 v9, -0.5, v9
	v_mul_f32_e32 v7, 0x7800000, v7
	v_cmp_gt_u32_e32 vcc, s5, v1
	v_bfe_i32 v2, v2, 0, 16
	v_cndmask_b32_e32 v1, v7, v9, vcc
	s_brev_b32 s4, 1
	v_and_or_b32 v1, v2, s4, v1
	v_cvt_i32_f32_e32 v1, v1
.LBB46_1818:
	s_mov_b64 s[4:5], 0
	s_mov_b64 s[20:21], -1
.LBB46_1819:
	s_andn2_b64 vcc, exec, s[4:5]
	s_mov_b64 s[4:5], 0
	s_cbranch_vccnz .LBB46_1830
; %bb.1820:
	s_cmp_gt_i32 s24, 14
	s_cbranch_scc0 .LBB46_1823
; %bb.1821:
	s_cmp_eq_u32 s24, 15
	s_cbranch_scc0 .LBB46_1826
; %bb.1822:
	global_load_ushort v1, v[4:5], off
	s_mov_b64 s[0:1], 0
	s_mov_b64 s[20:21], -1
	s_waitcnt vmcnt(0)
	v_lshlrev_b32_e32 v1, 16, v1
	v_cvt_i32_f32_e32 v1, v1
	s_branch .LBB46_1827
.LBB46_1823:
	s_mov_b64 s[22:23], -1
                                        ; implicit-def: $vgpr1
	s_branch .LBB46_1828
.LBB46_1824:
	s_andn2_saveexec_b64 s[4:5], s[4:5]
	s_cbranch_execz .LBB46_1805
.LBB46_1825:
	v_cmp_ne_u16_e32 vcc, 0, v2
	s_andn2_b64 s[20:21], s[20:21], exec
	s_and_b64 s[22:23], vcc, exec
	s_or_b64 s[20:21], s[20:21], s[22:23]
	s_or_b64 exec, exec, s[4:5]
	v_mov_b32_e32 v1, 0
	s_and_saveexec_b64 s[4:5], s[20:21]
	s_cbranch_execnz .LBB46_1806
	s_branch .LBB46_1807
.LBB46_1826:
	s_mov_b64 s[0:1], -1
                                        ; implicit-def: $vgpr1
.LBB46_1827:
	s_mov_b64 s[22:23], 0
.LBB46_1828:
	s_and_b64 vcc, exec, s[22:23]
	s_cbranch_vccz .LBB46_1830
; %bb.1829:
	s_cmp_lg_u32 s24, 11
	s_mov_b64 s[4:5], -1
	s_cselect_b64 s[0:1], -1, 0
.LBB46_1830:
	s_and_b64 vcc, exec, s[0:1]
	s_cbranch_vccnz .LBB46_1893
; %bb.1831:
	s_andn2_b64 vcc, exec, s[4:5]
	s_cbranch_vccnz .LBB46_1833
.LBB46_1832:
	global_load_ubyte v1, v[4:5], off
	s_mov_b64 s[20:21], -1
	s_waitcnt vmcnt(0)
	v_cmp_ne_u16_e32 vcc, 0, v1
	v_cndmask_b32_e64 v1, 0, 1, vcc
.LBB46_1833:
	s_branch .LBB46_1765
.LBB46_1834:
	s_cmp_lt_i32 s24, 5
	s_cbranch_scc1 .LBB46_1839
; %bb.1835:
	s_cmp_lt_i32 s24, 8
	s_cbranch_scc1 .LBB46_1840
; %bb.1836:
	;; [unrolled: 3-line block ×3, first 2 shown]
	s_cmp_gt_i32 s24, 9
	s_cbranch_scc0 .LBB46_1842
; %bb.1838:
	global_load_dwordx2 v[1:2], v[4:5], off
	s_mov_b64 s[0:1], 0
	s_waitcnt vmcnt(0)
	v_cvt_i32_f64_e32 v1, v[1:2]
	s_branch .LBB46_1843
.LBB46_1839:
	s_mov_b64 s[0:1], -1
                                        ; implicit-def: $vgpr1
	s_branch .LBB46_1861
.LBB46_1840:
	s_mov_b64 s[0:1], -1
                                        ; implicit-def: $vgpr1
	s_branch .LBB46_1849
.LBB46_1841:
	s_mov_b64 s[0:1], -1
                                        ; implicit-def: $vgpr1
	s_branch .LBB46_1846
.LBB46_1842:
	s_mov_b64 s[0:1], -1
                                        ; implicit-def: $vgpr1
.LBB46_1843:
	s_andn2_b64 vcc, exec, s[0:1]
	s_cbranch_vccnz .LBB46_1845
; %bb.1844:
	global_load_dword v1, v[4:5], off
	s_waitcnt vmcnt(0)
	v_cvt_i32_f32_e32 v1, v1
.LBB46_1845:
	s_mov_b64 s[0:1], 0
.LBB46_1846:
	s_andn2_b64 vcc, exec, s[0:1]
	s_cbranch_vccnz .LBB46_1848
; %bb.1847:
	global_load_dword v1, v[4:5], off
	s_waitcnt vmcnt(0)
	v_cvt_i16_f16_e32 v1, v1
.LBB46_1848:
	s_mov_b64 s[0:1], 0
.LBB46_1849:
	s_andn2_b64 vcc, exec, s[0:1]
	s_cbranch_vccnz .LBB46_1860
; %bb.1850:
	s_cmp_lt_i32 s24, 6
	s_cbranch_scc1 .LBB46_1853
; %bb.1851:
	s_cmp_gt_i32 s24, 6
	s_cbranch_scc0 .LBB46_1854
; %bb.1852:
	global_load_dwordx2 v[1:2], v[4:5], off
	s_mov_b64 s[0:1], 0
	s_waitcnt vmcnt(0)
	v_cvt_i32_f64_e32 v1, v[1:2]
	s_branch .LBB46_1855
.LBB46_1853:
	s_mov_b64 s[0:1], -1
                                        ; implicit-def: $vgpr1
	s_branch .LBB46_1858
.LBB46_1854:
	s_mov_b64 s[0:1], -1
                                        ; implicit-def: $vgpr1
.LBB46_1855:
	s_andn2_b64 vcc, exec, s[0:1]
	s_cbranch_vccnz .LBB46_1857
; %bb.1856:
	global_load_dword v1, v[4:5], off
	s_waitcnt vmcnt(0)
	v_cvt_i32_f32_e32 v1, v1
.LBB46_1857:
	s_mov_b64 s[0:1], 0
.LBB46_1858:
	s_andn2_b64 vcc, exec, s[0:1]
	s_cbranch_vccnz .LBB46_1860
; %bb.1859:
	global_load_ushort v1, v[4:5], off
	s_waitcnt vmcnt(0)
	v_cvt_i16_f16_e32 v1, v1
.LBB46_1860:
	s_mov_b64 s[0:1], 0
.LBB46_1861:
	s_andn2_b64 vcc, exec, s[0:1]
	s_cbranch_vccnz .LBB46_1881
; %bb.1862:
	s_cmp_lt_i32 s24, 2
	s_cbranch_scc1 .LBB46_1866
; %bb.1863:
	s_cmp_lt_i32 s24, 3
	s_cbranch_scc1 .LBB46_1867
; %bb.1864:
	s_cmp_gt_i32 s24, 3
	s_cbranch_scc0 .LBB46_1868
; %bb.1865:
	global_load_dwordx2 v[1:2], v[4:5], off
	s_mov_b64 s[0:1], 0
	s_branch .LBB46_1869
.LBB46_1866:
	s_mov_b64 s[0:1], -1
                                        ; implicit-def: $vgpr1
	s_branch .LBB46_1875
.LBB46_1867:
	s_mov_b64 s[0:1], -1
                                        ; implicit-def: $vgpr1
	s_branch .LBB46_1872
.LBB46_1868:
	s_mov_b64 s[0:1], -1
                                        ; implicit-def: $vgpr1
.LBB46_1869:
	s_andn2_b64 vcc, exec, s[0:1]
	s_cbranch_vccnz .LBB46_1871
; %bb.1870:
	global_load_dword v1, v[4:5], off
.LBB46_1871:
	s_mov_b64 s[0:1], 0
.LBB46_1872:
	s_andn2_b64 vcc, exec, s[0:1]
	s_cbranch_vccnz .LBB46_1874
; %bb.1873:
	global_load_ushort v1, v[4:5], off
.LBB46_1874:
	s_mov_b64 s[0:1], 0
.LBB46_1875:
	s_andn2_b64 vcc, exec, s[0:1]
	s_cbranch_vccnz .LBB46_1881
; %bb.1876:
	s_cmp_gt_i32 s24, 0
	s_cbranch_scc0 .LBB46_1878
; %bb.1877:
	global_load_ubyte v1, v[4:5], off
	s_mov_b64 s[0:1], 0
	s_branch .LBB46_1879
.LBB46_1878:
	s_mov_b64 s[0:1], -1
                                        ; implicit-def: $vgpr1
.LBB46_1879:
	s_andn2_b64 vcc, exec, s[0:1]
	s_cbranch_vccnz .LBB46_1881
; %bb.1880:
	global_load_ubyte v1, v[4:5], off
.LBB46_1881:
.LBB46_1882:
	s_lshl_b32 s22, s14, 7
	s_waitcnt vmcnt(0)
	v_add_u32_e32 v2, s22, v6
	v_ashrrev_i32_e32 v5, 31, v2
	v_mov_b32_e32 v6, s3
	v_add_co_u32_e32 v4, vcc, s2, v2
	s_cmp_lt_i32 s25, 11
	v_addc_co_u32_e32 v5, vcc, v6, v5, vcc
	s_cbranch_scc1 .LBB46_1889
; %bb.1883:
	s_and_b32 s23, 0xffff, s25
	s_cmp_gt_i32 s23, 25
	s_mov_b64 s[4:5], 0
	s_cbranch_scc0 .LBB46_1890
; %bb.1884:
	s_cmp_gt_i32 s23, 28
	s_cbranch_scc0 .LBB46_1891
; %bb.1885:
	s_cmp_gt_i32 s23, 43
	;; [unrolled: 3-line block ×3, first 2 shown]
	s_cbranch_scc0 .LBB46_1894
; %bb.1887:
	s_cmp_eq_u32 s23, 46
	s_mov_b64 s[20:21], 0
	s_cbranch_scc0 .LBB46_1895
; %bb.1888:
	global_load_dword v6, v[4:5], off
	s_mov_b64 s[0:1], 0
	s_mov_b64 s[14:15], -1
	s_waitcnt vmcnt(0)
	v_lshlrev_b32_e32 v6, 16, v6
	v_cvt_i32_f32_e32 v6, v6
	s_branch .LBB46_1896
.LBB46_1889:
	s_mov_b64 s[0:1], -1
	s_mov_b64 s[14:15], 0
                                        ; implicit-def: $vgpr6
	s_branch .LBB46_1958
.LBB46_1890:
	s_mov_b64 s[20:21], -1
	s_mov_b64 s[14:15], 0
	s_mov_b64 s[0:1], 0
                                        ; implicit-def: $vgpr6
	s_branch .LBB46_1923
.LBB46_1891:
	s_mov_b64 s[20:21], -1
	s_mov_b64 s[14:15], 0
	s_mov_b64 s[0:1], 0
                                        ; implicit-def: $vgpr6
	s_branch .LBB46_1906
.LBB46_1892:
	s_mov_b64 s[20:21], -1
	s_mov_b64 s[14:15], 0
	s_mov_b64 s[0:1], 0
                                        ; implicit-def: $vgpr6
	s_branch .LBB46_1901
.LBB46_1893:
	s_trap 2
	s_or_b64 s[18:19], s[18:19], exec
	s_cbranch_execz .LBB46_1832
	s_branch .LBB46_1833
.LBB46_1894:
	s_mov_b64 s[20:21], -1
	s_mov_b64 s[14:15], 0
	s_mov_b64 s[0:1], 0
                                        ; implicit-def: $vgpr6
	s_branch .LBB46_1896
.LBB46_1895:
	s_mov_b64 s[0:1], -1
                                        ; implicit-def: $vgpr6
	s_mov_b64 s[14:15], 0
.LBB46_1896:
	s_and_b64 vcc, exec, s[20:21]
	s_cbranch_vccz .LBB46_1900
; %bb.1897:
	s_cmp_eq_u32 s23, 44
	s_cbranch_scc0 .LBB46_1899
; %bb.1898:
	global_load_ubyte v6, v[4:5], off
	s_mov_b64 s[0:1], 0
	s_mov_b64 s[14:15], -1
	s_waitcnt vmcnt(0)
	v_lshlrev_b32_e32 v7, 23, v6
	v_cvt_i32_f32_e32 v7, v7
	v_cmp_ne_u32_e32 vcc, 0, v6
	v_cndmask_b32_e32 v6, 0, v7, vcc
	s_branch .LBB46_1900
.LBB46_1899:
	s_mov_b64 s[0:1], -1
                                        ; implicit-def: $vgpr6
.LBB46_1900:
	s_mov_b64 s[20:21], 0
.LBB46_1901:
	s_and_b64 vcc, exec, s[20:21]
	s_cbranch_vccz .LBB46_1905
; %bb.1902:
	s_cmp_eq_u32 s23, 29
	s_cbranch_scc0 .LBB46_1904
; %bb.1903:
	global_load_dwordx2 v[6:7], v[4:5], off
	s_mov_b64 s[0:1], 0
	s_mov_b64 s[14:15], -1
	s_branch .LBB46_1905
.LBB46_1904:
	s_mov_b64 s[0:1], -1
                                        ; implicit-def: $vgpr6
.LBB46_1905:
	s_mov_b64 s[20:21], 0
.LBB46_1906:
	s_and_b64 vcc, exec, s[20:21]
	s_cbranch_vccz .LBB46_1922
; %bb.1907:
	s_cmp_lt_i32 s23, 27
	s_cbranch_scc1 .LBB46_1910
; %bb.1908:
	s_cmp_gt_i32 s23, 27
	s_cbranch_scc0 .LBB46_1911
; %bb.1909:
	global_load_dword v6, v[4:5], off
	s_mov_b64 s[14:15], 0
	s_branch .LBB46_1912
.LBB46_1910:
	s_mov_b64 s[14:15], -1
                                        ; implicit-def: $vgpr6
	s_branch .LBB46_1915
.LBB46_1911:
	s_mov_b64 s[14:15], -1
                                        ; implicit-def: $vgpr6
.LBB46_1912:
	s_andn2_b64 vcc, exec, s[14:15]
	s_cbranch_vccnz .LBB46_1914
; %bb.1913:
	global_load_ushort v6, v[4:5], off
.LBB46_1914:
	s_mov_b64 s[14:15], 0
.LBB46_1915:
	s_andn2_b64 vcc, exec, s[14:15]
	s_cbranch_vccnz .LBB46_1921
; %bb.1916:
	global_load_ubyte v7, v[4:5], off
	s_movk_i32 s14, 0x7f
	s_mov_b64 s[20:21], 0
	s_waitcnt vmcnt(0)
	v_cmp_lt_i16_e32 vcc, s14, v7
	s_and_saveexec_b64 s[14:15], vcc
	s_xor_b64 s[14:15], exec, s[14:15]
	s_cbranch_execz .LBB46_1933
; %bb.1917:
	s_movk_i32 s20, 0x80
	v_cmp_ne_u16_e32 vcc, s20, v7
	s_and_b64 s[20:21], vcc, exec
	s_andn2_saveexec_b64 s[14:15], s[14:15]
	s_cbranch_execnz .LBB46_1934
.LBB46_1918:
	s_or_b64 exec, exec, s[14:15]
	v_mov_b32_e32 v6, 0
	s_and_saveexec_b64 s[14:15], s[20:21]
	s_cbranch_execz .LBB46_1920
.LBB46_1919:
	v_lshlrev_b32_e32 v6, 24, v7
	v_and_b32_e32 v7, 0xffff, v7
	v_and_b32_e32 v9, 7, v7
	v_ffbh_u32_e32 v11, v9
	v_min_u32_e32 v11, 32, v11
	v_subrev_u32_e32 v12, 28, v11
	v_bfe_u32 v10, v7, 3, 4
	v_lshlrev_b32_e32 v7, v12, v7
	v_sub_u32_e32 v11, 29, v11
	v_and_b32_e32 v7, 7, v7
	v_cmp_eq_u32_e32 vcc, 0, v10
	v_cndmask_b32_e32 v10, v10, v11, vcc
	v_cndmask_b32_e32 v7, v9, v7, vcc
	v_mov_b32_e32 v9, 0x3b800000
	v_lshlrev_b32_e32 v7, 20, v7
	v_and_b32_e32 v6, 0x80000000, v6
	v_lshl_add_u32 v9, v10, 23, v9
	v_or3_b32 v6, v6, v9, v7
	v_cvt_i32_f32_e32 v6, v6
.LBB46_1920:
	s_or_b64 exec, exec, s[14:15]
.LBB46_1921:
	s_mov_b64 s[14:15], -1
.LBB46_1922:
	s_mov_b64 s[20:21], 0
.LBB46_1923:
	s_and_b64 vcc, exec, s[20:21]
	s_cbranch_vccz .LBB46_1954
; %bb.1924:
	s_cmp_gt_i32 s23, 22
	s_cbranch_scc0 .LBB46_1932
; %bb.1925:
	s_cmp_lt_i32 s23, 24
	s_cbranch_scc1 .LBB46_1935
; %bb.1926:
	s_cmp_gt_i32 s23, 24
	s_cbranch_scc0 .LBB46_1936
; %bb.1927:
	global_load_ubyte v7, v[4:5], off
	s_movk_i32 s4, 0x7f
	s_mov_b64 s[14:15], 0
	s_waitcnt vmcnt(0)
	v_cmp_lt_i16_e32 vcc, s4, v7
	s_and_saveexec_b64 s[4:5], vcc
	s_xor_b64 s[4:5], exec, s[4:5]
	s_cbranch_execz .LBB46_1948
; %bb.1928:
	s_movk_i32 s14, 0x80
	v_cmp_ne_u16_e32 vcc, s14, v7
	s_and_b64 s[14:15], vcc, exec
	s_andn2_saveexec_b64 s[4:5], s[4:5]
	s_cbranch_execnz .LBB46_1949
.LBB46_1929:
	s_or_b64 exec, exec, s[4:5]
	v_mov_b32_e32 v6, 0
	s_and_saveexec_b64 s[4:5], s[14:15]
	s_cbranch_execz .LBB46_1931
.LBB46_1930:
	v_lshlrev_b32_e32 v6, 24, v7
	v_and_b32_e32 v7, 0xffff, v7
	v_and_b32_e32 v9, 3, v7
	v_ffbh_u32_e32 v11, v9
	v_min_u32_e32 v11, 32, v11
	v_subrev_u32_e32 v12, 29, v11
	v_bfe_u32 v10, v7, 2, 5
	v_lshlrev_b32_e32 v7, v12, v7
	v_sub_u32_e32 v11, 30, v11
	v_and_b32_e32 v7, 3, v7
	v_cmp_eq_u32_e32 vcc, 0, v10
	v_cndmask_b32_e32 v10, v10, v11, vcc
	v_cndmask_b32_e32 v7, v9, v7, vcc
	v_mov_b32_e32 v9, 0x37800000
	v_lshlrev_b32_e32 v7, 21, v7
	v_and_b32_e32 v6, 0x80000000, v6
	v_lshl_add_u32 v9, v10, 23, v9
	v_or3_b32 v6, v6, v9, v7
	v_cvt_i32_f32_e32 v6, v6
.LBB46_1931:
	s_or_b64 exec, exec, s[4:5]
	s_mov_b64 s[4:5], 0
	s_branch .LBB46_1937
.LBB46_1932:
	s_mov_b64 s[4:5], -1
                                        ; implicit-def: $vgpr6
	s_branch .LBB46_1943
.LBB46_1933:
	s_andn2_saveexec_b64 s[14:15], s[14:15]
	s_cbranch_execz .LBB46_1918
.LBB46_1934:
	v_cmp_ne_u16_e32 vcc, 0, v7
	s_andn2_b64 s[20:21], s[20:21], exec
	s_and_b64 s[26:27], vcc, exec
	s_or_b64 s[20:21], s[20:21], s[26:27]
	s_or_b64 exec, exec, s[14:15]
	v_mov_b32_e32 v6, 0
	s_and_saveexec_b64 s[14:15], s[20:21]
	s_cbranch_execnz .LBB46_1919
	s_branch .LBB46_1920
.LBB46_1935:
	s_mov_b64 s[4:5], -1
                                        ; implicit-def: $vgpr6
	s_branch .LBB46_1940
.LBB46_1936:
	s_mov_b64 s[4:5], -1
                                        ; implicit-def: $vgpr6
.LBB46_1937:
	s_and_b64 vcc, exec, s[4:5]
	s_cbranch_vccz .LBB46_1939
; %bb.1938:
	global_load_ubyte v6, v[4:5], off
	s_mov_b32 s4, 0x7f800000
	s_waitcnt vmcnt(0)
	v_lshlrev_b32_e32 v6, 24, v6
	v_and_b32_e32 v7, 0x7f000000, v6
	v_ffbh_u32_e32 v9, v7
	v_min_u32_e32 v9, 32, v9
	v_sub_u32_e64 v9, v9, 4 clamp
	v_lshlrev_b32_e32 v11, v9, v7
	v_lshlrev_b32_e32 v9, 23, v9
	v_lshrrev_b32_e32 v11, 4, v11
	v_add_u32_e32 v10, 0x1000000, v7
	v_sub_u32_e32 v9, v11, v9
	v_ashrrev_i32_e32 v10, 8, v10
	v_add_u32_e32 v9, 0x3c000000, v9
	v_and_or_b32 v9, v10, s4, v9
	v_cmp_ne_u32_e32 vcc, 0, v7
	v_cndmask_b32_e32 v7, 0, v9, vcc
	s_brev_b32 s4, 1
	v_and_or_b32 v6, v6, s4, v7
	v_cvt_i32_f32_e32 v6, v6
.LBB46_1939:
	s_mov_b64 s[4:5], 0
.LBB46_1940:
	s_andn2_b64 vcc, exec, s[4:5]
	s_cbranch_vccnz .LBB46_1942
; %bb.1941:
	global_load_ubyte v6, v[4:5], off
	s_movk_i32 s4, 0x7f00
	s_brev_b32 s5, 16
	s_waitcnt vmcnt(0)
	v_lshlrev_b16_e32 v7, 8, v6
	v_lshlrev_b32_e32 v6, 25, v6
	v_lshrrev_b32_e32 v9, 4, v6
	v_and_or_b32 v10, v7, s4, 0.5
	v_or_b32_e32 v9, 0x70000000, v9
	v_add_f32_e32 v10, -0.5, v10
	v_mul_f32_e32 v9, 0x7800000, v9
	v_cmp_gt_u32_e32 vcc, s5, v6
	v_bfe_i32 v7, v7, 0, 16
	v_cndmask_b32_e32 v6, v9, v10, vcc
	s_brev_b32 s4, 1
	v_and_or_b32 v6, v7, s4, v6
	v_cvt_i32_f32_e32 v6, v6
.LBB46_1942:
	s_mov_b64 s[4:5], 0
	s_mov_b64 s[14:15], -1
.LBB46_1943:
	s_andn2_b64 vcc, exec, s[4:5]
	s_mov_b64 s[4:5], 0
	s_cbranch_vccnz .LBB46_1954
; %bb.1944:
	s_cmp_gt_i32 s23, 14
	s_cbranch_scc0 .LBB46_1947
; %bb.1945:
	s_cmp_eq_u32 s23, 15
	s_cbranch_scc0 .LBB46_1950
; %bb.1946:
	global_load_ushort v6, v[4:5], off
	s_mov_b64 s[0:1], 0
	s_mov_b64 s[14:15], -1
	s_waitcnt vmcnt(0)
	v_lshlrev_b32_e32 v6, 16, v6
	v_cvt_i32_f32_e32 v6, v6
	s_branch .LBB46_1951
.LBB46_1947:
	s_mov_b64 s[20:21], -1
                                        ; implicit-def: $vgpr6
	s_branch .LBB46_1952
.LBB46_1948:
	s_andn2_saveexec_b64 s[4:5], s[4:5]
	s_cbranch_execz .LBB46_1929
.LBB46_1949:
	v_cmp_ne_u16_e32 vcc, 0, v7
	s_andn2_b64 s[14:15], s[14:15], exec
	s_and_b64 s[20:21], vcc, exec
	s_or_b64 s[14:15], s[14:15], s[20:21]
	s_or_b64 exec, exec, s[4:5]
	v_mov_b32_e32 v6, 0
	s_and_saveexec_b64 s[4:5], s[14:15]
	s_cbranch_execnz .LBB46_1930
	s_branch .LBB46_1931
.LBB46_1950:
	s_mov_b64 s[0:1], -1
                                        ; implicit-def: $vgpr6
.LBB46_1951:
	s_mov_b64 s[20:21], 0
.LBB46_1952:
	s_and_b64 vcc, exec, s[20:21]
	s_cbranch_vccz .LBB46_1954
; %bb.1953:
	s_cmp_lg_u32 s23, 11
	s_mov_b64 s[4:5], -1
	s_cselect_b64 s[0:1], -1, 0
.LBB46_1954:
	s_and_b64 vcc, exec, s[0:1]
	s_cbranch_vccnz .LBB46_2019
; %bb.1955:
	s_andn2_b64 vcc, exec, s[4:5]
	s_cbranch_vccnz .LBB46_1957
.LBB46_1956:
	global_load_ubyte v6, v[4:5], off
	s_mov_b64 s[14:15], -1
	s_waitcnt vmcnt(0)
	v_cmp_ne_u16_e32 vcc, 0, v6
	v_cndmask_b32_e64 v6, 0, 1, vcc
.LBB46_1957:
	s_mov_b64 s[0:1], 0
.LBB46_1958:
	s_and_b64 vcc, exec, s[0:1]
	s_cbranch_vccz .LBB46_2007
; %bb.1959:
	s_and_b32 s4, 0xffff, s25
	s_cmp_lt_i32 s4, 5
	s_cbranch_scc1 .LBB46_1964
; %bb.1960:
	s_cmp_lt_i32 s4, 8
	s_cbranch_scc1 .LBB46_1965
; %bb.1961:
	;; [unrolled: 3-line block ×3, first 2 shown]
	s_cmp_gt_i32 s4, 9
	s_cbranch_scc0 .LBB46_1967
; %bb.1963:
	global_load_dwordx2 v[6:7], v[4:5], off
	s_mov_b64 s[0:1], 0
	s_waitcnt vmcnt(0)
	v_cvt_i32_f64_e32 v6, v[6:7]
	s_branch .LBB46_1968
.LBB46_1964:
	s_mov_b64 s[0:1], -1
                                        ; implicit-def: $vgpr6
	s_branch .LBB46_1986
.LBB46_1965:
	s_mov_b64 s[0:1], -1
                                        ; implicit-def: $vgpr6
	s_branch .LBB46_1974
.LBB46_1966:
	s_mov_b64 s[0:1], -1
                                        ; implicit-def: $vgpr6
	s_branch .LBB46_1971
.LBB46_1967:
	s_mov_b64 s[0:1], -1
                                        ; implicit-def: $vgpr6
.LBB46_1968:
	s_andn2_b64 vcc, exec, s[0:1]
	s_cbranch_vccnz .LBB46_1970
; %bb.1969:
	global_load_dword v6, v[4:5], off
	s_waitcnt vmcnt(0)
	v_cvt_i32_f32_e32 v6, v6
.LBB46_1970:
	s_mov_b64 s[0:1], 0
.LBB46_1971:
	s_andn2_b64 vcc, exec, s[0:1]
	s_cbranch_vccnz .LBB46_1973
; %bb.1972:
	global_load_dword v6, v[4:5], off
	s_waitcnt vmcnt(0)
	v_cvt_i16_f16_e32 v6, v6
.LBB46_1973:
	s_mov_b64 s[0:1], 0
.LBB46_1974:
	s_andn2_b64 vcc, exec, s[0:1]
	s_cbranch_vccnz .LBB46_1985
; %bb.1975:
	s_cmp_lt_i32 s4, 6
	s_cbranch_scc1 .LBB46_1978
; %bb.1976:
	s_cmp_gt_i32 s4, 6
	s_cbranch_scc0 .LBB46_1979
; %bb.1977:
	global_load_dwordx2 v[6:7], v[4:5], off
	s_mov_b64 s[0:1], 0
	s_waitcnt vmcnt(0)
	v_cvt_i32_f64_e32 v6, v[6:7]
	s_branch .LBB46_1980
.LBB46_1978:
	s_mov_b64 s[0:1], -1
                                        ; implicit-def: $vgpr6
	s_branch .LBB46_1983
.LBB46_1979:
	s_mov_b64 s[0:1], -1
                                        ; implicit-def: $vgpr6
.LBB46_1980:
	s_andn2_b64 vcc, exec, s[0:1]
	s_cbranch_vccnz .LBB46_1982
; %bb.1981:
	global_load_dword v6, v[4:5], off
	s_waitcnt vmcnt(0)
	v_cvt_i32_f32_e32 v6, v6
.LBB46_1982:
	s_mov_b64 s[0:1], 0
.LBB46_1983:
	s_andn2_b64 vcc, exec, s[0:1]
	s_cbranch_vccnz .LBB46_1985
; %bb.1984:
	global_load_ushort v6, v[4:5], off
	s_waitcnt vmcnt(0)
	v_cvt_i16_f16_e32 v6, v6
.LBB46_1985:
	s_mov_b64 s[0:1], 0
.LBB46_1986:
	s_andn2_b64 vcc, exec, s[0:1]
	s_cbranch_vccnz .LBB46_2006
; %bb.1987:
	s_cmp_lt_i32 s4, 2
	s_cbranch_scc1 .LBB46_1991
; %bb.1988:
	s_cmp_lt_i32 s4, 3
	s_cbranch_scc1 .LBB46_1992
; %bb.1989:
	s_cmp_gt_i32 s4, 3
	s_cbranch_scc0 .LBB46_1993
; %bb.1990:
	global_load_dwordx2 v[6:7], v[4:5], off
	s_mov_b64 s[0:1], 0
	s_branch .LBB46_1994
.LBB46_1991:
	s_mov_b64 s[0:1], -1
                                        ; implicit-def: $vgpr6
	s_branch .LBB46_2000
.LBB46_1992:
	s_mov_b64 s[0:1], -1
                                        ; implicit-def: $vgpr6
	s_branch .LBB46_1997
.LBB46_1993:
	s_mov_b64 s[0:1], -1
                                        ; implicit-def: $vgpr6
.LBB46_1994:
	s_andn2_b64 vcc, exec, s[0:1]
	s_cbranch_vccnz .LBB46_1996
; %bb.1995:
	global_load_dword v6, v[4:5], off
.LBB46_1996:
	s_mov_b64 s[0:1], 0
.LBB46_1997:
	s_andn2_b64 vcc, exec, s[0:1]
	s_cbranch_vccnz .LBB46_1999
; %bb.1998:
	global_load_ushort v6, v[4:5], off
.LBB46_1999:
	s_mov_b64 s[0:1], 0
.LBB46_2000:
	s_andn2_b64 vcc, exec, s[0:1]
	s_cbranch_vccnz .LBB46_2006
; %bb.2001:
	s_cmp_gt_i32 s4, 0
	s_cbranch_scc0 .LBB46_2003
; %bb.2002:
	global_load_ubyte v6, v[4:5], off
	s_mov_b64 s[0:1], 0
	s_branch .LBB46_2004
.LBB46_2003:
	s_mov_b64 s[0:1], -1
                                        ; implicit-def: $vgpr6
.LBB46_2004:
	s_andn2_b64 vcc, exec, s[0:1]
	s_cbranch_vccnz .LBB46_2006
; %bb.2005:
	global_load_ubyte v6, v[4:5], off
.LBB46_2006:
	s_mov_b64 s[14:15], -1
.LBB46_2007:
	s_andn2_b64 vcc, exec, s[14:15]
	s_cbranch_vccnz .LBB46_2947
; %bb.2008:
	v_add_u32_e32 v11, s13, v8
	v_ashrrev_i32_e32 v4, 31, v11
	v_mov_b32_e32 v5, s11
	s_waitcnt vmcnt(0)
	v_add_co_u32_e32 v7, vcc, s10, v11
	s_cmp_lt_i32 s24, 11
	v_addc_co_u32_e32 v8, vcc, v5, v4, vcc
	s_cbranch_scc1 .LBB46_2015
; %bb.2009:
	s_cmp_gt_i32 s24, 25
	s_mov_b64 s[4:5], 0
	s_cbranch_scc0 .LBB46_2016
; %bb.2010:
	s_cmp_gt_i32 s24, 28
	s_cbranch_scc0 .LBB46_2017
; %bb.2011:
	s_cmp_gt_i32 s24, 43
	;; [unrolled: 3-line block ×3, first 2 shown]
	s_cbranch_scc0 .LBB46_2020
; %bb.2013:
	s_cmp_eq_u32 s24, 46
	s_mov_b64 s[20:21], 0
	s_cbranch_scc0 .LBB46_2021
; %bb.2014:
	global_load_dword v4, v[7:8], off
	s_mov_b64 s[0:1], 0
	s_mov_b64 s[14:15], -1
	s_waitcnt vmcnt(0)
	v_lshlrev_b32_e32 v4, 16, v4
	v_cvt_i32_f32_e32 v4, v4
	s_branch .LBB46_2022
.LBB46_2015:
	s_mov_b64 s[0:1], -1
	s_mov_b64 s[14:15], 0
                                        ; implicit-def: $vgpr4
	s_branch .LBB46_2084
.LBB46_2016:
	s_mov_b64 s[20:21], -1
	s_mov_b64 s[14:15], 0
	s_mov_b64 s[0:1], 0
                                        ; implicit-def: $vgpr4
	s_branch .LBB46_2049
.LBB46_2017:
	s_mov_b64 s[20:21], -1
	s_mov_b64 s[14:15], 0
	s_mov_b64 s[0:1], 0
                                        ; implicit-def: $vgpr4
	s_branch .LBB46_2032
.LBB46_2018:
	s_mov_b64 s[20:21], -1
	s_mov_b64 s[14:15], 0
	s_mov_b64 s[0:1], 0
                                        ; implicit-def: $vgpr4
	s_branch .LBB46_2027
.LBB46_2019:
	s_trap 2
	s_or_b64 s[18:19], s[18:19], exec
	s_cbranch_execz .LBB46_1956
	s_branch .LBB46_1957
.LBB46_2020:
	s_mov_b64 s[20:21], -1
	s_mov_b64 s[14:15], 0
	s_mov_b64 s[0:1], 0
                                        ; implicit-def: $vgpr4
	s_branch .LBB46_2022
.LBB46_2021:
	s_mov_b64 s[0:1], -1
                                        ; implicit-def: $vgpr4
	s_mov_b64 s[14:15], 0
.LBB46_2022:
	s_and_b64 vcc, exec, s[20:21]
	s_cbranch_vccz .LBB46_2026
; %bb.2023:
	s_cmp_eq_u32 s24, 44
	s_cbranch_scc0 .LBB46_2025
; %bb.2024:
	global_load_ubyte v4, v[7:8], off
	s_mov_b64 s[0:1], 0
	s_mov_b64 s[14:15], -1
	s_waitcnt vmcnt(0)
	v_lshlrev_b32_e32 v5, 23, v4
	v_cvt_i32_f32_e32 v5, v5
	v_cmp_ne_u32_e32 vcc, 0, v4
	v_cndmask_b32_e32 v4, 0, v5, vcc
	s_branch .LBB46_2026
.LBB46_2025:
	s_mov_b64 s[0:1], -1
                                        ; implicit-def: $vgpr4
.LBB46_2026:
	s_mov_b64 s[20:21], 0
.LBB46_2027:
	s_and_b64 vcc, exec, s[20:21]
	s_cbranch_vccz .LBB46_2031
; %bb.2028:
	s_cmp_eq_u32 s24, 29
	s_cbranch_scc0 .LBB46_2030
; %bb.2029:
	global_load_dwordx2 v[4:5], v[7:8], off
	s_mov_b64 s[0:1], 0
	s_mov_b64 s[14:15], -1
	s_branch .LBB46_2031
.LBB46_2030:
	s_mov_b64 s[0:1], -1
                                        ; implicit-def: $vgpr4
.LBB46_2031:
	s_mov_b64 s[20:21], 0
.LBB46_2032:
	s_and_b64 vcc, exec, s[20:21]
	s_cbranch_vccz .LBB46_2048
; %bb.2033:
	s_cmp_lt_i32 s24, 27
	s_cbranch_scc1 .LBB46_2036
; %bb.2034:
	s_cmp_gt_i32 s24, 27
	s_cbranch_scc0 .LBB46_2037
; %bb.2035:
	global_load_dword v4, v[7:8], off
	s_mov_b64 s[14:15], 0
	s_branch .LBB46_2038
.LBB46_2036:
	s_mov_b64 s[14:15], -1
                                        ; implicit-def: $vgpr4
	s_branch .LBB46_2041
.LBB46_2037:
	s_mov_b64 s[14:15], -1
                                        ; implicit-def: $vgpr4
.LBB46_2038:
	s_andn2_b64 vcc, exec, s[14:15]
	s_cbranch_vccnz .LBB46_2040
; %bb.2039:
	global_load_ushort v4, v[7:8], off
.LBB46_2040:
	s_mov_b64 s[14:15], 0
.LBB46_2041:
	s_andn2_b64 vcc, exec, s[14:15]
	s_cbranch_vccnz .LBB46_2047
; %bb.2042:
	global_load_ubyte v5, v[7:8], off
	s_movk_i32 s14, 0x7f
	s_mov_b64 s[20:21], 0
	s_waitcnt vmcnt(0)
	v_cmp_lt_i16_e32 vcc, s14, v5
	s_and_saveexec_b64 s[14:15], vcc
	s_xor_b64 s[14:15], exec, s[14:15]
	s_cbranch_execz .LBB46_2059
; %bb.2043:
	s_movk_i32 s20, 0x80
	v_cmp_ne_u16_e32 vcc, s20, v5
	s_and_b64 s[20:21], vcc, exec
	s_andn2_saveexec_b64 s[14:15], s[14:15]
	s_cbranch_execnz .LBB46_2060
.LBB46_2044:
	s_or_b64 exec, exec, s[14:15]
	v_mov_b32_e32 v4, 0
	s_and_saveexec_b64 s[14:15], s[20:21]
	s_cbranch_execz .LBB46_2046
.LBB46_2045:
	v_lshlrev_b32_e32 v4, 24, v5
	v_and_b32_e32 v5, 0xffff, v5
	v_and_b32_e32 v9, 7, v5
	v_ffbh_u32_e32 v12, v9
	v_min_u32_e32 v12, 32, v12
	v_subrev_u32_e32 v13, 28, v12
	v_bfe_u32 v10, v5, 3, 4
	v_lshlrev_b32_e32 v5, v13, v5
	v_sub_u32_e32 v12, 29, v12
	v_and_b32_e32 v5, 7, v5
	v_cmp_eq_u32_e32 vcc, 0, v10
	v_cndmask_b32_e32 v10, v10, v12, vcc
	v_cndmask_b32_e32 v5, v9, v5, vcc
	v_mov_b32_e32 v9, 0x3b800000
	v_lshlrev_b32_e32 v5, 20, v5
	v_and_b32_e32 v4, 0x80000000, v4
	v_lshl_add_u32 v9, v10, 23, v9
	v_or3_b32 v4, v4, v9, v5
	v_cvt_i32_f32_e32 v4, v4
.LBB46_2046:
	s_or_b64 exec, exec, s[14:15]
.LBB46_2047:
	s_mov_b64 s[14:15], -1
.LBB46_2048:
	s_mov_b64 s[20:21], 0
.LBB46_2049:
	s_and_b64 vcc, exec, s[20:21]
	s_cbranch_vccz .LBB46_2080
; %bb.2050:
	s_cmp_gt_i32 s24, 22
	s_cbranch_scc0 .LBB46_2058
; %bb.2051:
	s_cmp_lt_i32 s24, 24
	s_cbranch_scc1 .LBB46_2061
; %bb.2052:
	s_cmp_gt_i32 s24, 24
	s_cbranch_scc0 .LBB46_2062
; %bb.2053:
	global_load_ubyte v5, v[7:8], off
	s_movk_i32 s4, 0x7f
	s_mov_b64 s[14:15], 0
	s_waitcnt vmcnt(0)
	v_cmp_lt_i16_e32 vcc, s4, v5
	s_and_saveexec_b64 s[4:5], vcc
	s_xor_b64 s[4:5], exec, s[4:5]
	s_cbranch_execz .LBB46_2074
; %bb.2054:
	s_movk_i32 s14, 0x80
	v_cmp_ne_u16_e32 vcc, s14, v5
	s_and_b64 s[14:15], vcc, exec
	s_andn2_saveexec_b64 s[4:5], s[4:5]
	s_cbranch_execnz .LBB46_2075
.LBB46_2055:
	s_or_b64 exec, exec, s[4:5]
	v_mov_b32_e32 v4, 0
	s_and_saveexec_b64 s[4:5], s[14:15]
	s_cbranch_execz .LBB46_2057
.LBB46_2056:
	v_lshlrev_b32_e32 v4, 24, v5
	v_and_b32_e32 v5, 0xffff, v5
	v_and_b32_e32 v9, 3, v5
	v_ffbh_u32_e32 v12, v9
	v_min_u32_e32 v12, 32, v12
	v_subrev_u32_e32 v13, 29, v12
	v_bfe_u32 v10, v5, 2, 5
	v_lshlrev_b32_e32 v5, v13, v5
	v_sub_u32_e32 v12, 30, v12
	v_and_b32_e32 v5, 3, v5
	v_cmp_eq_u32_e32 vcc, 0, v10
	v_cndmask_b32_e32 v10, v10, v12, vcc
	v_cndmask_b32_e32 v5, v9, v5, vcc
	v_mov_b32_e32 v9, 0x37800000
	v_lshlrev_b32_e32 v5, 21, v5
	v_and_b32_e32 v4, 0x80000000, v4
	v_lshl_add_u32 v9, v10, 23, v9
	v_or3_b32 v4, v4, v9, v5
	v_cvt_i32_f32_e32 v4, v4
.LBB46_2057:
	s_or_b64 exec, exec, s[4:5]
	s_mov_b64 s[4:5], 0
	s_branch .LBB46_2063
.LBB46_2058:
	s_mov_b64 s[4:5], -1
                                        ; implicit-def: $vgpr4
	s_branch .LBB46_2069
.LBB46_2059:
	s_andn2_saveexec_b64 s[14:15], s[14:15]
	s_cbranch_execz .LBB46_2044
.LBB46_2060:
	v_cmp_ne_u16_e32 vcc, 0, v5
	s_andn2_b64 s[20:21], s[20:21], exec
	s_and_b64 s[26:27], vcc, exec
	s_or_b64 s[20:21], s[20:21], s[26:27]
	s_or_b64 exec, exec, s[14:15]
	v_mov_b32_e32 v4, 0
	s_and_saveexec_b64 s[14:15], s[20:21]
	s_cbranch_execnz .LBB46_2045
	s_branch .LBB46_2046
.LBB46_2061:
	s_mov_b64 s[4:5], -1
                                        ; implicit-def: $vgpr4
	s_branch .LBB46_2066
.LBB46_2062:
	s_mov_b64 s[4:5], -1
                                        ; implicit-def: $vgpr4
.LBB46_2063:
	s_and_b64 vcc, exec, s[4:5]
	s_cbranch_vccz .LBB46_2065
; %bb.2064:
	global_load_ubyte v4, v[7:8], off
	s_mov_b32 s4, 0x7f800000
	s_waitcnt vmcnt(0)
	v_lshlrev_b32_e32 v4, 24, v4
	v_and_b32_e32 v5, 0x7f000000, v4
	v_ffbh_u32_e32 v9, v5
	v_min_u32_e32 v9, 32, v9
	v_sub_u32_e64 v9, v9, 4 clamp
	v_lshlrev_b32_e32 v12, v9, v5
	v_lshlrev_b32_e32 v9, 23, v9
	v_lshrrev_b32_e32 v12, 4, v12
	v_add_u32_e32 v10, 0x1000000, v5
	v_sub_u32_e32 v9, v12, v9
	v_ashrrev_i32_e32 v10, 8, v10
	v_add_u32_e32 v9, 0x3c000000, v9
	v_and_or_b32 v9, v10, s4, v9
	v_cmp_ne_u32_e32 vcc, 0, v5
	v_cndmask_b32_e32 v5, 0, v9, vcc
	s_brev_b32 s4, 1
	v_and_or_b32 v4, v4, s4, v5
	v_cvt_i32_f32_e32 v4, v4
.LBB46_2065:
	s_mov_b64 s[4:5], 0
.LBB46_2066:
	s_andn2_b64 vcc, exec, s[4:5]
	s_cbranch_vccnz .LBB46_2068
; %bb.2067:
	global_load_ubyte v4, v[7:8], off
	s_movk_i32 s4, 0x7f00
	s_brev_b32 s5, 16
	s_waitcnt vmcnt(0)
	v_lshlrev_b16_e32 v5, 8, v4
	v_lshlrev_b32_e32 v4, 25, v4
	v_lshrrev_b32_e32 v9, 4, v4
	v_and_or_b32 v10, v5, s4, 0.5
	v_or_b32_e32 v9, 0x70000000, v9
	v_add_f32_e32 v10, -0.5, v10
	v_mul_f32_e32 v9, 0x7800000, v9
	v_cmp_gt_u32_e32 vcc, s5, v4
	v_bfe_i32 v5, v5, 0, 16
	v_cndmask_b32_e32 v4, v9, v10, vcc
	s_brev_b32 s4, 1
	v_and_or_b32 v4, v5, s4, v4
	v_cvt_i32_f32_e32 v4, v4
.LBB46_2068:
	s_mov_b64 s[4:5], 0
	s_mov_b64 s[14:15], -1
.LBB46_2069:
	s_andn2_b64 vcc, exec, s[4:5]
	s_mov_b64 s[4:5], 0
	s_cbranch_vccnz .LBB46_2080
; %bb.2070:
	s_cmp_gt_i32 s24, 14
	s_cbranch_scc0 .LBB46_2073
; %bb.2071:
	s_cmp_eq_u32 s24, 15
	s_cbranch_scc0 .LBB46_2076
; %bb.2072:
	global_load_ushort v4, v[7:8], off
	s_mov_b64 s[0:1], 0
	s_mov_b64 s[14:15], -1
	s_waitcnt vmcnt(0)
	v_lshlrev_b32_e32 v4, 16, v4
	v_cvt_i32_f32_e32 v4, v4
	s_branch .LBB46_2077
.LBB46_2073:
	s_mov_b64 s[20:21], -1
                                        ; implicit-def: $vgpr4
	s_branch .LBB46_2078
.LBB46_2074:
	s_andn2_saveexec_b64 s[4:5], s[4:5]
	s_cbranch_execz .LBB46_2055
.LBB46_2075:
	v_cmp_ne_u16_e32 vcc, 0, v5
	s_andn2_b64 s[14:15], s[14:15], exec
	s_and_b64 s[20:21], vcc, exec
	s_or_b64 s[14:15], s[14:15], s[20:21]
	s_or_b64 exec, exec, s[4:5]
	v_mov_b32_e32 v4, 0
	s_and_saveexec_b64 s[4:5], s[14:15]
	s_cbranch_execnz .LBB46_2056
	s_branch .LBB46_2057
.LBB46_2076:
	s_mov_b64 s[0:1], -1
                                        ; implicit-def: $vgpr4
.LBB46_2077:
	s_mov_b64 s[20:21], 0
.LBB46_2078:
	s_and_b64 vcc, exec, s[20:21]
	s_cbranch_vccz .LBB46_2080
; %bb.2079:
	s_cmp_lg_u32 s24, 11
	s_mov_b64 s[4:5], -1
	s_cselect_b64 s[0:1], -1, 0
.LBB46_2080:
	s_and_b64 vcc, exec, s[0:1]
	s_cbranch_vccnz .LBB46_2145
; %bb.2081:
	s_andn2_b64 vcc, exec, s[4:5]
	s_cbranch_vccnz .LBB46_2083
.LBB46_2082:
	global_load_ubyte v4, v[7:8], off
	s_mov_b64 s[14:15], -1
	s_waitcnt vmcnt(0)
	v_cmp_ne_u16_e32 vcc, 0, v4
	v_cndmask_b32_e64 v4, 0, 1, vcc
.LBB46_2083:
	s_mov_b64 s[0:1], 0
.LBB46_2084:
	s_and_b64 vcc, exec, s[0:1]
	s_cbranch_vccz .LBB46_2133
; %bb.2085:
	s_cmp_lt_i32 s24, 5
	s_cbranch_scc1 .LBB46_2090
; %bb.2086:
	s_cmp_lt_i32 s24, 8
	s_cbranch_scc1 .LBB46_2091
	;; [unrolled: 3-line block ×3, first 2 shown]
; %bb.2088:
	s_cmp_gt_i32 s24, 9
	s_cbranch_scc0 .LBB46_2093
; %bb.2089:
	global_load_dwordx2 v[4:5], v[7:8], off
	s_mov_b64 s[0:1], 0
	s_waitcnt vmcnt(0)
	v_cvt_i32_f64_e32 v4, v[4:5]
	s_branch .LBB46_2094
.LBB46_2090:
	s_mov_b64 s[0:1], -1
                                        ; implicit-def: $vgpr4
	s_branch .LBB46_2112
.LBB46_2091:
	s_mov_b64 s[0:1], -1
                                        ; implicit-def: $vgpr4
	s_branch .LBB46_2100
.LBB46_2092:
	s_mov_b64 s[0:1], -1
                                        ; implicit-def: $vgpr4
	s_branch .LBB46_2097
.LBB46_2093:
	s_mov_b64 s[0:1], -1
                                        ; implicit-def: $vgpr4
.LBB46_2094:
	s_andn2_b64 vcc, exec, s[0:1]
	s_cbranch_vccnz .LBB46_2096
; %bb.2095:
	global_load_dword v4, v[7:8], off
	s_waitcnt vmcnt(0)
	v_cvt_i32_f32_e32 v4, v4
.LBB46_2096:
	s_mov_b64 s[0:1], 0
.LBB46_2097:
	s_andn2_b64 vcc, exec, s[0:1]
	s_cbranch_vccnz .LBB46_2099
; %bb.2098:
	global_load_dword v4, v[7:8], off
	s_waitcnt vmcnt(0)
	v_cvt_i16_f16_e32 v4, v4
.LBB46_2099:
	s_mov_b64 s[0:1], 0
.LBB46_2100:
	s_andn2_b64 vcc, exec, s[0:1]
	s_cbranch_vccnz .LBB46_2111
; %bb.2101:
	s_cmp_lt_i32 s24, 6
	s_cbranch_scc1 .LBB46_2104
; %bb.2102:
	s_cmp_gt_i32 s24, 6
	s_cbranch_scc0 .LBB46_2105
; %bb.2103:
	global_load_dwordx2 v[4:5], v[7:8], off
	s_mov_b64 s[0:1], 0
	s_waitcnt vmcnt(0)
	v_cvt_i32_f64_e32 v4, v[4:5]
	s_branch .LBB46_2106
.LBB46_2104:
	s_mov_b64 s[0:1], -1
                                        ; implicit-def: $vgpr4
	s_branch .LBB46_2109
.LBB46_2105:
	s_mov_b64 s[0:1], -1
                                        ; implicit-def: $vgpr4
.LBB46_2106:
	s_andn2_b64 vcc, exec, s[0:1]
	s_cbranch_vccnz .LBB46_2108
; %bb.2107:
	global_load_dword v4, v[7:8], off
	s_waitcnt vmcnt(0)
	v_cvt_i32_f32_e32 v4, v4
.LBB46_2108:
	s_mov_b64 s[0:1], 0
.LBB46_2109:
	s_andn2_b64 vcc, exec, s[0:1]
	s_cbranch_vccnz .LBB46_2111
; %bb.2110:
	global_load_ushort v4, v[7:8], off
	s_waitcnt vmcnt(0)
	v_cvt_i16_f16_e32 v4, v4
.LBB46_2111:
	s_mov_b64 s[0:1], 0
.LBB46_2112:
	s_andn2_b64 vcc, exec, s[0:1]
	s_cbranch_vccnz .LBB46_2132
; %bb.2113:
	s_cmp_lt_i32 s24, 2
	s_cbranch_scc1 .LBB46_2117
; %bb.2114:
	s_cmp_lt_i32 s24, 3
	s_cbranch_scc1 .LBB46_2118
; %bb.2115:
	s_cmp_gt_i32 s24, 3
	s_cbranch_scc0 .LBB46_2119
; %bb.2116:
	global_load_dwordx2 v[4:5], v[7:8], off
	s_mov_b64 s[0:1], 0
	s_branch .LBB46_2120
.LBB46_2117:
	s_mov_b64 s[0:1], -1
                                        ; implicit-def: $vgpr4
	s_branch .LBB46_2126
.LBB46_2118:
	s_mov_b64 s[0:1], -1
                                        ; implicit-def: $vgpr4
	s_branch .LBB46_2123
.LBB46_2119:
	s_mov_b64 s[0:1], -1
                                        ; implicit-def: $vgpr4
.LBB46_2120:
	s_andn2_b64 vcc, exec, s[0:1]
	s_cbranch_vccnz .LBB46_2122
; %bb.2121:
	global_load_dword v4, v[7:8], off
.LBB46_2122:
	s_mov_b64 s[0:1], 0
.LBB46_2123:
	s_andn2_b64 vcc, exec, s[0:1]
	s_cbranch_vccnz .LBB46_2125
; %bb.2124:
	global_load_ushort v4, v[7:8], off
.LBB46_2125:
	s_mov_b64 s[0:1], 0
.LBB46_2126:
	s_andn2_b64 vcc, exec, s[0:1]
	s_cbranch_vccnz .LBB46_2132
; %bb.2127:
	s_cmp_gt_i32 s24, 0
	s_cbranch_scc0 .LBB46_2129
; %bb.2128:
	global_load_ubyte v4, v[7:8], off
	s_mov_b64 s[0:1], 0
	s_branch .LBB46_2130
.LBB46_2129:
	s_mov_b64 s[0:1], -1
                                        ; implicit-def: $vgpr4
.LBB46_2130:
	s_andn2_b64 vcc, exec, s[0:1]
	s_cbranch_vccnz .LBB46_2132
; %bb.2131:
	global_load_ubyte v4, v[7:8], off
.LBB46_2132:
	s_mov_b64 s[14:15], -1
.LBB46_2133:
	s_andn2_b64 vcc, exec, s[14:15]
	s_cbranch_vccnz .LBB46_2947
; %bb.2134:
	v_add_u32_e32 v2, s22, v2
	s_waitcnt vmcnt(0)
	v_ashrrev_i32_e32 v5, 31, v2
	v_mov_b32_e32 v8, s3
	v_add_co_u32_e32 v7, vcc, s2, v2
	s_cmp_lt_i32 s25, 11
	v_addc_co_u32_e32 v8, vcc, v8, v5, vcc
	s_cbranch_scc1 .LBB46_2141
; %bb.2135:
	s_and_b32 s23, 0xffff, s25
	s_cmp_gt_i32 s23, 25
	s_mov_b64 s[4:5], 0
	s_cbranch_scc0 .LBB46_2142
; %bb.2136:
	s_cmp_gt_i32 s23, 28
	s_cbranch_scc0 .LBB46_2143
; %bb.2137:
	s_cmp_gt_i32 s23, 43
	;; [unrolled: 3-line block ×3, first 2 shown]
	s_cbranch_scc0 .LBB46_2146
; %bb.2139:
	s_cmp_eq_u32 s23, 46
	s_mov_b64 s[20:21], 0
	s_cbranch_scc0 .LBB46_2149
; %bb.2140:
	global_load_dword v5, v[7:8], off
	s_mov_b64 s[0:1], 0
	s_mov_b64 s[14:15], -1
	s_waitcnt vmcnt(0)
	v_lshlrev_b32_e32 v5, 16, v5
	v_cvt_i32_f32_e32 v9, v5
	s_branch .LBB46_2150
.LBB46_2141:
	s_mov_b64 s[0:1], -1
	s_mov_b64 s[14:15], 0
                                        ; implicit-def: $vgpr9
	s_branch .LBB46_2212
.LBB46_2142:
	s_mov_b64 s[20:21], -1
	s_mov_b64 s[14:15], 0
	s_mov_b64 s[0:1], 0
                                        ; implicit-def: $vgpr9
	s_branch .LBB46_2177
.LBB46_2143:
	s_mov_b64 s[20:21], -1
	s_mov_b64 s[14:15], 0
	s_mov_b64 s[0:1], 0
                                        ; implicit-def: $vgpr9
	s_branch .LBB46_2160
.LBB46_2144:
	s_mov_b64 s[20:21], -1
	s_mov_b64 s[14:15], 0
	s_mov_b64 s[0:1], 0
                                        ; implicit-def: $vgpr9
	s_branch .LBB46_2155
.LBB46_2145:
	s_trap 2
	s_or_b64 s[18:19], s[18:19], exec
	s_cbranch_execz .LBB46_2082
	s_branch .LBB46_2083
.LBB46_2146:
	s_mov_b64 s[20:21], -1
	s_mov_b64 s[14:15], 0
	s_mov_b64 s[0:1], 0
                                        ; implicit-def: $vgpr9
	s_branch .LBB46_2150
.LBB46_2147:
	s_andn2_saveexec_b64 s[44:45], s[44:45]
	s_cbranch_execz .LBB46_1061
.LBB46_2148:
	s_mov_b32 s49, 0x42800000
	v_add_f32_e64 v4, |v3|, s49
	v_and_b32_e32 v4, 0xff, v4
	v_cmp_ne_u32_e32 vcc, 0, v4
	s_andn2_b64 s[42:43], s[42:43], exec
	s_and_b64 s[50:51], vcc, exec
	s_or_b64 s[42:43], s[42:43], s[50:51]
	s_or_b64 exec, exec, s[44:45]
	v_mov_b32_e32 v5, 0
	s_and_saveexec_b64 s[44:45], s[42:43]
	s_cbranch_execnz .LBB46_1062
	s_branch .LBB46_1063
.LBB46_2149:
	s_mov_b64 s[0:1], -1
                                        ; implicit-def: $vgpr9
	s_mov_b64 s[14:15], 0
.LBB46_2150:
	s_and_b64 vcc, exec, s[20:21]
	s_cbranch_vccz .LBB46_2154
; %bb.2151:
	s_cmp_eq_u32 s23, 44
	s_cbranch_scc0 .LBB46_2153
; %bb.2152:
	global_load_ubyte v5, v[7:8], off
	s_mov_b64 s[0:1], 0
	s_mov_b64 s[14:15], -1
	s_waitcnt vmcnt(0)
	v_lshlrev_b32_e32 v9, 23, v5
	v_cvt_i32_f32_e32 v9, v9
	v_cmp_ne_u32_e32 vcc, 0, v5
	v_cndmask_b32_e32 v9, 0, v9, vcc
	s_branch .LBB46_2154
.LBB46_2153:
	s_mov_b64 s[0:1], -1
                                        ; implicit-def: $vgpr9
.LBB46_2154:
	s_mov_b64 s[20:21], 0
.LBB46_2155:
	s_and_b64 vcc, exec, s[20:21]
	s_cbranch_vccz .LBB46_2159
; %bb.2156:
	s_cmp_eq_u32 s23, 29
	s_cbranch_scc0 .LBB46_2158
; %bb.2157:
	global_load_dwordx2 v[9:10], v[7:8], off
	s_mov_b64 s[0:1], 0
	s_mov_b64 s[14:15], -1
	s_branch .LBB46_2159
.LBB46_2158:
	s_mov_b64 s[0:1], -1
                                        ; implicit-def: $vgpr9
.LBB46_2159:
	s_mov_b64 s[20:21], 0
.LBB46_2160:
	s_and_b64 vcc, exec, s[20:21]
	s_cbranch_vccz .LBB46_2176
; %bb.2161:
	s_cmp_lt_i32 s23, 27
	s_cbranch_scc1 .LBB46_2164
; %bb.2162:
	s_cmp_gt_i32 s23, 27
	s_cbranch_scc0 .LBB46_2165
; %bb.2163:
	global_load_dword v9, v[7:8], off
	s_mov_b64 s[14:15], 0
	s_branch .LBB46_2166
.LBB46_2164:
	s_mov_b64 s[14:15], -1
                                        ; implicit-def: $vgpr9
	s_branch .LBB46_2169
.LBB46_2165:
	s_mov_b64 s[14:15], -1
                                        ; implicit-def: $vgpr9
.LBB46_2166:
	s_andn2_b64 vcc, exec, s[14:15]
	s_cbranch_vccnz .LBB46_2168
; %bb.2167:
	global_load_ushort v9, v[7:8], off
.LBB46_2168:
	s_mov_b64 s[14:15], 0
.LBB46_2169:
	s_andn2_b64 vcc, exec, s[14:15]
	s_cbranch_vccnz .LBB46_2175
; %bb.2170:
	global_load_ubyte v5, v[7:8], off
	s_movk_i32 s14, 0x7f
	s_mov_b64 s[20:21], 0
	s_waitcnt vmcnt(0)
	v_cmp_lt_i16_e32 vcc, s14, v5
	s_and_saveexec_b64 s[14:15], vcc
	s_xor_b64 s[14:15], exec, s[14:15]
	s_cbranch_execz .LBB46_2187
; %bb.2171:
	s_movk_i32 s20, 0x80
	v_cmp_ne_u16_e32 vcc, s20, v5
	s_and_b64 s[20:21], vcc, exec
	s_andn2_saveexec_b64 s[14:15], s[14:15]
	s_cbranch_execnz .LBB46_2188
.LBB46_2172:
	s_or_b64 exec, exec, s[14:15]
	v_mov_b32_e32 v9, 0
	s_and_saveexec_b64 s[14:15], s[20:21]
	s_cbranch_execz .LBB46_2174
.LBB46_2173:
	v_lshlrev_b32_e32 v9, 24, v5
	v_and_b32_e32 v5, 0xffff, v5
	v_and_b32_e32 v10, 7, v5
	v_ffbh_u32_e32 v13, v10
	v_min_u32_e32 v13, 32, v13
	v_subrev_u32_e32 v15, 28, v13
	v_bfe_u32 v12, v5, 3, 4
	v_lshlrev_b32_e32 v5, v15, v5
	v_sub_u32_e32 v13, 29, v13
	v_and_b32_e32 v5, 7, v5
	v_cmp_eq_u32_e32 vcc, 0, v12
	v_cndmask_b32_e32 v12, v12, v13, vcc
	v_cndmask_b32_e32 v5, v10, v5, vcc
	v_mov_b32_e32 v10, 0x3b800000
	v_lshlrev_b32_e32 v5, 20, v5
	v_and_b32_e32 v9, 0x80000000, v9
	v_lshl_add_u32 v10, v12, 23, v10
	v_or3_b32 v5, v9, v10, v5
	v_cvt_i32_f32_e32 v9, v5
.LBB46_2174:
	s_or_b64 exec, exec, s[14:15]
.LBB46_2175:
	s_mov_b64 s[14:15], -1
.LBB46_2176:
	s_mov_b64 s[20:21], 0
.LBB46_2177:
	s_and_b64 vcc, exec, s[20:21]
	s_cbranch_vccz .LBB46_2208
; %bb.2178:
	s_cmp_gt_i32 s23, 22
	s_cbranch_scc0 .LBB46_2186
; %bb.2179:
	s_cmp_lt_i32 s23, 24
	s_cbranch_scc1 .LBB46_2189
; %bb.2180:
	s_cmp_gt_i32 s23, 24
	s_cbranch_scc0 .LBB46_2190
; %bb.2181:
	global_load_ubyte v5, v[7:8], off
	s_movk_i32 s4, 0x7f
	s_mov_b64 s[14:15], 0
	s_waitcnt vmcnt(0)
	v_cmp_lt_i16_e32 vcc, s4, v5
	s_and_saveexec_b64 s[4:5], vcc
	s_xor_b64 s[4:5], exec, s[4:5]
	s_cbranch_execz .LBB46_2202
; %bb.2182:
	s_movk_i32 s14, 0x80
	v_cmp_ne_u16_e32 vcc, s14, v5
	s_and_b64 s[14:15], vcc, exec
	s_andn2_saveexec_b64 s[4:5], s[4:5]
	s_cbranch_execnz .LBB46_2203
.LBB46_2183:
	s_or_b64 exec, exec, s[4:5]
	v_mov_b32_e32 v9, 0
	s_and_saveexec_b64 s[4:5], s[14:15]
	s_cbranch_execz .LBB46_2185
.LBB46_2184:
	v_lshlrev_b32_e32 v9, 24, v5
	v_and_b32_e32 v5, 0xffff, v5
	v_and_b32_e32 v10, 3, v5
	v_ffbh_u32_e32 v13, v10
	v_min_u32_e32 v13, 32, v13
	v_subrev_u32_e32 v15, 29, v13
	v_bfe_u32 v12, v5, 2, 5
	v_lshlrev_b32_e32 v5, v15, v5
	v_sub_u32_e32 v13, 30, v13
	v_and_b32_e32 v5, 3, v5
	v_cmp_eq_u32_e32 vcc, 0, v12
	v_cndmask_b32_e32 v12, v12, v13, vcc
	v_cndmask_b32_e32 v5, v10, v5, vcc
	v_mov_b32_e32 v10, 0x37800000
	v_lshlrev_b32_e32 v5, 21, v5
	v_and_b32_e32 v9, 0x80000000, v9
	v_lshl_add_u32 v10, v12, 23, v10
	v_or3_b32 v5, v9, v10, v5
	v_cvt_i32_f32_e32 v9, v5
.LBB46_2185:
	s_or_b64 exec, exec, s[4:5]
	s_mov_b64 s[4:5], 0
	s_branch .LBB46_2191
.LBB46_2186:
	s_mov_b64 s[4:5], -1
                                        ; implicit-def: $vgpr9
	s_branch .LBB46_2197
.LBB46_2187:
	s_andn2_saveexec_b64 s[14:15], s[14:15]
	s_cbranch_execz .LBB46_2172
.LBB46_2188:
	v_cmp_ne_u16_e32 vcc, 0, v5
	s_andn2_b64 s[20:21], s[20:21], exec
	s_and_b64 s[26:27], vcc, exec
	s_or_b64 s[20:21], s[20:21], s[26:27]
	s_or_b64 exec, exec, s[14:15]
	v_mov_b32_e32 v9, 0
	s_and_saveexec_b64 s[14:15], s[20:21]
	s_cbranch_execnz .LBB46_2173
	s_branch .LBB46_2174
.LBB46_2189:
	s_mov_b64 s[4:5], -1
                                        ; implicit-def: $vgpr9
	s_branch .LBB46_2194
.LBB46_2190:
	s_mov_b64 s[4:5], -1
                                        ; implicit-def: $vgpr9
.LBB46_2191:
	s_and_b64 vcc, exec, s[4:5]
	s_cbranch_vccz .LBB46_2193
; %bb.2192:
	global_load_ubyte v5, v[7:8], off
	s_mov_b32 s4, 0x7f800000
	s_waitcnt vmcnt(0)
	v_lshlrev_b32_e32 v5, 24, v5
	v_and_b32_e32 v9, 0x7f000000, v5
	v_ffbh_u32_e32 v10, v9
	v_min_u32_e32 v10, 32, v10
	v_sub_u32_e64 v10, v10, 4 clamp
	v_lshlrev_b32_e32 v13, v10, v9
	v_lshlrev_b32_e32 v10, 23, v10
	v_lshrrev_b32_e32 v13, 4, v13
	v_add_u32_e32 v12, 0x1000000, v9
	v_sub_u32_e32 v10, v13, v10
	v_ashrrev_i32_e32 v12, 8, v12
	v_add_u32_e32 v10, 0x3c000000, v10
	v_and_or_b32 v10, v12, s4, v10
	v_cmp_ne_u32_e32 vcc, 0, v9
	v_cndmask_b32_e32 v9, 0, v10, vcc
	s_brev_b32 s4, 1
	v_and_or_b32 v5, v5, s4, v9
	v_cvt_i32_f32_e32 v9, v5
.LBB46_2193:
	s_mov_b64 s[4:5], 0
.LBB46_2194:
	s_andn2_b64 vcc, exec, s[4:5]
	s_cbranch_vccnz .LBB46_2196
; %bb.2195:
	global_load_ubyte v5, v[7:8], off
	s_movk_i32 s4, 0x7f00
	s_brev_b32 s5, 16
	s_waitcnt vmcnt(0)
	v_lshlrev_b16_e32 v9, 8, v5
	v_lshlrev_b32_e32 v5, 25, v5
	v_lshrrev_b32_e32 v10, 4, v5
	v_and_or_b32 v12, v9, s4, 0.5
	v_or_b32_e32 v10, 0x70000000, v10
	v_add_f32_e32 v12, -0.5, v12
	v_mul_f32_e32 v10, 0x7800000, v10
	v_cmp_gt_u32_e32 vcc, s5, v5
	v_bfe_i32 v9, v9, 0, 16
	v_cndmask_b32_e32 v5, v10, v12, vcc
	s_brev_b32 s4, 1
	v_and_or_b32 v5, v9, s4, v5
	v_cvt_i32_f32_e32 v9, v5
.LBB46_2196:
	s_mov_b64 s[4:5], 0
	s_mov_b64 s[14:15], -1
.LBB46_2197:
	s_andn2_b64 vcc, exec, s[4:5]
	s_mov_b64 s[4:5], 0
	s_cbranch_vccnz .LBB46_2208
; %bb.2198:
	s_cmp_gt_i32 s23, 14
	s_cbranch_scc0 .LBB46_2201
; %bb.2199:
	s_cmp_eq_u32 s23, 15
	s_cbranch_scc0 .LBB46_2204
; %bb.2200:
	global_load_ushort v5, v[7:8], off
	s_mov_b64 s[0:1], 0
	s_mov_b64 s[14:15], -1
	s_waitcnt vmcnt(0)
	v_lshlrev_b32_e32 v5, 16, v5
	v_cvt_i32_f32_e32 v9, v5
	s_branch .LBB46_2205
.LBB46_2201:
	s_mov_b64 s[20:21], -1
                                        ; implicit-def: $vgpr9
	s_branch .LBB46_2206
.LBB46_2202:
	s_andn2_saveexec_b64 s[4:5], s[4:5]
	s_cbranch_execz .LBB46_2183
.LBB46_2203:
	v_cmp_ne_u16_e32 vcc, 0, v5
	s_andn2_b64 s[14:15], s[14:15], exec
	s_and_b64 s[20:21], vcc, exec
	s_or_b64 s[14:15], s[14:15], s[20:21]
	s_or_b64 exec, exec, s[4:5]
	v_mov_b32_e32 v9, 0
	s_and_saveexec_b64 s[4:5], s[14:15]
	s_cbranch_execnz .LBB46_2184
	s_branch .LBB46_2185
.LBB46_2204:
	s_mov_b64 s[0:1], -1
                                        ; implicit-def: $vgpr9
.LBB46_2205:
	s_mov_b64 s[20:21], 0
.LBB46_2206:
	s_and_b64 vcc, exec, s[20:21]
	s_cbranch_vccz .LBB46_2208
; %bb.2207:
	s_cmp_lg_u32 s23, 11
	s_mov_b64 s[4:5], -1
	s_cselect_b64 s[0:1], -1, 0
.LBB46_2208:
	s_and_b64 vcc, exec, s[0:1]
	s_cbranch_vccnz .LBB46_2273
; %bb.2209:
	s_andn2_b64 vcc, exec, s[4:5]
	s_cbranch_vccnz .LBB46_2211
.LBB46_2210:
	global_load_ubyte v5, v[7:8], off
	s_mov_b64 s[14:15], -1
	s_waitcnt vmcnt(0)
	v_cmp_ne_u16_e32 vcc, 0, v5
	v_cndmask_b32_e64 v9, 0, 1, vcc
.LBB46_2211:
	s_mov_b64 s[0:1], 0
.LBB46_2212:
	s_and_b64 vcc, exec, s[0:1]
	s_cbranch_vccz .LBB46_2261
; %bb.2213:
	s_and_b32 s4, 0xffff, s25
	s_cmp_lt_i32 s4, 5
	s_cbranch_scc1 .LBB46_2218
; %bb.2214:
	s_cmp_lt_i32 s4, 8
	s_cbranch_scc1 .LBB46_2219
; %bb.2215:
	;; [unrolled: 3-line block ×3, first 2 shown]
	s_cmp_gt_i32 s4, 9
	s_cbranch_scc0 .LBB46_2221
; %bb.2217:
	global_load_dwordx2 v[9:10], v[7:8], off
	s_mov_b64 s[0:1], 0
	s_waitcnt vmcnt(0)
	v_cvt_i32_f64_e32 v9, v[9:10]
	s_branch .LBB46_2222
.LBB46_2218:
	s_mov_b64 s[0:1], -1
                                        ; implicit-def: $vgpr9
	s_branch .LBB46_2240
.LBB46_2219:
	s_mov_b64 s[0:1], -1
                                        ; implicit-def: $vgpr9
	s_branch .LBB46_2228
.LBB46_2220:
	s_mov_b64 s[0:1], -1
                                        ; implicit-def: $vgpr9
	s_branch .LBB46_2225
.LBB46_2221:
	s_mov_b64 s[0:1], -1
                                        ; implicit-def: $vgpr9
.LBB46_2222:
	s_andn2_b64 vcc, exec, s[0:1]
	s_cbranch_vccnz .LBB46_2224
; %bb.2223:
	global_load_dword v5, v[7:8], off
	s_waitcnt vmcnt(0)
	v_cvt_i32_f32_e32 v9, v5
.LBB46_2224:
	s_mov_b64 s[0:1], 0
.LBB46_2225:
	s_andn2_b64 vcc, exec, s[0:1]
	s_cbranch_vccnz .LBB46_2227
; %bb.2226:
	global_load_dword v5, v[7:8], off
	s_waitcnt vmcnt(0)
	v_cvt_i16_f16_e32 v9, v5
.LBB46_2227:
	s_mov_b64 s[0:1], 0
.LBB46_2228:
	s_andn2_b64 vcc, exec, s[0:1]
	s_cbranch_vccnz .LBB46_2239
; %bb.2229:
	s_cmp_lt_i32 s4, 6
	s_cbranch_scc1 .LBB46_2232
; %bb.2230:
	s_cmp_gt_i32 s4, 6
	s_cbranch_scc0 .LBB46_2233
; %bb.2231:
	global_load_dwordx2 v[9:10], v[7:8], off
	s_mov_b64 s[0:1], 0
	s_waitcnt vmcnt(0)
	v_cvt_i32_f64_e32 v9, v[9:10]
	s_branch .LBB46_2234
.LBB46_2232:
	s_mov_b64 s[0:1], -1
                                        ; implicit-def: $vgpr9
	s_branch .LBB46_2237
.LBB46_2233:
	s_mov_b64 s[0:1], -1
                                        ; implicit-def: $vgpr9
.LBB46_2234:
	s_andn2_b64 vcc, exec, s[0:1]
	s_cbranch_vccnz .LBB46_2236
; %bb.2235:
	global_load_dword v5, v[7:8], off
	s_waitcnt vmcnt(0)
	v_cvt_i32_f32_e32 v9, v5
.LBB46_2236:
	s_mov_b64 s[0:1], 0
.LBB46_2237:
	s_andn2_b64 vcc, exec, s[0:1]
	s_cbranch_vccnz .LBB46_2239
; %bb.2238:
	global_load_ushort v5, v[7:8], off
	s_waitcnt vmcnt(0)
	v_cvt_i16_f16_e32 v9, v5
.LBB46_2239:
	s_mov_b64 s[0:1], 0
.LBB46_2240:
	s_andn2_b64 vcc, exec, s[0:1]
	s_cbranch_vccnz .LBB46_2260
; %bb.2241:
	s_cmp_lt_i32 s4, 2
	s_cbranch_scc1 .LBB46_2245
; %bb.2242:
	s_cmp_lt_i32 s4, 3
	s_cbranch_scc1 .LBB46_2246
; %bb.2243:
	s_cmp_gt_i32 s4, 3
	s_cbranch_scc0 .LBB46_2247
; %bb.2244:
	global_load_dwordx2 v[9:10], v[7:8], off
	s_mov_b64 s[0:1], 0
	s_branch .LBB46_2248
.LBB46_2245:
	s_mov_b64 s[0:1], -1
                                        ; implicit-def: $vgpr9
	s_branch .LBB46_2254
.LBB46_2246:
	s_mov_b64 s[0:1], -1
                                        ; implicit-def: $vgpr9
	s_branch .LBB46_2251
.LBB46_2247:
	s_mov_b64 s[0:1], -1
                                        ; implicit-def: $vgpr9
.LBB46_2248:
	s_andn2_b64 vcc, exec, s[0:1]
	s_cbranch_vccnz .LBB46_2250
; %bb.2249:
	global_load_dword v9, v[7:8], off
.LBB46_2250:
	s_mov_b64 s[0:1], 0
.LBB46_2251:
	s_andn2_b64 vcc, exec, s[0:1]
	s_cbranch_vccnz .LBB46_2253
; %bb.2252:
	global_load_ushort v9, v[7:8], off
.LBB46_2253:
	s_mov_b64 s[0:1], 0
.LBB46_2254:
	s_andn2_b64 vcc, exec, s[0:1]
	s_cbranch_vccnz .LBB46_2260
; %bb.2255:
	s_cmp_gt_i32 s4, 0
	s_cbranch_scc0 .LBB46_2257
; %bb.2256:
	global_load_ubyte v9, v[7:8], off
	s_mov_b64 s[0:1], 0
	s_branch .LBB46_2258
.LBB46_2257:
	s_mov_b64 s[0:1], -1
                                        ; implicit-def: $vgpr9
.LBB46_2258:
	s_andn2_b64 vcc, exec, s[0:1]
	s_cbranch_vccnz .LBB46_2260
; %bb.2259:
	global_load_ubyte v9, v[7:8], off
.LBB46_2260:
	s_mov_b64 s[14:15], -1
.LBB46_2261:
	s_andn2_b64 vcc, exec, s[14:15]
	s_cbranch_vccnz .LBB46_2947
; %bb.2262:
	v_add_u32_e32 v5, s13, v11
	v_ashrrev_i32_e32 v7, 31, v5
	v_mov_b32_e32 v8, s11
	s_waitcnt vmcnt(0)
	v_add_co_u32_e32 v10, vcc, s10, v5
	s_cmp_lt_i32 s24, 11
	v_addc_co_u32_e32 v11, vcc, v8, v7, vcc
	s_cbranch_scc1 .LBB46_2269
; %bb.2263:
	s_cmp_gt_i32 s24, 25
	s_mov_b64 s[4:5], 0
	s_cbranch_scc0 .LBB46_2270
; %bb.2264:
	s_cmp_gt_i32 s24, 28
	s_cbranch_scc0 .LBB46_2271
; %bb.2265:
	s_cmp_gt_i32 s24, 43
	;; [unrolled: 3-line block ×3, first 2 shown]
	s_cbranch_scc0 .LBB46_2274
; %bb.2267:
	s_cmp_eq_u32 s24, 46
	s_mov_b64 s[14:15], 0
	s_cbranch_scc0 .LBB46_2275
; %bb.2268:
	global_load_dword v5, v[10:11], off
	s_mov_b64 s[0:1], 0
	s_mov_b64 s[10:11], -1
	s_waitcnt vmcnt(0)
	v_lshlrev_b32_e32 v5, 16, v5
	v_cvt_i32_f32_e32 v7, v5
	s_branch .LBB46_2276
.LBB46_2269:
	s_mov_b64 s[0:1], -1
	s_mov_b64 s[10:11], 0
                                        ; implicit-def: $vgpr7
	s_branch .LBB46_2338
.LBB46_2270:
	s_mov_b64 s[14:15], -1
	s_mov_b64 s[10:11], 0
	s_mov_b64 s[0:1], 0
                                        ; implicit-def: $vgpr7
	s_branch .LBB46_2303
.LBB46_2271:
	s_mov_b64 s[14:15], -1
	s_mov_b64 s[10:11], 0
	s_mov_b64 s[0:1], 0
                                        ; implicit-def: $vgpr7
	s_branch .LBB46_2286
.LBB46_2272:
	s_mov_b64 s[14:15], -1
	s_mov_b64 s[10:11], 0
	s_mov_b64 s[0:1], 0
                                        ; implicit-def: $vgpr7
	s_branch .LBB46_2281
.LBB46_2273:
	s_trap 2
	s_or_b64 s[18:19], s[18:19], exec
	s_cbranch_execz .LBB46_2210
	s_branch .LBB46_2211
.LBB46_2274:
	s_mov_b64 s[14:15], -1
	s_mov_b64 s[10:11], 0
	s_mov_b64 s[0:1], 0
                                        ; implicit-def: $vgpr7
	s_branch .LBB46_2276
.LBB46_2275:
	s_mov_b64 s[0:1], -1
                                        ; implicit-def: $vgpr7
	s_mov_b64 s[10:11], 0
.LBB46_2276:
	s_and_b64 vcc, exec, s[14:15]
	s_cbranch_vccz .LBB46_2280
; %bb.2277:
	s_cmp_eq_u32 s24, 44
	s_cbranch_scc0 .LBB46_2279
; %bb.2278:
	global_load_ubyte v5, v[10:11], off
	s_mov_b64 s[0:1], 0
	s_mov_b64 s[10:11], -1
	s_waitcnt vmcnt(0)
	v_lshlrev_b32_e32 v7, 23, v5
	v_cvt_i32_f32_e32 v7, v7
	v_cmp_ne_u32_e32 vcc, 0, v5
	v_cndmask_b32_e32 v7, 0, v7, vcc
	s_branch .LBB46_2280
.LBB46_2279:
	s_mov_b64 s[0:1], -1
                                        ; implicit-def: $vgpr7
.LBB46_2280:
	s_mov_b64 s[14:15], 0
.LBB46_2281:
	s_and_b64 vcc, exec, s[14:15]
	s_cbranch_vccz .LBB46_2285
; %bb.2282:
	s_cmp_eq_u32 s24, 29
	s_cbranch_scc0 .LBB46_2284
; %bb.2283:
	global_load_dwordx2 v[7:8], v[10:11], off
	s_mov_b64 s[0:1], 0
	s_mov_b64 s[10:11], -1
	s_branch .LBB46_2285
.LBB46_2284:
	s_mov_b64 s[0:1], -1
                                        ; implicit-def: $vgpr7
.LBB46_2285:
	s_mov_b64 s[14:15], 0
.LBB46_2286:
	s_and_b64 vcc, exec, s[14:15]
	s_cbranch_vccz .LBB46_2302
; %bb.2287:
	s_cmp_lt_i32 s24, 27
	s_cbranch_scc1 .LBB46_2290
; %bb.2288:
	s_cmp_gt_i32 s24, 27
	s_cbranch_scc0 .LBB46_2291
; %bb.2289:
	global_load_dword v7, v[10:11], off
	s_mov_b64 s[10:11], 0
	s_branch .LBB46_2292
.LBB46_2290:
	s_mov_b64 s[10:11], -1
                                        ; implicit-def: $vgpr7
	s_branch .LBB46_2295
.LBB46_2291:
	s_mov_b64 s[10:11], -1
                                        ; implicit-def: $vgpr7
.LBB46_2292:
	s_andn2_b64 vcc, exec, s[10:11]
	s_cbranch_vccnz .LBB46_2294
; %bb.2293:
	global_load_ushort v7, v[10:11], off
.LBB46_2294:
	s_mov_b64 s[10:11], 0
.LBB46_2295:
	s_andn2_b64 vcc, exec, s[10:11]
	s_cbranch_vccnz .LBB46_2301
; %bb.2296:
	global_load_ubyte v5, v[10:11], off
	s_movk_i32 s10, 0x7f
	s_mov_b64 s[14:15], 0
	s_waitcnt vmcnt(0)
	v_cmp_lt_i16_e32 vcc, s10, v5
	s_and_saveexec_b64 s[10:11], vcc
	s_xor_b64 s[10:11], exec, s[10:11]
	s_cbranch_execz .LBB46_2313
; %bb.2297:
	s_movk_i32 s13, 0x80
	v_cmp_ne_u16_e32 vcc, s13, v5
	s_and_b64 s[14:15], vcc, exec
	s_andn2_saveexec_b64 s[10:11], s[10:11]
	s_cbranch_execnz .LBB46_2314
.LBB46_2298:
	s_or_b64 exec, exec, s[10:11]
	v_mov_b32_e32 v7, 0
	s_and_saveexec_b64 s[10:11], s[14:15]
	s_cbranch_execz .LBB46_2300
.LBB46_2299:
	v_lshlrev_b32_e32 v7, 24, v5
	v_and_b32_e32 v5, 0xffff, v5
	v_and_b32_e32 v8, 7, v5
	v_ffbh_u32_e32 v13, v8
	v_min_u32_e32 v13, 32, v13
	v_subrev_u32_e32 v15, 28, v13
	v_bfe_u32 v12, v5, 3, 4
	v_lshlrev_b32_e32 v5, v15, v5
	v_sub_u32_e32 v13, 29, v13
	v_and_b32_e32 v5, 7, v5
	v_cmp_eq_u32_e32 vcc, 0, v12
	v_cndmask_b32_e32 v12, v12, v13, vcc
	v_cndmask_b32_e32 v5, v8, v5, vcc
	v_mov_b32_e32 v8, 0x3b800000
	v_lshlrev_b32_e32 v5, 20, v5
	v_and_b32_e32 v7, 0x80000000, v7
	v_lshl_add_u32 v8, v12, 23, v8
	v_or3_b32 v5, v7, v8, v5
	v_cvt_i32_f32_e32 v7, v5
.LBB46_2300:
	s_or_b64 exec, exec, s[10:11]
.LBB46_2301:
	s_mov_b64 s[10:11], -1
.LBB46_2302:
	s_mov_b64 s[14:15], 0
.LBB46_2303:
	s_and_b64 vcc, exec, s[14:15]
	s_cbranch_vccz .LBB46_2334
; %bb.2304:
	s_cmp_gt_i32 s24, 22
	s_cbranch_scc0 .LBB46_2312
; %bb.2305:
	s_cmp_lt_i32 s24, 24
	s_cbranch_scc1 .LBB46_2315
; %bb.2306:
	s_cmp_gt_i32 s24, 24
	s_cbranch_scc0 .LBB46_2316
; %bb.2307:
	global_load_ubyte v5, v[10:11], off
	s_movk_i32 s4, 0x7f
	s_mov_b64 s[10:11], 0
	s_waitcnt vmcnt(0)
	v_cmp_lt_i16_e32 vcc, s4, v5
	s_and_saveexec_b64 s[4:5], vcc
	s_xor_b64 s[4:5], exec, s[4:5]
	s_cbranch_execz .LBB46_2328
; %bb.2308:
	s_movk_i32 s10, 0x80
	v_cmp_ne_u16_e32 vcc, s10, v5
	s_and_b64 s[10:11], vcc, exec
	s_andn2_saveexec_b64 s[4:5], s[4:5]
	s_cbranch_execnz .LBB46_2329
.LBB46_2309:
	s_or_b64 exec, exec, s[4:5]
	v_mov_b32_e32 v7, 0
	s_and_saveexec_b64 s[4:5], s[10:11]
	s_cbranch_execz .LBB46_2311
.LBB46_2310:
	v_lshlrev_b32_e32 v7, 24, v5
	v_and_b32_e32 v5, 0xffff, v5
	v_and_b32_e32 v8, 3, v5
	v_ffbh_u32_e32 v13, v8
	v_min_u32_e32 v13, 32, v13
	v_subrev_u32_e32 v15, 29, v13
	v_bfe_u32 v12, v5, 2, 5
	v_lshlrev_b32_e32 v5, v15, v5
	v_sub_u32_e32 v13, 30, v13
	v_and_b32_e32 v5, 3, v5
	v_cmp_eq_u32_e32 vcc, 0, v12
	v_cndmask_b32_e32 v12, v12, v13, vcc
	v_cndmask_b32_e32 v5, v8, v5, vcc
	v_mov_b32_e32 v8, 0x37800000
	v_lshlrev_b32_e32 v5, 21, v5
	v_and_b32_e32 v7, 0x80000000, v7
	v_lshl_add_u32 v8, v12, 23, v8
	v_or3_b32 v5, v7, v8, v5
	v_cvt_i32_f32_e32 v7, v5
.LBB46_2311:
	s_or_b64 exec, exec, s[4:5]
	s_mov_b64 s[4:5], 0
	s_branch .LBB46_2317
.LBB46_2312:
	s_mov_b64 s[4:5], -1
                                        ; implicit-def: $vgpr7
	s_branch .LBB46_2323
.LBB46_2313:
	s_andn2_saveexec_b64 s[10:11], s[10:11]
	s_cbranch_execz .LBB46_2298
.LBB46_2314:
	v_cmp_ne_u16_e32 vcc, 0, v5
	s_andn2_b64 s[14:15], s[14:15], exec
	s_and_b64 s[20:21], vcc, exec
	s_or_b64 s[14:15], s[14:15], s[20:21]
	s_or_b64 exec, exec, s[10:11]
	v_mov_b32_e32 v7, 0
	s_and_saveexec_b64 s[10:11], s[14:15]
	s_cbranch_execnz .LBB46_2299
	s_branch .LBB46_2300
.LBB46_2315:
	s_mov_b64 s[4:5], -1
                                        ; implicit-def: $vgpr7
	s_branch .LBB46_2320
.LBB46_2316:
	s_mov_b64 s[4:5], -1
                                        ; implicit-def: $vgpr7
.LBB46_2317:
	s_and_b64 vcc, exec, s[4:5]
	s_cbranch_vccz .LBB46_2319
; %bb.2318:
	global_load_ubyte v5, v[10:11], off
	s_mov_b32 s4, 0x7f800000
	s_waitcnt vmcnt(0)
	v_lshlrev_b32_e32 v5, 24, v5
	v_and_b32_e32 v7, 0x7f000000, v5
	v_ffbh_u32_e32 v8, v7
	v_min_u32_e32 v8, 32, v8
	v_sub_u32_e64 v8, v8, 4 clamp
	v_lshlrev_b32_e32 v13, v8, v7
	v_lshlrev_b32_e32 v8, 23, v8
	v_lshrrev_b32_e32 v13, 4, v13
	v_add_u32_e32 v12, 0x1000000, v7
	v_sub_u32_e32 v8, v13, v8
	v_ashrrev_i32_e32 v12, 8, v12
	v_add_u32_e32 v8, 0x3c000000, v8
	v_and_or_b32 v8, v12, s4, v8
	v_cmp_ne_u32_e32 vcc, 0, v7
	v_cndmask_b32_e32 v7, 0, v8, vcc
	s_brev_b32 s4, 1
	v_and_or_b32 v5, v5, s4, v7
	v_cvt_i32_f32_e32 v7, v5
.LBB46_2319:
	s_mov_b64 s[4:5], 0
.LBB46_2320:
	s_andn2_b64 vcc, exec, s[4:5]
	s_cbranch_vccnz .LBB46_2322
; %bb.2321:
	global_load_ubyte v5, v[10:11], off
	s_movk_i32 s4, 0x7f00
	s_brev_b32 s5, 16
	s_waitcnt vmcnt(0)
	v_lshlrev_b16_e32 v7, 8, v5
	v_lshlrev_b32_e32 v5, 25, v5
	v_lshrrev_b32_e32 v8, 4, v5
	v_and_or_b32 v12, v7, s4, 0.5
	v_or_b32_e32 v8, 0x70000000, v8
	v_add_f32_e32 v12, -0.5, v12
	v_mul_f32_e32 v8, 0x7800000, v8
	v_cmp_gt_u32_e32 vcc, s5, v5
	v_bfe_i32 v7, v7, 0, 16
	v_cndmask_b32_e32 v5, v8, v12, vcc
	s_brev_b32 s4, 1
	v_and_or_b32 v5, v7, s4, v5
	v_cvt_i32_f32_e32 v7, v5
.LBB46_2322:
	s_mov_b64 s[4:5], 0
	s_mov_b64 s[10:11], -1
.LBB46_2323:
	s_andn2_b64 vcc, exec, s[4:5]
	s_mov_b64 s[4:5], 0
	s_cbranch_vccnz .LBB46_2334
; %bb.2324:
	s_cmp_gt_i32 s24, 14
	s_cbranch_scc0 .LBB46_2327
; %bb.2325:
	s_cmp_eq_u32 s24, 15
	s_cbranch_scc0 .LBB46_2330
; %bb.2326:
	global_load_ushort v5, v[10:11], off
	s_mov_b64 s[0:1], 0
	s_mov_b64 s[10:11], -1
	s_waitcnt vmcnt(0)
	v_lshlrev_b32_e32 v5, 16, v5
	v_cvt_i32_f32_e32 v7, v5
	s_branch .LBB46_2331
.LBB46_2327:
	s_mov_b64 s[14:15], -1
                                        ; implicit-def: $vgpr7
	s_branch .LBB46_2332
.LBB46_2328:
	s_andn2_saveexec_b64 s[4:5], s[4:5]
	s_cbranch_execz .LBB46_2309
.LBB46_2329:
	v_cmp_ne_u16_e32 vcc, 0, v5
	s_andn2_b64 s[10:11], s[10:11], exec
	s_and_b64 s[14:15], vcc, exec
	s_or_b64 s[10:11], s[10:11], s[14:15]
	s_or_b64 exec, exec, s[4:5]
	v_mov_b32_e32 v7, 0
	s_and_saveexec_b64 s[4:5], s[10:11]
	s_cbranch_execnz .LBB46_2310
	s_branch .LBB46_2311
.LBB46_2330:
	s_mov_b64 s[0:1], -1
                                        ; implicit-def: $vgpr7
.LBB46_2331:
	s_mov_b64 s[14:15], 0
.LBB46_2332:
	s_and_b64 vcc, exec, s[14:15]
	s_cbranch_vccz .LBB46_2334
; %bb.2333:
	s_cmp_lg_u32 s24, 11
	s_mov_b64 s[4:5], -1
	s_cselect_b64 s[0:1], -1, 0
.LBB46_2334:
	s_and_b64 vcc, exec, s[0:1]
	s_cbranch_vccnz .LBB46_2399
; %bb.2335:
	s_andn2_b64 vcc, exec, s[4:5]
	s_cbranch_vccnz .LBB46_2337
.LBB46_2336:
	global_load_ubyte v5, v[10:11], off
	s_mov_b64 s[10:11], -1
	s_waitcnt vmcnt(0)
	v_cmp_ne_u16_e32 vcc, 0, v5
	v_cndmask_b32_e64 v7, 0, 1, vcc
.LBB46_2337:
	s_mov_b64 s[0:1], 0
.LBB46_2338:
	s_and_b64 vcc, exec, s[0:1]
	s_cbranch_vccz .LBB46_2387
; %bb.2339:
	s_cmp_lt_i32 s24, 5
	s_cbranch_scc1 .LBB46_2344
; %bb.2340:
	s_cmp_lt_i32 s24, 8
	s_cbranch_scc1 .LBB46_2345
	;; [unrolled: 3-line block ×3, first 2 shown]
; %bb.2342:
	s_cmp_gt_i32 s24, 9
	s_cbranch_scc0 .LBB46_2347
; %bb.2343:
	global_load_dwordx2 v[7:8], v[10:11], off
	s_mov_b64 s[0:1], 0
	s_waitcnt vmcnt(0)
	v_cvt_i32_f64_e32 v7, v[7:8]
	s_branch .LBB46_2348
.LBB46_2344:
	s_mov_b64 s[0:1], -1
                                        ; implicit-def: $vgpr7
	s_branch .LBB46_2366
.LBB46_2345:
	s_mov_b64 s[0:1], -1
                                        ; implicit-def: $vgpr7
	s_branch .LBB46_2354
.LBB46_2346:
	s_mov_b64 s[0:1], -1
                                        ; implicit-def: $vgpr7
	s_branch .LBB46_2351
.LBB46_2347:
	s_mov_b64 s[0:1], -1
                                        ; implicit-def: $vgpr7
.LBB46_2348:
	s_andn2_b64 vcc, exec, s[0:1]
	s_cbranch_vccnz .LBB46_2350
; %bb.2349:
	global_load_dword v5, v[10:11], off
	s_waitcnt vmcnt(0)
	v_cvt_i32_f32_e32 v7, v5
.LBB46_2350:
	s_mov_b64 s[0:1], 0
.LBB46_2351:
	s_andn2_b64 vcc, exec, s[0:1]
	s_cbranch_vccnz .LBB46_2353
; %bb.2352:
	global_load_dword v5, v[10:11], off
	s_waitcnt vmcnt(0)
	v_cvt_i16_f16_e32 v7, v5
.LBB46_2353:
	s_mov_b64 s[0:1], 0
.LBB46_2354:
	s_andn2_b64 vcc, exec, s[0:1]
	s_cbranch_vccnz .LBB46_2365
; %bb.2355:
	s_cmp_lt_i32 s24, 6
	s_cbranch_scc1 .LBB46_2358
; %bb.2356:
	s_cmp_gt_i32 s24, 6
	s_cbranch_scc0 .LBB46_2359
; %bb.2357:
	global_load_dwordx2 v[7:8], v[10:11], off
	s_mov_b64 s[0:1], 0
	s_waitcnt vmcnt(0)
	v_cvt_i32_f64_e32 v7, v[7:8]
	s_branch .LBB46_2360
.LBB46_2358:
	s_mov_b64 s[0:1], -1
                                        ; implicit-def: $vgpr7
	s_branch .LBB46_2363
.LBB46_2359:
	s_mov_b64 s[0:1], -1
                                        ; implicit-def: $vgpr7
.LBB46_2360:
	s_andn2_b64 vcc, exec, s[0:1]
	s_cbranch_vccnz .LBB46_2362
; %bb.2361:
	global_load_dword v5, v[10:11], off
	s_waitcnt vmcnt(0)
	v_cvt_i32_f32_e32 v7, v5
.LBB46_2362:
	s_mov_b64 s[0:1], 0
.LBB46_2363:
	s_andn2_b64 vcc, exec, s[0:1]
	s_cbranch_vccnz .LBB46_2365
; %bb.2364:
	global_load_ushort v5, v[10:11], off
	s_waitcnt vmcnt(0)
	v_cvt_i16_f16_e32 v7, v5
.LBB46_2365:
	s_mov_b64 s[0:1], 0
.LBB46_2366:
	s_andn2_b64 vcc, exec, s[0:1]
	s_cbranch_vccnz .LBB46_2386
; %bb.2367:
	s_cmp_lt_i32 s24, 2
	s_cbranch_scc1 .LBB46_2371
; %bb.2368:
	s_cmp_lt_i32 s24, 3
	s_cbranch_scc1 .LBB46_2372
; %bb.2369:
	s_cmp_gt_i32 s24, 3
	s_cbranch_scc0 .LBB46_2373
; %bb.2370:
	global_load_dwordx2 v[7:8], v[10:11], off
	s_mov_b64 s[0:1], 0
	s_branch .LBB46_2374
.LBB46_2371:
	s_mov_b64 s[0:1], -1
                                        ; implicit-def: $vgpr7
	s_branch .LBB46_2380
.LBB46_2372:
	s_mov_b64 s[0:1], -1
                                        ; implicit-def: $vgpr7
	s_branch .LBB46_2377
.LBB46_2373:
	s_mov_b64 s[0:1], -1
                                        ; implicit-def: $vgpr7
.LBB46_2374:
	s_andn2_b64 vcc, exec, s[0:1]
	s_cbranch_vccnz .LBB46_2376
; %bb.2375:
	global_load_dword v7, v[10:11], off
.LBB46_2376:
	s_mov_b64 s[0:1], 0
.LBB46_2377:
	s_andn2_b64 vcc, exec, s[0:1]
	s_cbranch_vccnz .LBB46_2379
; %bb.2378:
	global_load_ushort v7, v[10:11], off
.LBB46_2379:
	s_mov_b64 s[0:1], 0
.LBB46_2380:
	s_andn2_b64 vcc, exec, s[0:1]
	s_cbranch_vccnz .LBB46_2386
; %bb.2381:
	s_cmp_gt_i32 s24, 0
	s_cbranch_scc0 .LBB46_2383
; %bb.2382:
	global_load_ubyte v7, v[10:11], off
	s_mov_b64 s[0:1], 0
	s_branch .LBB46_2384
.LBB46_2383:
	s_mov_b64 s[0:1], -1
                                        ; implicit-def: $vgpr7
.LBB46_2384:
	s_andn2_b64 vcc, exec, s[0:1]
	s_cbranch_vccnz .LBB46_2386
; %bb.2385:
	global_load_ubyte v7, v[10:11], off
.LBB46_2386:
	s_mov_b64 s[10:11], -1
.LBB46_2387:
	s_andn2_b64 vcc, exec, s[10:11]
	s_cbranch_vccnz .LBB46_2947
; %bb.2388:
	v_add_u32_e32 v2, s22, v2
	v_ashrrev_i32_e32 v5, 31, v2
	s_waitcnt vmcnt(0)
	v_mov_b32_e32 v8, s3
	v_add_co_u32_e32 v12, vcc, s2, v2
	s_cmp_lt_i32 s25, 11
	v_addc_co_u32_e32 v13, vcc, v8, v5, vcc
	s_cbranch_scc1 .LBB46_2395
; %bb.2389:
	s_and_b32 s13, 0xffff, s25
	s_cmp_gt_i32 s13, 25
	s_mov_b64 s[2:3], 0
	s_cbranch_scc0 .LBB46_2396
; %bb.2390:
	s_cmp_gt_i32 s13, 28
	s_cbranch_scc0 .LBB46_2397
; %bb.2391:
	s_cmp_gt_i32 s13, 43
	;; [unrolled: 3-line block ×3, first 2 shown]
	s_cbranch_scc0 .LBB46_2400
; %bb.2393:
	s_cmp_eq_u32 s13, 46
	s_mov_b64 s[10:11], 0
	s_cbranch_scc0 .LBB46_2401
; %bb.2394:
	global_load_dword v2, v[12:13], off
	s_mov_b64 s[0:1], 0
	s_mov_b64 s[4:5], -1
	s_waitcnt vmcnt(0)
	v_lshlrev_b32_e32 v2, 16, v2
	v_cvt_i32_f32_e32 v10, v2
	s_branch .LBB46_2402
.LBB46_2395:
	s_mov_b64 s[0:1], -1
	s_mov_b64 s[4:5], 0
                                        ; implicit-def: $vgpr10
	s_branch .LBB46_2464
.LBB46_2396:
	s_mov_b64 s[10:11], -1
	s_mov_b64 s[4:5], 0
	s_mov_b64 s[0:1], 0
                                        ; implicit-def: $vgpr10
	s_branch .LBB46_2429
.LBB46_2397:
	s_mov_b64 s[10:11], -1
	s_mov_b64 s[4:5], 0
	s_mov_b64 s[0:1], 0
                                        ; implicit-def: $vgpr10
	s_branch .LBB46_2412
.LBB46_2398:
	s_mov_b64 s[10:11], -1
	s_mov_b64 s[4:5], 0
	s_mov_b64 s[0:1], 0
                                        ; implicit-def: $vgpr10
	s_branch .LBB46_2407
.LBB46_2399:
	s_trap 2
	s_or_b64 s[18:19], s[18:19], exec
	s_cbranch_execz .LBB46_2336
	s_branch .LBB46_2337
.LBB46_2400:
	s_mov_b64 s[10:11], -1
	s_mov_b64 s[4:5], 0
	s_mov_b64 s[0:1], 0
                                        ; implicit-def: $vgpr10
	s_branch .LBB46_2402
.LBB46_2401:
	s_mov_b64 s[0:1], -1
                                        ; implicit-def: $vgpr10
	s_mov_b64 s[4:5], 0
.LBB46_2402:
	s_and_b64 vcc, exec, s[10:11]
	s_cbranch_vccz .LBB46_2406
; %bb.2403:
	s_cmp_eq_u32 s13, 44
	s_cbranch_scc0 .LBB46_2405
; %bb.2404:
	global_load_ubyte v2, v[12:13], off
	s_mov_b64 s[0:1], 0
	s_mov_b64 s[4:5], -1
	s_waitcnt vmcnt(0)
	v_lshlrev_b32_e32 v5, 23, v2
	v_cvt_i32_f32_e32 v5, v5
	v_cmp_ne_u32_e32 vcc, 0, v2
	v_cndmask_b32_e32 v10, 0, v5, vcc
	s_branch .LBB46_2406
.LBB46_2405:
	s_mov_b64 s[0:1], -1
                                        ; implicit-def: $vgpr10
.LBB46_2406:
	s_mov_b64 s[10:11], 0
.LBB46_2407:
	s_and_b64 vcc, exec, s[10:11]
	s_cbranch_vccz .LBB46_2411
; %bb.2408:
	s_cmp_eq_u32 s13, 29
	s_cbranch_scc0 .LBB46_2410
; %bb.2409:
	global_load_dwordx2 v[10:11], v[12:13], off
	s_mov_b64 s[0:1], 0
	s_mov_b64 s[4:5], -1
	s_branch .LBB46_2411
.LBB46_2410:
	s_mov_b64 s[0:1], -1
                                        ; implicit-def: $vgpr10
.LBB46_2411:
	s_mov_b64 s[10:11], 0
.LBB46_2412:
	s_and_b64 vcc, exec, s[10:11]
	s_cbranch_vccz .LBB46_2428
; %bb.2413:
	s_cmp_lt_i32 s13, 27
	s_cbranch_scc1 .LBB46_2416
; %bb.2414:
	s_cmp_gt_i32 s13, 27
	s_cbranch_scc0 .LBB46_2417
; %bb.2415:
	global_load_dword v10, v[12:13], off
	s_mov_b64 s[4:5], 0
	s_branch .LBB46_2418
.LBB46_2416:
	s_mov_b64 s[4:5], -1
                                        ; implicit-def: $vgpr10
	s_branch .LBB46_2421
.LBB46_2417:
	s_mov_b64 s[4:5], -1
                                        ; implicit-def: $vgpr10
.LBB46_2418:
	s_andn2_b64 vcc, exec, s[4:5]
	s_cbranch_vccnz .LBB46_2420
; %bb.2419:
	global_load_ushort v10, v[12:13], off
.LBB46_2420:
	s_mov_b64 s[4:5], 0
.LBB46_2421:
	s_andn2_b64 vcc, exec, s[4:5]
	s_cbranch_vccnz .LBB46_2427
; %bb.2422:
	global_load_ubyte v2, v[12:13], off
	s_movk_i32 s4, 0x7f
	s_mov_b64 s[10:11], 0
	s_waitcnt vmcnt(0)
	v_cmp_lt_i16_e32 vcc, s4, v2
	s_and_saveexec_b64 s[4:5], vcc
	s_xor_b64 s[4:5], exec, s[4:5]
	s_cbranch_execz .LBB46_2439
; %bb.2423:
	s_movk_i32 s10, 0x80
	v_cmp_ne_u16_e32 vcc, s10, v2
	s_and_b64 s[10:11], vcc, exec
	s_andn2_saveexec_b64 s[4:5], s[4:5]
	s_cbranch_execnz .LBB46_2440
.LBB46_2424:
	s_or_b64 exec, exec, s[4:5]
	v_mov_b32_e32 v10, 0
	s_and_saveexec_b64 s[4:5], s[10:11]
	s_cbranch_execz .LBB46_2426
.LBB46_2425:
	v_lshlrev_b32_e32 v5, 24, v2
	v_and_b32_e32 v2, 0xffff, v2
	v_and_b32_e32 v8, 7, v2
	v_ffbh_u32_e32 v11, v8
	v_min_u32_e32 v11, 32, v11
	v_subrev_u32_e32 v15, 28, v11
	v_bfe_u32 v10, v2, 3, 4
	v_lshlrev_b32_e32 v2, v15, v2
	v_sub_u32_e32 v11, 29, v11
	v_and_b32_e32 v2, 7, v2
	v_cmp_eq_u32_e32 vcc, 0, v10
	v_cndmask_b32_e32 v10, v10, v11, vcc
	v_cndmask_b32_e32 v2, v8, v2, vcc
	v_mov_b32_e32 v8, 0x3b800000
	v_lshlrev_b32_e32 v2, 20, v2
	v_and_b32_e32 v5, 0x80000000, v5
	v_lshl_add_u32 v8, v10, 23, v8
	v_or3_b32 v2, v5, v8, v2
	v_cvt_i32_f32_e32 v10, v2
.LBB46_2426:
	s_or_b64 exec, exec, s[4:5]
.LBB46_2427:
	s_mov_b64 s[4:5], -1
.LBB46_2428:
	s_mov_b64 s[10:11], 0
.LBB46_2429:
	s_and_b64 vcc, exec, s[10:11]
	s_cbranch_vccz .LBB46_2460
; %bb.2430:
	s_cmp_gt_i32 s13, 22
	s_cbranch_scc0 .LBB46_2438
; %bb.2431:
	s_cmp_lt_i32 s13, 24
	s_cbranch_scc1 .LBB46_2441
; %bb.2432:
	s_cmp_gt_i32 s13, 24
	s_cbranch_scc0 .LBB46_2442
; %bb.2433:
	global_load_ubyte v2, v[12:13], off
	s_movk_i32 s2, 0x7f
	s_mov_b64 s[4:5], 0
	s_waitcnt vmcnt(0)
	v_cmp_lt_i16_e32 vcc, s2, v2
	s_and_saveexec_b64 s[2:3], vcc
	s_xor_b64 s[2:3], exec, s[2:3]
	s_cbranch_execz .LBB46_2454
; %bb.2434:
	s_movk_i32 s4, 0x80
	v_cmp_ne_u16_e32 vcc, s4, v2
	s_and_b64 s[4:5], vcc, exec
	s_andn2_saveexec_b64 s[2:3], s[2:3]
	s_cbranch_execnz .LBB46_2455
.LBB46_2435:
	s_or_b64 exec, exec, s[2:3]
	v_mov_b32_e32 v10, 0
	s_and_saveexec_b64 s[2:3], s[4:5]
	s_cbranch_execz .LBB46_2437
.LBB46_2436:
	v_lshlrev_b32_e32 v5, 24, v2
	v_and_b32_e32 v2, 0xffff, v2
	v_and_b32_e32 v8, 3, v2
	v_ffbh_u32_e32 v11, v8
	v_min_u32_e32 v11, 32, v11
	v_subrev_u32_e32 v15, 29, v11
	v_bfe_u32 v10, v2, 2, 5
	v_lshlrev_b32_e32 v2, v15, v2
	v_sub_u32_e32 v11, 30, v11
	v_and_b32_e32 v2, 3, v2
	v_cmp_eq_u32_e32 vcc, 0, v10
	v_cndmask_b32_e32 v10, v10, v11, vcc
	v_cndmask_b32_e32 v2, v8, v2, vcc
	v_mov_b32_e32 v8, 0x37800000
	v_lshlrev_b32_e32 v2, 21, v2
	v_and_b32_e32 v5, 0x80000000, v5
	v_lshl_add_u32 v8, v10, 23, v8
	v_or3_b32 v2, v5, v8, v2
	v_cvt_i32_f32_e32 v10, v2
.LBB46_2437:
	s_or_b64 exec, exec, s[2:3]
	s_mov_b64 s[2:3], 0
	s_branch .LBB46_2443
.LBB46_2438:
	s_mov_b64 s[2:3], -1
                                        ; implicit-def: $vgpr10
	s_branch .LBB46_2449
.LBB46_2439:
	s_andn2_saveexec_b64 s[4:5], s[4:5]
	s_cbranch_execz .LBB46_2424
.LBB46_2440:
	v_cmp_ne_u16_e32 vcc, 0, v2
	s_andn2_b64 s[10:11], s[10:11], exec
	s_and_b64 s[14:15], vcc, exec
	s_or_b64 s[10:11], s[10:11], s[14:15]
	s_or_b64 exec, exec, s[4:5]
	v_mov_b32_e32 v10, 0
	s_and_saveexec_b64 s[4:5], s[10:11]
	s_cbranch_execnz .LBB46_2425
	s_branch .LBB46_2426
.LBB46_2441:
	s_mov_b64 s[2:3], -1
                                        ; implicit-def: $vgpr10
	s_branch .LBB46_2446
.LBB46_2442:
	s_mov_b64 s[2:3], -1
                                        ; implicit-def: $vgpr10
.LBB46_2443:
	s_and_b64 vcc, exec, s[2:3]
	s_cbranch_vccz .LBB46_2445
; %bb.2444:
	global_load_ubyte v2, v[12:13], off
	s_mov_b32 s2, 0x7f800000
	s_waitcnt vmcnt(0)
	v_lshlrev_b32_e32 v2, 24, v2
	v_and_b32_e32 v5, 0x7f000000, v2
	v_ffbh_u32_e32 v8, v5
	v_min_u32_e32 v8, 32, v8
	v_sub_u32_e64 v8, v8, 4 clamp
	v_lshlrev_b32_e32 v11, v8, v5
	v_lshlrev_b32_e32 v8, 23, v8
	v_lshrrev_b32_e32 v11, 4, v11
	v_add_u32_e32 v10, 0x1000000, v5
	v_sub_u32_e32 v8, v11, v8
	v_ashrrev_i32_e32 v10, 8, v10
	v_add_u32_e32 v8, 0x3c000000, v8
	v_and_or_b32 v8, v10, s2, v8
	v_cmp_ne_u32_e32 vcc, 0, v5
	v_cndmask_b32_e32 v5, 0, v8, vcc
	s_brev_b32 s2, 1
	v_and_or_b32 v2, v2, s2, v5
	v_cvt_i32_f32_e32 v10, v2
.LBB46_2445:
	s_mov_b64 s[2:3], 0
.LBB46_2446:
	s_andn2_b64 vcc, exec, s[2:3]
	s_cbranch_vccnz .LBB46_2448
; %bb.2447:
	global_load_ubyte v2, v[12:13], off
	s_movk_i32 s2, 0x7f00
	s_brev_b32 s3, 16
	s_waitcnt vmcnt(0)
	v_lshlrev_b16_e32 v5, 8, v2
	v_lshlrev_b32_e32 v2, 25, v2
	v_lshrrev_b32_e32 v8, 4, v2
	v_and_or_b32 v10, v5, s2, 0.5
	v_or_b32_e32 v8, 0x70000000, v8
	v_add_f32_e32 v10, -0.5, v10
	v_mul_f32_e32 v8, 0x7800000, v8
	v_cmp_gt_u32_e32 vcc, s3, v2
	v_bfe_i32 v5, v5, 0, 16
	v_cndmask_b32_e32 v2, v8, v10, vcc
	s_brev_b32 s2, 1
	v_and_or_b32 v2, v5, s2, v2
	v_cvt_i32_f32_e32 v10, v2
.LBB46_2448:
	s_mov_b64 s[2:3], 0
	s_mov_b64 s[4:5], -1
.LBB46_2449:
	s_andn2_b64 vcc, exec, s[2:3]
	s_mov_b64 s[2:3], 0
	s_cbranch_vccnz .LBB46_2460
; %bb.2450:
	s_cmp_gt_i32 s13, 14
	s_cbranch_scc0 .LBB46_2453
; %bb.2451:
	s_cmp_eq_u32 s13, 15
	s_cbranch_scc0 .LBB46_2456
; %bb.2452:
	global_load_ushort v2, v[12:13], off
	s_mov_b64 s[0:1], 0
	s_mov_b64 s[4:5], -1
	s_waitcnt vmcnt(0)
	v_lshlrev_b32_e32 v2, 16, v2
	v_cvt_i32_f32_e32 v10, v2
	s_branch .LBB46_2457
.LBB46_2453:
	s_mov_b64 s[10:11], -1
                                        ; implicit-def: $vgpr10
	s_branch .LBB46_2458
.LBB46_2454:
	s_andn2_saveexec_b64 s[2:3], s[2:3]
	s_cbranch_execz .LBB46_2435
.LBB46_2455:
	v_cmp_ne_u16_e32 vcc, 0, v2
	s_andn2_b64 s[4:5], s[4:5], exec
	s_and_b64 s[10:11], vcc, exec
	s_or_b64 s[4:5], s[4:5], s[10:11]
	s_or_b64 exec, exec, s[2:3]
	v_mov_b32_e32 v10, 0
	s_and_saveexec_b64 s[2:3], s[4:5]
	s_cbranch_execnz .LBB46_2436
	s_branch .LBB46_2437
.LBB46_2456:
	s_mov_b64 s[0:1], -1
                                        ; implicit-def: $vgpr10
.LBB46_2457:
	s_mov_b64 s[10:11], 0
.LBB46_2458:
	s_and_b64 vcc, exec, s[10:11]
	s_cbranch_vccz .LBB46_2460
; %bb.2459:
	s_cmp_lg_u32 s13, 11
	s_mov_b64 s[2:3], -1
	s_cselect_b64 s[0:1], -1, 0
.LBB46_2460:
	s_and_b64 vcc, exec, s[0:1]
	s_cbranch_vccnz .LBB46_2993
; %bb.2461:
	s_andn2_b64 vcc, exec, s[2:3]
	s_cbranch_vccnz .LBB46_2463
.LBB46_2462:
	global_load_ubyte v2, v[12:13], off
	s_mov_b64 s[4:5], -1
	s_waitcnt vmcnt(0)
	v_cmp_ne_u16_e32 vcc, 0, v2
	v_cndmask_b32_e64 v10, 0, 1, vcc
.LBB46_2463:
	s_mov_b64 s[0:1], 0
.LBB46_2464:
	s_and_b64 vcc, exec, s[0:1]
	s_cbranch_vccz .LBB46_2513
; %bb.2465:
	s_and_b32 s2, 0xffff, s25
	s_cmp_lt_i32 s2, 5
	s_cbranch_scc1 .LBB46_2470
; %bb.2466:
	s_cmp_lt_i32 s2, 8
	s_cbranch_scc1 .LBB46_2471
; %bb.2467:
	;; [unrolled: 3-line block ×3, first 2 shown]
	s_cmp_gt_i32 s2, 9
	s_cbranch_scc0 .LBB46_2473
; %bb.2469:
	global_load_dwordx2 v[10:11], v[12:13], off
	s_mov_b64 s[0:1], 0
	s_waitcnt vmcnt(0)
	v_cvt_i32_f64_e32 v10, v[10:11]
	s_branch .LBB46_2474
.LBB46_2470:
	s_mov_b64 s[0:1], -1
                                        ; implicit-def: $vgpr10
	s_branch .LBB46_2492
.LBB46_2471:
	s_mov_b64 s[0:1], -1
                                        ; implicit-def: $vgpr10
	s_branch .LBB46_2480
.LBB46_2472:
	s_mov_b64 s[0:1], -1
                                        ; implicit-def: $vgpr10
	s_branch .LBB46_2477
.LBB46_2473:
	s_mov_b64 s[0:1], -1
                                        ; implicit-def: $vgpr10
.LBB46_2474:
	s_andn2_b64 vcc, exec, s[0:1]
	s_cbranch_vccnz .LBB46_2476
; %bb.2475:
	global_load_dword v2, v[12:13], off
	s_waitcnt vmcnt(0)
	v_cvt_i32_f32_e32 v10, v2
.LBB46_2476:
	s_mov_b64 s[0:1], 0
.LBB46_2477:
	s_andn2_b64 vcc, exec, s[0:1]
	s_cbranch_vccnz .LBB46_2479
; %bb.2478:
	global_load_dword v2, v[12:13], off
	s_waitcnt vmcnt(0)
	v_cvt_i16_f16_e32 v10, v2
.LBB46_2479:
	s_mov_b64 s[0:1], 0
.LBB46_2480:
	s_andn2_b64 vcc, exec, s[0:1]
	s_cbranch_vccnz .LBB46_2491
; %bb.2481:
	s_cmp_lt_i32 s2, 6
	s_cbranch_scc1 .LBB46_2484
; %bb.2482:
	s_cmp_gt_i32 s2, 6
	s_cbranch_scc0 .LBB46_2485
; %bb.2483:
	global_load_dwordx2 v[10:11], v[12:13], off
	s_mov_b64 s[0:1], 0
	s_waitcnt vmcnt(0)
	v_cvt_i32_f64_e32 v10, v[10:11]
	s_branch .LBB46_2486
.LBB46_2484:
	s_mov_b64 s[0:1], -1
                                        ; implicit-def: $vgpr10
	s_branch .LBB46_2489
.LBB46_2485:
	s_mov_b64 s[0:1], -1
                                        ; implicit-def: $vgpr10
.LBB46_2486:
	s_andn2_b64 vcc, exec, s[0:1]
	s_cbranch_vccnz .LBB46_2488
; %bb.2487:
	global_load_dword v2, v[12:13], off
	s_waitcnt vmcnt(0)
	v_cvt_i32_f32_e32 v10, v2
.LBB46_2488:
	s_mov_b64 s[0:1], 0
.LBB46_2489:
	s_andn2_b64 vcc, exec, s[0:1]
	s_cbranch_vccnz .LBB46_2491
; %bb.2490:
	global_load_ushort v2, v[12:13], off
	s_waitcnt vmcnt(0)
	v_cvt_i16_f16_e32 v10, v2
.LBB46_2491:
	s_mov_b64 s[0:1], 0
.LBB46_2492:
	s_andn2_b64 vcc, exec, s[0:1]
	s_cbranch_vccnz .LBB46_2512
; %bb.2493:
	s_cmp_lt_i32 s2, 2
	s_cbranch_scc1 .LBB46_2497
; %bb.2494:
	s_cmp_lt_i32 s2, 3
	s_cbranch_scc1 .LBB46_2498
; %bb.2495:
	s_cmp_gt_i32 s2, 3
	s_cbranch_scc0 .LBB46_2499
; %bb.2496:
	global_load_dwordx2 v[10:11], v[12:13], off
	s_mov_b64 s[0:1], 0
	s_branch .LBB46_2500
.LBB46_2497:
	s_mov_b64 s[0:1], -1
                                        ; implicit-def: $vgpr10
	s_branch .LBB46_2506
.LBB46_2498:
	s_mov_b64 s[0:1], -1
                                        ; implicit-def: $vgpr10
	s_branch .LBB46_2503
.LBB46_2499:
	s_mov_b64 s[0:1], -1
                                        ; implicit-def: $vgpr10
.LBB46_2500:
	s_andn2_b64 vcc, exec, s[0:1]
	s_cbranch_vccnz .LBB46_2502
; %bb.2501:
	global_load_dword v10, v[12:13], off
.LBB46_2502:
	s_mov_b64 s[0:1], 0
.LBB46_2503:
	s_andn2_b64 vcc, exec, s[0:1]
	s_cbranch_vccnz .LBB46_2505
; %bb.2504:
	global_load_ushort v10, v[12:13], off
.LBB46_2505:
	s_mov_b64 s[0:1], 0
.LBB46_2506:
	s_andn2_b64 vcc, exec, s[0:1]
	s_cbranch_vccnz .LBB46_2512
; %bb.2507:
	s_cmp_gt_i32 s2, 0
	s_cbranch_scc0 .LBB46_2509
; %bb.2508:
	global_load_ubyte v10, v[12:13], off
	s_mov_b64 s[0:1], 0
	s_branch .LBB46_2510
.LBB46_2509:
	s_mov_b64 s[0:1], -1
                                        ; implicit-def: $vgpr10
.LBB46_2510:
	s_andn2_b64 vcc, exec, s[0:1]
	s_cbranch_vccnz .LBB46_2512
; %bb.2511:
	global_load_ubyte v10, v[12:13], off
.LBB46_2512:
	s_mov_b64 s[4:5], -1
.LBB46_2513:
	s_andn2_b64 vcc, exec, s[4:5]
	s_cbranch_vccnz .LBB46_2947
; %bb.2514:
	v_mul_lo_u32 v5, s12, v14
	v_mov_b32_e32 v2, s54
	v_cmp_gt_i16_sdwa vcc, sext(v0), s33 src0_sel:BYTE_0 src1_sel:DWORD
	v_cndmask_b32_e32 v0, v2, v3, vcc
	v_ashrrev_i32_e32 v3, 31, v5
	v_mov_b32_e32 v8, s9
	s_and_b32 s20, s55, 0xff
	v_add_co_u32_e32 v2, vcc, s8, v5
	s_cmp_lt_i32 s20, 11
	v_addc_co_u32_e32 v3, vcc, v8, v3, vcc
	s_cbranch_scc1 .LBB46_2592
; %bb.2515:
	s_and_b32 s13, 0xffff, s20
	s_mov_b64 s[10:11], -1
	s_mov_b64 s[2:3], 0
	s_cmp_gt_i32 s13, 25
	s_mov_b64 s[4:5], 0
	s_mov_b64 s[0:1], 0
	s_cbranch_scc0 .LBB46_2548
; %bb.2516:
	s_cmp_gt_i32 s13, 28
	s_cbranch_scc0 .LBB46_2531
; %bb.2517:
	s_cmp_gt_i32 s13, 43
	;; [unrolled: 3-line block ×3, first 2 shown]
	s_cbranch_scc0 .LBB46_2521
; %bb.2519:
	s_mov_b64 s[0:1], -1
	s_mov_b64 s[10:11], 0
	s_cmp_eq_u32 s13, 46
	s_cbranch_scc0 .LBB46_2521
; %bb.2520:
	v_bfe_i32 v8, v0, 0, 8
	v_cvt_f32_i32_sdwa v8, sext(v8) dst_sel:DWORD dst_unused:UNUSED_PAD src0_sel:WORD_0
	s_movk_i32 s4, 0x7fff
	s_mov_b64 s[0:1], 0
	s_waitcnt vmcnt(0)
	v_bfe_u32 v11, v8, 16, 1
	v_add3_u32 v8, v8, v11, s4
	v_lshrrev_b32_e32 v8, 16, v8
	global_store_dword v[2:3], v8, off
	s_mov_b64 s[4:5], -1
.LBB46_2521:
	s_and_b64 vcc, exec, s[10:11]
	s_cbranch_vccz .LBB46_2526
; %bb.2522:
	s_cmp_eq_u32 s13, 44
	s_mov_b64 s[0:1], -1
	s_cbranch_scc0 .LBB46_2526
; %bb.2523:
	v_bfe_i32 v8, v0, 0, 8
	v_cvt_f32_i32_sdwa v8, sext(v8) dst_sel:DWORD dst_unused:UNUSED_PAD src0_sel:WORD_0
	s_movk_i32 s0, 0xff
	v_mov_b32_e32 v12, 0xff
	s_waitcnt vmcnt(0)
	v_bfe_u32 v11, v8, 23, 8
	v_cmp_ne_u32_e32 vcc, s0, v11
	s_and_saveexec_b64 s[4:5], vcc
; %bb.2524:
	s_mov_b32 s0, 0x3fffff
	v_lshrrev_b32_e32 v12, 23, v8
	v_and_b32_e32 v13, 0x400000, v8
	v_and_or_b32 v8, v8, s0, v11
	v_cmp_ne_u32_e32 vcc, 0, v13
	v_cmp_ne_u32_e64 s[0:1], 0, v8
	s_and_b64 s[0:1], vcc, s[0:1]
	v_cndmask_b32_e64 v8, 0, 1, s[0:1]
	v_add_u32_e32 v12, v12, v8
; %bb.2525:
	s_or_b64 exec, exec, s[4:5]
	s_mov_b64 s[0:1], 0
	s_mov_b64 s[4:5], -1
	global_store_byte v[2:3], v12, off
.LBB46_2526:
	s_mov_b64 s[10:11], 0
.LBB46_2527:
	s_and_b64 vcc, exec, s[10:11]
	s_cbranch_vccz .LBB46_2530
; %bb.2528:
	s_cmp_eq_u32 s13, 29
	s_mov_b64 s[0:1], -1
	s_cbranch_scc0 .LBB46_2530
; %bb.2529:
	s_waitcnt vmcnt(0)
	v_bfe_i32 v11, v0, 0, 8
	v_ashrrev_i32_e32 v12, 31, v11
	global_store_dwordx2 v[2:3], v[11:12], off
	s_mov_b64 s[0:1], 0
	s_mov_b64 s[4:5], -1
.LBB46_2530:
	s_mov_b64 s[10:11], 0
.LBB46_2531:
	s_and_b64 vcc, exec, s[10:11]
	s_cbranch_vccz .LBB46_2547
; %bb.2532:
	s_cmp_lt_i32 s13, 27
	s_mov_b64 s[4:5], -1
	s_cbranch_scc1 .LBB46_2538
; %bb.2533:
	s_cmp_gt_i32 s13, 27
	s_cbranch_scc0 .LBB46_2535
; %bb.2534:
	v_bfe_i32 v8, v0, 0, 8
	s_mov_b64 s[4:5], 0
	global_store_dword v[2:3], v8, off
.LBB46_2535:
	s_andn2_b64 vcc, exec, s[4:5]
	s_cbranch_vccnz .LBB46_2537
; %bb.2536:
	v_bfe_i32 v8, v0, 0, 8
	global_store_short v[2:3], v8, off
.LBB46_2537:
	s_mov_b64 s[4:5], 0
.LBB46_2538:
	s_andn2_b64 vcc, exec, s[4:5]
	s_cbranch_vccnz .LBB46_2546
; %bb.2539:
	v_bfe_i32 v8, v0, 0, 8
	v_cvt_f32_i32_sdwa v8, sext(v8) dst_sel:DWORD dst_unused:UNUSED_PAD src0_sel:WORD_0
	s_mov_b32 s4, 0x43800000
	v_mov_b32_e32 v12, 0x80
	s_waitcnt vmcnt(0)
	v_and_b32_e32 v11, 0x7fffffff, v8
	v_cmp_gt_u32_e32 vcc, s4, v11
	s_and_saveexec_b64 s[4:5], vcc
	s_cbranch_execz .LBB46_2545
; %bb.2540:
	s_mov_b32 s10, 0x3bffffff
	v_cmp_lt_u32_e32 vcc, s10, v11
	s_mov_b64 s[10:11], 0
                                        ; implicit-def: $vgpr11
	s_and_saveexec_b64 s[14:15], vcc
	s_xor_b64 s[14:15], exec, s[14:15]
	s_cbranch_execz .LBB46_2994
; %bb.2541:
	v_bfe_u32 v11, v8, 20, 1
	s_mov_b32 s21, 0x487ffff
	v_add3_u32 v11, v8, v11, s21
	s_mov_b64 s[10:11], exec
	v_lshrrev_b32_e32 v11, 20, v11
	s_andn2_saveexec_b64 s[14:15], s[14:15]
	s_cbranch_execnz .LBB46_2995
.LBB46_2542:
	s_or_b64 exec, exec, s[14:15]
	v_mov_b32_e32 v12, 0
	s_and_saveexec_b64 s[14:15], s[10:11]
.LBB46_2543:
	v_lshrrev_b32_e32 v8, 24, v8
	s_movk_i32 s10, 0x80
	v_and_or_b32 v12, v8, s10, v11
.LBB46_2544:
	s_or_b64 exec, exec, s[14:15]
.LBB46_2545:
	s_or_b64 exec, exec, s[4:5]
	global_store_byte v[2:3], v12, off
.LBB46_2546:
	s_mov_b64 s[4:5], -1
.LBB46_2547:
	s_mov_b64 s[10:11], 0
.LBB46_2548:
	s_and_b64 vcc, exec, s[10:11]
	s_cbranch_vccz .LBB46_2588
; %bb.2549:
	s_cmp_gt_i32 s13, 22
	s_mov_b64 s[2:3], -1
	s_cbranch_scc0 .LBB46_2581
; %bb.2550:
	s_cmp_lt_i32 s13, 24
	s_cbranch_scc1 .LBB46_2570
; %bb.2551:
	s_cmp_gt_i32 s13, 24
	s_cbranch_scc0 .LBB46_2559
; %bb.2552:
	v_bfe_i32 v8, v0, 0, 8
	v_cvt_f32_i32_sdwa v8, sext(v8) dst_sel:DWORD dst_unused:UNUSED_PAD src0_sel:WORD_0
	s_mov_b32 s2, 0x47800000
	v_mov_b32_e32 v12, 0x80
	s_waitcnt vmcnt(0)
	v_and_b32_e32 v11, 0x7fffffff, v8
	v_cmp_gt_u32_e32 vcc, s2, v11
	s_and_saveexec_b64 s[2:3], vcc
	s_cbranch_execz .LBB46_2558
; %bb.2553:
	s_mov_b32 s4, 0x37ffffff
	v_cmp_lt_u32_e32 vcc, s4, v11
	s_mov_b64 s[4:5], 0
                                        ; implicit-def: $vgpr11
	s_and_saveexec_b64 s[10:11], vcc
	s_xor_b64 s[10:11], exec, s[10:11]
	s_cbranch_execz .LBB46_2997
; %bb.2554:
	v_bfe_u32 v11, v8, 21, 1
	s_mov_b32 s14, 0x88fffff
	v_add3_u32 v11, v8, v11, s14
	s_mov_b64 s[4:5], exec
	v_lshrrev_b32_e32 v11, 21, v11
	s_andn2_saveexec_b64 s[10:11], s[10:11]
	s_cbranch_execnz .LBB46_2998
.LBB46_2555:
	s_or_b64 exec, exec, s[10:11]
	v_mov_b32_e32 v12, 0
	s_and_saveexec_b64 s[10:11], s[4:5]
.LBB46_2556:
	v_lshrrev_b32_e32 v8, 24, v8
	s_movk_i32 s4, 0x80
	v_and_or_b32 v12, v8, s4, v11
.LBB46_2557:
	s_or_b64 exec, exec, s[10:11]
.LBB46_2558:
	s_or_b64 exec, exec, s[2:3]
	s_mov_b64 s[2:3], 0
	global_store_byte v[2:3], v12, off
.LBB46_2559:
	s_and_b64 vcc, exec, s[2:3]
	s_cbranch_vccz .LBB46_2569
; %bb.2560:
	v_bfe_i32 v8, v0, 0, 8
	v_cvt_f32_i32_sdwa v8, sext(v8) dst_sel:DWORD dst_unused:UNUSED_PAD src0_sel:WORD_0
	s_mov_b32 s2, 0x43f00000
                                        ; implicit-def: $vgpr11
	v_and_b32_e32 v12, 0x7fffffff, v8
	v_cmp_gt_u32_e32 vcc, s2, v12
	s_and_saveexec_b64 s[2:3], vcc
	s_xor_b64 s[2:3], exec, s[2:3]
	s_cbranch_execz .LBB46_2566
; %bb.2561:
	s_mov_b32 s4, 0x3c7fffff
	v_cmp_lt_u32_e32 vcc, s4, v12
                                        ; implicit-def: $vgpr11
	s_and_saveexec_b64 s[4:5], vcc
	s_xor_b64 s[4:5], exec, s[4:5]
	s_cbranch_execz .LBB46_2563
; %bb.2562:
	s_waitcnt vmcnt(0)
	v_bfe_u32 v11, v8, 20, 1
	s_mov_b32 s10, 0x407ffff
	v_add3_u32 v11, v8, v11, s10
	v_lshrrev_b32_e32 v12, 20, v11
	v_and_b32_e32 v11, 0xff00000, v11
	s_mov_b32 s10, 0x7f00000
	v_mov_b32_e32 v13, 0x7e
	v_cmp_ne_u32_e32 vcc, s10, v11
	v_cndmask_b32_e32 v11, v13, v12, vcc
.LBB46_2563:
	s_andn2_saveexec_b64 s[4:5], s[4:5]
	s_cbranch_execz .LBB46_2565
; %bb.2564:
	s_mov_b32 s10, 0x46800000
	s_waitcnt vmcnt(0)
	v_add_f32_e64 v11, |v8|, s10
.LBB46_2565:
	s_or_b64 exec, exec, s[4:5]
                                        ; implicit-def: $vgpr12
.LBB46_2566:
	s_andn2_saveexec_b64 s[2:3], s[2:3]
	s_cbranch_execz .LBB46_2568
; %bb.2567:
	s_mov_b32 s4, 0x7f800000
	s_waitcnt vmcnt(0)
	v_mov_b32_e32 v11, 0x7e
	v_mov_b32_e32 v13, 0x7f
	v_cmp_lt_u32_e32 vcc, s4, v12
	v_cndmask_b32_e32 v11, v11, v13, vcc
.LBB46_2568:
	s_or_b64 exec, exec, s[2:3]
	v_lshrrev_b32_e32 v8, 24, v8
	s_movk_i32 s2, 0x80
	s_waitcnt vmcnt(0)
	v_and_or_b32 v8, v8, s2, v11
	global_store_byte v[2:3], v8, off
.LBB46_2569:
	s_mov_b64 s[2:3], 0
.LBB46_2570:
	s_andn2_b64 vcc, exec, s[2:3]
	s_cbranch_vccnz .LBB46_2580
; %bb.2571:
	v_bfe_i32 v8, v0, 0, 8
	v_cvt_f32_i32_sdwa v8, sext(v8) dst_sel:DWORD dst_unused:UNUSED_PAD src0_sel:WORD_0
	s_mov_b32 s2, 0x47800000
                                        ; implicit-def: $vgpr11
	v_and_b32_e32 v12, 0x7fffffff, v8
	v_cmp_gt_u32_e32 vcc, s2, v12
	s_and_saveexec_b64 s[2:3], vcc
	s_xor_b64 s[2:3], exec, s[2:3]
	s_cbranch_execz .LBB46_2577
; %bb.2572:
	s_mov_b32 s4, 0x387fffff
	v_cmp_lt_u32_e32 vcc, s4, v12
                                        ; implicit-def: $vgpr11
	s_and_saveexec_b64 s[4:5], vcc
	s_xor_b64 s[4:5], exec, s[4:5]
	s_cbranch_execz .LBB46_2574
; %bb.2573:
	s_waitcnt vmcnt(0)
	v_bfe_u32 v11, v8, 21, 1
	s_mov_b32 s10, 0x80fffff
	v_add3_u32 v11, v8, v11, s10
	v_lshrrev_b32_e32 v11, 21, v11
.LBB46_2574:
	s_andn2_saveexec_b64 s[4:5], s[4:5]
	s_cbranch_execz .LBB46_2576
; %bb.2575:
	s_mov_b32 s10, 0x43000000
	s_waitcnt vmcnt(0)
	v_add_f32_e64 v11, |v8|, s10
.LBB46_2576:
	s_or_b64 exec, exec, s[4:5]
                                        ; implicit-def: $vgpr12
.LBB46_2577:
	s_andn2_saveexec_b64 s[2:3], s[2:3]
	s_cbranch_execz .LBB46_2579
; %bb.2578:
	s_mov_b32 s4, 0x7f800000
	s_waitcnt vmcnt(0)
	v_mov_b32_e32 v11, 0x7c
	v_mov_b32_e32 v13, 0x7f
	v_cmp_lt_u32_e32 vcc, s4, v12
	v_cndmask_b32_e32 v11, v11, v13, vcc
.LBB46_2579:
	s_or_b64 exec, exec, s[2:3]
	v_lshrrev_b32_e32 v8, 24, v8
	s_movk_i32 s2, 0x80
	s_waitcnt vmcnt(0)
	v_and_or_b32 v8, v8, s2, v11
	global_store_byte v[2:3], v8, off
.LBB46_2580:
	s_mov_b64 s[2:3], 0
	s_mov_b64 s[4:5], -1
.LBB46_2581:
	s_andn2_b64 vcc, exec, s[2:3]
	s_mov_b64 s[2:3], 0
	s_cbranch_vccnz .LBB46_2588
; %bb.2582:
	s_cmp_gt_i32 s13, 14
	s_mov_b64 s[10:11], -1
	s_cbranch_scc0 .LBB46_2586
; %bb.2583:
	s_cmp_eq_u32 s13, 15
	s_mov_b64 s[0:1], -1
	s_cbranch_scc0 .LBB46_2585
; %bb.2584:
	v_bfe_i32 v8, v0, 0, 8
	v_cvt_f32_i32_sdwa v8, sext(v8) dst_sel:DWORD dst_unused:UNUSED_PAD src0_sel:WORD_0
	s_movk_i32 s2, 0x7fff
	s_mov_b64 s[0:1], 0
	s_mov_b64 s[4:5], -1
	s_waitcnt vmcnt(0)
	v_bfe_u32 v11, v8, 16, 1
	v_add3_u32 v8, v8, v11, s2
	global_store_short_d16_hi v[2:3], v8, off
.LBB46_2585:
	s_mov_b64 s[10:11], 0
.LBB46_2586:
	s_mov_b64 s[2:3], 0
	s_and_b64 vcc, exec, s[10:11]
	s_cbranch_vccz .LBB46_2588
; %bb.2587:
	s_cmp_lg_u32 s13, 11
	s_mov_b64 s[2:3], -1
	s_cselect_b64 s[0:1], -1, 0
.LBB46_2588:
	s_and_b64 vcc, exec, s[0:1]
	s_cbranch_vccnz .LBB46_2996
; %bb.2589:
	s_andn2_b64 vcc, exec, s[2:3]
	s_cbranch_vccnz .LBB46_2591
.LBB46_2590:
	v_mov_b32_e32 v8, 0
	v_cmp_ne_u16_sdwa s[0:1], v0, v8 src0_sel:BYTE_0 src1_sel:DWORD
	v_cndmask_b32_e64 v8, 0, 1, s[0:1]
	s_mov_b64 s[4:5], -1
	global_store_byte v[2:3], v8, off
.LBB46_2591:
	s_mov_b64 s[0:1], 0
	s_branch .LBB46_2593
.LBB46_2592:
	s_mov_b64 s[0:1], -1
	s_mov_b64 s[4:5], 0
.LBB46_2593:
	s_and_b64 vcc, exec, s[0:1]
	s_cbranch_vccz .LBB46_2632
; %bb.2594:
	s_and_b32 s2, 0xffff, s20
	s_cmp_lt_i32 s2, 5
	s_mov_b64 s[0:1], -1
	s_cbranch_scc1 .LBB46_2615
; %bb.2595:
	s_cmp_lt_i32 s2, 8
	s_cbranch_scc1 .LBB46_2605
; %bb.2596:
	s_cmp_lt_i32 s2, 9
	s_cbranch_scc1 .LBB46_2602
; %bb.2597:
	s_cmp_gt_i32 s2, 9
	s_cbranch_scc0 .LBB46_2599
; %bb.2598:
	v_bfe_i32 v8, v0, 0, 8
	v_bfe_i32 v8, v8, 0, 16
	s_waitcnt vmcnt(0)
	v_cvt_f64_i32_e32 v[11:12], v8
	v_mov_b32_e32 v13, 0
	v_mov_b32_e32 v14, v13
	s_mov_b64 s[0:1], 0
	global_store_dwordx4 v[2:3], v[11:14], off
.LBB46_2599:
	s_andn2_b64 vcc, exec, s[0:1]
	s_cbranch_vccnz .LBB46_2601
; %bb.2600:
	v_bfe_i32 v8, v0, 0, 8
	s_waitcnt vmcnt(0)
	v_cvt_f32_i32_sdwa v11, sext(v8) dst_sel:DWORD dst_unused:UNUSED_PAD src0_sel:WORD_0
	v_mov_b32_e32 v12, 0
	global_store_dwordx2 v[2:3], v[11:12], off
.LBB46_2601:
	s_mov_b64 s[0:1], 0
.LBB46_2602:
	s_andn2_b64 vcc, exec, s[0:1]
	s_cbranch_vccnz .LBB46_2604
; %bb.2603:
	v_cvt_f16_i16_sdwa v8, sext(v0) dst_sel:DWORD dst_unused:UNUSED_PAD src0_sel:BYTE_0
	global_store_dword v[2:3], v8, off
.LBB46_2604:
	s_mov_b64 s[0:1], 0
.LBB46_2605:
	s_andn2_b64 vcc, exec, s[0:1]
	s_cbranch_vccnz .LBB46_2614
; %bb.2606:
	s_cmp_lt_i32 s2, 6
	s_mov_b64 s[0:1], -1
	s_cbranch_scc1 .LBB46_2612
; %bb.2607:
	s_cmp_gt_i32 s2, 6
	s_cbranch_scc0 .LBB46_2609
; %bb.2608:
	v_bfe_i32 v8, v0, 0, 8
	v_bfe_i32 v8, v8, 0, 16
	s_waitcnt vmcnt(0)
	v_cvt_f64_i32_e32 v[11:12], v8
	s_mov_b64 s[0:1], 0
	global_store_dwordx2 v[2:3], v[11:12], off
.LBB46_2609:
	s_andn2_b64 vcc, exec, s[0:1]
	s_cbranch_vccnz .LBB46_2611
; %bb.2610:
	v_bfe_i32 v8, v0, 0, 8
	v_cvt_f32_i32_sdwa v8, sext(v8) dst_sel:DWORD dst_unused:UNUSED_PAD src0_sel:WORD_0
	global_store_dword v[2:3], v8, off
.LBB46_2611:
	s_mov_b64 s[0:1], 0
.LBB46_2612:
	s_andn2_b64 vcc, exec, s[0:1]
	s_cbranch_vccnz .LBB46_2614
; %bb.2613:
	v_cvt_f16_i16_sdwa v8, sext(v0) dst_sel:DWORD dst_unused:UNUSED_PAD src0_sel:BYTE_0
	global_store_short v[2:3], v8, off
.LBB46_2614:
	s_mov_b64 s[0:1], 0
.LBB46_2615:
	s_andn2_b64 vcc, exec, s[0:1]
	s_cbranch_vccnz .LBB46_2631
; %bb.2616:
	s_cmp_lt_i32 s2, 2
	s_mov_b64 s[0:1], -1
	s_cbranch_scc1 .LBB46_2626
; %bb.2617:
	s_cmp_lt_i32 s2, 3
	s_cbranch_scc1 .LBB46_2623
; %bb.2618:
	s_cmp_gt_i32 s2, 3
	s_cbranch_scc0 .LBB46_2620
; %bb.2619:
	s_waitcnt vmcnt(0)
	v_bfe_i32 v11, v0, 0, 8
	v_ashrrev_i32_e32 v12, 31, v11
	global_store_dwordx2 v[2:3], v[11:12], off
	s_mov_b64 s[0:1], 0
.LBB46_2620:
	s_andn2_b64 vcc, exec, s[0:1]
	s_cbranch_vccnz .LBB46_2622
; %bb.2621:
	v_bfe_i32 v8, v0, 0, 8
	global_store_dword v[2:3], v8, off
.LBB46_2622:
	s_mov_b64 s[0:1], 0
.LBB46_2623:
	s_andn2_b64 vcc, exec, s[0:1]
	s_cbranch_vccnz .LBB46_2625
; %bb.2624:
	v_bfe_i32 v8, v0, 0, 8
	global_store_short v[2:3], v8, off
.LBB46_2625:
	s_mov_b64 s[0:1], 0
.LBB46_2626:
	s_andn2_b64 vcc, exec, s[0:1]
	s_cbranch_vccnz .LBB46_2631
; %bb.2627:
	s_cmp_gt_i32 s2, 0
	s_mov_b64 s[0:1], -1
	s_cbranch_scc0 .LBB46_2629
; %bb.2628:
	global_store_byte v[2:3], v0, off
	s_mov_b64 s[0:1], 0
.LBB46_2629:
	s_andn2_b64 vcc, exec, s[0:1]
	s_cbranch_vccnz .LBB46_2631
; %bb.2630:
	global_store_byte v[2:3], v0, off
.LBB46_2631:
	s_mov_b64 s[4:5], -1
.LBB46_2632:
	s_andn2_b64 vcc, exec, s[4:5]
	s_cbranch_vccnz .LBB46_2947
; %bb.2633:
	s_lshl_b32 s14, s12, 7
	v_mov_b32_e32 v0, s54
	v_cmp_gt_i16_sdwa vcc, sext(v1), s33 src0_sel:BYTE_0 src1_sel:DWORD
	v_add_u32_e32 v2, s14, v5
	v_cndmask_b32_e32 v3, v0, v6, vcc
	v_ashrrev_i32_e32 v1, 31, v2
	v_mov_b32_e32 v5, s9
	v_add_co_u32_e32 v0, vcc, s8, v2
	s_cmp_lt_i32 s20, 11
	v_addc_co_u32_e32 v1, vcc, v5, v1, vcc
	s_cbranch_scc1 .LBB46_2711
; %bb.2634:
	s_and_b32 s15, 0xffff, s20
	s_mov_b64 s[10:11], -1
	s_mov_b64 s[2:3], 0
	s_cmp_gt_i32 s15, 25
	s_mov_b64 s[4:5], 0
	s_mov_b64 s[0:1], 0
	s_cbranch_scc0 .LBB46_2667
; %bb.2635:
	s_cmp_gt_i32 s15, 28
	s_cbranch_scc0 .LBB46_2650
; %bb.2636:
	s_cmp_gt_i32 s15, 43
	;; [unrolled: 3-line block ×3, first 2 shown]
	s_cbranch_scc0 .LBB46_2640
; %bb.2638:
	s_mov_b64 s[0:1], -1
	s_mov_b64 s[10:11], 0
	s_cmp_eq_u32 s15, 46
	s_cbranch_scc0 .LBB46_2640
; %bb.2639:
	v_bfe_i32 v5, v3, 0, 8
	v_cvt_f32_i32_sdwa v5, sext(v5) dst_sel:DWORD dst_unused:UNUSED_PAD src0_sel:WORD_0
	s_movk_i32 s4, 0x7fff
	s_mov_b64 s[0:1], 0
	v_bfe_u32 v6, v5, 16, 1
	v_add3_u32 v5, v5, v6, s4
	v_lshrrev_b32_e32 v5, 16, v5
	global_store_dword v[0:1], v5, off
	s_mov_b64 s[4:5], -1
.LBB46_2640:
	s_and_b64 vcc, exec, s[10:11]
	s_cbranch_vccz .LBB46_2645
; %bb.2641:
	s_cmp_eq_u32 s15, 44
	s_mov_b64 s[0:1], -1
	s_cbranch_scc0 .LBB46_2645
; %bb.2642:
	v_bfe_i32 v5, v3, 0, 8
	v_cvt_f32_i32_sdwa v5, sext(v5) dst_sel:DWORD dst_unused:UNUSED_PAD src0_sel:WORD_0
	s_movk_i32 s0, 0xff
	v_mov_b32_e32 v8, 0xff
	v_bfe_u32 v6, v5, 23, 8
	v_cmp_ne_u32_e32 vcc, s0, v6
	s_and_saveexec_b64 s[4:5], vcc
	s_cbranch_execz .LBB46_2644
; %bb.2643:
	s_mov_b32 s0, 0x3fffff
	v_lshrrev_b32_e32 v8, 23, v5
	s_waitcnt vmcnt(0)
	v_and_b32_e32 v11, 0x400000, v5
	v_and_or_b32 v5, v5, s0, v6
	v_cmp_ne_u32_e32 vcc, 0, v11
	v_cmp_ne_u32_e64 s[0:1], 0, v5
	s_and_b64 s[0:1], vcc, s[0:1]
	v_cndmask_b32_e64 v5, 0, 1, s[0:1]
	v_add_u32_e32 v8, v8, v5
.LBB46_2644:
	s_or_b64 exec, exec, s[4:5]
	s_mov_b64 s[0:1], 0
	s_mov_b64 s[4:5], -1
	global_store_byte v[0:1], v8, off
.LBB46_2645:
	s_mov_b64 s[10:11], 0
.LBB46_2646:
	s_and_b64 vcc, exec, s[10:11]
	s_cbranch_vccz .LBB46_2649
; %bb.2647:
	s_cmp_eq_u32 s15, 29
	s_mov_b64 s[0:1], -1
	s_cbranch_scc0 .LBB46_2649
; %bb.2648:
	v_bfe_i32 v5, v3, 0, 8
	v_ashrrev_i32_e32 v6, 31, v5
	global_store_dwordx2 v[0:1], v[5:6], off
	s_mov_b64 s[0:1], 0
	s_mov_b64 s[4:5], -1
.LBB46_2649:
	s_mov_b64 s[10:11], 0
.LBB46_2650:
	s_and_b64 vcc, exec, s[10:11]
	s_cbranch_vccz .LBB46_2666
; %bb.2651:
	s_cmp_lt_i32 s15, 27
	s_mov_b64 s[4:5], -1
	s_cbranch_scc1 .LBB46_2657
; %bb.2652:
	s_cmp_gt_i32 s15, 27
	s_cbranch_scc0 .LBB46_2654
; %bb.2653:
	v_bfe_i32 v5, v3, 0, 8
	s_mov_b64 s[4:5], 0
	global_store_dword v[0:1], v5, off
.LBB46_2654:
	s_andn2_b64 vcc, exec, s[4:5]
	s_cbranch_vccnz .LBB46_2656
; %bb.2655:
	v_bfe_i32 v5, v3, 0, 8
	global_store_short v[0:1], v5, off
.LBB46_2656:
	s_mov_b64 s[4:5], 0
.LBB46_2657:
	s_andn2_b64 vcc, exec, s[4:5]
	s_cbranch_vccnz .LBB46_2665
; %bb.2658:
	v_bfe_i32 v5, v3, 0, 8
	v_cvt_f32_i32_sdwa v5, sext(v5) dst_sel:DWORD dst_unused:UNUSED_PAD src0_sel:WORD_0
	s_mov_b32 s4, 0x43800000
	v_mov_b32_e32 v8, 0x80
	v_and_b32_e32 v6, 0x7fffffff, v5
	v_cmp_gt_u32_e32 vcc, s4, v6
	s_and_saveexec_b64 s[4:5], vcc
	s_cbranch_execz .LBB46_2664
; %bb.2659:
	s_mov_b32 s10, 0x3bffffff
	v_cmp_lt_u32_e32 vcc, s10, v6
	s_mov_b64 s[10:11], 0
                                        ; implicit-def: $vgpr6
	s_and_saveexec_b64 s[12:13], vcc
	s_xor_b64 s[12:13], exec, s[12:13]
	s_cbranch_execz .LBB46_2999
; %bb.2660:
	v_bfe_u32 v6, v5, 20, 1
	s_mov_b32 s21, 0x487ffff
	v_add3_u32 v6, v5, v6, s21
	s_mov_b64 s[10:11], exec
	v_lshrrev_b32_e32 v6, 20, v6
	s_andn2_saveexec_b64 s[12:13], s[12:13]
	s_cbranch_execnz .LBB46_3000
.LBB46_2661:
	s_or_b64 exec, exec, s[12:13]
	v_mov_b32_e32 v8, 0
	s_and_saveexec_b64 s[12:13], s[10:11]
.LBB46_2662:
	v_lshrrev_b32_e32 v5, 24, v5
	s_movk_i32 s10, 0x80
	v_and_or_b32 v8, v5, s10, v6
.LBB46_2663:
	s_or_b64 exec, exec, s[12:13]
.LBB46_2664:
	s_or_b64 exec, exec, s[4:5]
	global_store_byte v[0:1], v8, off
.LBB46_2665:
	s_mov_b64 s[4:5], -1
.LBB46_2666:
	s_mov_b64 s[10:11], 0
.LBB46_2667:
	s_and_b64 vcc, exec, s[10:11]
	s_cbranch_vccz .LBB46_2707
; %bb.2668:
	s_cmp_gt_i32 s15, 22
	s_mov_b64 s[2:3], -1
	s_cbranch_scc0 .LBB46_2700
; %bb.2669:
	s_cmp_lt_i32 s15, 24
	s_cbranch_scc1 .LBB46_2689
; %bb.2670:
	s_cmp_gt_i32 s15, 24
	s_cbranch_scc0 .LBB46_2678
; %bb.2671:
	v_bfe_i32 v5, v3, 0, 8
	v_cvt_f32_i32_sdwa v5, sext(v5) dst_sel:DWORD dst_unused:UNUSED_PAD src0_sel:WORD_0
	s_mov_b32 s2, 0x47800000
	v_mov_b32_e32 v8, 0x80
	v_and_b32_e32 v6, 0x7fffffff, v5
	v_cmp_gt_u32_e32 vcc, s2, v6
	s_and_saveexec_b64 s[2:3], vcc
	s_cbranch_execz .LBB46_2677
; %bb.2672:
	s_mov_b32 s4, 0x37ffffff
	v_cmp_lt_u32_e32 vcc, s4, v6
	s_mov_b64 s[4:5], 0
                                        ; implicit-def: $vgpr6
	s_and_saveexec_b64 s[10:11], vcc
	s_xor_b64 s[10:11], exec, s[10:11]
	s_cbranch_execz .LBB46_3002
; %bb.2673:
	v_bfe_u32 v6, v5, 21, 1
	s_mov_b32 s12, 0x88fffff
	v_add3_u32 v6, v5, v6, s12
	s_mov_b64 s[4:5], exec
	v_lshrrev_b32_e32 v6, 21, v6
	s_andn2_saveexec_b64 s[10:11], s[10:11]
	s_cbranch_execnz .LBB46_3003
.LBB46_2674:
	s_or_b64 exec, exec, s[10:11]
	v_mov_b32_e32 v8, 0
	s_and_saveexec_b64 s[10:11], s[4:5]
.LBB46_2675:
	v_lshrrev_b32_e32 v5, 24, v5
	s_movk_i32 s4, 0x80
	v_and_or_b32 v8, v5, s4, v6
.LBB46_2676:
	s_or_b64 exec, exec, s[10:11]
.LBB46_2677:
	s_or_b64 exec, exec, s[2:3]
	s_mov_b64 s[2:3], 0
	global_store_byte v[0:1], v8, off
.LBB46_2678:
	s_and_b64 vcc, exec, s[2:3]
	s_cbranch_vccz .LBB46_2688
; %bb.2679:
	v_bfe_i32 v5, v3, 0, 8
	v_cvt_f32_i32_sdwa v5, sext(v5) dst_sel:DWORD dst_unused:UNUSED_PAD src0_sel:WORD_0
	s_mov_b32 s2, 0x43f00000
                                        ; implicit-def: $vgpr6
	v_and_b32_e32 v8, 0x7fffffff, v5
	v_cmp_gt_u32_e32 vcc, s2, v8
	s_and_saveexec_b64 s[2:3], vcc
	s_xor_b64 s[2:3], exec, s[2:3]
	s_cbranch_execz .LBB46_2685
; %bb.2680:
	s_mov_b32 s4, 0x3c7fffff
	v_cmp_lt_u32_e32 vcc, s4, v8
                                        ; implicit-def: $vgpr6
	s_and_saveexec_b64 s[4:5], vcc
	s_xor_b64 s[4:5], exec, s[4:5]
	s_cbranch_execz .LBB46_2682
; %bb.2681:
	v_bfe_u32 v6, v5, 20, 1
	s_mov_b32 s10, 0x407ffff
	v_add3_u32 v6, v5, v6, s10
	v_lshrrev_b32_e32 v8, 20, v6
	v_and_b32_e32 v6, 0xff00000, v6
	s_mov_b32 s10, 0x7f00000
	s_waitcnt vmcnt(0)
	v_mov_b32_e32 v11, 0x7e
	v_cmp_ne_u32_e32 vcc, s10, v6
	v_cndmask_b32_e32 v6, v11, v8, vcc
.LBB46_2682:
	s_andn2_saveexec_b64 s[4:5], s[4:5]
; %bb.2683:
	s_mov_b32 s10, 0x46800000
	v_add_f32_e64 v6, |v5|, s10
; %bb.2684:
	s_or_b64 exec, exec, s[4:5]
                                        ; implicit-def: $vgpr8
.LBB46_2685:
	s_andn2_saveexec_b64 s[2:3], s[2:3]
	s_cbranch_execz .LBB46_2687
; %bb.2686:
	s_mov_b32 s4, 0x7f800000
	v_mov_b32_e32 v6, 0x7e
	s_waitcnt vmcnt(0)
	v_mov_b32_e32 v11, 0x7f
	v_cmp_lt_u32_e32 vcc, s4, v8
	v_cndmask_b32_e32 v6, v6, v11, vcc
.LBB46_2687:
	s_or_b64 exec, exec, s[2:3]
	v_lshrrev_b32_e32 v5, 24, v5
	s_movk_i32 s2, 0x80
	v_and_or_b32 v5, v5, s2, v6
	global_store_byte v[0:1], v5, off
.LBB46_2688:
	s_mov_b64 s[2:3], 0
.LBB46_2689:
	s_andn2_b64 vcc, exec, s[2:3]
	s_cbranch_vccnz .LBB46_2699
; %bb.2690:
	v_bfe_i32 v5, v3, 0, 8
	v_cvt_f32_i32_sdwa v5, sext(v5) dst_sel:DWORD dst_unused:UNUSED_PAD src0_sel:WORD_0
	s_mov_b32 s2, 0x47800000
                                        ; implicit-def: $vgpr6
	v_and_b32_e32 v8, 0x7fffffff, v5
	v_cmp_gt_u32_e32 vcc, s2, v8
	s_and_saveexec_b64 s[2:3], vcc
	s_xor_b64 s[2:3], exec, s[2:3]
	s_cbranch_execz .LBB46_2696
; %bb.2691:
	s_mov_b32 s4, 0x387fffff
	v_cmp_lt_u32_e32 vcc, s4, v8
                                        ; implicit-def: $vgpr6
	s_and_saveexec_b64 s[4:5], vcc
	s_xor_b64 s[4:5], exec, s[4:5]
; %bb.2692:
	v_bfe_u32 v6, v5, 21, 1
	s_mov_b32 s10, 0x80fffff
	v_add3_u32 v6, v5, v6, s10
	v_lshrrev_b32_e32 v6, 21, v6
; %bb.2693:
	s_andn2_saveexec_b64 s[4:5], s[4:5]
; %bb.2694:
	s_mov_b32 s10, 0x43000000
	v_add_f32_e64 v6, |v5|, s10
; %bb.2695:
	s_or_b64 exec, exec, s[4:5]
                                        ; implicit-def: $vgpr8
.LBB46_2696:
	s_andn2_saveexec_b64 s[2:3], s[2:3]
	s_cbranch_execz .LBB46_2698
; %bb.2697:
	s_mov_b32 s4, 0x7f800000
	v_mov_b32_e32 v6, 0x7c
	s_waitcnt vmcnt(0)
	v_mov_b32_e32 v11, 0x7f
	v_cmp_lt_u32_e32 vcc, s4, v8
	v_cndmask_b32_e32 v6, v6, v11, vcc
.LBB46_2698:
	s_or_b64 exec, exec, s[2:3]
	v_lshrrev_b32_e32 v5, 24, v5
	s_movk_i32 s2, 0x80
	v_and_or_b32 v5, v5, s2, v6
	global_store_byte v[0:1], v5, off
.LBB46_2699:
	s_mov_b64 s[2:3], 0
	s_mov_b64 s[4:5], -1
.LBB46_2700:
	s_andn2_b64 vcc, exec, s[2:3]
	s_mov_b64 s[2:3], 0
	s_cbranch_vccnz .LBB46_2707
; %bb.2701:
	s_cmp_gt_i32 s15, 14
	s_mov_b64 s[10:11], -1
	s_cbranch_scc0 .LBB46_2705
; %bb.2702:
	s_cmp_eq_u32 s15, 15
	s_mov_b64 s[0:1], -1
	s_cbranch_scc0 .LBB46_2704
; %bb.2703:
	v_bfe_i32 v5, v3, 0, 8
	v_cvt_f32_i32_sdwa v5, sext(v5) dst_sel:DWORD dst_unused:UNUSED_PAD src0_sel:WORD_0
	s_movk_i32 s2, 0x7fff
	s_mov_b64 s[0:1], 0
	s_mov_b64 s[4:5], -1
	v_bfe_u32 v6, v5, 16, 1
	v_add3_u32 v5, v5, v6, s2
	global_store_short_d16_hi v[0:1], v5, off
.LBB46_2704:
	s_mov_b64 s[10:11], 0
.LBB46_2705:
	s_mov_b64 s[2:3], 0
	s_and_b64 vcc, exec, s[10:11]
	s_cbranch_vccz .LBB46_2707
; %bb.2706:
	s_cmp_lg_u32 s15, 11
	s_mov_b64 s[2:3], -1
	s_cselect_b64 s[0:1], -1, 0
.LBB46_2707:
	s_and_b64 vcc, exec, s[0:1]
	s_cbranch_vccnz .LBB46_3001
; %bb.2708:
	s_andn2_b64 vcc, exec, s[2:3]
	s_cbranch_vccnz .LBB46_2710
.LBB46_2709:
	v_mov_b32_e32 v5, 0
	v_cmp_ne_u16_sdwa s[0:1], v3, v5 src0_sel:BYTE_0 src1_sel:DWORD
	v_cndmask_b32_e64 v5, 0, 1, s[0:1]
	s_mov_b64 s[4:5], -1
	global_store_byte v[0:1], v5, off
.LBB46_2710:
	s_mov_b64 s[0:1], 0
	s_branch .LBB46_2712
.LBB46_2711:
	s_mov_b64 s[0:1], -1
	s_mov_b64 s[4:5], 0
.LBB46_2712:
	s_and_b64 vcc, exec, s[0:1]
	s_cbranch_vccz .LBB46_2751
; %bb.2713:
	s_and_b32 s2, 0xffff, s20
	s_cmp_lt_i32 s2, 5
	s_mov_b64 s[0:1], -1
	s_cbranch_scc1 .LBB46_2734
; %bb.2714:
	s_cmp_lt_i32 s2, 8
	s_cbranch_scc1 .LBB46_2724
; %bb.2715:
	s_cmp_lt_i32 s2, 9
	s_cbranch_scc1 .LBB46_2721
; %bb.2716:
	s_cmp_gt_i32 s2, 9
	s_cbranch_scc0 .LBB46_2718
; %bb.2717:
	v_bfe_i32 v5, v3, 0, 8
	v_bfe_i32 v5, v5, 0, 16
	s_waitcnt vmcnt(0)
	v_cvt_f64_i32_e32 v[11:12], v5
	v_mov_b32_e32 v13, 0
	v_mov_b32_e32 v14, v13
	s_mov_b64 s[0:1], 0
	global_store_dwordx4 v[0:1], v[11:14], off
.LBB46_2718:
	s_andn2_b64 vcc, exec, s[0:1]
	s_cbranch_vccnz .LBB46_2720
; %bb.2719:
	v_bfe_i32 v5, v3, 0, 8
	v_cvt_f32_i32_sdwa v5, sext(v5) dst_sel:DWORD dst_unused:UNUSED_PAD src0_sel:WORD_0
	v_mov_b32_e32 v6, 0
	global_store_dwordx2 v[0:1], v[5:6], off
.LBB46_2720:
	s_mov_b64 s[0:1], 0
.LBB46_2721:
	s_andn2_b64 vcc, exec, s[0:1]
	s_cbranch_vccnz .LBB46_2723
; %bb.2722:
	v_cvt_f16_i16_sdwa v5, sext(v3) dst_sel:DWORD dst_unused:UNUSED_PAD src0_sel:BYTE_0
	global_store_dword v[0:1], v5, off
.LBB46_2723:
	s_mov_b64 s[0:1], 0
.LBB46_2724:
	s_andn2_b64 vcc, exec, s[0:1]
	s_cbranch_vccnz .LBB46_2733
; %bb.2725:
	s_cmp_lt_i32 s2, 6
	s_mov_b64 s[0:1], -1
	s_cbranch_scc1 .LBB46_2731
; %bb.2726:
	s_cmp_gt_i32 s2, 6
	s_cbranch_scc0 .LBB46_2728
; %bb.2727:
	v_bfe_i32 v5, v3, 0, 8
	v_bfe_i32 v5, v5, 0, 16
	v_cvt_f64_i32_e32 v[5:6], v5
	s_mov_b64 s[0:1], 0
	global_store_dwordx2 v[0:1], v[5:6], off
.LBB46_2728:
	s_andn2_b64 vcc, exec, s[0:1]
	s_cbranch_vccnz .LBB46_2730
; %bb.2729:
	v_bfe_i32 v5, v3, 0, 8
	v_cvt_f32_i32_sdwa v5, sext(v5) dst_sel:DWORD dst_unused:UNUSED_PAD src0_sel:WORD_0
	global_store_dword v[0:1], v5, off
.LBB46_2730:
	s_mov_b64 s[0:1], 0
.LBB46_2731:
	s_andn2_b64 vcc, exec, s[0:1]
	s_cbranch_vccnz .LBB46_2733
; %bb.2732:
	v_cvt_f16_i16_sdwa v5, sext(v3) dst_sel:DWORD dst_unused:UNUSED_PAD src0_sel:BYTE_0
	global_store_short v[0:1], v5, off
.LBB46_2733:
	s_mov_b64 s[0:1], 0
.LBB46_2734:
	s_andn2_b64 vcc, exec, s[0:1]
	s_cbranch_vccnz .LBB46_2750
; %bb.2735:
	s_cmp_lt_i32 s2, 2
	s_mov_b64 s[0:1], -1
	s_cbranch_scc1 .LBB46_2745
; %bb.2736:
	s_cmp_lt_i32 s2, 3
	s_cbranch_scc1 .LBB46_2742
; %bb.2737:
	s_cmp_gt_i32 s2, 3
	s_cbranch_scc0 .LBB46_2739
; %bb.2738:
	v_bfe_i32 v5, v3, 0, 8
	v_ashrrev_i32_e32 v6, 31, v5
	global_store_dwordx2 v[0:1], v[5:6], off
	s_mov_b64 s[0:1], 0
.LBB46_2739:
	s_andn2_b64 vcc, exec, s[0:1]
	s_cbranch_vccnz .LBB46_2741
; %bb.2740:
	v_bfe_i32 v5, v3, 0, 8
	global_store_dword v[0:1], v5, off
.LBB46_2741:
	s_mov_b64 s[0:1], 0
.LBB46_2742:
	s_andn2_b64 vcc, exec, s[0:1]
	s_cbranch_vccnz .LBB46_2744
; %bb.2743:
	v_bfe_i32 v5, v3, 0, 8
	global_store_short v[0:1], v5, off
.LBB46_2744:
	s_mov_b64 s[0:1], 0
.LBB46_2745:
	s_andn2_b64 vcc, exec, s[0:1]
	s_cbranch_vccnz .LBB46_2750
; %bb.2746:
	s_cmp_gt_i32 s2, 0
	s_mov_b64 s[0:1], -1
	s_cbranch_scc0 .LBB46_2748
; %bb.2747:
	global_store_byte v[0:1], v3, off
	s_mov_b64 s[0:1], 0
.LBB46_2748:
	s_andn2_b64 vcc, exec, s[0:1]
	s_cbranch_vccnz .LBB46_2750
; %bb.2749:
	global_store_byte v[0:1], v3, off
.LBB46_2750:
	s_mov_b64 s[4:5], -1
.LBB46_2751:
	s_andn2_b64 vcc, exec, s[4:5]
	s_cbranch_vccnz .LBB46_2947
; %bb.2752:
	v_mov_b32_e32 v0, s54
	v_cmp_gt_i16_sdwa vcc, sext(v4), s33 src0_sel:BYTE_0 src1_sel:DWORD
	v_add_u32_e32 v3, s14, v2
	v_cndmask_b32_e32 v4, v0, v9, vcc
	v_ashrrev_i32_e32 v1, 31, v3
	v_mov_b32_e32 v2, s9
	v_add_co_u32_e32 v0, vcc, s8, v3
	s_cmp_lt_i32 s20, 11
	v_addc_co_u32_e32 v1, vcc, v2, v1, vcc
	s_cbranch_scc1 .LBB46_2830
; %bb.2753:
	s_and_b32 s15, 0xffff, s20
	s_mov_b64 s[10:11], -1
	s_mov_b64 s[2:3], 0
	s_cmp_gt_i32 s15, 25
	s_mov_b64 s[4:5], 0
	s_mov_b64 s[0:1], 0
	s_cbranch_scc0 .LBB46_2786
; %bb.2754:
	s_cmp_gt_i32 s15, 28
	s_cbranch_scc0 .LBB46_2769
; %bb.2755:
	s_cmp_gt_i32 s15, 43
	;; [unrolled: 3-line block ×3, first 2 shown]
	s_cbranch_scc0 .LBB46_2759
; %bb.2757:
	s_mov_b64 s[0:1], -1
	s_mov_b64 s[10:11], 0
	s_cmp_eq_u32 s15, 46
	s_cbranch_scc0 .LBB46_2759
; %bb.2758:
	v_bfe_i32 v2, v4, 0, 8
	v_cvt_f32_i32_sdwa v2, sext(v2) dst_sel:DWORD dst_unused:UNUSED_PAD src0_sel:WORD_0
	s_movk_i32 s4, 0x7fff
	s_mov_b64 s[0:1], 0
	v_bfe_u32 v5, v2, 16, 1
	v_add3_u32 v2, v2, v5, s4
	v_lshrrev_b32_e32 v2, 16, v2
	global_store_dword v[0:1], v2, off
	s_mov_b64 s[4:5], -1
.LBB46_2759:
	s_and_b64 vcc, exec, s[10:11]
	s_cbranch_vccz .LBB46_2764
; %bb.2760:
	s_cmp_eq_u32 s15, 44
	s_mov_b64 s[0:1], -1
	s_cbranch_scc0 .LBB46_2764
; %bb.2761:
	v_bfe_i32 v2, v4, 0, 8
	v_cvt_f32_i32_sdwa v2, sext(v2) dst_sel:DWORD dst_unused:UNUSED_PAD src0_sel:WORD_0
	s_movk_i32 s0, 0xff
	v_mov_b32_e32 v6, 0xff
	v_bfe_u32 v5, v2, 23, 8
	v_cmp_ne_u32_e32 vcc, s0, v5
	s_and_saveexec_b64 s[4:5], vcc
; %bb.2762:
	s_mov_b32 s0, 0x3fffff
	v_lshrrev_b32_e32 v6, 23, v2
	v_and_b32_e32 v8, 0x400000, v2
	v_and_or_b32 v2, v2, s0, v5
	v_cmp_ne_u32_e32 vcc, 0, v8
	v_cmp_ne_u32_e64 s[0:1], 0, v2
	s_and_b64 s[0:1], vcc, s[0:1]
	v_cndmask_b32_e64 v2, 0, 1, s[0:1]
	v_add_u32_e32 v6, v6, v2
; %bb.2763:
	s_or_b64 exec, exec, s[4:5]
	s_mov_b64 s[0:1], 0
	s_mov_b64 s[4:5], -1
	global_store_byte v[0:1], v6, off
.LBB46_2764:
	s_mov_b64 s[10:11], 0
.LBB46_2765:
	s_and_b64 vcc, exec, s[10:11]
	s_cbranch_vccz .LBB46_2768
; %bb.2766:
	s_cmp_eq_u32 s15, 29
	s_mov_b64 s[0:1], -1
	s_cbranch_scc0 .LBB46_2768
; %bb.2767:
	v_bfe_i32 v5, v4, 0, 8
	v_ashrrev_i32_e32 v6, 31, v5
	global_store_dwordx2 v[0:1], v[5:6], off
	s_mov_b64 s[0:1], 0
	s_mov_b64 s[4:5], -1
.LBB46_2768:
	s_mov_b64 s[10:11], 0
.LBB46_2769:
	s_and_b64 vcc, exec, s[10:11]
	s_cbranch_vccz .LBB46_2785
; %bb.2770:
	s_cmp_lt_i32 s15, 27
	s_mov_b64 s[4:5], -1
	s_cbranch_scc1 .LBB46_2776
; %bb.2771:
	s_cmp_gt_i32 s15, 27
	s_cbranch_scc0 .LBB46_2773
; %bb.2772:
	v_bfe_i32 v2, v4, 0, 8
	s_mov_b64 s[4:5], 0
	global_store_dword v[0:1], v2, off
.LBB46_2773:
	s_andn2_b64 vcc, exec, s[4:5]
	s_cbranch_vccnz .LBB46_2775
; %bb.2774:
	v_bfe_i32 v2, v4, 0, 8
	global_store_short v[0:1], v2, off
.LBB46_2775:
	s_mov_b64 s[4:5], 0
.LBB46_2776:
	s_andn2_b64 vcc, exec, s[4:5]
	s_cbranch_vccnz .LBB46_2784
; %bb.2777:
	v_bfe_i32 v2, v4, 0, 8
	v_cvt_f32_i32_sdwa v2, sext(v2) dst_sel:DWORD dst_unused:UNUSED_PAD src0_sel:WORD_0
	s_mov_b32 s4, 0x43800000
	v_mov_b32_e32 v6, 0x80
	v_and_b32_e32 v5, 0x7fffffff, v2
	v_cmp_gt_u32_e32 vcc, s4, v5
	s_and_saveexec_b64 s[4:5], vcc
	s_cbranch_execz .LBB46_2783
; %bb.2778:
	s_mov_b32 s10, 0x3bffffff
	v_cmp_lt_u32_e32 vcc, s10, v5
	s_mov_b64 s[10:11], 0
                                        ; implicit-def: $vgpr5
	s_and_saveexec_b64 s[12:13], vcc
	s_xor_b64 s[12:13], exec, s[12:13]
	s_cbranch_execz .LBB46_3004
; %bb.2779:
	v_bfe_u32 v5, v2, 20, 1
	s_mov_b32 s21, 0x487ffff
	v_add3_u32 v5, v2, v5, s21
	s_mov_b64 s[10:11], exec
	v_lshrrev_b32_e32 v5, 20, v5
	s_andn2_saveexec_b64 s[12:13], s[12:13]
	s_cbranch_execnz .LBB46_3005
.LBB46_2780:
	s_or_b64 exec, exec, s[12:13]
	v_mov_b32_e32 v6, 0
	s_and_saveexec_b64 s[12:13], s[10:11]
.LBB46_2781:
	v_lshrrev_b32_e32 v2, 24, v2
	s_movk_i32 s10, 0x80
	v_and_or_b32 v6, v2, s10, v5
.LBB46_2782:
	s_or_b64 exec, exec, s[12:13]
.LBB46_2783:
	s_or_b64 exec, exec, s[4:5]
	global_store_byte v[0:1], v6, off
.LBB46_2784:
	s_mov_b64 s[4:5], -1
.LBB46_2785:
	s_mov_b64 s[10:11], 0
.LBB46_2786:
	s_and_b64 vcc, exec, s[10:11]
	s_cbranch_vccz .LBB46_2826
; %bb.2787:
	s_cmp_gt_i32 s15, 22
	s_mov_b64 s[2:3], -1
	s_cbranch_scc0 .LBB46_2819
; %bb.2788:
	s_cmp_lt_i32 s15, 24
	s_cbranch_scc1 .LBB46_2808
; %bb.2789:
	s_cmp_gt_i32 s15, 24
	s_cbranch_scc0 .LBB46_2797
; %bb.2790:
	v_bfe_i32 v2, v4, 0, 8
	v_cvt_f32_i32_sdwa v2, sext(v2) dst_sel:DWORD dst_unused:UNUSED_PAD src0_sel:WORD_0
	s_mov_b32 s2, 0x47800000
	v_mov_b32_e32 v6, 0x80
	v_and_b32_e32 v5, 0x7fffffff, v2
	v_cmp_gt_u32_e32 vcc, s2, v5
	s_and_saveexec_b64 s[2:3], vcc
	s_cbranch_execz .LBB46_2796
; %bb.2791:
	s_mov_b32 s4, 0x37ffffff
	v_cmp_lt_u32_e32 vcc, s4, v5
	s_mov_b64 s[4:5], 0
                                        ; implicit-def: $vgpr5
	s_and_saveexec_b64 s[10:11], vcc
	s_xor_b64 s[10:11], exec, s[10:11]
	s_cbranch_execz .LBB46_3007
; %bb.2792:
	v_bfe_u32 v5, v2, 21, 1
	s_mov_b32 s12, 0x88fffff
	v_add3_u32 v5, v2, v5, s12
	s_mov_b64 s[4:5], exec
	v_lshrrev_b32_e32 v5, 21, v5
	s_andn2_saveexec_b64 s[10:11], s[10:11]
	s_cbranch_execnz .LBB46_3008
.LBB46_2793:
	s_or_b64 exec, exec, s[10:11]
	v_mov_b32_e32 v6, 0
	s_and_saveexec_b64 s[10:11], s[4:5]
.LBB46_2794:
	v_lshrrev_b32_e32 v2, 24, v2
	s_movk_i32 s4, 0x80
	v_and_or_b32 v6, v2, s4, v5
.LBB46_2795:
	s_or_b64 exec, exec, s[10:11]
.LBB46_2796:
	s_or_b64 exec, exec, s[2:3]
	s_mov_b64 s[2:3], 0
	global_store_byte v[0:1], v6, off
.LBB46_2797:
	s_and_b64 vcc, exec, s[2:3]
	s_cbranch_vccz .LBB46_2807
; %bb.2798:
	v_bfe_i32 v2, v4, 0, 8
	v_cvt_f32_i32_sdwa v2, sext(v2) dst_sel:DWORD dst_unused:UNUSED_PAD src0_sel:WORD_0
	s_mov_b32 s2, 0x43f00000
                                        ; implicit-def: $vgpr5
	v_and_b32_e32 v6, 0x7fffffff, v2
	v_cmp_gt_u32_e32 vcc, s2, v6
	s_and_saveexec_b64 s[2:3], vcc
	s_xor_b64 s[2:3], exec, s[2:3]
	s_cbranch_execz .LBB46_2804
; %bb.2799:
	s_mov_b32 s4, 0x3c7fffff
	v_cmp_lt_u32_e32 vcc, s4, v6
                                        ; implicit-def: $vgpr5
	s_and_saveexec_b64 s[4:5], vcc
	s_xor_b64 s[4:5], exec, s[4:5]
; %bb.2800:
	v_bfe_u32 v5, v2, 20, 1
	s_mov_b32 s10, 0x407ffff
	v_add3_u32 v5, v2, v5, s10
	v_lshrrev_b32_e32 v6, 20, v5
	v_and_b32_e32 v5, 0xff00000, v5
	s_mov_b32 s10, 0x7f00000
	v_mov_b32_e32 v8, 0x7e
	v_cmp_ne_u32_e32 vcc, s10, v5
	v_cndmask_b32_e32 v5, v8, v6, vcc
; %bb.2801:
	s_andn2_saveexec_b64 s[4:5], s[4:5]
; %bb.2802:
	s_mov_b32 s10, 0x46800000
	v_add_f32_e64 v5, |v2|, s10
; %bb.2803:
	s_or_b64 exec, exec, s[4:5]
                                        ; implicit-def: $vgpr6
.LBB46_2804:
	s_andn2_saveexec_b64 s[2:3], s[2:3]
; %bb.2805:
	s_mov_b32 s4, 0x7f800000
	v_mov_b32_e32 v5, 0x7e
	v_mov_b32_e32 v8, 0x7f
	v_cmp_lt_u32_e32 vcc, s4, v6
	v_cndmask_b32_e32 v5, v5, v8, vcc
; %bb.2806:
	s_or_b64 exec, exec, s[2:3]
	v_lshrrev_b32_e32 v2, 24, v2
	s_movk_i32 s2, 0x80
	v_and_or_b32 v2, v2, s2, v5
	global_store_byte v[0:1], v2, off
.LBB46_2807:
	s_mov_b64 s[2:3], 0
.LBB46_2808:
	s_andn2_b64 vcc, exec, s[2:3]
	s_cbranch_vccnz .LBB46_2818
; %bb.2809:
	v_bfe_i32 v2, v4, 0, 8
	v_cvt_f32_i32_sdwa v2, sext(v2) dst_sel:DWORD dst_unused:UNUSED_PAD src0_sel:WORD_0
	s_mov_b32 s2, 0x47800000
                                        ; implicit-def: $vgpr5
	v_and_b32_e32 v6, 0x7fffffff, v2
	v_cmp_gt_u32_e32 vcc, s2, v6
	s_and_saveexec_b64 s[2:3], vcc
	s_xor_b64 s[2:3], exec, s[2:3]
	s_cbranch_execz .LBB46_2815
; %bb.2810:
	s_mov_b32 s4, 0x387fffff
	v_cmp_lt_u32_e32 vcc, s4, v6
                                        ; implicit-def: $vgpr5
	s_and_saveexec_b64 s[4:5], vcc
	s_xor_b64 s[4:5], exec, s[4:5]
; %bb.2811:
	v_bfe_u32 v5, v2, 21, 1
	s_mov_b32 s10, 0x80fffff
	v_add3_u32 v5, v2, v5, s10
	v_lshrrev_b32_e32 v5, 21, v5
; %bb.2812:
	s_andn2_saveexec_b64 s[4:5], s[4:5]
; %bb.2813:
	s_mov_b32 s10, 0x43000000
	v_add_f32_e64 v5, |v2|, s10
; %bb.2814:
	s_or_b64 exec, exec, s[4:5]
                                        ; implicit-def: $vgpr6
.LBB46_2815:
	s_andn2_saveexec_b64 s[2:3], s[2:3]
; %bb.2816:
	s_mov_b32 s4, 0x7f800000
	v_mov_b32_e32 v5, 0x7c
	v_mov_b32_e32 v8, 0x7f
	v_cmp_lt_u32_e32 vcc, s4, v6
	v_cndmask_b32_e32 v5, v5, v8, vcc
; %bb.2817:
	s_or_b64 exec, exec, s[2:3]
	v_lshrrev_b32_e32 v2, 24, v2
	s_movk_i32 s2, 0x80
	v_and_or_b32 v2, v2, s2, v5
	global_store_byte v[0:1], v2, off
.LBB46_2818:
	s_mov_b64 s[2:3], 0
	s_mov_b64 s[4:5], -1
.LBB46_2819:
	s_andn2_b64 vcc, exec, s[2:3]
	s_mov_b64 s[2:3], 0
	s_cbranch_vccnz .LBB46_2826
; %bb.2820:
	s_cmp_gt_i32 s15, 14
	s_mov_b64 s[10:11], -1
	s_cbranch_scc0 .LBB46_2824
; %bb.2821:
	s_cmp_eq_u32 s15, 15
	s_mov_b64 s[0:1], -1
	s_cbranch_scc0 .LBB46_2823
; %bb.2822:
	v_bfe_i32 v2, v4, 0, 8
	v_cvt_f32_i32_sdwa v2, sext(v2) dst_sel:DWORD dst_unused:UNUSED_PAD src0_sel:WORD_0
	s_movk_i32 s2, 0x7fff
	s_mov_b64 s[0:1], 0
	s_mov_b64 s[4:5], -1
	v_bfe_u32 v5, v2, 16, 1
	v_add3_u32 v2, v2, v5, s2
	global_store_short_d16_hi v[0:1], v2, off
.LBB46_2823:
	s_mov_b64 s[10:11], 0
.LBB46_2824:
	s_mov_b64 s[2:3], 0
	s_and_b64 vcc, exec, s[10:11]
	s_cbranch_vccz .LBB46_2826
; %bb.2825:
	s_cmp_lg_u32 s15, 11
	s_mov_b64 s[2:3], -1
	s_cselect_b64 s[0:1], -1, 0
.LBB46_2826:
	s_and_b64 vcc, exec, s[0:1]
	s_cbranch_vccnz .LBB46_3006
; %bb.2827:
	s_andn2_b64 vcc, exec, s[2:3]
	s_cbranch_vccnz .LBB46_2829
.LBB46_2828:
	v_mov_b32_e32 v2, 0
	v_cmp_ne_u16_sdwa s[0:1], v4, v2 src0_sel:BYTE_0 src1_sel:DWORD
	v_cndmask_b32_e64 v2, 0, 1, s[0:1]
	s_mov_b64 s[4:5], -1
	global_store_byte v[0:1], v2, off
.LBB46_2829:
	s_mov_b64 s[0:1], 0
	s_branch .LBB46_2831
.LBB46_2830:
	s_mov_b64 s[0:1], -1
	s_mov_b64 s[4:5], 0
.LBB46_2831:
	s_and_b64 vcc, exec, s[0:1]
	s_cbranch_vccz .LBB46_2870
; %bb.2832:
	s_and_b32 s2, 0xffff, s20
	s_cmp_lt_i32 s2, 5
	s_mov_b64 s[0:1], -1
	s_cbranch_scc1 .LBB46_2853
; %bb.2833:
	s_cmp_lt_i32 s2, 8
	s_cbranch_scc1 .LBB46_2843
; %bb.2834:
	s_cmp_lt_i32 s2, 9
	s_cbranch_scc1 .LBB46_2840
; %bb.2835:
	s_cmp_gt_i32 s2, 9
	s_cbranch_scc0 .LBB46_2837
; %bb.2836:
	v_bfe_i32 v2, v4, 0, 8
	v_bfe_i32 v2, v2, 0, 16
	s_waitcnt vmcnt(0)
	v_cvt_f64_i32_e32 v[11:12], v2
	v_mov_b32_e32 v13, 0
	v_mov_b32_e32 v14, v13
	s_mov_b64 s[0:1], 0
	global_store_dwordx4 v[0:1], v[11:14], off
.LBB46_2837:
	s_andn2_b64 vcc, exec, s[0:1]
	s_cbranch_vccnz .LBB46_2839
; %bb.2838:
	v_bfe_i32 v2, v4, 0, 8
	v_cvt_f32_i32_sdwa v5, sext(v2) dst_sel:DWORD dst_unused:UNUSED_PAD src0_sel:WORD_0
	v_mov_b32_e32 v6, 0
	global_store_dwordx2 v[0:1], v[5:6], off
.LBB46_2839:
	s_mov_b64 s[0:1], 0
.LBB46_2840:
	s_andn2_b64 vcc, exec, s[0:1]
	s_cbranch_vccnz .LBB46_2842
; %bb.2841:
	v_cvt_f16_i16_sdwa v2, sext(v4) dst_sel:DWORD dst_unused:UNUSED_PAD src0_sel:BYTE_0
	global_store_dword v[0:1], v2, off
.LBB46_2842:
	s_mov_b64 s[0:1], 0
.LBB46_2843:
	s_andn2_b64 vcc, exec, s[0:1]
	s_cbranch_vccnz .LBB46_2852
; %bb.2844:
	s_cmp_lt_i32 s2, 6
	s_mov_b64 s[0:1], -1
	s_cbranch_scc1 .LBB46_2850
; %bb.2845:
	s_cmp_gt_i32 s2, 6
	s_cbranch_scc0 .LBB46_2847
; %bb.2846:
	v_bfe_i32 v2, v4, 0, 8
	v_bfe_i32 v2, v2, 0, 16
	v_cvt_f64_i32_e32 v[5:6], v2
	s_mov_b64 s[0:1], 0
	global_store_dwordx2 v[0:1], v[5:6], off
.LBB46_2847:
	s_andn2_b64 vcc, exec, s[0:1]
	s_cbranch_vccnz .LBB46_2849
; %bb.2848:
	v_bfe_i32 v2, v4, 0, 8
	v_cvt_f32_i32_sdwa v2, sext(v2) dst_sel:DWORD dst_unused:UNUSED_PAD src0_sel:WORD_0
	global_store_dword v[0:1], v2, off
.LBB46_2849:
	s_mov_b64 s[0:1], 0
.LBB46_2850:
	s_andn2_b64 vcc, exec, s[0:1]
	s_cbranch_vccnz .LBB46_2852
; %bb.2851:
	v_cvt_f16_i16_sdwa v2, sext(v4) dst_sel:DWORD dst_unused:UNUSED_PAD src0_sel:BYTE_0
	global_store_short v[0:1], v2, off
.LBB46_2852:
	s_mov_b64 s[0:1], 0
.LBB46_2853:
	s_andn2_b64 vcc, exec, s[0:1]
	s_cbranch_vccnz .LBB46_2869
; %bb.2854:
	s_cmp_lt_i32 s2, 2
	s_mov_b64 s[0:1], -1
	s_cbranch_scc1 .LBB46_2864
; %bb.2855:
	s_cmp_lt_i32 s2, 3
	s_cbranch_scc1 .LBB46_2861
; %bb.2856:
	s_cmp_gt_i32 s2, 3
	s_cbranch_scc0 .LBB46_2858
; %bb.2857:
	v_bfe_i32 v5, v4, 0, 8
	v_ashrrev_i32_e32 v6, 31, v5
	global_store_dwordx2 v[0:1], v[5:6], off
	s_mov_b64 s[0:1], 0
.LBB46_2858:
	s_andn2_b64 vcc, exec, s[0:1]
	s_cbranch_vccnz .LBB46_2860
; %bb.2859:
	v_bfe_i32 v2, v4, 0, 8
	global_store_dword v[0:1], v2, off
.LBB46_2860:
	s_mov_b64 s[0:1], 0
.LBB46_2861:
	s_andn2_b64 vcc, exec, s[0:1]
	s_cbranch_vccnz .LBB46_2863
; %bb.2862:
	v_bfe_i32 v2, v4, 0, 8
	global_store_short v[0:1], v2, off
.LBB46_2863:
	s_mov_b64 s[0:1], 0
.LBB46_2864:
	s_andn2_b64 vcc, exec, s[0:1]
	s_cbranch_vccnz .LBB46_2869
; %bb.2865:
	s_cmp_gt_i32 s2, 0
	s_mov_b64 s[0:1], -1
	s_cbranch_scc0 .LBB46_2867
; %bb.2866:
	global_store_byte v[0:1], v4, off
	s_mov_b64 s[0:1], 0
.LBB46_2867:
	s_andn2_b64 vcc, exec, s[0:1]
	s_cbranch_vccnz .LBB46_2869
; %bb.2868:
	global_store_byte v[0:1], v4, off
.LBB46_2869:
	s_mov_b64 s[4:5], -1
.LBB46_2870:
	s_andn2_b64 vcc, exec, s[4:5]
	s_cbranch_vccnz .LBB46_2947
; %bb.2871:
	v_mov_b32_e32 v0, s54
	v_cmp_gt_i16_sdwa vcc, sext(v7), s33 src0_sel:BYTE_0 src1_sel:DWORD
	s_waitcnt vmcnt(0)
	v_cndmask_b32_e32 v2, v0, v10, vcc
	v_add_u32_e32 v0, s14, v3
	v_ashrrev_i32_e32 v1, 31, v0
	v_mov_b32_e32 v3, s9
	v_add_co_u32_e32 v0, vcc, s8, v0
	s_cmp_lt_i32 s20, 11
	v_addc_co_u32_e32 v1, vcc, v3, v1, vcc
	s_cbranch_scc1 .LBB46_2992
; %bb.2872:
	s_and_b32 s12, 0xffff, s20
	s_mov_b64 s[4:5], -1
	s_mov_b64 s[2:3], 0
	s_cmp_gt_i32 s12, 25
	s_mov_b64 s[0:1], 0
	s_cbranch_scc0 .LBB46_2905
; %bb.2873:
	s_cmp_gt_i32 s12, 28
	s_cbranch_scc0 .LBB46_2889
; %bb.2874:
	s_cmp_gt_i32 s12, 43
	;; [unrolled: 3-line block ×3, first 2 shown]
	s_cbranch_scc0 .LBB46_2879
; %bb.2876:
	s_cmp_eq_u32 s12, 46
	s_mov_b64 s[0:1], -1
	s_cbranch_scc0 .LBB46_2878
; %bb.2877:
	v_bfe_i32 v3, v2, 0, 8
	v_cvt_f32_i32_sdwa v3, sext(v3) dst_sel:DWORD dst_unused:UNUSED_PAD src0_sel:WORD_0
	s_movk_i32 s0, 0x7fff
	v_bfe_u32 v4, v3, 16, 1
	v_add3_u32 v3, v3, v4, s0
	v_lshrrev_b32_e32 v3, 16, v3
	global_store_dword v[0:1], v3, off
	s_mov_b64 s[0:1], 0
.LBB46_2878:
	s_mov_b64 s[4:5], 0
.LBB46_2879:
	s_and_b64 vcc, exec, s[4:5]
	s_cbranch_vccz .LBB46_2884
; %bb.2880:
	s_cmp_eq_u32 s12, 44
	s_mov_b64 s[0:1], -1
	s_cbranch_scc0 .LBB46_2884
; %bb.2881:
	v_bfe_i32 v3, v2, 0, 8
	v_cvt_f32_i32_sdwa v3, sext(v3) dst_sel:DWORD dst_unused:UNUSED_PAD src0_sel:WORD_0
	s_movk_i32 s0, 0xff
	v_mov_b32_e32 v5, 0xff
	v_bfe_u32 v4, v3, 23, 8
	v_cmp_ne_u32_e32 vcc, s0, v4
	s_and_saveexec_b64 s[4:5], vcc
; %bb.2882:
	s_mov_b32 s0, 0x3fffff
	v_lshrrev_b32_e32 v5, 23, v3
	v_and_b32_e32 v6, 0x400000, v3
	v_and_or_b32 v3, v3, s0, v4
	v_cmp_ne_u32_e32 vcc, 0, v6
	v_cmp_ne_u32_e64 s[0:1], 0, v3
	s_and_b64 s[0:1], vcc, s[0:1]
	v_cndmask_b32_e64 v3, 0, 1, s[0:1]
	v_add_u32_e32 v5, v5, v3
; %bb.2883:
	s_or_b64 exec, exec, s[4:5]
	s_mov_b64 s[0:1], 0
	global_store_byte v[0:1], v5, off
.LBB46_2884:
	s_mov_b64 s[4:5], 0
.LBB46_2885:
	s_and_b64 vcc, exec, s[4:5]
	s_cbranch_vccz .LBB46_2888
; %bb.2886:
	s_cmp_eq_u32 s12, 29
	s_mov_b64 s[0:1], -1
	s_cbranch_scc0 .LBB46_2888
; %bb.2887:
	v_bfe_i32 v3, v2, 0, 8
	v_ashrrev_i32_e32 v4, 31, v3
	global_store_dwordx2 v[0:1], v[3:4], off
	s_mov_b64 s[0:1], 0
.LBB46_2888:
	s_mov_b64 s[4:5], 0
.LBB46_2889:
	s_and_b64 vcc, exec, s[4:5]
	s_cbranch_vccz .LBB46_2904
; %bb.2890:
	s_cmp_lt_i32 s12, 27
	s_mov_b64 s[4:5], -1
	s_cbranch_scc1 .LBB46_2896
; %bb.2891:
	s_cmp_gt_i32 s12, 27
	s_cbranch_scc0 .LBB46_2893
; %bb.2892:
	v_bfe_i32 v3, v2, 0, 8
	global_store_dword v[0:1], v3, off
	s_mov_b64 s[4:5], 0
.LBB46_2893:
	s_andn2_b64 vcc, exec, s[4:5]
	s_cbranch_vccnz .LBB46_2895
; %bb.2894:
	v_bfe_i32 v3, v2, 0, 8
	global_store_short v[0:1], v3, off
.LBB46_2895:
	s_mov_b64 s[4:5], 0
.LBB46_2896:
	s_andn2_b64 vcc, exec, s[4:5]
	s_cbranch_vccnz .LBB46_2904
; %bb.2897:
	v_bfe_i32 v3, v2, 0, 8
	v_cvt_f32_i32_sdwa v3, sext(v3) dst_sel:DWORD dst_unused:UNUSED_PAD src0_sel:WORD_0
	s_mov_b32 s4, 0x43800000
	v_mov_b32_e32 v5, 0x80
	v_and_b32_e32 v4, 0x7fffffff, v3
	v_cmp_gt_u32_e32 vcc, s4, v4
	s_and_saveexec_b64 s[4:5], vcc
	s_cbranch_execz .LBB46_2903
; %bb.2898:
	s_mov_b32 s8, 0x3bffffff
	v_cmp_lt_u32_e32 vcc, s8, v4
	s_mov_b64 s[8:9], 0
                                        ; implicit-def: $vgpr4
	s_and_saveexec_b64 s[10:11], vcc
	s_xor_b64 s[10:11], exec, s[10:11]
	s_cbranch_execz .LBB46_3009
; %bb.2899:
	v_bfe_u32 v4, v3, 20, 1
	s_mov_b32 s13, 0x487ffff
	v_add3_u32 v4, v3, v4, s13
	s_mov_b64 s[8:9], exec
	v_lshrrev_b32_e32 v4, 20, v4
	s_andn2_saveexec_b64 s[10:11], s[10:11]
	s_cbranch_execnz .LBB46_3010
.LBB46_2900:
	s_or_b64 exec, exec, s[10:11]
	v_mov_b32_e32 v5, 0
	s_and_saveexec_b64 s[10:11], s[8:9]
.LBB46_2901:
	v_lshrrev_b32_e32 v3, 24, v3
	s_movk_i32 s8, 0x80
	v_and_or_b32 v5, v3, s8, v4
.LBB46_2902:
	s_or_b64 exec, exec, s[10:11]
.LBB46_2903:
	s_or_b64 exec, exec, s[4:5]
	global_store_byte v[0:1], v5, off
.LBB46_2904:
	s_mov_b64 s[4:5], 0
.LBB46_2905:
	s_and_b64 vcc, exec, s[4:5]
	s_cbranch_vccz .LBB46_2945
; %bb.2906:
	s_cmp_gt_i32 s12, 22
	s_mov_b64 s[2:3], -1
	s_cbranch_scc0 .LBB46_2938
; %bb.2907:
	s_cmp_lt_i32 s12, 24
	s_cbranch_scc1 .LBB46_2927
; %bb.2908:
	s_cmp_gt_i32 s12, 24
	s_cbranch_scc0 .LBB46_2916
; %bb.2909:
	v_bfe_i32 v3, v2, 0, 8
	v_cvt_f32_i32_sdwa v3, sext(v3) dst_sel:DWORD dst_unused:UNUSED_PAD src0_sel:WORD_0
	s_mov_b32 s2, 0x47800000
	v_mov_b32_e32 v5, 0x80
	v_and_b32_e32 v4, 0x7fffffff, v3
	v_cmp_gt_u32_e32 vcc, s2, v4
	s_and_saveexec_b64 s[2:3], vcc
	s_cbranch_execz .LBB46_2915
; %bb.2910:
	s_mov_b32 s4, 0x37ffffff
	v_cmp_lt_u32_e32 vcc, s4, v4
	s_mov_b64 s[4:5], 0
                                        ; implicit-def: $vgpr4
	s_and_saveexec_b64 s[8:9], vcc
	s_xor_b64 s[8:9], exec, s[8:9]
	s_cbranch_execz .LBB46_3012
; %bb.2911:
	v_bfe_u32 v4, v3, 21, 1
	s_mov_b32 s10, 0x88fffff
	v_add3_u32 v4, v3, v4, s10
	s_mov_b64 s[4:5], exec
	v_lshrrev_b32_e32 v4, 21, v4
	s_andn2_saveexec_b64 s[8:9], s[8:9]
	s_cbranch_execnz .LBB46_3013
.LBB46_2912:
	s_or_b64 exec, exec, s[8:9]
	v_mov_b32_e32 v5, 0
	s_and_saveexec_b64 s[8:9], s[4:5]
.LBB46_2913:
	v_lshrrev_b32_e32 v3, 24, v3
	s_movk_i32 s4, 0x80
	v_and_or_b32 v5, v3, s4, v4
.LBB46_2914:
	s_or_b64 exec, exec, s[8:9]
.LBB46_2915:
	s_or_b64 exec, exec, s[2:3]
	s_mov_b64 s[2:3], 0
	global_store_byte v[0:1], v5, off
.LBB46_2916:
	s_and_b64 vcc, exec, s[2:3]
	s_cbranch_vccz .LBB46_2926
; %bb.2917:
	v_bfe_i32 v3, v2, 0, 8
	v_cvt_f32_i32_sdwa v3, sext(v3) dst_sel:DWORD dst_unused:UNUSED_PAD src0_sel:WORD_0
	s_mov_b32 s2, 0x43f00000
                                        ; implicit-def: $vgpr4
	v_and_b32_e32 v5, 0x7fffffff, v3
	v_cmp_gt_u32_e32 vcc, s2, v5
	s_and_saveexec_b64 s[2:3], vcc
	s_xor_b64 s[2:3], exec, s[2:3]
	s_cbranch_execz .LBB46_2923
; %bb.2918:
	s_mov_b32 s4, 0x3c7fffff
	v_cmp_lt_u32_e32 vcc, s4, v5
                                        ; implicit-def: $vgpr4
	s_and_saveexec_b64 s[4:5], vcc
	s_xor_b64 s[4:5], exec, s[4:5]
; %bb.2919:
	v_bfe_u32 v4, v3, 20, 1
	s_mov_b32 s8, 0x407ffff
	v_add3_u32 v4, v3, v4, s8
	v_lshrrev_b32_e32 v5, 20, v4
	v_and_b32_e32 v4, 0xff00000, v4
	s_mov_b32 s8, 0x7f00000
	v_mov_b32_e32 v6, 0x7e
	v_cmp_ne_u32_e32 vcc, s8, v4
	v_cndmask_b32_e32 v4, v6, v5, vcc
; %bb.2920:
	s_andn2_saveexec_b64 s[4:5], s[4:5]
; %bb.2921:
	s_mov_b32 s8, 0x46800000
	v_add_f32_e64 v4, |v3|, s8
; %bb.2922:
	s_or_b64 exec, exec, s[4:5]
                                        ; implicit-def: $vgpr5
.LBB46_2923:
	s_andn2_saveexec_b64 s[2:3], s[2:3]
; %bb.2924:
	s_mov_b32 s4, 0x7f800000
	v_mov_b32_e32 v4, 0x7e
	v_mov_b32_e32 v6, 0x7f
	v_cmp_lt_u32_e32 vcc, s4, v5
	v_cndmask_b32_e32 v4, v4, v6, vcc
; %bb.2925:
	s_or_b64 exec, exec, s[2:3]
	v_lshrrev_b32_e32 v3, 24, v3
	s_movk_i32 s2, 0x80
	v_and_or_b32 v3, v3, s2, v4
	global_store_byte v[0:1], v3, off
.LBB46_2926:
	s_mov_b64 s[2:3], 0
.LBB46_2927:
	s_andn2_b64 vcc, exec, s[2:3]
	s_cbranch_vccnz .LBB46_2937
; %bb.2928:
	v_bfe_i32 v3, v2, 0, 8
	v_cvt_f32_i32_sdwa v3, sext(v3) dst_sel:DWORD dst_unused:UNUSED_PAD src0_sel:WORD_0
	s_mov_b32 s2, 0x47800000
                                        ; implicit-def: $vgpr4
	v_and_b32_e32 v5, 0x7fffffff, v3
	v_cmp_gt_u32_e32 vcc, s2, v5
	s_and_saveexec_b64 s[2:3], vcc
	s_xor_b64 s[2:3], exec, s[2:3]
	s_cbranch_execz .LBB46_2934
; %bb.2929:
	s_mov_b32 s4, 0x387fffff
	v_cmp_lt_u32_e32 vcc, s4, v5
                                        ; implicit-def: $vgpr4
	s_and_saveexec_b64 s[4:5], vcc
	s_xor_b64 s[4:5], exec, s[4:5]
; %bb.2930:
	v_bfe_u32 v4, v3, 21, 1
	s_mov_b32 s8, 0x80fffff
	v_add3_u32 v4, v3, v4, s8
	v_lshrrev_b32_e32 v4, 21, v4
; %bb.2931:
	s_andn2_saveexec_b64 s[4:5], s[4:5]
; %bb.2932:
	s_mov_b32 s8, 0x43000000
	v_add_f32_e64 v4, |v3|, s8
; %bb.2933:
	s_or_b64 exec, exec, s[4:5]
                                        ; implicit-def: $vgpr5
.LBB46_2934:
	s_andn2_saveexec_b64 s[2:3], s[2:3]
; %bb.2935:
	s_mov_b32 s4, 0x7f800000
	v_mov_b32_e32 v4, 0x7c
	v_mov_b32_e32 v6, 0x7f
	v_cmp_lt_u32_e32 vcc, s4, v5
	v_cndmask_b32_e32 v4, v4, v6, vcc
; %bb.2936:
	s_or_b64 exec, exec, s[2:3]
	v_lshrrev_b32_e32 v3, 24, v3
	s_movk_i32 s2, 0x80
	v_and_or_b32 v3, v3, s2, v4
	global_store_byte v[0:1], v3, off
.LBB46_2937:
	s_mov_b64 s[2:3], 0
.LBB46_2938:
	s_andn2_b64 vcc, exec, s[2:3]
	s_mov_b64 s[2:3], 0
	s_cbranch_vccnz .LBB46_2945
; %bb.2939:
	s_cmp_gt_i32 s12, 14
	s_mov_b64 s[4:5], -1
	s_cbranch_scc0 .LBB46_2943
; %bb.2940:
	s_cmp_eq_u32 s12, 15
	s_mov_b64 s[0:1], -1
	s_cbranch_scc0 .LBB46_2942
; %bb.2941:
	v_bfe_i32 v3, v2, 0, 8
	v_cvt_f32_i32_sdwa v3, sext(v3) dst_sel:DWORD dst_unused:UNUSED_PAD src0_sel:WORD_0
	s_movk_i32 s0, 0x7fff
	v_bfe_u32 v4, v3, 16, 1
	v_add3_u32 v3, v3, v4, s0
	global_store_short_d16_hi v[0:1], v3, off
	s_mov_b64 s[0:1], 0
.LBB46_2942:
	s_mov_b64 s[4:5], 0
.LBB46_2943:
	s_and_b64 vcc, exec, s[4:5]
	s_cbranch_vccz .LBB46_2945
; %bb.2944:
	s_cmp_lg_u32 s12, 11
	s_mov_b64 s[2:3], -1
	s_cselect_b64 s[0:1], -1, 0
.LBB46_2945:
	s_and_b64 vcc, exec, s[0:1]
	s_cbranch_vccnz .LBB46_3011
.LBB46_2946:
	s_mov_b64 s[0:1], 0
	s_branch .LBB46_2948
.LBB46_2947:
	s_mov_b64 s[0:1], 0
	s_mov_b64 s[2:3], 0
                                        ; implicit-def: $sgpr20
                                        ; implicit-def: $vgpr0_vgpr1
                                        ; implicit-def: $vgpr2
.LBB46_2948:
	s_and_b64 s[4:5], s[2:3], exec
	s_andn2_b64 s[2:3], s[16:17], exec
	s_and_b64 s[8:9], s[18:19], exec
	s_and_b64 s[0:1], s[0:1], exec
	s_or_b64 s[16:17], s[2:3], s[8:9]
.LBB46_2949:
	s_or_b64 exec, exec, s[6:7]
	s_and_saveexec_b64 s[2:3], s[16:17]
	s_cbranch_execz .LBB46_2952
; %bb.2950:
	; divergent unreachable
	s_or_b64 exec, exec, s[2:3]
	s_and_saveexec_b64 s[2:3], s[4:5]
	s_xor_b64 s[2:3], exec, s[2:3]
	s_cbranch_execnz .LBB46_2953
.LBB46_2951:
	s_or_b64 exec, exec, s[2:3]
	s_and_saveexec_b64 s[2:3], s[0:1]
	s_cbranch_execnz .LBB46_2954
	s_branch .LBB46_2991
.LBB46_2952:
	s_or_b64 exec, exec, s[2:3]
	s_and_saveexec_b64 s[2:3], s[4:5]
	s_xor_b64 s[2:3], exec, s[2:3]
	s_cbranch_execz .LBB46_2951
.LBB46_2953:
	s_waitcnt vmcnt(0)
	v_mov_b32_e32 v3, 0
	v_cmp_ne_u16_sdwa s[4:5], v2, v3 src0_sel:BYTE_0 src1_sel:DWORD
	v_cndmask_b32_e64 v3, 0, 1, s[4:5]
	global_store_byte v[0:1], v3, off
	s_or_b64 exec, exec, s[2:3]
	s_and_saveexec_b64 s[2:3], s[0:1]
	s_cbranch_execz .LBB46_2991
.LBB46_2954:
	s_sext_i32_i16 s2, s20
	s_cmp_lt_i32 s2, 5
	s_mov_b64 s[0:1], -1
	s_cbranch_scc1 .LBB46_2975
; %bb.2955:
	s_cmp_lt_i32 s2, 8
	s_cbranch_scc1 .LBB46_2965
; %bb.2956:
	s_cmp_lt_i32 s2, 9
	s_cbranch_scc1 .LBB46_2962
; %bb.2957:
	s_cmp_gt_i32 s2, 9
	s_cbranch_scc0 .LBB46_2959
; %bb.2958:
	s_waitcnt vmcnt(0)
	v_bfe_i32 v3, v2, 0, 8
	v_bfe_i32 v3, v3, 0, 16
	v_cvt_f64_i32_e32 v[3:4], v3
	v_mov_b32_e32 v5, 0
	v_mov_b32_e32 v6, v5
	s_mov_b64 s[0:1], 0
	global_store_dwordx4 v[0:1], v[3:6], off
.LBB46_2959:
	s_andn2_b64 vcc, exec, s[0:1]
	s_cbranch_vccnz .LBB46_2961
; %bb.2960:
	s_waitcnt vmcnt(0)
	v_bfe_i32 v3, v2, 0, 8
	v_cvt_f32_i32_sdwa v3, sext(v3) dst_sel:DWORD dst_unused:UNUSED_PAD src0_sel:WORD_0
	v_mov_b32_e32 v4, 0
	global_store_dwordx2 v[0:1], v[3:4], off
.LBB46_2961:
	s_mov_b64 s[0:1], 0
.LBB46_2962:
	s_andn2_b64 vcc, exec, s[0:1]
	s_cbranch_vccnz .LBB46_2964
; %bb.2963:
	s_waitcnt vmcnt(0)
	v_cvt_f16_i16_sdwa v3, sext(v2) dst_sel:DWORD dst_unused:UNUSED_PAD src0_sel:BYTE_0
	global_store_dword v[0:1], v3, off
.LBB46_2964:
	s_mov_b64 s[0:1], 0
.LBB46_2965:
	s_andn2_b64 vcc, exec, s[0:1]
	s_cbranch_vccnz .LBB46_2974
; %bb.2966:
	s_sext_i32_i16 s2, s20
	s_cmp_lt_i32 s2, 6
	s_mov_b64 s[0:1], -1
	s_cbranch_scc1 .LBB46_2972
; %bb.2967:
	s_cmp_gt_i32 s2, 6
	s_cbranch_scc0 .LBB46_2969
; %bb.2968:
	s_waitcnt vmcnt(0)
	v_bfe_i32 v3, v2, 0, 8
	v_bfe_i32 v3, v3, 0, 16
	v_cvt_f64_i32_e32 v[3:4], v3
	s_mov_b64 s[0:1], 0
	global_store_dwordx2 v[0:1], v[3:4], off
.LBB46_2969:
	s_andn2_b64 vcc, exec, s[0:1]
	s_cbranch_vccnz .LBB46_2971
; %bb.2970:
	s_waitcnt vmcnt(0)
	v_bfe_i32 v3, v2, 0, 8
	v_cvt_f32_i32_sdwa v3, sext(v3) dst_sel:DWORD dst_unused:UNUSED_PAD src0_sel:WORD_0
	global_store_dword v[0:1], v3, off
.LBB46_2971:
	s_mov_b64 s[0:1], 0
.LBB46_2972:
	s_andn2_b64 vcc, exec, s[0:1]
	s_cbranch_vccnz .LBB46_2974
; %bb.2973:
	s_waitcnt vmcnt(0)
	v_cvt_f16_i16_sdwa v3, sext(v2) dst_sel:DWORD dst_unused:UNUSED_PAD src0_sel:BYTE_0
	global_store_short v[0:1], v3, off
.LBB46_2974:
	s_mov_b64 s[0:1], 0
.LBB46_2975:
	s_andn2_b64 vcc, exec, s[0:1]
	s_cbranch_vccnz .LBB46_2991
; %bb.2976:
	s_sext_i32_i16 s2, s20
	s_cmp_lt_i32 s2, 2
	s_mov_b64 s[0:1], -1
	s_cbranch_scc1 .LBB46_2986
; %bb.2977:
	s_cmp_lt_i32 s2, 3
	s_cbranch_scc1 .LBB46_2983
; %bb.2978:
	s_cmp_gt_i32 s2, 3
	s_cbranch_scc0 .LBB46_2980
; %bb.2979:
	s_waitcnt vmcnt(0)
	v_bfe_i32 v3, v2, 0, 8
	v_ashrrev_i32_e32 v4, 31, v3
	global_store_dwordx2 v[0:1], v[3:4], off
	s_mov_b64 s[0:1], 0
.LBB46_2980:
	s_andn2_b64 vcc, exec, s[0:1]
	s_cbranch_vccnz .LBB46_2982
; %bb.2981:
	s_waitcnt vmcnt(0)
	v_bfe_i32 v3, v2, 0, 8
	global_store_dword v[0:1], v3, off
.LBB46_2982:
	s_mov_b64 s[0:1], 0
.LBB46_2983:
	s_andn2_b64 vcc, exec, s[0:1]
	s_cbranch_vccnz .LBB46_2985
; %bb.2984:
	s_waitcnt vmcnt(0)
	v_bfe_i32 v3, v2, 0, 8
	global_store_short v[0:1], v3, off
.LBB46_2985:
	s_mov_b64 s[0:1], 0
.LBB46_2986:
	s_andn2_b64 vcc, exec, s[0:1]
	s_cbranch_vccnz .LBB46_2991
; %bb.2987:
	s_sext_i32_i16 s0, s20
	s_cmp_gt_i32 s0, 0
	s_mov_b64 s[0:1], -1
	s_cbranch_scc0 .LBB46_2989
; %bb.2988:
	s_waitcnt vmcnt(0)
	global_store_byte v[0:1], v2, off
	s_mov_b64 s[0:1], 0
.LBB46_2989:
	s_andn2_b64 vcc, exec, s[0:1]
	s_cbranch_vccnz .LBB46_2991
; %bb.2990:
	s_waitcnt vmcnt(0)
	global_store_byte v[0:1], v2, off
	s_endpgm
.LBB46_2991:
	s_endpgm
.LBB46_2992:
	s_mov_b64 s[2:3], 0
	s_mov_b64 s[0:1], -1
	s_branch .LBB46_2948
.LBB46_2993:
	s_trap 2
	s_or_b64 s[18:19], s[18:19], exec
	s_cbranch_execz .LBB46_2462
	s_branch .LBB46_2463
.LBB46_2994:
	s_andn2_saveexec_b64 s[14:15], s[14:15]
	s_cbranch_execz .LBB46_2542
.LBB46_2995:
	s_mov_b32 s21, 0x46000000
	v_add_f32_e64 v11, |v8|, s21
	v_and_b32_e32 v11, 0xff, v11
	v_cmp_ne_u32_e32 vcc, 0, v11
	s_andn2_b64 s[10:11], s[10:11], exec
	s_and_b64 s[22:23], vcc, exec
	s_or_b64 s[10:11], s[10:11], s[22:23]
	s_or_b64 exec, exec, s[14:15]
	v_mov_b32_e32 v12, 0
	s_and_saveexec_b64 s[14:15], s[10:11]
	s_cbranch_execnz .LBB46_2543
	s_branch .LBB46_2544
.LBB46_2996:
	s_trap 2
	s_or_b64 s[18:19], s[18:19], exec
	s_cbranch_execz .LBB46_2590
	s_branch .LBB46_2591
.LBB46_2997:
	s_andn2_saveexec_b64 s[10:11], s[10:11]
	s_cbranch_execz .LBB46_2555
.LBB46_2998:
	s_mov_b32 s14, 0x42800000
	v_add_f32_e64 v11, |v8|, s14
	v_and_b32_e32 v11, 0xff, v11
	v_cmp_ne_u32_e32 vcc, 0, v11
	s_andn2_b64 s[4:5], s[4:5], exec
	s_and_b64 s[14:15], vcc, exec
	s_or_b64 s[4:5], s[4:5], s[14:15]
	s_or_b64 exec, exec, s[10:11]
	v_mov_b32_e32 v12, 0
	s_and_saveexec_b64 s[10:11], s[4:5]
	s_cbranch_execnz .LBB46_2556
	s_branch .LBB46_2557
.LBB46_2999:
	s_andn2_saveexec_b64 s[12:13], s[12:13]
	s_cbranch_execz .LBB46_2661
.LBB46_3000:
	s_mov_b32 s21, 0x46000000
	v_add_f32_e64 v6, |v5|, s21
	v_and_b32_e32 v6, 0xff, v6
	v_cmp_ne_u32_e32 vcc, 0, v6
	s_andn2_b64 s[10:11], s[10:11], exec
	s_and_b64 s[22:23], vcc, exec
	s_or_b64 s[10:11], s[10:11], s[22:23]
	s_or_b64 exec, exec, s[12:13]
	v_mov_b32_e32 v8, 0
	s_and_saveexec_b64 s[12:13], s[10:11]
	s_cbranch_execnz .LBB46_2662
	s_branch .LBB46_2663
.LBB46_3001:
	s_trap 2
	s_or_b64 s[18:19], s[18:19], exec
	s_cbranch_execz .LBB46_2709
	s_branch .LBB46_2710
.LBB46_3002:
	s_andn2_saveexec_b64 s[10:11], s[10:11]
	s_cbranch_execz .LBB46_2674
.LBB46_3003:
	s_mov_b32 s12, 0x42800000
	v_add_f32_e64 v6, |v5|, s12
	v_and_b32_e32 v6, 0xff, v6
	v_cmp_ne_u32_e32 vcc, 0, v6
	s_andn2_b64 s[4:5], s[4:5], exec
	s_and_b64 s[12:13], vcc, exec
	s_or_b64 s[4:5], s[4:5], s[12:13]
	s_or_b64 exec, exec, s[10:11]
	v_mov_b32_e32 v8, 0
	s_and_saveexec_b64 s[10:11], s[4:5]
	s_cbranch_execnz .LBB46_2675
	s_branch .LBB46_2676
.LBB46_3004:
	s_andn2_saveexec_b64 s[12:13], s[12:13]
	s_cbranch_execz .LBB46_2780
.LBB46_3005:
	s_mov_b32 s21, 0x46000000
	v_add_f32_e64 v5, |v2|, s21
	v_and_b32_e32 v5, 0xff, v5
	v_cmp_ne_u32_e32 vcc, 0, v5
	s_andn2_b64 s[10:11], s[10:11], exec
	s_and_b64 s[22:23], vcc, exec
	s_or_b64 s[10:11], s[10:11], s[22:23]
	s_or_b64 exec, exec, s[12:13]
	v_mov_b32_e32 v6, 0
	s_and_saveexec_b64 s[12:13], s[10:11]
	s_cbranch_execnz .LBB46_2781
	s_branch .LBB46_2782
.LBB46_3006:
	s_trap 2
	s_or_b64 s[18:19], s[18:19], exec
	s_cbranch_execz .LBB46_2828
	s_branch .LBB46_2829
.LBB46_3007:
	s_andn2_saveexec_b64 s[10:11], s[10:11]
	s_cbranch_execz .LBB46_2793
.LBB46_3008:
	s_mov_b32 s12, 0x42800000
	v_add_f32_e64 v5, |v2|, s12
	v_and_b32_e32 v5, 0xff, v5
	v_cmp_ne_u32_e32 vcc, 0, v5
	s_andn2_b64 s[4:5], s[4:5], exec
	s_and_b64 s[12:13], vcc, exec
	s_or_b64 s[4:5], s[4:5], s[12:13]
	s_or_b64 exec, exec, s[10:11]
	v_mov_b32_e32 v6, 0
	s_and_saveexec_b64 s[10:11], s[4:5]
	s_cbranch_execnz .LBB46_2794
	s_branch .LBB46_2795
.LBB46_3009:
	s_andn2_saveexec_b64 s[10:11], s[10:11]
	s_cbranch_execz .LBB46_2900
.LBB46_3010:
	s_mov_b32 s13, 0x46000000
	v_add_f32_e64 v4, |v3|, s13
	v_and_b32_e32 v4, 0xff, v4
	v_cmp_ne_u32_e32 vcc, 0, v4
	s_andn2_b64 s[8:9], s[8:9], exec
	s_and_b64 s[14:15], vcc, exec
	s_or_b64 s[8:9], s[8:9], s[14:15]
	s_or_b64 exec, exec, s[10:11]
	v_mov_b32_e32 v5, 0
	s_and_saveexec_b64 s[10:11], s[8:9]
	s_cbranch_execnz .LBB46_2901
	s_branch .LBB46_2902
.LBB46_3011:
	s_mov_b64 s[2:3], 0
	s_or_b64 s[18:19], s[18:19], exec
	s_trap 2
	s_branch .LBB46_2946
.LBB46_3012:
	s_andn2_saveexec_b64 s[8:9], s[8:9]
	s_cbranch_execz .LBB46_2912
.LBB46_3013:
	s_mov_b32 s10, 0x42800000
	v_add_f32_e64 v4, |v3|, s10
	v_and_b32_e32 v4, 0xff, v4
	v_cmp_ne_u32_e32 vcc, 0, v4
	s_andn2_b64 s[4:5], s[4:5], exec
	s_and_b64 s[10:11], vcc, exec
	s_or_b64 s[4:5], s[4:5], s[10:11]
	s_or_b64 exec, exec, s[8:9]
	v_mov_b32_e32 v5, 0
	s_and_saveexec_b64 s[8:9], s[4:5]
	s_cbranch_execnz .LBB46_2913
	s_branch .LBB46_2914
	.section	.rodata,"a",@progbits
	.p2align	6, 0x0
	.amdhsa_kernel _ZN2at6native32elementwise_kernel_manual_unrollILi128ELi4EZNS0_15gpu_kernel_implINS0_13BinaryFunctorIaaaZNS0_12_GLOBAL__N_121threshold_kernel_implIaEEvRNS_18TensorIteratorBaseET_S8_EUlaaE_EEEEvS7_RKS8_EUlibE_EEviT1_
		.amdhsa_group_segment_fixed_size 0
		.amdhsa_private_segment_fixed_size 0
		.amdhsa_kernarg_size 56
		.amdhsa_user_sgpr_count 6
		.amdhsa_user_sgpr_private_segment_buffer 1
		.amdhsa_user_sgpr_dispatch_ptr 0
		.amdhsa_user_sgpr_queue_ptr 0
		.amdhsa_user_sgpr_kernarg_segment_ptr 1
		.amdhsa_user_sgpr_dispatch_id 0
		.amdhsa_user_sgpr_flat_scratch_init 0
		.amdhsa_user_sgpr_private_segment_size 0
		.amdhsa_uses_dynamic_stack 0
		.amdhsa_system_sgpr_private_segment_wavefront_offset 0
		.amdhsa_system_sgpr_workgroup_id_x 1
		.amdhsa_system_sgpr_workgroup_id_y 0
		.amdhsa_system_sgpr_workgroup_id_z 0
		.amdhsa_system_sgpr_workgroup_info 0
		.amdhsa_system_vgpr_workitem_id 0
		.amdhsa_next_free_vgpr 16
		.amdhsa_next_free_sgpr 57
		.amdhsa_reserve_vcc 1
		.amdhsa_reserve_flat_scratch 0
		.amdhsa_float_round_mode_32 0
		.amdhsa_float_round_mode_16_64 0
		.amdhsa_float_denorm_mode_32 3
		.amdhsa_float_denorm_mode_16_64 3
		.amdhsa_dx10_clamp 1
		.amdhsa_ieee_mode 1
		.amdhsa_fp16_overflow 0
		.amdhsa_exception_fp_ieee_invalid_op 0
		.amdhsa_exception_fp_denorm_src 0
		.amdhsa_exception_fp_ieee_div_zero 0
		.amdhsa_exception_fp_ieee_overflow 0
		.amdhsa_exception_fp_ieee_underflow 0
		.amdhsa_exception_fp_ieee_inexact 0
		.amdhsa_exception_int_div_zero 0
	.end_amdhsa_kernel
	.section	.text._ZN2at6native32elementwise_kernel_manual_unrollILi128ELi4EZNS0_15gpu_kernel_implINS0_13BinaryFunctorIaaaZNS0_12_GLOBAL__N_121threshold_kernel_implIaEEvRNS_18TensorIteratorBaseET_S8_EUlaaE_EEEEvS7_RKS8_EUlibE_EEviT1_,"axG",@progbits,_ZN2at6native32elementwise_kernel_manual_unrollILi128ELi4EZNS0_15gpu_kernel_implINS0_13BinaryFunctorIaaaZNS0_12_GLOBAL__N_121threshold_kernel_implIaEEvRNS_18TensorIteratorBaseET_S8_EUlaaE_EEEEvS7_RKS8_EUlibE_EEviT1_,comdat
.Lfunc_end46:
	.size	_ZN2at6native32elementwise_kernel_manual_unrollILi128ELi4EZNS0_15gpu_kernel_implINS0_13BinaryFunctorIaaaZNS0_12_GLOBAL__N_121threshold_kernel_implIaEEvRNS_18TensorIteratorBaseET_S8_EUlaaE_EEEEvS7_RKS8_EUlibE_EEviT1_, .Lfunc_end46-_ZN2at6native32elementwise_kernel_manual_unrollILi128ELi4EZNS0_15gpu_kernel_implINS0_13BinaryFunctorIaaaZNS0_12_GLOBAL__N_121threshold_kernel_implIaEEvRNS_18TensorIteratorBaseET_S8_EUlaaE_EEEEvS7_RKS8_EUlibE_EEviT1_
                                        ; -- End function
	.set _ZN2at6native32elementwise_kernel_manual_unrollILi128ELi4EZNS0_15gpu_kernel_implINS0_13BinaryFunctorIaaaZNS0_12_GLOBAL__N_121threshold_kernel_implIaEEvRNS_18TensorIteratorBaseET_S8_EUlaaE_EEEEvS7_RKS8_EUlibE_EEviT1_.num_vgpr, 16
	.set _ZN2at6native32elementwise_kernel_manual_unrollILi128ELi4EZNS0_15gpu_kernel_implINS0_13BinaryFunctorIaaaZNS0_12_GLOBAL__N_121threshold_kernel_implIaEEvRNS_18TensorIteratorBaseET_S8_EUlaaE_EEEEvS7_RKS8_EUlibE_EEviT1_.num_agpr, 0
	.set _ZN2at6native32elementwise_kernel_manual_unrollILi128ELi4EZNS0_15gpu_kernel_implINS0_13BinaryFunctorIaaaZNS0_12_GLOBAL__N_121threshold_kernel_implIaEEvRNS_18TensorIteratorBaseET_S8_EUlaaE_EEEEvS7_RKS8_EUlibE_EEviT1_.numbered_sgpr, 57
	.set _ZN2at6native32elementwise_kernel_manual_unrollILi128ELi4EZNS0_15gpu_kernel_implINS0_13BinaryFunctorIaaaZNS0_12_GLOBAL__N_121threshold_kernel_implIaEEvRNS_18TensorIteratorBaseET_S8_EUlaaE_EEEEvS7_RKS8_EUlibE_EEviT1_.num_named_barrier, 0
	.set _ZN2at6native32elementwise_kernel_manual_unrollILi128ELi4EZNS0_15gpu_kernel_implINS0_13BinaryFunctorIaaaZNS0_12_GLOBAL__N_121threshold_kernel_implIaEEvRNS_18TensorIteratorBaseET_S8_EUlaaE_EEEEvS7_RKS8_EUlibE_EEviT1_.private_seg_size, 0
	.set _ZN2at6native32elementwise_kernel_manual_unrollILi128ELi4EZNS0_15gpu_kernel_implINS0_13BinaryFunctorIaaaZNS0_12_GLOBAL__N_121threshold_kernel_implIaEEvRNS_18TensorIteratorBaseET_S8_EUlaaE_EEEEvS7_RKS8_EUlibE_EEviT1_.uses_vcc, 1
	.set _ZN2at6native32elementwise_kernel_manual_unrollILi128ELi4EZNS0_15gpu_kernel_implINS0_13BinaryFunctorIaaaZNS0_12_GLOBAL__N_121threshold_kernel_implIaEEvRNS_18TensorIteratorBaseET_S8_EUlaaE_EEEEvS7_RKS8_EUlibE_EEviT1_.uses_flat_scratch, 0
	.set _ZN2at6native32elementwise_kernel_manual_unrollILi128ELi4EZNS0_15gpu_kernel_implINS0_13BinaryFunctorIaaaZNS0_12_GLOBAL__N_121threshold_kernel_implIaEEvRNS_18TensorIteratorBaseET_S8_EUlaaE_EEEEvS7_RKS8_EUlibE_EEviT1_.has_dyn_sized_stack, 0
	.set _ZN2at6native32elementwise_kernel_manual_unrollILi128ELi4EZNS0_15gpu_kernel_implINS0_13BinaryFunctorIaaaZNS0_12_GLOBAL__N_121threshold_kernel_implIaEEvRNS_18TensorIteratorBaseET_S8_EUlaaE_EEEEvS7_RKS8_EUlibE_EEviT1_.has_recursion, 0
	.set _ZN2at6native32elementwise_kernel_manual_unrollILi128ELi4EZNS0_15gpu_kernel_implINS0_13BinaryFunctorIaaaZNS0_12_GLOBAL__N_121threshold_kernel_implIaEEvRNS_18TensorIteratorBaseET_S8_EUlaaE_EEEEvS7_RKS8_EUlibE_EEviT1_.has_indirect_call, 0
	.section	.AMDGPU.csdata,"",@progbits
; Kernel info:
; codeLenInByte = 45224
; TotalNumSgprs: 61
; NumVgprs: 16
; ScratchSize: 0
; MemoryBound: 1
; FloatMode: 240
; IeeeMode: 1
; LDSByteSize: 0 bytes/workgroup (compile time only)
; SGPRBlocks: 7
; VGPRBlocks: 3
; NumSGPRsForWavesPerEU: 61
; NumVGPRsForWavesPerEU: 16
; Occupancy: 10
; WaveLimiterHint : 0
; COMPUTE_PGM_RSRC2:SCRATCH_EN: 0
; COMPUTE_PGM_RSRC2:USER_SGPR: 6
; COMPUTE_PGM_RSRC2:TRAP_HANDLER: 0
; COMPUTE_PGM_RSRC2:TGID_X_EN: 1
; COMPUTE_PGM_RSRC2:TGID_Y_EN: 0
; COMPUTE_PGM_RSRC2:TGID_Z_EN: 0
; COMPUTE_PGM_RSRC2:TIDIG_COMP_CNT: 0
	.section	.text._ZN2at6native32elementwise_kernel_manual_unrollILi128ELi4EZNS0_15gpu_kernel_implINS0_13BinaryFunctorIaaaZNS0_12_GLOBAL__N_121threshold_kernel_implIaEEvRNS_18TensorIteratorBaseET_S8_EUlaaE_EEEEvS7_RKS8_EUlibE0_EEviT1_,"axG",@progbits,_ZN2at6native32elementwise_kernel_manual_unrollILi128ELi4EZNS0_15gpu_kernel_implINS0_13BinaryFunctorIaaaZNS0_12_GLOBAL__N_121threshold_kernel_implIaEEvRNS_18TensorIteratorBaseET_S8_EUlaaE_EEEEvS7_RKS8_EUlibE0_EEviT1_,comdat
	.globl	_ZN2at6native32elementwise_kernel_manual_unrollILi128ELi4EZNS0_15gpu_kernel_implINS0_13BinaryFunctorIaaaZNS0_12_GLOBAL__N_121threshold_kernel_implIaEEvRNS_18TensorIteratorBaseET_S8_EUlaaE_EEEEvS7_RKS8_EUlibE0_EEviT1_ ; -- Begin function _ZN2at6native32elementwise_kernel_manual_unrollILi128ELi4EZNS0_15gpu_kernel_implINS0_13BinaryFunctorIaaaZNS0_12_GLOBAL__N_121threshold_kernel_implIaEEvRNS_18TensorIteratorBaseET_S8_EUlaaE_EEEEvS7_RKS8_EUlibE0_EEviT1_
	.p2align	8
	.type	_ZN2at6native32elementwise_kernel_manual_unrollILi128ELi4EZNS0_15gpu_kernel_implINS0_13BinaryFunctorIaaaZNS0_12_GLOBAL__N_121threshold_kernel_implIaEEvRNS_18TensorIteratorBaseET_S8_EUlaaE_EEEEvS7_RKS8_EUlibE0_EEviT1_,@function
_ZN2at6native32elementwise_kernel_manual_unrollILi128ELi4EZNS0_15gpu_kernel_implINS0_13BinaryFunctorIaaaZNS0_12_GLOBAL__N_121threshold_kernel_implIaEEvRNS_18TensorIteratorBaseET_S8_EUlaaE_EEEEvS7_RKS8_EUlibE0_EEviT1_: ; @_ZN2at6native32elementwise_kernel_manual_unrollILi128ELi4EZNS0_15gpu_kernel_implINS0_13BinaryFunctorIaaaZNS0_12_GLOBAL__N_121threshold_kernel_implIaEEvRNS_18TensorIteratorBaseET_S8_EUlaaE_EEEEvS7_RKS8_EUlibE0_EEviT1_
; %bb.0:
	s_load_dword s70, s[4:5], 0x0
	s_load_dword s33, s[4:5], 0x8
	s_add_u32 s2, s4, 8
	s_addc_u32 s3, s5, 0
	v_lshl_or_b32 v10, s6, 9, v0
	v_or_b32_e32 v21, 0x180, v10
	s_waitcnt lgkmcnt(0)
	s_add_i32 s72, s33, -1
	s_cmp_gt_u32 s72, 1
	v_cmp_le_i32_e32 vcc, s70, v21
	s_cselect_b64 s[24:25], -1, 0
	s_mov_b64 s[6:7], 0
	s_mov_b64 s[12:13], 0
	s_and_saveexec_b64 s[0:1], vcc
	s_xor_b64 s[26:27], exec, s[0:1]
	s_cbranch_execz .LBB47_1557
; %bb.1:
	s_cmp_lg_u32 s33, 0
	s_load_dwordx4 s[16:19], s[2:3], 0x4
	s_load_dwordx2 s[34:35], s[2:3], 0x14
	s_load_dwordx8 s[8:15], s[2:3], 0x188
	s_load_dwordx4 s[20:23], s[2:3], 0xc4
	s_load_dwordx2 s[30:31], s[2:3], 0xd4
	s_cselect_b64 s[38:39], -1, 0
	s_min_u32 s76, s72, 15
	s_cmp_gt_u32 s33, 1
	s_cselect_b64 s[36:37], -1, 0
	s_waitcnt lgkmcnt(0)
	s_bfe_i32 s74, s14, 0x80000
	s_lshr_b32 s75, s14, 8
	s_lshr_b32 s73, s14, 16
	s_lshr_b64 s[28:29], s[14:15], 24
	v_cmp_gt_i32_e32 vcc, s70, v10
	s_mov_b64 s[0:1], -1
	s_mov_b64 s[50:51], 0
	s_mov_b64 s[44:45], 0
	;; [unrolled: 1-line block ×4, first 2 shown]
	s_and_saveexec_b64 s[46:47], vcc
	s_cbranch_execz .LBB47_386
; %bb.2:
	s_andn2_b64 vcc, exec, s[24:25]
	s_cbranch_vccnz .LBB47_8
; %bb.3:
	s_andn2_b64 vcc, exec, s[38:39]
	s_cbranch_vccnz .LBB47_9
; %bb.4:
	s_add_i32 s0, s76, 1
	s_and_b32 s14, s0, 30
	s_add_u32 s0, s2, 0xffffffe8
	s_addc_u32 s1, s3, -1
	v_mov_b32_e32 v3, 0
	v_mov_b32_e32 v5, 0
	;; [unrolled: 1-line block ×4, first 2 shown]
.LBB47_5:                               ; =>This Inner Loop Header: Depth=1
	s_load_dwordx4 s[40:43], s[0:1], 0x1c
	s_load_dwordx2 s[44:45], s[0:1], 0x2c
	s_load_dwordx2 s[48:49], s[0:1], 0xec
	s_load_dwordx4 s[52:55], s[0:1], 0xdc
	s_add_u32 s0, s0, 24
	s_waitcnt lgkmcnt(0)
	v_mul_hi_u32 v2, s41, v1
	s_addc_u32 s1, s1, 0
	s_add_i32 s14, s14, -2
	s_cmp_lg_u32 s14, 0
	v_add_u32_e32 v2, v1, v2
	v_lshrrev_b32_e32 v2, s42, v2
	v_mul_lo_u32 v4, v2, s40
	v_mul_hi_u32 v6, s44, v2
	v_sub_u32_e32 v4, v1, v4
	v_add_u32_e32 v1, v2, v6
	v_lshrrev_b32_e32 v1, s45, v1
	v_mul_lo_u32 v8, v1, s43
	v_mul_lo_u32 v6, v4, s52
	;; [unrolled: 1-line block ×4, first 2 shown]
	v_sub_u32_e32 v2, v2, v8
	v_mul_lo_u32 v8, v2, s55
	v_mul_lo_u32 v9, v2, s48
	;; [unrolled: 1-line block ×3, first 2 shown]
	v_add3_u32 v0, v6, v0, v8
	v_add3_u32 v5, v7, v5, v9
	;; [unrolled: 1-line block ×3, first 2 shown]
	s_cbranch_scc1 .LBB47_5
; %bb.6:
	s_bitcmp1_b32 s76, 0
	s_cselect_b64 s[40:41], -1, 0
	s_and_b64 vcc, exec, s[40:41]
	s_cbranch_vccnz .LBB47_10
; %bb.7:
	s_load_dwordx2 s[40:41], s[0:1], 0x1c
	s_load_dword s14, s[0:1], 0x24
	s_load_dwordx2 s[42:43], s[0:1], 0xdc
	s_waitcnt lgkmcnt(0)
	v_mul_hi_u32 v2, s41, v1
	v_add_u32_e32 v2, v1, v2
	v_lshrrev_b32_e32 v2, s14, v2
	v_mul_lo_u32 v2, v2, s40
	s_load_dword s14, s[0:1], 0xe4
	v_sub_u32_e32 v2, v1, v2
	v_mad_u64_u32 v[0:1], s[0:1], v2, s42, v[0:1]
	v_mad_u64_u32 v[5:6], s[0:1], v2, s43, v[5:6]
	s_waitcnt lgkmcnt(0)
	v_mad_u64_u32 v[3:4], s[0:1], v2, s14, v[3:4]
	s_cbranch_execz .LBB47_11
	s_branch .LBB47_13
.LBB47_8:
                                        ; implicit-def: $vgpr0
                                        ; implicit-def: $vgpr5
                                        ; implicit-def: $vgpr3
	s_andn2_b64 vcc, exec, s[0:1]
	s_cbranch_vccz .LBB47_11
	s_branch .LBB47_13
.LBB47_9:
	v_mov_b32_e32 v0, 0
	v_mov_b32_e32 v5, 0
	;; [unrolled: 1-line block ×3, first 2 shown]
.LBB47_10:
	s_cbranch_execnz .LBB47_13
.LBB47_11:
	v_mul_hi_u32 v0, s17, v10
	s_andn2_b64 vcc, exec, s[36:37]
	v_add_u32_e32 v0, v10, v0
	v_lshrrev_b32_e32 v1, s18, v0
	v_mul_lo_u32 v0, v1, s16
	v_sub_u32_e32 v2, v10, v0
	v_mul_lo_u32 v0, v2, s20
	v_mul_lo_u32 v5, v2, s21
	;; [unrolled: 1-line block ×3, first 2 shown]
	s_cbranch_vccnz .LBB47_13
; %bb.12:
	v_mul_hi_u32 v2, s34, v1
	v_add_u32_e32 v2, v1, v2
	v_lshrrev_b32_e32 v2, s35, v2
	v_mul_lo_u32 v2, v2, s19
	v_sub_u32_e32 v2, v1, v2
	v_mad_u64_u32 v[0:1], s[0:1], v2, s23, v[0:1]
	v_mad_u64_u32 v[5:6], s[0:1], v2, s30, v[5:6]
	;; [unrolled: 1-line block ×3, first 2 shown]
.LBB47_13:
	v_mov_b32_e32 v1, s11
	s_and_b32 s14, s28, 0xff
	v_add_co_u32_e32 v4, vcc, s10, v5
	s_cmp_lt_i32 s14, 11
	v_addc_co_u32_e32 v5, vcc, 0, v1, vcc
	s_cbranch_scc1 .LBB47_20
; %bb.14:
	s_and_b32 s29, 0xffff, s14
	s_cmp_gt_i32 s29, 25
	s_cbranch_scc0 .LBB47_29
; %bb.15:
	s_cmp_gt_i32 s29, 28
	s_cbranch_scc0 .LBB47_39
; %bb.16:
	;; [unrolled: 3-line block ×4, first 2 shown]
	s_cmp_eq_u32 s29, 46
	s_mov_b64 s[40:41], 0
	s_cbranch_scc0 .LBB47_48
; %bb.19:
	global_load_dword v1, v[4:5], off
	s_mov_b64 s[0:1], -1
	s_mov_b64 s[44:45], 0
	s_waitcnt vmcnt(0)
	v_lshlrev_b32_e32 v1, 16, v1
	v_cvt_i32_f32_e32 v1, v1
	s_branch .LBB47_50
.LBB47_20:
	s_mov_b64 s[44:45], 0
                                        ; implicit-def: $vgpr1
	s_mov_b64 s[0:1], 0
	s_cbranch_execnz .LBB47_112
.LBB47_21:
	s_andn2_b64 vcc, exec, s[0:1]
	s_cbranch_vccnz .LBB47_159
.LBB47_22:
	v_mov_b32_e32 v4, s13
	s_and_b32 s14, s15, 0xff
	s_waitcnt vmcnt(0)
	v_add_co_u32_e32 v2, vcc, s12, v3
	s_cmp_lt_i32 s14, 11
	v_addc_co_u32_e32 v3, vcc, 0, v4, vcc
	s_cbranch_scc1 .LBB47_30
; %bb.23:
	s_and_b32 s29, 0xffff, s14
	s_cmp_gt_i32 s29, 25
	s_cbranch_scc0 .LBB47_40
; %bb.24:
	s_cmp_gt_i32 s29, 28
	s_cbranch_scc0 .LBB47_43
; %bb.25:
	;; [unrolled: 3-line block ×4, first 2 shown]
	s_cmp_eq_u32 s29, 46
	s_mov_b64 s[40:41], 0
	s_cbranch_scc0 .LBB47_160
; %bb.28:
	global_load_dword v4, v[2:3], off
	s_mov_b64 s[0:1], -1
	s_mov_b64 s[42:43], 0
	s_waitcnt vmcnt(0)
	v_lshlrev_b32_e32 v4, 16, v4
	v_cvt_i32_f32_e32 v4, v4
	s_branch .LBB47_162
.LBB47_29:
	s_mov_b64 s[44:45], 0
	s_mov_b64 s[0:1], 0
                                        ; implicit-def: $vgpr1
	s_cbranch_execnz .LBB47_79
	s_branch .LBB47_111
.LBB47_30:
	s_mov_b64 s[42:43], 0
                                        ; implicit-def: $vgpr4
	s_mov_b64 s[0:1], 0
	s_cbranch_execnz .LBB47_335
.LBB47_31:
	s_andn2_b64 vcc, exec, s[0:1]
	s_cbranch_vccnz .LBB47_383
.LBB47_32:
	v_mov_b32_e32 v2, s75
	v_cmp_gt_i16_sdwa vcc, sext(v1), s74 src0_sel:BYTE_0 src1_sel:DWORD
	s_waitcnt vmcnt(0)
	v_cndmask_b32_e32 v2, v2, v4, vcc
	v_mov_b32_e32 v1, s9
	s_and_b32 s14, s73, 0xff
	v_add_co_u32_e32 v0, vcc, s8, v0
	s_cmp_lt_i32 s14, 11
	v_addc_co_u32_e32 v1, vcc, 0, v1, vcc
	s_cbranch_scc1 .LBB47_41
; %bb.33:
	s_and_b32 s29, 0xffff, s14
	s_cmp_gt_i32 s29, 25
	s_cbranch_scc0 .LBB47_44
; %bb.34:
	s_cmp_gt_i32 s29, 28
	s_cbranch_scc0 .LBB47_47
; %bb.35:
	;; [unrolled: 3-line block ×4, first 2 shown]
	s_mov_b64 s[48:49], 0
	s_mov_b64 s[0:1], -1
	s_cmp_eq_u32 s29, 46
	s_mov_b64 s[40:41], 0
	s_cbranch_scc0 .LBB47_166
; %bb.38:
	v_bfe_i32 v3, v2, 0, 8
	v_cvt_f32_i32_sdwa v3, sext(v3) dst_sel:DWORD dst_unused:UNUSED_PAD src0_sel:WORD_0
	s_movk_i32 s0, 0x7fff
	s_mov_b64 s[40:41], -1
	v_bfe_u32 v4, v3, 16, 1
	v_add3_u32 v3, v3, v4, s0
	v_lshrrev_b32_e32 v3, 16, v3
	global_store_dword v[0:1], v3, off
	s_mov_b64 s[0:1], 0
	s_branch .LBB47_166
.LBB47_39:
	s_mov_b64 s[40:41], -1
	s_mov_b64 s[44:45], 0
	s_mov_b64 s[0:1], 0
                                        ; implicit-def: $vgpr1
	s_branch .LBB47_62
.LBB47_40:
	s_mov_b64 s[40:41], -1
	s_mov_b64 s[42:43], 0
	s_mov_b64 s[0:1], 0
                                        ; implicit-def: $vgpr4
	s_branch .LBB47_301
.LBB47_41:
	s_mov_b64 s[48:49], -1
	s_mov_b64 s[0:1], 0
	s_mov_b64 s[40:41], 0
	s_branch .LBB47_235
.LBB47_42:
	s_mov_b64 s[40:41], -1
	s_mov_b64 s[44:45], 0
	s_mov_b64 s[0:1], 0
                                        ; implicit-def: $vgpr1
	s_branch .LBB47_57
.LBB47_43:
	s_mov_b64 s[40:41], -1
	s_mov_b64 s[42:43], 0
	s_mov_b64 s[0:1], 0
                                        ; implicit-def: $vgpr4
	s_branch .LBB47_284
.LBB47_44:
	s_mov_b64 s[48:49], -1
	s_mov_b64 s[0:1], 0
	s_mov_b64 s[40:41], 0
	s_branch .LBB47_193
.LBB47_45:
	s_mov_b64 s[40:41], -1
	s_mov_b64 s[44:45], 0
	s_branch .LBB47_49
.LBB47_46:
	s_mov_b64 s[40:41], -1
	s_mov_b64 s[42:43], 0
	s_mov_b64 s[0:1], 0
                                        ; implicit-def: $vgpr4
	s_branch .LBB47_279
.LBB47_47:
	s_mov_b64 s[48:49], -1
	s_mov_b64 s[0:1], 0
	s_mov_b64 s[40:41], 0
	s_branch .LBB47_176
.LBB47_48:
	s_mov_b64 s[44:45], -1
.LBB47_49:
	s_mov_b64 s[0:1], 0
                                        ; implicit-def: $vgpr1
.LBB47_50:
	s_and_b64 vcc, exec, s[40:41]
	s_cbranch_vccz .LBB47_56
; %bb.51:
	s_cmp_eq_u32 s29, 44
	s_cbranch_scc0 .LBB47_55
; %bb.52:
	global_load_ubyte v1, v[4:5], off
	s_mov_b64 s[0:1], -1
	s_mov_b64 s[44:45], 0
	s_waitcnt vmcnt(0)
	v_lshlrev_b32_e32 v2, 23, v1
	v_cvt_i32_f32_e32 v2, v2
	v_cmp_ne_u32_e32 vcc, 0, v1
	v_cndmask_b32_e32 v1, 0, v2, vcc
	s_branch .LBB47_56
.LBB47_53:
	s_mov_b64 s[40:41], -1
	s_mov_b64 s[42:43], 0
	s_branch .LBB47_161
.LBB47_54:
	s_mov_b64 s[48:49], -1
	s_mov_b64 s[0:1], 0
	s_mov_b64 s[40:41], 0
	s_branch .LBB47_172
.LBB47_55:
	s_mov_b64 s[44:45], -1
                                        ; implicit-def: $vgpr1
.LBB47_56:
	s_mov_b64 s[40:41], 0
.LBB47_57:
	s_and_b64 vcc, exec, s[40:41]
	s_cbranch_vccz .LBB47_61
; %bb.58:
	s_cmp_eq_u32 s29, 29
	s_cbranch_scc0 .LBB47_60
; %bb.59:
	global_load_dwordx2 v[1:2], v[4:5], off
	s_mov_b64 s[0:1], -1
	s_mov_b64 s[44:45], 0
	s_branch .LBB47_61
.LBB47_60:
	s_mov_b64 s[44:45], -1
                                        ; implicit-def: $vgpr1
.LBB47_61:
	s_mov_b64 s[40:41], 0
.LBB47_62:
	s_and_b64 vcc, exec, s[40:41]
	s_cbranch_vccz .LBB47_78
; %bb.63:
	s_cmp_lt_i32 s29, 27
	s_cbranch_scc1 .LBB47_66
; %bb.64:
	s_cmp_gt_i32 s29, 27
	s_cbranch_scc0 .LBB47_67
; %bb.65:
	global_load_dword v1, v[4:5], off
	s_mov_b64 s[0:1], 0
	s_branch .LBB47_68
.LBB47_66:
	s_mov_b64 s[0:1], -1
                                        ; implicit-def: $vgpr1
	s_branch .LBB47_71
.LBB47_67:
	s_mov_b64 s[0:1], -1
                                        ; implicit-def: $vgpr1
.LBB47_68:
	s_andn2_b64 vcc, exec, s[0:1]
	s_cbranch_vccnz .LBB47_70
; %bb.69:
	global_load_ushort v1, v[4:5], off
.LBB47_70:
	s_mov_b64 s[0:1], 0
.LBB47_71:
	s_andn2_b64 vcc, exec, s[0:1]
	s_cbranch_vccnz .LBB47_77
; %bb.72:
	global_load_ubyte v2, v[4:5], off
	s_movk_i32 s0, 0x7f
	s_mov_b64 s[40:41], 0
	s_waitcnt vmcnt(0)
	v_cmp_lt_i16_e32 vcc, s0, v2
	s_and_saveexec_b64 s[0:1], vcc
	s_xor_b64 s[0:1], exec, s[0:1]
	s_cbranch_execz .LBB47_88
; %bb.73:
	s_movk_i32 s40, 0x80
	v_cmp_ne_u16_e32 vcc, s40, v2
	s_and_b64 s[40:41], vcc, exec
	s_andn2_saveexec_b64 s[0:1], s[0:1]
	s_cbranch_execnz .LBB47_89
.LBB47_74:
	s_or_b64 exec, exec, s[0:1]
	v_mov_b32_e32 v1, 0
	s_and_saveexec_b64 s[0:1], s[40:41]
	s_cbranch_execz .LBB47_76
.LBB47_75:
	v_lshlrev_b32_e32 v1, 24, v2
	v_and_b32_e32 v2, 0xffff, v2
	v_and_b32_e32 v6, 7, v2
	v_ffbh_u32_e32 v8, v6
	v_min_u32_e32 v8, 32, v8
	v_subrev_u32_e32 v9, 28, v8
	v_bfe_u32 v7, v2, 3, 4
	v_lshlrev_b32_e32 v2, v9, v2
	v_sub_u32_e32 v8, 29, v8
	v_and_b32_e32 v2, 7, v2
	v_cmp_eq_u32_e32 vcc, 0, v7
	v_cndmask_b32_e32 v7, v7, v8, vcc
	v_cndmask_b32_e32 v2, v6, v2, vcc
	v_mov_b32_e32 v6, 0x3b800000
	v_lshlrev_b32_e32 v2, 20, v2
	v_and_b32_e32 v1, 0x80000000, v1
	v_lshl_add_u32 v6, v7, 23, v6
	v_or3_b32 v1, v1, v6, v2
	v_cvt_i32_f32_e32 v1, v1
.LBB47_76:
	s_or_b64 exec, exec, s[0:1]
.LBB47_77:
	s_mov_b64 s[0:1], -1
.LBB47_78:
	s_branch .LBB47_111
.LBB47_79:
	s_cmp_gt_i32 s29, 22
	s_cbranch_scc0 .LBB47_87
; %bb.80:
	s_cmp_lt_i32 s29, 24
	s_cbranch_scc1 .LBB47_90
; %bb.81:
	s_cmp_gt_i32 s29, 24
	s_cbranch_scc0 .LBB47_91
; %bb.82:
	global_load_ubyte v2, v[4:5], off
	s_movk_i32 s0, 0x7f
	s_mov_b64 s[40:41], 0
	s_waitcnt vmcnt(0)
	v_cmp_lt_i16_e32 vcc, s0, v2
	s_and_saveexec_b64 s[0:1], vcc
	s_xor_b64 s[0:1], exec, s[0:1]
	s_cbranch_execz .LBB47_103
; %bb.83:
	s_movk_i32 s40, 0x80
	v_cmp_ne_u16_e32 vcc, s40, v2
	s_and_b64 s[40:41], vcc, exec
	s_andn2_saveexec_b64 s[0:1], s[0:1]
	s_cbranch_execnz .LBB47_104
.LBB47_84:
	s_or_b64 exec, exec, s[0:1]
	v_mov_b32_e32 v1, 0
	s_and_saveexec_b64 s[0:1], s[40:41]
	s_cbranch_execz .LBB47_86
.LBB47_85:
	v_lshlrev_b32_e32 v1, 24, v2
	v_and_b32_e32 v2, 0xffff, v2
	v_and_b32_e32 v6, 3, v2
	v_ffbh_u32_e32 v8, v6
	v_min_u32_e32 v8, 32, v8
	v_subrev_u32_e32 v9, 29, v8
	v_bfe_u32 v7, v2, 2, 5
	v_lshlrev_b32_e32 v2, v9, v2
	v_sub_u32_e32 v8, 30, v8
	v_and_b32_e32 v2, 3, v2
	v_cmp_eq_u32_e32 vcc, 0, v7
	v_cndmask_b32_e32 v7, v7, v8, vcc
	v_cndmask_b32_e32 v2, v6, v2, vcc
	v_mov_b32_e32 v6, 0x37800000
	v_lshlrev_b32_e32 v2, 21, v2
	v_and_b32_e32 v1, 0x80000000, v1
	v_lshl_add_u32 v6, v7, 23, v6
	v_or3_b32 v1, v1, v6, v2
	v_cvt_i32_f32_e32 v1, v1
.LBB47_86:
	s_or_b64 exec, exec, s[0:1]
	s_mov_b64 s[0:1], 0
	s_branch .LBB47_92
.LBB47_87:
	s_mov_b64 s[40:41], -1
                                        ; implicit-def: $vgpr1
	s_branch .LBB47_98
.LBB47_88:
	s_andn2_saveexec_b64 s[0:1], s[0:1]
	s_cbranch_execz .LBB47_74
.LBB47_89:
	v_cmp_ne_u16_e32 vcc, 0, v2
	s_andn2_b64 s[40:41], s[40:41], exec
	s_and_b64 s[42:43], vcc, exec
	s_or_b64 s[40:41], s[40:41], s[42:43]
	s_or_b64 exec, exec, s[0:1]
	v_mov_b32_e32 v1, 0
	s_and_saveexec_b64 s[0:1], s[40:41]
	s_cbranch_execnz .LBB47_75
	s_branch .LBB47_76
.LBB47_90:
	s_mov_b64 s[0:1], -1
                                        ; implicit-def: $vgpr1
	s_branch .LBB47_95
.LBB47_91:
	s_mov_b64 s[0:1], -1
                                        ; implicit-def: $vgpr1
.LBB47_92:
	s_and_b64 vcc, exec, s[0:1]
	s_cbranch_vccz .LBB47_94
; %bb.93:
	global_load_ubyte v1, v[4:5], off
	s_mov_b32 s0, 0x7f800000
	s_waitcnt vmcnt(0)
	v_lshlrev_b32_e32 v1, 24, v1
	v_and_b32_e32 v2, 0x7f000000, v1
	v_ffbh_u32_e32 v6, v2
	v_min_u32_e32 v6, 32, v6
	v_sub_u32_e64 v6, v6, 4 clamp
	v_lshlrev_b32_e32 v8, v6, v2
	v_lshlrev_b32_e32 v6, 23, v6
	v_lshrrev_b32_e32 v8, 4, v8
	v_add_u32_e32 v7, 0x1000000, v2
	v_sub_u32_e32 v6, v8, v6
	v_ashrrev_i32_e32 v7, 8, v7
	v_add_u32_e32 v6, 0x3c000000, v6
	v_and_or_b32 v6, v7, s0, v6
	v_cmp_ne_u32_e32 vcc, 0, v2
	v_cndmask_b32_e32 v2, 0, v6, vcc
	s_brev_b32 s0, 1
	v_and_or_b32 v1, v1, s0, v2
	v_cvt_i32_f32_e32 v1, v1
.LBB47_94:
	s_mov_b64 s[0:1], 0
.LBB47_95:
	s_andn2_b64 vcc, exec, s[0:1]
	s_cbranch_vccnz .LBB47_97
; %bb.96:
	global_load_ubyte v1, v[4:5], off
	s_movk_i32 s0, 0x7f00
	s_brev_b32 s1, 16
	s_waitcnt vmcnt(0)
	v_lshlrev_b16_e32 v2, 8, v1
	v_lshlrev_b32_e32 v1, 25, v1
	v_lshrrev_b32_e32 v6, 4, v1
	v_and_or_b32 v7, v2, s0, 0.5
	v_or_b32_e32 v6, 0x70000000, v6
	v_add_f32_e32 v7, -0.5, v7
	v_mul_f32_e32 v6, 0x7800000, v6
	v_cmp_gt_u32_e32 vcc, s1, v1
	v_bfe_i32 v2, v2, 0, 16
	v_cndmask_b32_e32 v1, v6, v7, vcc
	s_brev_b32 s0, 1
	v_and_or_b32 v1, v2, s0, v1
	v_cvt_i32_f32_e32 v1, v1
.LBB47_97:
	s_mov_b64 s[40:41], 0
	s_mov_b64 s[0:1], -1
.LBB47_98:
	s_andn2_b64 vcc, exec, s[40:41]
	s_cbranch_vccnz .LBB47_111
; %bb.99:
	s_cmp_gt_i32 s29, 14
	s_cbranch_scc0 .LBB47_102
; %bb.100:
	s_cmp_eq_u32 s29, 15
	s_cbranch_scc0 .LBB47_105
; %bb.101:
	global_load_ushort v1, v[4:5], off
	s_mov_b64 s[0:1], -1
	s_mov_b64 s[44:45], 0
	s_waitcnt vmcnt(0)
	v_lshlrev_b32_e32 v1, 16, v1
	v_cvt_i32_f32_e32 v1, v1
	s_branch .LBB47_106
.LBB47_102:
	s_mov_b64 s[40:41], -1
                                        ; implicit-def: $vgpr1
	s_branch .LBB47_107
.LBB47_103:
	s_andn2_saveexec_b64 s[0:1], s[0:1]
	s_cbranch_execz .LBB47_84
.LBB47_104:
	v_cmp_ne_u16_e32 vcc, 0, v2
	s_andn2_b64 s[40:41], s[40:41], exec
	s_and_b64 s[42:43], vcc, exec
	s_or_b64 s[40:41], s[40:41], s[42:43]
	s_or_b64 exec, exec, s[0:1]
	v_mov_b32_e32 v1, 0
	s_and_saveexec_b64 s[0:1], s[40:41]
	s_cbranch_execnz .LBB47_85
	s_branch .LBB47_86
.LBB47_105:
	s_mov_b64 s[44:45], -1
                                        ; implicit-def: $vgpr1
.LBB47_106:
	s_mov_b64 s[40:41], 0
.LBB47_107:
	s_and_b64 vcc, exec, s[40:41]
	s_cbranch_vccz .LBB47_111
; %bb.108:
	s_cmp_eq_u32 s29, 11
	s_cbranch_scc0 .LBB47_110
; %bb.109:
	global_load_ubyte v1, v[4:5], off
	s_mov_b64 s[0:1], -1
	s_mov_b64 s[44:45], 0
	s_waitcnt vmcnt(0)
	v_cmp_ne_u16_e32 vcc, 0, v1
	v_cndmask_b32_e64 v1, 0, 1, vcc
	s_branch .LBB47_111
.LBB47_110:
	s_mov_b64 s[44:45], -1
                                        ; implicit-def: $vgpr1
.LBB47_111:
	s_branch .LBB47_21
.LBB47_112:
	s_and_b32 s14, 0xffff, s14
	s_cmp_lt_i32 s14, 5
	s_cbranch_scc1 .LBB47_117
; %bb.113:
	s_cmp_lt_i32 s14, 8
	s_cbranch_scc1 .LBB47_118
; %bb.114:
	;; [unrolled: 3-line block ×3, first 2 shown]
	s_cmp_gt_i32 s14, 9
	s_cbranch_scc0 .LBB47_120
; %bb.116:
	global_load_dwordx2 v[1:2], v[4:5], off
	s_mov_b64 s[0:1], 0
	s_waitcnt vmcnt(0)
	v_cvt_i32_f64_e32 v1, v[1:2]
	s_branch .LBB47_121
.LBB47_117:
                                        ; implicit-def: $vgpr1
	s_branch .LBB47_139
.LBB47_118:
	s_mov_b64 s[0:1], -1
                                        ; implicit-def: $vgpr1
	s_branch .LBB47_127
.LBB47_119:
	s_mov_b64 s[0:1], -1
                                        ; implicit-def: $vgpr1
	s_branch .LBB47_124
.LBB47_120:
	s_mov_b64 s[0:1], -1
                                        ; implicit-def: $vgpr1
.LBB47_121:
	s_andn2_b64 vcc, exec, s[0:1]
	s_cbranch_vccnz .LBB47_123
; %bb.122:
	global_load_dword v1, v[4:5], off
	s_waitcnt vmcnt(0)
	v_cvt_i32_f32_e32 v1, v1
.LBB47_123:
	s_mov_b64 s[0:1], 0
.LBB47_124:
	s_andn2_b64 vcc, exec, s[0:1]
	s_cbranch_vccnz .LBB47_126
; %bb.125:
	global_load_dword v1, v[4:5], off
	s_waitcnt vmcnt(0)
	v_cvt_i16_f16_e32 v1, v1
.LBB47_126:
	s_mov_b64 s[0:1], 0
.LBB47_127:
	s_andn2_b64 vcc, exec, s[0:1]
	s_cbranch_vccnz .LBB47_138
; %bb.128:
	s_cmp_lt_i32 s14, 6
	s_cbranch_scc1 .LBB47_131
; %bb.129:
	s_cmp_gt_i32 s14, 6
	s_cbranch_scc0 .LBB47_132
; %bb.130:
	global_load_dwordx2 v[1:2], v[4:5], off
	s_mov_b64 s[0:1], 0
	s_waitcnt vmcnt(0)
	v_cvt_i32_f64_e32 v1, v[1:2]
	s_branch .LBB47_133
.LBB47_131:
	s_mov_b64 s[0:1], -1
                                        ; implicit-def: $vgpr1
	s_branch .LBB47_136
.LBB47_132:
	s_mov_b64 s[0:1], -1
                                        ; implicit-def: $vgpr1
.LBB47_133:
	s_andn2_b64 vcc, exec, s[0:1]
	s_cbranch_vccnz .LBB47_135
; %bb.134:
	global_load_dword v1, v[4:5], off
	s_waitcnt vmcnt(0)
	v_cvt_i32_f32_e32 v1, v1
.LBB47_135:
	s_mov_b64 s[0:1], 0
.LBB47_136:
	s_andn2_b64 vcc, exec, s[0:1]
	s_cbranch_vccnz .LBB47_138
; %bb.137:
	global_load_ushort v1, v[4:5], off
	s_waitcnt vmcnt(0)
	v_cvt_i16_f16_e32 v1, v1
.LBB47_138:
	s_cbranch_execnz .LBB47_158
.LBB47_139:
	s_cmp_lt_i32 s14, 2
	s_cbranch_scc1 .LBB47_143
; %bb.140:
	s_cmp_lt_i32 s14, 3
	s_cbranch_scc1 .LBB47_144
; %bb.141:
	s_cmp_gt_i32 s14, 3
	s_cbranch_scc0 .LBB47_145
; %bb.142:
	global_load_dwordx2 v[1:2], v[4:5], off
	s_mov_b64 s[0:1], 0
	s_branch .LBB47_146
.LBB47_143:
	s_mov_b64 s[0:1], -1
                                        ; implicit-def: $vgpr1
	s_branch .LBB47_152
.LBB47_144:
	s_mov_b64 s[0:1], -1
                                        ; implicit-def: $vgpr1
	s_branch .LBB47_149
.LBB47_145:
	s_mov_b64 s[0:1], -1
                                        ; implicit-def: $vgpr1
.LBB47_146:
	s_andn2_b64 vcc, exec, s[0:1]
	s_cbranch_vccnz .LBB47_148
; %bb.147:
	global_load_dword v1, v[4:5], off
.LBB47_148:
	s_mov_b64 s[0:1], 0
.LBB47_149:
	s_andn2_b64 vcc, exec, s[0:1]
	s_cbranch_vccnz .LBB47_151
; %bb.150:
	global_load_ushort v1, v[4:5], off
.LBB47_151:
	s_mov_b64 s[0:1], 0
.LBB47_152:
	s_andn2_b64 vcc, exec, s[0:1]
	s_cbranch_vccnz .LBB47_158
; %bb.153:
	s_cmp_gt_i32 s14, 0
	s_cbranch_scc0 .LBB47_155
; %bb.154:
	global_load_ubyte v1, v[4:5], off
	s_mov_b64 s[0:1], 0
	s_branch .LBB47_156
.LBB47_155:
	s_mov_b64 s[0:1], -1
                                        ; implicit-def: $vgpr1
.LBB47_156:
	s_andn2_b64 vcc, exec, s[0:1]
	s_cbranch_vccnz .LBB47_158
; %bb.157:
	global_load_ubyte v1, v[4:5], off
.LBB47_158:
	s_branch .LBB47_22
.LBB47_159:
	s_mov_b64 s[0:1], 0
	s_mov_b64 s[42:43], 0
	s_branch .LBB47_384
.LBB47_160:
	s_mov_b64 s[42:43], -1
.LBB47_161:
	s_mov_b64 s[0:1], 0
                                        ; implicit-def: $vgpr4
.LBB47_162:
	s_and_b64 vcc, exec, s[40:41]
	s_cbranch_vccz .LBB47_278
; %bb.163:
	s_cmp_eq_u32 s29, 44
	s_cbranch_scc0 .LBB47_277
; %bb.164:
	global_load_ubyte v4, v[2:3], off
	s_mov_b64 s[0:1], -1
	s_mov_b64 s[42:43], 0
	s_waitcnt vmcnt(0)
	v_lshlrev_b32_e32 v5, 23, v4
	v_cvt_i32_f32_e32 v5, v5
	v_cmp_ne_u32_e32 vcc, 0, v4
	v_cndmask_b32_e32 v4, 0, v5, vcc
	s_branch .LBB47_278
.LBB47_165:
	s_mov_b64 s[48:49], -1
	s_mov_b64 s[0:1], 0
	s_mov_b64 s[40:41], 0
.LBB47_166:
	s_and_b64 vcc, exec, s[48:49]
	s_cbranch_vccz .LBB47_171
; %bb.167:
	s_cmp_eq_u32 s29, 44
	s_mov_b64 s[0:1], -1
	s_cbranch_scc0 .LBB47_171
; %bb.168:
	v_bfe_i32 v3, v2, 0, 8
	v_cvt_f32_i32_sdwa v3, sext(v3) dst_sel:DWORD dst_unused:UNUSED_PAD src0_sel:WORD_0
	s_movk_i32 s0, 0xff
	v_mov_b32_e32 v5, 0xff
	v_bfe_u32 v4, v3, 23, 8
	v_cmp_ne_u32_e32 vcc, s0, v4
	s_and_saveexec_b64 s[40:41], vcc
; %bb.169:
	s_mov_b32 s0, 0x3fffff
	v_lshrrev_b32_e32 v5, 23, v3
	v_and_b32_e32 v6, 0x400000, v3
	v_and_or_b32 v3, v3, s0, v4
	v_cmp_ne_u32_e32 vcc, 0, v6
	v_cmp_ne_u32_e64 s[0:1], 0, v3
	s_and_b64 s[0:1], vcc, s[0:1]
	v_cndmask_b32_e64 v3, 0, 1, s[0:1]
	v_add_u32_e32 v5, v5, v3
; %bb.170:
	s_or_b64 exec, exec, s[40:41]
	s_mov_b64 s[40:41], -1
	s_mov_b64 s[0:1], 0
	global_store_byte v[0:1], v5, off
.LBB47_171:
	s_mov_b64 s[48:49], 0
.LBB47_172:
	s_and_b64 vcc, exec, s[48:49]
	s_cbranch_vccz .LBB47_175
; %bb.173:
	s_cmp_eq_u32 s29, 29
	s_mov_b64 s[0:1], -1
	s_cbranch_scc0 .LBB47_175
; %bb.174:
	v_bfe_i32 v3, v2, 0, 8
	v_ashrrev_i32_e32 v4, 31, v3
	global_store_dwordx2 v[0:1], v[3:4], off
	s_mov_b64 s[40:41], -1
	s_mov_b64 s[0:1], 0
.LBB47_175:
	s_mov_b64 s[48:49], 0
.LBB47_176:
	s_and_b64 vcc, exec, s[48:49]
	s_cbranch_vccz .LBB47_192
; %bb.177:
	s_cmp_lt_i32 s29, 27
	s_mov_b64 s[40:41], -1
	s_cbranch_scc1 .LBB47_183
; %bb.178:
	s_cmp_gt_i32 s29, 27
	s_cbranch_scc0 .LBB47_180
; %bb.179:
	v_bfe_i32 v3, v2, 0, 8
	s_mov_b64 s[40:41], 0
	global_store_dword v[0:1], v3, off
.LBB47_180:
	s_andn2_b64 vcc, exec, s[40:41]
	s_cbranch_vccnz .LBB47_182
; %bb.181:
	v_bfe_i32 v3, v2, 0, 8
	global_store_short v[0:1], v3, off
.LBB47_182:
	s_mov_b64 s[40:41], 0
.LBB47_183:
	s_andn2_b64 vcc, exec, s[40:41]
	s_cbranch_vccnz .LBB47_191
; %bb.184:
	v_bfe_i32 v3, v2, 0, 8
	v_cvt_f32_i32_sdwa v3, sext(v3) dst_sel:DWORD dst_unused:UNUSED_PAD src0_sel:WORD_0
	s_mov_b32 s40, 0x43800000
	v_mov_b32_e32 v5, 0x80
	v_and_b32_e32 v4, 0x7fffffff, v3
	v_cmp_gt_u32_e32 vcc, s40, v4
	s_and_saveexec_b64 s[40:41], vcc
	s_cbranch_execz .LBB47_190
; %bb.185:
	s_mov_b32 s48, 0x3bffffff
	v_cmp_lt_u32_e32 vcc, s48, v4
	s_mov_b64 s[48:49], 0
                                        ; implicit-def: $vgpr4
	s_and_saveexec_b64 s[52:53], vcc
	s_xor_b64 s[52:53], exec, s[52:53]
	s_cbranch_execz .LBB47_426
; %bb.186:
	v_bfe_u32 v4, v3, 20, 1
	s_mov_b32 s54, 0x487ffff
	v_add3_u32 v4, v3, v4, s54
	s_mov_b64 s[48:49], exec
	v_lshrrev_b32_e32 v4, 20, v4
	s_andn2_saveexec_b64 s[52:53], s[52:53]
	s_cbranch_execnz .LBB47_427
.LBB47_187:
	s_or_b64 exec, exec, s[52:53]
	v_mov_b32_e32 v5, 0
	s_and_saveexec_b64 s[52:53], s[48:49]
.LBB47_188:
	v_lshrrev_b32_e32 v3, 24, v3
	s_movk_i32 s48, 0x80
	v_and_or_b32 v5, v3, s48, v4
.LBB47_189:
	s_or_b64 exec, exec, s[52:53]
.LBB47_190:
	s_or_b64 exec, exec, s[40:41]
	global_store_byte v[0:1], v5, off
.LBB47_191:
	s_mov_b64 s[40:41], -1
.LBB47_192:
	s_mov_b64 s[48:49], 0
.LBB47_193:
	s_and_b64 vcc, exec, s[48:49]
	s_cbranch_vccz .LBB47_234
; %bb.194:
	s_cmp_gt_i32 s29, 22
	s_mov_b64 s[48:49], -1
	s_cbranch_scc0 .LBB47_226
; %bb.195:
	s_cmp_lt_i32 s29, 24
	s_mov_b64 s[40:41], -1
	s_cbranch_scc1 .LBB47_215
; %bb.196:
	s_cmp_gt_i32 s29, 24
	s_cbranch_scc0 .LBB47_204
; %bb.197:
	v_bfe_i32 v3, v2, 0, 8
	v_cvt_f32_i32_sdwa v3, sext(v3) dst_sel:DWORD dst_unused:UNUSED_PAD src0_sel:WORD_0
	s_mov_b32 s40, 0x47800000
	v_mov_b32_e32 v5, 0x80
	v_and_b32_e32 v4, 0x7fffffff, v3
	v_cmp_gt_u32_e32 vcc, s40, v4
	s_and_saveexec_b64 s[40:41], vcc
	s_cbranch_execz .LBB47_203
; %bb.198:
	s_mov_b32 s48, 0x37ffffff
	v_cmp_lt_u32_e32 vcc, s48, v4
	s_mov_b64 s[48:49], 0
                                        ; implicit-def: $vgpr4
	s_and_saveexec_b64 s[52:53], vcc
	s_xor_b64 s[52:53], exec, s[52:53]
	s_cbranch_execz .LBB47_541
; %bb.199:
	v_bfe_u32 v4, v3, 21, 1
	s_mov_b32 s54, 0x88fffff
	v_add3_u32 v4, v3, v4, s54
	s_mov_b64 s[48:49], exec
	v_lshrrev_b32_e32 v4, 21, v4
	s_andn2_saveexec_b64 s[52:53], s[52:53]
	s_cbranch_execnz .LBB47_542
.LBB47_200:
	s_or_b64 exec, exec, s[52:53]
	v_mov_b32_e32 v5, 0
	s_and_saveexec_b64 s[52:53], s[48:49]
.LBB47_201:
	v_lshrrev_b32_e32 v3, 24, v3
	s_movk_i32 s48, 0x80
	v_and_or_b32 v5, v3, s48, v4
.LBB47_202:
	s_or_b64 exec, exec, s[52:53]
.LBB47_203:
	s_or_b64 exec, exec, s[40:41]
	s_mov_b64 s[40:41], 0
	global_store_byte v[0:1], v5, off
.LBB47_204:
	s_and_b64 vcc, exec, s[40:41]
	s_cbranch_vccz .LBB47_214
; %bb.205:
	v_bfe_i32 v3, v2, 0, 8
	v_cvt_f32_i32_sdwa v3, sext(v3) dst_sel:DWORD dst_unused:UNUSED_PAD src0_sel:WORD_0
	s_mov_b32 s40, 0x43f00000
                                        ; implicit-def: $vgpr4
	v_and_b32_e32 v5, 0x7fffffff, v3
	v_cmp_gt_u32_e32 vcc, s40, v5
	s_and_saveexec_b64 s[40:41], vcc
	s_xor_b64 s[40:41], exec, s[40:41]
	s_cbranch_execz .LBB47_211
; %bb.206:
	s_mov_b32 s48, 0x3c7fffff
	v_cmp_lt_u32_e32 vcc, s48, v5
                                        ; implicit-def: $vgpr4
	s_and_saveexec_b64 s[48:49], vcc
	s_xor_b64 s[48:49], exec, s[48:49]
; %bb.207:
	v_bfe_u32 v4, v3, 20, 1
	s_mov_b32 s52, 0x407ffff
	v_add3_u32 v4, v3, v4, s52
	v_lshrrev_b32_e32 v5, 20, v4
	v_and_b32_e32 v4, 0xff00000, v4
	s_mov_b32 s52, 0x7f00000
	v_mov_b32_e32 v6, 0x7e
	v_cmp_ne_u32_e32 vcc, s52, v4
	v_cndmask_b32_e32 v4, v6, v5, vcc
; %bb.208:
	s_andn2_saveexec_b64 s[48:49], s[48:49]
; %bb.209:
	s_mov_b32 s52, 0x46800000
	v_add_f32_e64 v4, |v3|, s52
; %bb.210:
	s_or_b64 exec, exec, s[48:49]
                                        ; implicit-def: $vgpr5
.LBB47_211:
	s_andn2_saveexec_b64 s[40:41], s[40:41]
; %bb.212:
	s_mov_b32 s48, 0x7f800000
	v_mov_b32_e32 v4, 0x7e
	v_mov_b32_e32 v6, 0x7f
	v_cmp_lt_u32_e32 vcc, s48, v5
	v_cndmask_b32_e32 v4, v4, v6, vcc
; %bb.213:
	s_or_b64 exec, exec, s[40:41]
	v_lshrrev_b32_e32 v3, 24, v3
	s_movk_i32 s40, 0x80
	v_and_or_b32 v3, v3, s40, v4
	global_store_byte v[0:1], v3, off
.LBB47_214:
	s_mov_b64 s[40:41], 0
.LBB47_215:
	s_andn2_b64 vcc, exec, s[40:41]
	s_cbranch_vccnz .LBB47_225
; %bb.216:
	v_bfe_i32 v3, v2, 0, 8
	v_cvt_f32_i32_sdwa v3, sext(v3) dst_sel:DWORD dst_unused:UNUSED_PAD src0_sel:WORD_0
	s_mov_b32 s40, 0x47800000
                                        ; implicit-def: $vgpr4
	v_and_b32_e32 v5, 0x7fffffff, v3
	v_cmp_gt_u32_e32 vcc, s40, v5
	s_and_saveexec_b64 s[40:41], vcc
	s_xor_b64 s[40:41], exec, s[40:41]
	s_cbranch_execz .LBB47_222
; %bb.217:
	s_mov_b32 s48, 0x387fffff
	v_cmp_lt_u32_e32 vcc, s48, v5
                                        ; implicit-def: $vgpr4
	s_and_saveexec_b64 s[48:49], vcc
	s_xor_b64 s[48:49], exec, s[48:49]
; %bb.218:
	v_bfe_u32 v4, v3, 21, 1
	s_mov_b32 s52, 0x80fffff
	v_add3_u32 v4, v3, v4, s52
	v_lshrrev_b32_e32 v4, 21, v4
; %bb.219:
	s_andn2_saveexec_b64 s[48:49], s[48:49]
; %bb.220:
	s_mov_b32 s52, 0x43000000
	v_add_f32_e64 v4, |v3|, s52
; %bb.221:
	s_or_b64 exec, exec, s[48:49]
                                        ; implicit-def: $vgpr5
.LBB47_222:
	s_andn2_saveexec_b64 s[40:41], s[40:41]
; %bb.223:
	s_mov_b32 s48, 0x7f800000
	v_mov_b32_e32 v4, 0x7c
	v_mov_b32_e32 v6, 0x7f
	v_cmp_lt_u32_e32 vcc, s48, v5
	v_cndmask_b32_e32 v4, v4, v6, vcc
; %bb.224:
	s_or_b64 exec, exec, s[40:41]
	v_lshrrev_b32_e32 v3, 24, v3
	s_movk_i32 s40, 0x80
	v_and_or_b32 v3, v3, s40, v4
	global_store_byte v[0:1], v3, off
.LBB47_225:
	s_mov_b64 s[48:49], 0
	s_mov_b64 s[40:41], -1
.LBB47_226:
	s_andn2_b64 vcc, exec, s[48:49]
	s_cbranch_vccnz .LBB47_234
; %bb.227:
	s_cmp_gt_i32 s29, 14
	s_mov_b64 s[48:49], -1
	s_cbranch_scc0 .LBB47_231
; %bb.228:
	s_cmp_eq_u32 s29, 15
	s_mov_b64 s[0:1], -1
	s_cbranch_scc0 .LBB47_230
; %bb.229:
	v_bfe_i32 v3, v2, 0, 8
	v_cvt_f32_i32_sdwa v3, sext(v3) dst_sel:DWORD dst_unused:UNUSED_PAD src0_sel:WORD_0
	s_movk_i32 s0, 0x7fff
	s_mov_b64 s[40:41], -1
	v_bfe_u32 v4, v3, 16, 1
	v_add3_u32 v3, v3, v4, s0
	global_store_short_d16_hi v[0:1], v3, off
	s_mov_b64 s[0:1], 0
.LBB47_230:
	s_mov_b64 s[48:49], 0
.LBB47_231:
	s_and_b64 vcc, exec, s[48:49]
	s_cbranch_vccz .LBB47_234
; %bb.232:
	s_cmp_eq_u32 s29, 11
	s_mov_b64 s[0:1], -1
	s_cbranch_scc0 .LBB47_234
; %bb.233:
	v_mov_b32_e32 v3, 0
	v_cmp_ne_u16_sdwa s[0:1], v2, v3 src0_sel:BYTE_0 src1_sel:DWORD
	v_cndmask_b32_e64 v3, 0, 1, s[0:1]
	s_mov_b64 s[40:41], -1
	s_mov_b64 s[0:1], 0
	global_store_byte v[0:1], v3, off
.LBB47_234:
	s_mov_b64 s[48:49], 0
.LBB47_235:
	s_and_b64 vcc, exec, s[48:49]
	s_cbranch_vccz .LBB47_274
; %bb.236:
	s_and_b32 s14, 0xffff, s14
	s_cmp_lt_i32 s14, 5
	s_mov_b64 s[40:41], -1
	s_cbranch_scc1 .LBB47_257
; %bb.237:
	s_cmp_lt_i32 s14, 8
	s_cbranch_scc1 .LBB47_247
; %bb.238:
	s_cmp_lt_i32 s14, 9
	s_cbranch_scc1 .LBB47_244
; %bb.239:
	s_cmp_gt_i32 s14, 9
	s_cbranch_scc0 .LBB47_241
; %bb.240:
	v_bfe_i32 v3, v2, 0, 8
	v_bfe_i32 v3, v3, 0, 16
	v_cvt_f64_i32_e32 v[3:4], v3
	v_mov_b32_e32 v5, 0
	v_mov_b32_e32 v6, v5
	s_mov_b64 s[40:41], 0
	global_store_dwordx4 v[0:1], v[3:6], off
.LBB47_241:
	s_andn2_b64 vcc, exec, s[40:41]
	s_cbranch_vccnz .LBB47_243
; %bb.242:
	v_bfe_i32 v3, v2, 0, 8
	v_cvt_f32_i32_sdwa v3, sext(v3) dst_sel:DWORD dst_unused:UNUSED_PAD src0_sel:WORD_0
	v_mov_b32_e32 v4, 0
	global_store_dwordx2 v[0:1], v[3:4], off
.LBB47_243:
	s_mov_b64 s[40:41], 0
.LBB47_244:
	s_andn2_b64 vcc, exec, s[40:41]
	s_cbranch_vccnz .LBB47_246
; %bb.245:
	v_cvt_f16_i16_sdwa v3, sext(v2) dst_sel:DWORD dst_unused:UNUSED_PAD src0_sel:BYTE_0
	global_store_dword v[0:1], v3, off
.LBB47_246:
	s_mov_b64 s[40:41], 0
.LBB47_247:
	s_andn2_b64 vcc, exec, s[40:41]
	s_cbranch_vccnz .LBB47_256
; %bb.248:
	s_cmp_lt_i32 s14, 6
	s_mov_b64 s[40:41], -1
	s_cbranch_scc1 .LBB47_254
; %bb.249:
	s_cmp_gt_i32 s14, 6
	s_cbranch_scc0 .LBB47_251
; %bb.250:
	v_bfe_i32 v3, v2, 0, 8
	v_bfe_i32 v3, v3, 0, 16
	v_cvt_f64_i32_e32 v[3:4], v3
	s_mov_b64 s[40:41], 0
	global_store_dwordx2 v[0:1], v[3:4], off
.LBB47_251:
	s_andn2_b64 vcc, exec, s[40:41]
	s_cbranch_vccnz .LBB47_253
; %bb.252:
	v_bfe_i32 v3, v2, 0, 8
	v_cvt_f32_i32_sdwa v3, sext(v3) dst_sel:DWORD dst_unused:UNUSED_PAD src0_sel:WORD_0
	global_store_dword v[0:1], v3, off
.LBB47_253:
	s_mov_b64 s[40:41], 0
.LBB47_254:
	s_andn2_b64 vcc, exec, s[40:41]
	s_cbranch_vccnz .LBB47_256
; %bb.255:
	v_cvt_f16_i16_sdwa v3, sext(v2) dst_sel:DWORD dst_unused:UNUSED_PAD src0_sel:BYTE_0
	global_store_short v[0:1], v3, off
.LBB47_256:
	s_mov_b64 s[40:41], 0
.LBB47_257:
	s_andn2_b64 vcc, exec, s[40:41]
	s_cbranch_vccnz .LBB47_273
; %bb.258:
	s_cmp_lt_i32 s14, 2
	s_mov_b64 s[40:41], -1
	s_cbranch_scc1 .LBB47_268
; %bb.259:
	s_cmp_lt_i32 s14, 3
	s_cbranch_scc1 .LBB47_265
; %bb.260:
	s_cmp_gt_i32 s14, 3
	s_cbranch_scc0 .LBB47_262
; %bb.261:
	v_bfe_i32 v3, v2, 0, 8
	v_ashrrev_i32_e32 v4, 31, v3
	global_store_dwordx2 v[0:1], v[3:4], off
	s_mov_b64 s[40:41], 0
.LBB47_262:
	s_andn2_b64 vcc, exec, s[40:41]
	s_cbranch_vccnz .LBB47_264
; %bb.263:
	v_bfe_i32 v3, v2, 0, 8
	global_store_dword v[0:1], v3, off
.LBB47_264:
	s_mov_b64 s[40:41], 0
.LBB47_265:
	s_andn2_b64 vcc, exec, s[40:41]
	s_cbranch_vccnz .LBB47_267
; %bb.266:
	v_bfe_i32 v3, v2, 0, 8
	global_store_short v[0:1], v3, off
.LBB47_267:
	s_mov_b64 s[40:41], 0
.LBB47_268:
	s_andn2_b64 vcc, exec, s[40:41]
	s_cbranch_vccnz .LBB47_273
; %bb.269:
	s_cmp_gt_i32 s14, 0
	s_mov_b64 s[40:41], -1
	s_cbranch_scc0 .LBB47_271
; %bb.270:
	global_store_byte v[0:1], v2, off
	s_mov_b64 s[40:41], 0
.LBB47_271:
	s_andn2_b64 vcc, exec, s[40:41]
	s_cbranch_vccnz .LBB47_273
; %bb.272:
	global_store_byte v[0:1], v2, off
.LBB47_273:
	s_mov_b64 s[40:41], -1
.LBB47_274:
	s_andn2_b64 vcc, exec, s[40:41]
	s_cbranch_vccnz .LBB47_276
; %bb.275:
	v_add_u32_e32 v10, 0x80, v10
	s_mov_b64 s[48:49], -1
	s_branch .LBB47_385
.LBB47_276:
	s_mov_b64 s[48:49], 0
                                        ; implicit-def: $vgpr10
	s_branch .LBB47_385
.LBB47_277:
	s_mov_b64 s[42:43], -1
                                        ; implicit-def: $vgpr4
.LBB47_278:
	s_mov_b64 s[40:41], 0
.LBB47_279:
	s_and_b64 vcc, exec, s[40:41]
	s_cbranch_vccz .LBB47_283
; %bb.280:
	s_cmp_eq_u32 s29, 29
	s_cbranch_scc0 .LBB47_282
; %bb.281:
	global_load_dwordx2 v[4:5], v[2:3], off
	s_mov_b64 s[0:1], -1
	s_mov_b64 s[42:43], 0
	s_branch .LBB47_283
.LBB47_282:
	s_mov_b64 s[42:43], -1
                                        ; implicit-def: $vgpr4
.LBB47_283:
	s_mov_b64 s[40:41], 0
.LBB47_284:
	s_and_b64 vcc, exec, s[40:41]
	s_cbranch_vccz .LBB47_300
; %bb.285:
	s_cmp_lt_i32 s29, 27
	s_cbranch_scc1 .LBB47_288
; %bb.286:
	s_cmp_gt_i32 s29, 27
	s_cbranch_scc0 .LBB47_289
; %bb.287:
	global_load_dword v4, v[2:3], off
	s_mov_b64 s[0:1], 0
	s_branch .LBB47_290
.LBB47_288:
	s_mov_b64 s[0:1], -1
                                        ; implicit-def: $vgpr4
	s_branch .LBB47_293
.LBB47_289:
	s_mov_b64 s[0:1], -1
                                        ; implicit-def: $vgpr4
.LBB47_290:
	s_andn2_b64 vcc, exec, s[0:1]
	s_cbranch_vccnz .LBB47_292
; %bb.291:
	global_load_ushort v4, v[2:3], off
.LBB47_292:
	s_mov_b64 s[0:1], 0
.LBB47_293:
	s_andn2_b64 vcc, exec, s[0:1]
	s_cbranch_vccnz .LBB47_299
; %bb.294:
	global_load_ubyte v5, v[2:3], off
	s_movk_i32 s0, 0x7f
	s_mov_b64 s[40:41], 0
	s_waitcnt vmcnt(0)
	v_cmp_lt_i16_e32 vcc, s0, v5
	s_and_saveexec_b64 s[0:1], vcc
	s_xor_b64 s[0:1], exec, s[0:1]
	s_cbranch_execz .LBB47_311
; %bb.295:
	s_movk_i32 s40, 0x80
	v_cmp_ne_u16_e32 vcc, s40, v5
	s_and_b64 s[40:41], vcc, exec
	s_andn2_saveexec_b64 s[0:1], s[0:1]
	s_cbranch_execnz .LBB47_312
.LBB47_296:
	s_or_b64 exec, exec, s[0:1]
	v_mov_b32_e32 v4, 0
	s_and_saveexec_b64 s[0:1], s[40:41]
	s_cbranch_execz .LBB47_298
.LBB47_297:
	v_lshlrev_b32_e32 v4, 24, v5
	v_and_b32_e32 v5, 0xffff, v5
	v_and_b32_e32 v6, 7, v5
	v_ffbh_u32_e32 v8, v6
	v_min_u32_e32 v8, 32, v8
	v_subrev_u32_e32 v9, 28, v8
	v_bfe_u32 v7, v5, 3, 4
	v_lshlrev_b32_e32 v5, v9, v5
	v_sub_u32_e32 v8, 29, v8
	v_and_b32_e32 v5, 7, v5
	v_cmp_eq_u32_e32 vcc, 0, v7
	v_cndmask_b32_e32 v7, v7, v8, vcc
	v_cndmask_b32_e32 v5, v6, v5, vcc
	v_mov_b32_e32 v6, 0x3b800000
	v_lshlrev_b32_e32 v5, 20, v5
	v_and_b32_e32 v4, 0x80000000, v4
	v_lshl_add_u32 v6, v7, 23, v6
	v_or3_b32 v4, v4, v6, v5
	v_cvt_i32_f32_e32 v4, v4
.LBB47_298:
	s_or_b64 exec, exec, s[0:1]
.LBB47_299:
	s_mov_b64 s[0:1], -1
.LBB47_300:
	s_mov_b64 s[40:41], 0
.LBB47_301:
	s_and_b64 vcc, exec, s[40:41]
	s_cbranch_vccz .LBB47_334
; %bb.302:
	s_cmp_gt_i32 s29, 22
	s_cbranch_scc0 .LBB47_310
; %bb.303:
	s_cmp_lt_i32 s29, 24
	s_cbranch_scc1 .LBB47_313
; %bb.304:
	s_cmp_gt_i32 s29, 24
	s_cbranch_scc0 .LBB47_314
; %bb.305:
	global_load_ubyte v5, v[2:3], off
	s_movk_i32 s0, 0x7f
	s_mov_b64 s[40:41], 0
	s_waitcnt vmcnt(0)
	v_cmp_lt_i16_e32 vcc, s0, v5
	s_and_saveexec_b64 s[0:1], vcc
	s_xor_b64 s[0:1], exec, s[0:1]
	s_cbranch_execz .LBB47_326
; %bb.306:
	s_movk_i32 s40, 0x80
	v_cmp_ne_u16_e32 vcc, s40, v5
	s_and_b64 s[40:41], vcc, exec
	s_andn2_saveexec_b64 s[0:1], s[0:1]
	s_cbranch_execnz .LBB47_327
.LBB47_307:
	s_or_b64 exec, exec, s[0:1]
	v_mov_b32_e32 v4, 0
	s_and_saveexec_b64 s[0:1], s[40:41]
	s_cbranch_execz .LBB47_309
.LBB47_308:
	v_lshlrev_b32_e32 v4, 24, v5
	v_and_b32_e32 v5, 0xffff, v5
	v_and_b32_e32 v6, 3, v5
	v_ffbh_u32_e32 v8, v6
	v_min_u32_e32 v8, 32, v8
	v_subrev_u32_e32 v9, 29, v8
	v_bfe_u32 v7, v5, 2, 5
	v_lshlrev_b32_e32 v5, v9, v5
	v_sub_u32_e32 v8, 30, v8
	v_and_b32_e32 v5, 3, v5
	v_cmp_eq_u32_e32 vcc, 0, v7
	v_cndmask_b32_e32 v7, v7, v8, vcc
	v_cndmask_b32_e32 v5, v6, v5, vcc
	v_mov_b32_e32 v6, 0x37800000
	v_lshlrev_b32_e32 v5, 21, v5
	v_and_b32_e32 v4, 0x80000000, v4
	v_lshl_add_u32 v6, v7, 23, v6
	v_or3_b32 v4, v4, v6, v5
	v_cvt_i32_f32_e32 v4, v4
.LBB47_309:
	s_or_b64 exec, exec, s[0:1]
	s_mov_b64 s[0:1], 0
	s_branch .LBB47_315
.LBB47_310:
	s_mov_b64 s[40:41], -1
                                        ; implicit-def: $vgpr4
	s_branch .LBB47_321
.LBB47_311:
	s_andn2_saveexec_b64 s[0:1], s[0:1]
	s_cbranch_execz .LBB47_296
.LBB47_312:
	v_cmp_ne_u16_e32 vcc, 0, v5
	s_andn2_b64 s[40:41], s[40:41], exec
	s_and_b64 s[48:49], vcc, exec
	s_or_b64 s[40:41], s[40:41], s[48:49]
	s_or_b64 exec, exec, s[0:1]
	v_mov_b32_e32 v4, 0
	s_and_saveexec_b64 s[0:1], s[40:41]
	s_cbranch_execnz .LBB47_297
	s_branch .LBB47_298
.LBB47_313:
	s_mov_b64 s[0:1], -1
                                        ; implicit-def: $vgpr4
	s_branch .LBB47_318
.LBB47_314:
	s_mov_b64 s[0:1], -1
                                        ; implicit-def: $vgpr4
.LBB47_315:
	s_and_b64 vcc, exec, s[0:1]
	s_cbranch_vccz .LBB47_317
; %bb.316:
	global_load_ubyte v4, v[2:3], off
	s_mov_b32 s0, 0x7f800000
	s_waitcnt vmcnt(0)
	v_lshlrev_b32_e32 v4, 24, v4
	v_and_b32_e32 v5, 0x7f000000, v4
	v_ffbh_u32_e32 v6, v5
	v_min_u32_e32 v6, 32, v6
	v_sub_u32_e64 v6, v6, 4 clamp
	v_lshlrev_b32_e32 v8, v6, v5
	v_lshlrev_b32_e32 v6, 23, v6
	v_lshrrev_b32_e32 v8, 4, v8
	v_add_u32_e32 v7, 0x1000000, v5
	v_sub_u32_e32 v6, v8, v6
	v_ashrrev_i32_e32 v7, 8, v7
	v_add_u32_e32 v6, 0x3c000000, v6
	v_and_or_b32 v6, v7, s0, v6
	v_cmp_ne_u32_e32 vcc, 0, v5
	v_cndmask_b32_e32 v5, 0, v6, vcc
	s_brev_b32 s0, 1
	v_and_or_b32 v4, v4, s0, v5
	v_cvt_i32_f32_e32 v4, v4
.LBB47_317:
	s_mov_b64 s[0:1], 0
.LBB47_318:
	s_andn2_b64 vcc, exec, s[0:1]
	s_cbranch_vccnz .LBB47_320
; %bb.319:
	global_load_ubyte v4, v[2:3], off
	s_movk_i32 s0, 0x7f00
	s_brev_b32 s1, 16
	s_waitcnt vmcnt(0)
	v_lshlrev_b16_e32 v5, 8, v4
	v_lshlrev_b32_e32 v4, 25, v4
	v_lshrrev_b32_e32 v6, 4, v4
	v_and_or_b32 v7, v5, s0, 0.5
	v_or_b32_e32 v6, 0x70000000, v6
	v_add_f32_e32 v7, -0.5, v7
	v_mul_f32_e32 v6, 0x7800000, v6
	v_cmp_gt_u32_e32 vcc, s1, v4
	v_bfe_i32 v5, v5, 0, 16
	v_cndmask_b32_e32 v4, v6, v7, vcc
	s_brev_b32 s0, 1
	v_and_or_b32 v4, v5, s0, v4
	v_cvt_i32_f32_e32 v4, v4
.LBB47_320:
	s_mov_b64 s[40:41], 0
	s_mov_b64 s[0:1], -1
.LBB47_321:
	s_andn2_b64 vcc, exec, s[40:41]
	s_cbranch_vccnz .LBB47_334
; %bb.322:
	s_cmp_gt_i32 s29, 14
	s_cbranch_scc0 .LBB47_325
; %bb.323:
	s_cmp_eq_u32 s29, 15
	s_cbranch_scc0 .LBB47_328
; %bb.324:
	global_load_ushort v4, v[2:3], off
	s_mov_b64 s[0:1], -1
	s_mov_b64 s[42:43], 0
	s_waitcnt vmcnt(0)
	v_lshlrev_b32_e32 v4, 16, v4
	v_cvt_i32_f32_e32 v4, v4
	s_branch .LBB47_329
.LBB47_325:
	s_mov_b64 s[40:41], -1
                                        ; implicit-def: $vgpr4
	s_branch .LBB47_330
.LBB47_326:
	s_andn2_saveexec_b64 s[0:1], s[0:1]
	s_cbranch_execz .LBB47_307
.LBB47_327:
	v_cmp_ne_u16_e32 vcc, 0, v5
	s_andn2_b64 s[40:41], s[40:41], exec
	s_and_b64 s[48:49], vcc, exec
	s_or_b64 s[40:41], s[40:41], s[48:49]
	s_or_b64 exec, exec, s[0:1]
	v_mov_b32_e32 v4, 0
	s_and_saveexec_b64 s[0:1], s[40:41]
	s_cbranch_execnz .LBB47_308
	s_branch .LBB47_309
.LBB47_328:
	s_mov_b64 s[42:43], -1
                                        ; implicit-def: $vgpr4
.LBB47_329:
	s_mov_b64 s[40:41], 0
.LBB47_330:
	s_and_b64 vcc, exec, s[40:41]
	s_cbranch_vccz .LBB47_334
; %bb.331:
	s_cmp_eq_u32 s29, 11
	s_cbranch_scc0 .LBB47_333
; %bb.332:
	global_load_ubyte v4, v[2:3], off
	s_mov_b64 s[0:1], -1
	s_mov_b64 s[42:43], 0
	s_waitcnt vmcnt(0)
	v_cmp_ne_u16_e32 vcc, 0, v4
	v_cndmask_b32_e64 v4, 0, 1, vcc
	s_branch .LBB47_334
.LBB47_333:
	s_mov_b64 s[42:43], -1
                                        ; implicit-def: $vgpr4
.LBB47_334:
	s_branch .LBB47_31
.LBB47_335:
	s_and_b32 s14, 0xffff, s14
	s_cmp_lt_i32 s14, 5
	s_cbranch_scc1 .LBB47_340
; %bb.336:
	s_cmp_lt_i32 s14, 8
	s_cbranch_scc1 .LBB47_341
; %bb.337:
	;; [unrolled: 3-line block ×3, first 2 shown]
	s_cmp_gt_i32 s14, 9
	s_cbranch_scc0 .LBB47_343
; %bb.339:
	global_load_dwordx2 v[4:5], v[2:3], off
	s_mov_b64 s[0:1], 0
	s_waitcnt vmcnt(0)
	v_cvt_i32_f64_e32 v4, v[4:5]
	s_branch .LBB47_344
.LBB47_340:
	s_mov_b64 s[0:1], -1
                                        ; implicit-def: $vgpr4
	s_branch .LBB47_362
.LBB47_341:
	s_mov_b64 s[0:1], -1
                                        ; implicit-def: $vgpr4
	s_branch .LBB47_350
.LBB47_342:
	s_mov_b64 s[0:1], -1
                                        ; implicit-def: $vgpr4
	s_branch .LBB47_347
.LBB47_343:
	s_mov_b64 s[0:1], -1
                                        ; implicit-def: $vgpr4
.LBB47_344:
	s_andn2_b64 vcc, exec, s[0:1]
	s_cbranch_vccnz .LBB47_346
; %bb.345:
	global_load_dword v4, v[2:3], off
	s_waitcnt vmcnt(0)
	v_cvt_i32_f32_e32 v4, v4
.LBB47_346:
	s_mov_b64 s[0:1], 0
.LBB47_347:
	s_andn2_b64 vcc, exec, s[0:1]
	s_cbranch_vccnz .LBB47_349
; %bb.348:
	global_load_dword v4, v[2:3], off
	s_waitcnt vmcnt(0)
	v_cvt_i16_f16_e32 v4, v4
.LBB47_349:
	s_mov_b64 s[0:1], 0
.LBB47_350:
	s_andn2_b64 vcc, exec, s[0:1]
	s_cbranch_vccnz .LBB47_361
; %bb.351:
	s_cmp_lt_i32 s14, 6
	s_cbranch_scc1 .LBB47_354
; %bb.352:
	s_cmp_gt_i32 s14, 6
	s_cbranch_scc0 .LBB47_355
; %bb.353:
	global_load_dwordx2 v[4:5], v[2:3], off
	s_mov_b64 s[0:1], 0
	s_waitcnt vmcnt(0)
	v_cvt_i32_f64_e32 v4, v[4:5]
	s_branch .LBB47_356
.LBB47_354:
	s_mov_b64 s[0:1], -1
                                        ; implicit-def: $vgpr4
	s_branch .LBB47_359
.LBB47_355:
	s_mov_b64 s[0:1], -1
                                        ; implicit-def: $vgpr4
.LBB47_356:
	s_andn2_b64 vcc, exec, s[0:1]
	s_cbranch_vccnz .LBB47_358
; %bb.357:
	global_load_dword v4, v[2:3], off
	s_waitcnt vmcnt(0)
	v_cvt_i32_f32_e32 v4, v4
.LBB47_358:
	s_mov_b64 s[0:1], 0
.LBB47_359:
	s_andn2_b64 vcc, exec, s[0:1]
	s_cbranch_vccnz .LBB47_361
; %bb.360:
	global_load_ushort v4, v[2:3], off
	s_waitcnt vmcnt(0)
	v_cvt_i16_f16_e32 v4, v4
.LBB47_361:
	s_mov_b64 s[0:1], 0
.LBB47_362:
	s_andn2_b64 vcc, exec, s[0:1]
	s_cbranch_vccnz .LBB47_382
; %bb.363:
	s_cmp_lt_i32 s14, 2
	s_cbranch_scc1 .LBB47_367
; %bb.364:
	s_cmp_lt_i32 s14, 3
	s_cbranch_scc1 .LBB47_368
; %bb.365:
	s_cmp_gt_i32 s14, 3
	s_cbranch_scc0 .LBB47_369
; %bb.366:
	global_load_dwordx2 v[4:5], v[2:3], off
	s_mov_b64 s[0:1], 0
	s_branch .LBB47_370
.LBB47_367:
	s_mov_b64 s[0:1], -1
                                        ; implicit-def: $vgpr4
	s_branch .LBB47_376
.LBB47_368:
	s_mov_b64 s[0:1], -1
                                        ; implicit-def: $vgpr4
	s_branch .LBB47_373
.LBB47_369:
	s_mov_b64 s[0:1], -1
                                        ; implicit-def: $vgpr4
.LBB47_370:
	s_andn2_b64 vcc, exec, s[0:1]
	s_cbranch_vccnz .LBB47_372
; %bb.371:
	global_load_dword v4, v[2:3], off
.LBB47_372:
	s_mov_b64 s[0:1], 0
.LBB47_373:
	s_andn2_b64 vcc, exec, s[0:1]
	s_cbranch_vccnz .LBB47_375
; %bb.374:
	global_load_ushort v4, v[2:3], off
.LBB47_375:
	s_mov_b64 s[0:1], 0
.LBB47_376:
	s_andn2_b64 vcc, exec, s[0:1]
	s_cbranch_vccnz .LBB47_382
; %bb.377:
	s_cmp_gt_i32 s14, 0
	s_cbranch_scc0 .LBB47_379
; %bb.378:
	global_load_ubyte v4, v[2:3], off
	s_mov_b64 s[0:1], 0
	s_branch .LBB47_380
.LBB47_379:
	s_mov_b64 s[0:1], -1
                                        ; implicit-def: $vgpr4
.LBB47_380:
	s_andn2_b64 vcc, exec, s[0:1]
	s_cbranch_vccnz .LBB47_382
; %bb.381:
	global_load_ubyte v4, v[2:3], off
.LBB47_382:
	s_branch .LBB47_32
.LBB47_383:
	s_mov_b64 s[0:1], 0
.LBB47_384:
                                        ; implicit-def: $vgpr10
	s_mov_b64 s[48:49], 0
.LBB47_385:
	s_and_b64 s[40:41], s[0:1], exec
	s_and_b64 s[42:43], s[42:43], exec
	;; [unrolled: 1-line block ×3, first 2 shown]
	s_orn2_b64 s[0:1], s[48:49], exec
.LBB47_386:
	s_or_b64 exec, exec, s[46:47]
	s_mov_b64 s[54:55], 0
	s_mov_b64 s[52:53], 0
                                        ; implicit-def: $sgpr14
                                        ; implicit-def: $vgpr4_vgpr5
                                        ; implicit-def: $vgpr0
                                        ; implicit-def: $vgpr3
                                        ; implicit-def: $vgpr1
	s_and_saveexec_b64 s[46:47], s[0:1]
	s_cbranch_execz .LBB47_394
; %bb.387:
	v_cmp_gt_i32_e32 vcc, s70, v10
	s_mov_b64 s[0:1], -1
	s_mov_b64 s[48:49], s[44:45]
	s_mov_b64 s[50:51], s[42:43]
	;; [unrolled: 1-line block ×3, first 2 shown]
	s_and_saveexec_b64 s[54:55], vcc
	s_cbranch_execz .LBB47_779
; %bb.388:
	s_andn2_b64 vcc, exec, s[24:25]
	s_cbranch_vccnz .LBB47_397
; %bb.389:
	s_andn2_b64 vcc, exec, s[38:39]
	s_cbranch_vccnz .LBB47_398
; %bb.390:
	s_add_i32 s0, s76, 1
	s_and_b32 s14, s0, 30
	s_add_u32 s0, s2, 0xffffffe8
	s_addc_u32 s1, s3, -1
	v_mov_b32_e32 v3, 0
	s_waitcnt vmcnt(0)
	v_mov_b32_e32 v5, 0
	v_mov_b32_e32 v0, 0
	;; [unrolled: 1-line block ×3, first 2 shown]
.LBB47_391:                             ; =>This Inner Loop Header: Depth=1
	s_load_dwordx4 s[48:51], s[0:1], 0x1c
	s_load_dwordx2 s[52:53], s[0:1], 0x2c
	s_load_dwordx2 s[60:61], s[0:1], 0xec
	s_load_dwordx4 s[56:59], s[0:1], 0xdc
	s_add_u32 s0, s0, 24
	s_waitcnt lgkmcnt(0)
	v_mul_hi_u32 v2, s49, v1
	s_addc_u32 s1, s1, 0
	s_add_i32 s14, s14, -2
	s_cmp_eq_u32 s14, 0
	v_add_u32_e32 v2, v1, v2
	v_lshrrev_b32_e32 v2, s50, v2
	v_mul_lo_u32 v4, v2, s48
	v_mul_hi_u32 v6, s52, v2
	v_sub_u32_e32 v4, v1, v4
	v_add_u32_e32 v1, v2, v6
	v_lshrrev_b32_e32 v1, s53, v1
	v_mul_lo_u32 v8, v1, s51
	v_mul_lo_u32 v6, v4, s56
	;; [unrolled: 1-line block ×4, first 2 shown]
	v_sub_u32_e32 v2, v2, v8
	v_mul_lo_u32 v8, v2, s59
	v_mul_lo_u32 v9, v2, s60
	;; [unrolled: 1-line block ×3, first 2 shown]
	v_add3_u32 v0, v6, v0, v8
	v_add3_u32 v5, v7, v5, v9
	;; [unrolled: 1-line block ×3, first 2 shown]
	s_cbranch_scc0 .LBB47_391
; %bb.392:
	s_bitcmp1_b32 s76, 0
	s_cselect_b64 s[48:49], -1, 0
	s_and_b64 vcc, exec, s[48:49]
	s_cbranch_vccnz .LBB47_399
; %bb.393:
	s_load_dwordx2 s[48:49], s[0:1], 0x1c
	s_load_dword s14, s[0:1], 0x24
	s_load_dwordx2 s[50:51], s[0:1], 0xdc
	s_waitcnt lgkmcnt(0)
	v_mul_hi_u32 v2, s49, v1
	v_add_u32_e32 v2, v1, v2
	v_lshrrev_b32_e32 v2, s14, v2
	v_mul_lo_u32 v2, v2, s48
	s_load_dword s14, s[0:1], 0xe4
	v_sub_u32_e32 v2, v1, v2
	v_mad_u64_u32 v[0:1], s[0:1], v2, s50, v[0:1]
	v_mad_u64_u32 v[5:6], s[0:1], v2, s51, v[5:6]
	s_waitcnt lgkmcnt(0)
	v_mad_u64_u32 v[3:4], s[0:1], v2, s14, v[3:4]
	s_branch .LBB47_399
.LBB47_394:
	s_or_b64 exec, exec, s[46:47]
	s_mov_b64 s[10:11], 0
	s_and_saveexec_b64 s[0:1], s[44:45]
	s_cbranch_execnz .LBB47_1265
.LBB47_395:
	s_or_b64 exec, exec, s[0:1]
	s_and_saveexec_b64 s[0:1], s[50:51]
	s_xor_b64 s[0:1], exec, s[0:1]
	s_cbranch_execz .LBB47_1266
.LBB47_396:
	s_waitcnt vmcnt(0)
	global_load_ubyte v1, v[4:5], off
	s_or_b64 s[52:53], s[52:53], exec
	s_waitcnt vmcnt(0)
	v_cmp_ne_u16_e32 vcc, 0, v1
	v_cndmask_b32_e64 v1, 0, 1, vcc
	s_or_b64 exec, exec, s[0:1]
	s_and_saveexec_b64 s[0:1], s[54:55]
	s_cbranch_execz .LBB47_1312
	s_branch .LBB47_1267
.LBB47_397:
                                        ; implicit-def: $vgpr0
                                        ; implicit-def: $vgpr5
                                        ; implicit-def: $vgpr3
	s_andn2_b64 vcc, exec, s[0:1]
	s_cbranch_vccz .LBB47_400
	s_branch .LBB47_402
.LBB47_398:
	v_mov_b32_e32 v0, 0
	s_waitcnt vmcnt(0)
	v_mov_b32_e32 v5, 0
	v_mov_b32_e32 v3, 0
.LBB47_399:
	s_cbranch_execnz .LBB47_402
.LBB47_400:
	v_mul_hi_u32 v0, s17, v10
	s_andn2_b64 vcc, exec, s[36:37]
	v_add_u32_e32 v0, v10, v0
	s_waitcnt vmcnt(0)
	v_lshrrev_b32_e32 v1, s18, v0
	v_mul_lo_u32 v0, v1, s16
	v_sub_u32_e32 v2, v10, v0
	v_mul_lo_u32 v0, v2, s20
	v_mul_lo_u32 v5, v2, s21
	;; [unrolled: 1-line block ×3, first 2 shown]
	s_cbranch_vccnz .LBB47_402
; %bb.401:
	v_mul_hi_u32 v2, s34, v1
	v_add_u32_e32 v2, v1, v2
	v_lshrrev_b32_e32 v2, s35, v2
	v_mul_lo_u32 v2, v2, s19
	v_sub_u32_e32 v2, v1, v2
	v_mad_u64_u32 v[0:1], s[0:1], v2, s23, v[0:1]
	v_mad_u64_u32 v[5:6], s[0:1], v2, s30, v[5:6]
	;; [unrolled: 1-line block ×3, first 2 shown]
.LBB47_402:
	s_waitcnt vmcnt(0)
	v_mov_b32_e32 v1, s11
	s_and_b32 s14, s28, 0xff
	v_add_co_u32_e32 v4, vcc, s10, v5
	s_cmp_lt_i32 s14, 11
	v_addc_co_u32_e32 v5, vcc, 0, v1, vcc
	s_cbranch_scc1 .LBB47_409
; %bb.403:
	s_and_b32 s29, 0xffff, s14
	s_cmp_gt_i32 s29, 25
	s_cbranch_scc0 .LBB47_418
; %bb.404:
	s_cmp_gt_i32 s29, 28
	s_cbranch_scc0 .LBB47_420
; %bb.405:
	;; [unrolled: 3-line block ×4, first 2 shown]
	s_cmp_eq_u32 s29, 46
	s_mov_b64 s[50:51], 0
	s_cbranch_scc0 .LBB47_428
; %bb.408:
	global_load_dword v1, v[4:5], off
	s_mov_b64 s[0:1], -1
	s_mov_b64 s[48:49], 0
	s_waitcnt vmcnt(0)
	v_lshlrev_b32_e32 v1, 16, v1
	v_cvt_i32_f32_e32 v1, v1
	s_branch .LBB47_429
.LBB47_409:
	s_mov_b64 s[0:1], 0
                                        ; implicit-def: $vgpr1
	s_mov_b64 s[48:49], s[44:45]
	s_cbranch_execnz .LBB47_491
.LBB47_410:
	s_andn2_b64 vcc, exec, s[0:1]
	s_cbranch_vccnz .LBB47_539
.LBB47_411:
	v_mov_b32_e32 v4, s13
	s_and_b32 s14, s15, 0xff
	s_waitcnt vmcnt(0)
	v_add_co_u32_e32 v2, vcc, s12, v3
	s_cmp_lt_i32 s14, 11
	v_addc_co_u32_e32 v3, vcc, 0, v4, vcc
	s_cbranch_scc1 .LBB47_419
; %bb.412:
	s_and_b32 s29, 0xffff, s14
	s_cmp_gt_i32 s29, 25
	s_cbranch_scc0 .LBB47_421
; %bb.413:
	s_cmp_gt_i32 s29, 28
	s_cbranch_scc0 .LBB47_423
; %bb.414:
	;; [unrolled: 3-line block ×4, first 2 shown]
	s_cmp_eq_u32 s29, 46
	s_mov_b64 s[52:53], 0
	s_cbranch_scc0 .LBB47_543
; %bb.417:
	global_load_dword v4, v[2:3], off
	s_mov_b64 s[0:1], -1
	s_mov_b64 s[50:51], 0
	s_waitcnt vmcnt(0)
	v_lshlrev_b32_e32 v4, 16, v4
	v_cvt_i32_f32_e32 v4, v4
	s_branch .LBB47_544
.LBB47_418:
	s_mov_b64 s[50:51], -1
	s_mov_b64 s[0:1], 0
	s_mov_b64 s[48:49], s[44:45]
                                        ; implicit-def: $vgpr1
	s_branch .LBB47_457
.LBB47_419:
	s_mov_b64 s[52:53], -1
	s_mov_b64 s[0:1], 0
                                        ; implicit-def: $vgpr4
	s_mov_b64 s[50:51], s[42:43]
	s_branch .LBB47_605
.LBB47_420:
	s_mov_b64 s[50:51], -1
	s_mov_b64 s[0:1], 0
	s_mov_b64 s[48:49], s[44:45]
                                        ; implicit-def: $vgpr1
	s_branch .LBB47_440
.LBB47_421:
	s_mov_b64 s[52:53], -1
	s_mov_b64 s[0:1], 0
	s_mov_b64 s[50:51], s[42:43]
                                        ; implicit-def: $vgpr4
	s_branch .LBB47_571
.LBB47_422:
	s_mov_b64 s[50:51], -1
	s_mov_b64 s[0:1], 0
	s_mov_b64 s[48:49], s[44:45]
                                        ; implicit-def: $vgpr1
	s_branch .LBB47_435
.LBB47_423:
	s_mov_b64 s[52:53], -1
	s_mov_b64 s[0:1], 0
	s_mov_b64 s[50:51], s[42:43]
                                        ; implicit-def: $vgpr4
	s_branch .LBB47_554
.LBB47_424:
	s_mov_b64 s[50:51], -1
	s_mov_b64 s[0:1], 0
	s_mov_b64 s[48:49], s[44:45]
                                        ; implicit-def: $vgpr1
	s_branch .LBB47_429
.LBB47_425:
	s_mov_b64 s[52:53], -1
	s_mov_b64 s[0:1], 0
	s_mov_b64 s[50:51], s[42:43]
                                        ; implicit-def: $vgpr4
	s_branch .LBB47_549
.LBB47_426:
	s_andn2_saveexec_b64 s[52:53], s[52:53]
	s_cbranch_execz .LBB47_187
.LBB47_427:
	s_mov_b32 s54, 0x46000000
	v_add_f32_e64 v4, |v3|, s54
	v_and_b32_e32 v4, 0xff, v4
	v_cmp_ne_u32_e32 vcc, 0, v4
	s_andn2_b64 s[48:49], s[48:49], exec
	s_and_b64 s[54:55], vcc, exec
	s_or_b64 s[48:49], s[48:49], s[54:55]
	s_or_b64 exec, exec, s[52:53]
	v_mov_b32_e32 v5, 0
	s_and_saveexec_b64 s[52:53], s[48:49]
	s_cbranch_execnz .LBB47_188
	s_branch .LBB47_189
.LBB47_428:
	s_mov_b64 s[48:49], -1
                                        ; implicit-def: $vgpr1
	s_mov_b64 s[0:1], 0
.LBB47_429:
	s_and_b64 vcc, exec, s[50:51]
	s_cbranch_vccz .LBB47_434
; %bb.430:
	s_cmp_eq_u32 s29, 44
	s_cbranch_scc0 .LBB47_433
; %bb.431:
	global_load_ubyte v1, v[4:5], off
	s_mov_b64 s[0:1], -1
	s_mov_b64 s[48:49], 0
	s_waitcnt vmcnt(0)
	v_lshlrev_b32_e32 v2, 23, v1
	v_cvt_i32_f32_e32 v2, v2
	v_cmp_ne_u32_e32 vcc, 0, v1
	v_cndmask_b32_e32 v1, 0, v2, vcc
	s_branch .LBB47_434
.LBB47_432:
	s_mov_b64 s[52:53], -1
	s_mov_b64 s[0:1], 0
	s_mov_b64 s[50:51], s[42:43]
                                        ; implicit-def: $vgpr4
	s_branch .LBB47_544
.LBB47_433:
	s_mov_b64 s[48:49], -1
                                        ; implicit-def: $vgpr1
.LBB47_434:
	s_mov_b64 s[50:51], 0
.LBB47_435:
	s_and_b64 vcc, exec, s[50:51]
	s_cbranch_vccz .LBB47_439
; %bb.436:
	s_cmp_eq_u32 s29, 29
	s_cbranch_scc0 .LBB47_438
; %bb.437:
	global_load_dwordx2 v[1:2], v[4:5], off
	s_mov_b64 s[0:1], -1
	s_mov_b64 s[48:49], 0
	s_branch .LBB47_439
.LBB47_438:
	s_mov_b64 s[48:49], -1
                                        ; implicit-def: $vgpr1
.LBB47_439:
	s_mov_b64 s[50:51], 0
.LBB47_440:
	s_and_b64 vcc, exec, s[50:51]
	s_cbranch_vccz .LBB47_456
; %bb.441:
	s_cmp_lt_i32 s29, 27
	s_cbranch_scc1 .LBB47_444
; %bb.442:
	s_cmp_gt_i32 s29, 27
	s_cbranch_scc0 .LBB47_445
; %bb.443:
	global_load_dword v1, v[4:5], off
	s_mov_b64 s[0:1], 0
	s_branch .LBB47_446
.LBB47_444:
	s_mov_b64 s[0:1], -1
                                        ; implicit-def: $vgpr1
	s_branch .LBB47_449
.LBB47_445:
	s_mov_b64 s[0:1], -1
                                        ; implicit-def: $vgpr1
.LBB47_446:
	s_andn2_b64 vcc, exec, s[0:1]
	s_cbranch_vccnz .LBB47_448
; %bb.447:
	global_load_ushort v1, v[4:5], off
.LBB47_448:
	s_mov_b64 s[0:1], 0
.LBB47_449:
	s_andn2_b64 vcc, exec, s[0:1]
	s_cbranch_vccnz .LBB47_455
; %bb.450:
	global_load_ubyte v2, v[4:5], off
	s_movk_i32 s0, 0x7f
	s_mov_b64 s[50:51], 0
	s_waitcnt vmcnt(0)
	v_cmp_lt_i16_e32 vcc, s0, v2
	s_and_saveexec_b64 s[0:1], vcc
	s_xor_b64 s[0:1], exec, s[0:1]
	s_cbranch_execz .LBB47_467
; %bb.451:
	s_movk_i32 s50, 0x80
	v_cmp_ne_u16_e32 vcc, s50, v2
	s_and_b64 s[50:51], vcc, exec
	s_andn2_saveexec_b64 s[0:1], s[0:1]
	s_cbranch_execnz .LBB47_468
.LBB47_452:
	s_or_b64 exec, exec, s[0:1]
	v_mov_b32_e32 v1, 0
	s_and_saveexec_b64 s[0:1], s[50:51]
	s_cbranch_execz .LBB47_454
.LBB47_453:
	v_lshlrev_b32_e32 v1, 24, v2
	v_and_b32_e32 v2, 0xffff, v2
	v_and_b32_e32 v6, 7, v2
	v_ffbh_u32_e32 v8, v6
	v_min_u32_e32 v8, 32, v8
	v_subrev_u32_e32 v9, 28, v8
	v_bfe_u32 v7, v2, 3, 4
	v_lshlrev_b32_e32 v2, v9, v2
	v_sub_u32_e32 v8, 29, v8
	v_and_b32_e32 v2, 7, v2
	v_cmp_eq_u32_e32 vcc, 0, v7
	v_cndmask_b32_e32 v7, v7, v8, vcc
	v_cndmask_b32_e32 v2, v6, v2, vcc
	v_mov_b32_e32 v6, 0x3b800000
	v_lshlrev_b32_e32 v2, 20, v2
	v_and_b32_e32 v1, 0x80000000, v1
	v_lshl_add_u32 v6, v7, 23, v6
	v_or3_b32 v1, v1, v6, v2
	v_cvt_i32_f32_e32 v1, v1
.LBB47_454:
	s_or_b64 exec, exec, s[0:1]
.LBB47_455:
	s_mov_b64 s[0:1], -1
.LBB47_456:
	s_mov_b64 s[50:51], 0
.LBB47_457:
	s_and_b64 vcc, exec, s[50:51]
	s_cbranch_vccz .LBB47_490
; %bb.458:
	s_cmp_gt_i32 s29, 22
	s_cbranch_scc0 .LBB47_466
; %bb.459:
	s_cmp_lt_i32 s29, 24
	s_cbranch_scc1 .LBB47_469
; %bb.460:
	s_cmp_gt_i32 s29, 24
	s_cbranch_scc0 .LBB47_470
; %bb.461:
	global_load_ubyte v2, v[4:5], off
	s_movk_i32 s0, 0x7f
	s_mov_b64 s[50:51], 0
	s_waitcnt vmcnt(0)
	v_cmp_lt_i16_e32 vcc, s0, v2
	s_and_saveexec_b64 s[0:1], vcc
	s_xor_b64 s[0:1], exec, s[0:1]
	s_cbranch_execz .LBB47_482
; %bb.462:
	s_movk_i32 s50, 0x80
	v_cmp_ne_u16_e32 vcc, s50, v2
	s_and_b64 s[50:51], vcc, exec
	s_andn2_saveexec_b64 s[0:1], s[0:1]
	s_cbranch_execnz .LBB47_483
.LBB47_463:
	s_or_b64 exec, exec, s[0:1]
	v_mov_b32_e32 v1, 0
	s_and_saveexec_b64 s[0:1], s[50:51]
	s_cbranch_execz .LBB47_465
.LBB47_464:
	v_lshlrev_b32_e32 v1, 24, v2
	v_and_b32_e32 v2, 0xffff, v2
	v_and_b32_e32 v6, 3, v2
	v_ffbh_u32_e32 v8, v6
	v_min_u32_e32 v8, 32, v8
	v_subrev_u32_e32 v9, 29, v8
	v_bfe_u32 v7, v2, 2, 5
	v_lshlrev_b32_e32 v2, v9, v2
	v_sub_u32_e32 v8, 30, v8
	v_and_b32_e32 v2, 3, v2
	v_cmp_eq_u32_e32 vcc, 0, v7
	v_cndmask_b32_e32 v7, v7, v8, vcc
	v_cndmask_b32_e32 v2, v6, v2, vcc
	v_mov_b32_e32 v6, 0x37800000
	v_lshlrev_b32_e32 v2, 21, v2
	v_and_b32_e32 v1, 0x80000000, v1
	v_lshl_add_u32 v6, v7, 23, v6
	v_or3_b32 v1, v1, v6, v2
	v_cvt_i32_f32_e32 v1, v1
.LBB47_465:
	s_or_b64 exec, exec, s[0:1]
	s_mov_b64 s[0:1], 0
	s_branch .LBB47_471
.LBB47_466:
	s_mov_b64 s[50:51], -1
                                        ; implicit-def: $vgpr1
	s_branch .LBB47_477
.LBB47_467:
	s_andn2_saveexec_b64 s[0:1], s[0:1]
	s_cbranch_execz .LBB47_452
.LBB47_468:
	v_cmp_ne_u16_e32 vcc, 0, v2
	s_andn2_b64 s[50:51], s[50:51], exec
	s_and_b64 s[52:53], vcc, exec
	s_or_b64 s[50:51], s[50:51], s[52:53]
	s_or_b64 exec, exec, s[0:1]
	v_mov_b32_e32 v1, 0
	s_and_saveexec_b64 s[0:1], s[50:51]
	s_cbranch_execnz .LBB47_453
	s_branch .LBB47_454
.LBB47_469:
	s_mov_b64 s[0:1], -1
                                        ; implicit-def: $vgpr1
	s_branch .LBB47_474
.LBB47_470:
	s_mov_b64 s[0:1], -1
                                        ; implicit-def: $vgpr1
.LBB47_471:
	s_and_b64 vcc, exec, s[0:1]
	s_cbranch_vccz .LBB47_473
; %bb.472:
	global_load_ubyte v1, v[4:5], off
	s_mov_b32 s0, 0x7f800000
	s_waitcnt vmcnt(0)
	v_lshlrev_b32_e32 v1, 24, v1
	v_and_b32_e32 v2, 0x7f000000, v1
	v_ffbh_u32_e32 v6, v2
	v_min_u32_e32 v6, 32, v6
	v_sub_u32_e64 v6, v6, 4 clamp
	v_lshlrev_b32_e32 v8, v6, v2
	v_lshlrev_b32_e32 v6, 23, v6
	v_lshrrev_b32_e32 v8, 4, v8
	v_add_u32_e32 v7, 0x1000000, v2
	v_sub_u32_e32 v6, v8, v6
	v_ashrrev_i32_e32 v7, 8, v7
	v_add_u32_e32 v6, 0x3c000000, v6
	v_and_or_b32 v6, v7, s0, v6
	v_cmp_ne_u32_e32 vcc, 0, v2
	v_cndmask_b32_e32 v2, 0, v6, vcc
	s_brev_b32 s0, 1
	v_and_or_b32 v1, v1, s0, v2
	v_cvt_i32_f32_e32 v1, v1
.LBB47_473:
	s_mov_b64 s[0:1], 0
.LBB47_474:
	s_andn2_b64 vcc, exec, s[0:1]
	s_cbranch_vccnz .LBB47_476
; %bb.475:
	global_load_ubyte v1, v[4:5], off
	s_movk_i32 s0, 0x7f00
	s_brev_b32 s1, 16
	s_waitcnt vmcnt(0)
	v_lshlrev_b16_e32 v2, 8, v1
	v_lshlrev_b32_e32 v1, 25, v1
	v_lshrrev_b32_e32 v6, 4, v1
	v_and_or_b32 v7, v2, s0, 0.5
	v_or_b32_e32 v6, 0x70000000, v6
	v_add_f32_e32 v7, -0.5, v7
	v_mul_f32_e32 v6, 0x7800000, v6
	v_cmp_gt_u32_e32 vcc, s1, v1
	v_bfe_i32 v2, v2, 0, 16
	v_cndmask_b32_e32 v1, v6, v7, vcc
	s_brev_b32 s0, 1
	v_and_or_b32 v1, v2, s0, v1
	v_cvt_i32_f32_e32 v1, v1
.LBB47_476:
	s_mov_b64 s[50:51], 0
	s_mov_b64 s[0:1], -1
.LBB47_477:
	s_andn2_b64 vcc, exec, s[50:51]
	s_cbranch_vccnz .LBB47_490
; %bb.478:
	s_cmp_gt_i32 s29, 14
	s_cbranch_scc0 .LBB47_481
; %bb.479:
	s_cmp_eq_u32 s29, 15
	s_cbranch_scc0 .LBB47_484
; %bb.480:
	global_load_ushort v1, v[4:5], off
	s_mov_b64 s[0:1], -1
	s_mov_b64 s[48:49], 0
	s_waitcnt vmcnt(0)
	v_lshlrev_b32_e32 v1, 16, v1
	v_cvt_i32_f32_e32 v1, v1
	s_branch .LBB47_485
.LBB47_481:
	s_mov_b64 s[50:51], -1
                                        ; implicit-def: $vgpr1
	s_branch .LBB47_486
.LBB47_482:
	s_andn2_saveexec_b64 s[0:1], s[0:1]
	s_cbranch_execz .LBB47_463
.LBB47_483:
	v_cmp_ne_u16_e32 vcc, 0, v2
	s_andn2_b64 s[50:51], s[50:51], exec
	s_and_b64 s[52:53], vcc, exec
	s_or_b64 s[50:51], s[50:51], s[52:53]
	s_or_b64 exec, exec, s[0:1]
	v_mov_b32_e32 v1, 0
	s_and_saveexec_b64 s[0:1], s[50:51]
	s_cbranch_execnz .LBB47_464
	s_branch .LBB47_465
.LBB47_484:
	s_mov_b64 s[48:49], -1
                                        ; implicit-def: $vgpr1
.LBB47_485:
	s_mov_b64 s[50:51], 0
.LBB47_486:
	s_and_b64 vcc, exec, s[50:51]
	s_cbranch_vccz .LBB47_490
; %bb.487:
	s_cmp_eq_u32 s29, 11
	s_cbranch_scc0 .LBB47_489
; %bb.488:
	global_load_ubyte v1, v[4:5], off
	s_mov_b64 s[0:1], -1
	s_mov_b64 s[48:49], 0
	s_waitcnt vmcnt(0)
	v_cmp_ne_u16_e32 vcc, 0, v1
	v_cndmask_b32_e64 v1, 0, 1, vcc
	s_branch .LBB47_490
.LBB47_489:
	s_mov_b64 s[48:49], -1
                                        ; implicit-def: $vgpr1
.LBB47_490:
	s_branch .LBB47_410
.LBB47_491:
	s_and_b32 s14, 0xffff, s14
	s_cmp_lt_i32 s14, 5
	s_cbranch_scc1 .LBB47_496
; %bb.492:
	s_cmp_lt_i32 s14, 8
	s_cbranch_scc1 .LBB47_497
; %bb.493:
	;; [unrolled: 3-line block ×3, first 2 shown]
	s_cmp_gt_i32 s14, 9
	s_cbranch_scc0 .LBB47_499
; %bb.495:
	global_load_dwordx2 v[1:2], v[4:5], off
	s_mov_b64 s[0:1], 0
	s_waitcnt vmcnt(0)
	v_cvt_i32_f64_e32 v1, v[1:2]
	s_branch .LBB47_500
.LBB47_496:
	s_mov_b64 s[0:1], -1
                                        ; implicit-def: $vgpr1
	s_branch .LBB47_518
.LBB47_497:
	s_mov_b64 s[0:1], -1
                                        ; implicit-def: $vgpr1
	s_branch .LBB47_506
.LBB47_498:
	s_mov_b64 s[0:1], -1
                                        ; implicit-def: $vgpr1
	s_branch .LBB47_503
.LBB47_499:
	s_mov_b64 s[0:1], -1
                                        ; implicit-def: $vgpr1
.LBB47_500:
	s_andn2_b64 vcc, exec, s[0:1]
	s_cbranch_vccnz .LBB47_502
; %bb.501:
	global_load_dword v1, v[4:5], off
	s_waitcnt vmcnt(0)
	v_cvt_i32_f32_e32 v1, v1
.LBB47_502:
	s_mov_b64 s[0:1], 0
.LBB47_503:
	s_andn2_b64 vcc, exec, s[0:1]
	s_cbranch_vccnz .LBB47_505
; %bb.504:
	global_load_dword v1, v[4:5], off
	s_waitcnt vmcnt(0)
	v_cvt_i16_f16_e32 v1, v1
.LBB47_505:
	s_mov_b64 s[0:1], 0
.LBB47_506:
	s_andn2_b64 vcc, exec, s[0:1]
	s_cbranch_vccnz .LBB47_517
; %bb.507:
	s_cmp_lt_i32 s14, 6
	s_cbranch_scc1 .LBB47_510
; %bb.508:
	s_cmp_gt_i32 s14, 6
	s_cbranch_scc0 .LBB47_511
; %bb.509:
	global_load_dwordx2 v[1:2], v[4:5], off
	s_mov_b64 s[0:1], 0
	s_waitcnt vmcnt(0)
	v_cvt_i32_f64_e32 v1, v[1:2]
	s_branch .LBB47_512
.LBB47_510:
	s_mov_b64 s[0:1], -1
                                        ; implicit-def: $vgpr1
	s_branch .LBB47_515
.LBB47_511:
	s_mov_b64 s[0:1], -1
                                        ; implicit-def: $vgpr1
.LBB47_512:
	s_andn2_b64 vcc, exec, s[0:1]
	s_cbranch_vccnz .LBB47_514
; %bb.513:
	global_load_dword v1, v[4:5], off
	s_waitcnt vmcnt(0)
	v_cvt_i32_f32_e32 v1, v1
.LBB47_514:
	s_mov_b64 s[0:1], 0
.LBB47_515:
	s_andn2_b64 vcc, exec, s[0:1]
	s_cbranch_vccnz .LBB47_517
; %bb.516:
	global_load_ushort v1, v[4:5], off
	s_waitcnt vmcnt(0)
	v_cvt_i16_f16_e32 v1, v1
.LBB47_517:
	s_mov_b64 s[0:1], 0
.LBB47_518:
	s_andn2_b64 vcc, exec, s[0:1]
	s_cbranch_vccnz .LBB47_538
; %bb.519:
	s_cmp_lt_i32 s14, 2
	s_cbranch_scc1 .LBB47_523
; %bb.520:
	s_cmp_lt_i32 s14, 3
	s_cbranch_scc1 .LBB47_524
; %bb.521:
	s_cmp_gt_i32 s14, 3
	s_cbranch_scc0 .LBB47_525
; %bb.522:
	global_load_dwordx2 v[1:2], v[4:5], off
	s_mov_b64 s[0:1], 0
	s_branch .LBB47_526
.LBB47_523:
	s_mov_b64 s[0:1], -1
                                        ; implicit-def: $vgpr1
	s_branch .LBB47_532
.LBB47_524:
	s_mov_b64 s[0:1], -1
                                        ; implicit-def: $vgpr1
	s_branch .LBB47_529
.LBB47_525:
	s_mov_b64 s[0:1], -1
                                        ; implicit-def: $vgpr1
.LBB47_526:
	s_andn2_b64 vcc, exec, s[0:1]
	s_cbranch_vccnz .LBB47_528
; %bb.527:
	global_load_dword v1, v[4:5], off
.LBB47_528:
	s_mov_b64 s[0:1], 0
.LBB47_529:
	s_andn2_b64 vcc, exec, s[0:1]
	s_cbranch_vccnz .LBB47_531
; %bb.530:
	global_load_ushort v1, v[4:5], off
.LBB47_531:
	s_mov_b64 s[0:1], 0
.LBB47_532:
	s_andn2_b64 vcc, exec, s[0:1]
	s_cbranch_vccnz .LBB47_538
; %bb.533:
	s_cmp_gt_i32 s14, 0
	s_cbranch_scc0 .LBB47_535
; %bb.534:
	global_load_ubyte v1, v[4:5], off
	s_mov_b64 s[0:1], 0
	s_branch .LBB47_536
.LBB47_535:
	s_mov_b64 s[0:1], -1
                                        ; implicit-def: $vgpr1
.LBB47_536:
	s_andn2_b64 vcc, exec, s[0:1]
	s_cbranch_vccnz .LBB47_538
; %bb.537:
	global_load_ubyte v1, v[4:5], off
.LBB47_538:
	s_branch .LBB47_411
.LBB47_539:
	s_mov_b64 s[56:57], 0
	s_mov_b64 s[0:1], s[40:41]
	;; [unrolled: 1-line block ×3, first 2 shown]
.LBB47_540:
                                        ; implicit-def: $vgpr10
	s_branch .LBB47_778
.LBB47_541:
	s_andn2_saveexec_b64 s[52:53], s[52:53]
	s_cbranch_execz .LBB47_200
.LBB47_542:
	s_mov_b32 s54, 0x42800000
	v_add_f32_e64 v4, |v3|, s54
	v_and_b32_e32 v4, 0xff, v4
	v_cmp_ne_u32_e32 vcc, 0, v4
	s_andn2_b64 s[48:49], s[48:49], exec
	s_and_b64 s[54:55], vcc, exec
	s_or_b64 s[48:49], s[48:49], s[54:55]
	s_or_b64 exec, exec, s[52:53]
	v_mov_b32_e32 v5, 0
	s_and_saveexec_b64 s[52:53], s[48:49]
	s_cbranch_execnz .LBB47_201
	s_branch .LBB47_202
.LBB47_543:
	s_mov_b64 s[50:51], -1
                                        ; implicit-def: $vgpr4
	s_mov_b64 s[0:1], 0
.LBB47_544:
	s_and_b64 vcc, exec, s[52:53]
	s_cbranch_vccz .LBB47_548
; %bb.545:
	s_cmp_eq_u32 s29, 44
	s_cbranch_scc0 .LBB47_547
; %bb.546:
	global_load_ubyte v4, v[2:3], off
	s_mov_b64 s[0:1], -1
	s_mov_b64 s[50:51], 0
	s_waitcnt vmcnt(0)
	v_lshlrev_b32_e32 v5, 23, v4
	v_cvt_i32_f32_e32 v5, v5
	v_cmp_ne_u32_e32 vcc, 0, v4
	v_cndmask_b32_e32 v4, 0, v5, vcc
	s_branch .LBB47_548
.LBB47_547:
	s_mov_b64 s[50:51], -1
                                        ; implicit-def: $vgpr4
.LBB47_548:
	s_mov_b64 s[52:53], 0
.LBB47_549:
	s_and_b64 vcc, exec, s[52:53]
	s_cbranch_vccz .LBB47_553
; %bb.550:
	s_cmp_eq_u32 s29, 29
	s_cbranch_scc0 .LBB47_552
; %bb.551:
	global_load_dwordx2 v[4:5], v[2:3], off
	s_mov_b64 s[0:1], -1
	s_mov_b64 s[50:51], 0
	s_branch .LBB47_553
.LBB47_552:
	s_mov_b64 s[50:51], -1
                                        ; implicit-def: $vgpr4
.LBB47_553:
	s_mov_b64 s[52:53], 0
.LBB47_554:
	s_and_b64 vcc, exec, s[52:53]
	s_cbranch_vccz .LBB47_570
; %bb.555:
	s_cmp_lt_i32 s29, 27
	s_cbranch_scc1 .LBB47_558
; %bb.556:
	s_cmp_gt_i32 s29, 27
	s_cbranch_scc0 .LBB47_559
; %bb.557:
	global_load_dword v4, v[2:3], off
	s_mov_b64 s[0:1], 0
	s_branch .LBB47_560
.LBB47_558:
	s_mov_b64 s[0:1], -1
                                        ; implicit-def: $vgpr4
	s_branch .LBB47_563
.LBB47_559:
	s_mov_b64 s[0:1], -1
                                        ; implicit-def: $vgpr4
.LBB47_560:
	s_andn2_b64 vcc, exec, s[0:1]
	s_cbranch_vccnz .LBB47_562
; %bb.561:
	global_load_ushort v4, v[2:3], off
.LBB47_562:
	s_mov_b64 s[0:1], 0
.LBB47_563:
	s_andn2_b64 vcc, exec, s[0:1]
	s_cbranch_vccnz .LBB47_569
; %bb.564:
	global_load_ubyte v5, v[2:3], off
	s_movk_i32 s0, 0x7f
	s_mov_b64 s[52:53], 0
	s_waitcnt vmcnt(0)
	v_cmp_lt_i16_e32 vcc, s0, v5
	s_and_saveexec_b64 s[0:1], vcc
	s_xor_b64 s[0:1], exec, s[0:1]
	s_cbranch_execz .LBB47_581
; %bb.565:
	s_movk_i32 s52, 0x80
	v_cmp_ne_u16_e32 vcc, s52, v5
	s_and_b64 s[52:53], vcc, exec
	s_andn2_saveexec_b64 s[0:1], s[0:1]
	s_cbranch_execnz .LBB47_582
.LBB47_566:
	s_or_b64 exec, exec, s[0:1]
	v_mov_b32_e32 v4, 0
	s_and_saveexec_b64 s[0:1], s[52:53]
	s_cbranch_execz .LBB47_568
.LBB47_567:
	v_lshlrev_b32_e32 v4, 24, v5
	v_and_b32_e32 v5, 0xffff, v5
	v_and_b32_e32 v6, 7, v5
	v_ffbh_u32_e32 v8, v6
	v_min_u32_e32 v8, 32, v8
	v_subrev_u32_e32 v9, 28, v8
	v_bfe_u32 v7, v5, 3, 4
	v_lshlrev_b32_e32 v5, v9, v5
	v_sub_u32_e32 v8, 29, v8
	v_and_b32_e32 v5, 7, v5
	v_cmp_eq_u32_e32 vcc, 0, v7
	v_cndmask_b32_e32 v7, v7, v8, vcc
	v_cndmask_b32_e32 v5, v6, v5, vcc
	v_mov_b32_e32 v6, 0x3b800000
	v_lshlrev_b32_e32 v5, 20, v5
	v_and_b32_e32 v4, 0x80000000, v4
	v_lshl_add_u32 v6, v7, 23, v6
	v_or3_b32 v4, v4, v6, v5
	v_cvt_i32_f32_e32 v4, v4
.LBB47_568:
	s_or_b64 exec, exec, s[0:1]
.LBB47_569:
	s_mov_b64 s[0:1], -1
.LBB47_570:
	s_mov_b64 s[52:53], 0
.LBB47_571:
	s_and_b64 vcc, exec, s[52:53]
	s_cbranch_vccz .LBB47_604
; %bb.572:
	s_cmp_gt_i32 s29, 22
	s_cbranch_scc0 .LBB47_580
; %bb.573:
	s_cmp_lt_i32 s29, 24
	s_cbranch_scc1 .LBB47_583
; %bb.574:
	s_cmp_gt_i32 s29, 24
	s_cbranch_scc0 .LBB47_584
; %bb.575:
	global_load_ubyte v5, v[2:3], off
	s_movk_i32 s0, 0x7f
	s_mov_b64 s[52:53], 0
	s_waitcnt vmcnt(0)
	v_cmp_lt_i16_e32 vcc, s0, v5
	s_and_saveexec_b64 s[0:1], vcc
	s_xor_b64 s[0:1], exec, s[0:1]
	s_cbranch_execz .LBB47_596
; %bb.576:
	s_movk_i32 s52, 0x80
	v_cmp_ne_u16_e32 vcc, s52, v5
	s_and_b64 s[52:53], vcc, exec
	s_andn2_saveexec_b64 s[0:1], s[0:1]
	s_cbranch_execnz .LBB47_597
.LBB47_577:
	s_or_b64 exec, exec, s[0:1]
	v_mov_b32_e32 v4, 0
	s_and_saveexec_b64 s[0:1], s[52:53]
	s_cbranch_execz .LBB47_579
.LBB47_578:
	v_lshlrev_b32_e32 v4, 24, v5
	v_and_b32_e32 v5, 0xffff, v5
	v_and_b32_e32 v6, 3, v5
	v_ffbh_u32_e32 v8, v6
	v_min_u32_e32 v8, 32, v8
	v_subrev_u32_e32 v9, 29, v8
	v_bfe_u32 v7, v5, 2, 5
	v_lshlrev_b32_e32 v5, v9, v5
	v_sub_u32_e32 v8, 30, v8
	v_and_b32_e32 v5, 3, v5
	v_cmp_eq_u32_e32 vcc, 0, v7
	v_cndmask_b32_e32 v7, v7, v8, vcc
	v_cndmask_b32_e32 v5, v6, v5, vcc
	v_mov_b32_e32 v6, 0x37800000
	v_lshlrev_b32_e32 v5, 21, v5
	v_and_b32_e32 v4, 0x80000000, v4
	v_lshl_add_u32 v6, v7, 23, v6
	v_or3_b32 v4, v4, v6, v5
	v_cvt_i32_f32_e32 v4, v4
.LBB47_579:
	s_or_b64 exec, exec, s[0:1]
	s_mov_b64 s[0:1], 0
	s_branch .LBB47_585
.LBB47_580:
	s_mov_b64 s[52:53], -1
                                        ; implicit-def: $vgpr4
	s_branch .LBB47_591
.LBB47_581:
	s_andn2_saveexec_b64 s[0:1], s[0:1]
	s_cbranch_execz .LBB47_566
.LBB47_582:
	v_cmp_ne_u16_e32 vcc, 0, v5
	s_andn2_b64 s[52:53], s[52:53], exec
	s_and_b64 s[56:57], vcc, exec
	s_or_b64 s[52:53], s[52:53], s[56:57]
	s_or_b64 exec, exec, s[0:1]
	v_mov_b32_e32 v4, 0
	s_and_saveexec_b64 s[0:1], s[52:53]
	s_cbranch_execnz .LBB47_567
	s_branch .LBB47_568
.LBB47_583:
	s_mov_b64 s[0:1], -1
                                        ; implicit-def: $vgpr4
	s_branch .LBB47_588
.LBB47_584:
	s_mov_b64 s[0:1], -1
                                        ; implicit-def: $vgpr4
.LBB47_585:
	s_and_b64 vcc, exec, s[0:1]
	s_cbranch_vccz .LBB47_587
; %bb.586:
	global_load_ubyte v4, v[2:3], off
	s_mov_b32 s0, 0x7f800000
	s_waitcnt vmcnt(0)
	v_lshlrev_b32_e32 v4, 24, v4
	v_and_b32_e32 v5, 0x7f000000, v4
	v_ffbh_u32_e32 v6, v5
	v_min_u32_e32 v6, 32, v6
	v_sub_u32_e64 v6, v6, 4 clamp
	v_lshlrev_b32_e32 v8, v6, v5
	v_lshlrev_b32_e32 v6, 23, v6
	v_lshrrev_b32_e32 v8, 4, v8
	v_add_u32_e32 v7, 0x1000000, v5
	v_sub_u32_e32 v6, v8, v6
	v_ashrrev_i32_e32 v7, 8, v7
	v_add_u32_e32 v6, 0x3c000000, v6
	v_and_or_b32 v6, v7, s0, v6
	v_cmp_ne_u32_e32 vcc, 0, v5
	v_cndmask_b32_e32 v5, 0, v6, vcc
	s_brev_b32 s0, 1
	v_and_or_b32 v4, v4, s0, v5
	v_cvt_i32_f32_e32 v4, v4
.LBB47_587:
	s_mov_b64 s[0:1], 0
.LBB47_588:
	s_andn2_b64 vcc, exec, s[0:1]
	s_cbranch_vccnz .LBB47_590
; %bb.589:
	global_load_ubyte v4, v[2:3], off
	s_movk_i32 s0, 0x7f00
	s_brev_b32 s1, 16
	s_waitcnt vmcnt(0)
	v_lshlrev_b16_e32 v5, 8, v4
	v_lshlrev_b32_e32 v4, 25, v4
	v_lshrrev_b32_e32 v6, 4, v4
	v_and_or_b32 v7, v5, s0, 0.5
	v_or_b32_e32 v6, 0x70000000, v6
	v_add_f32_e32 v7, -0.5, v7
	v_mul_f32_e32 v6, 0x7800000, v6
	v_cmp_gt_u32_e32 vcc, s1, v4
	v_bfe_i32 v5, v5, 0, 16
	v_cndmask_b32_e32 v4, v6, v7, vcc
	s_brev_b32 s0, 1
	v_and_or_b32 v4, v5, s0, v4
	v_cvt_i32_f32_e32 v4, v4
.LBB47_590:
	s_mov_b64 s[52:53], 0
	s_mov_b64 s[0:1], -1
.LBB47_591:
	s_andn2_b64 vcc, exec, s[52:53]
	s_cbranch_vccnz .LBB47_604
; %bb.592:
	s_cmp_gt_i32 s29, 14
	s_cbranch_scc0 .LBB47_595
; %bb.593:
	s_cmp_eq_u32 s29, 15
	s_cbranch_scc0 .LBB47_598
; %bb.594:
	global_load_ushort v4, v[2:3], off
	s_mov_b64 s[0:1], -1
	s_mov_b64 s[50:51], 0
	s_waitcnt vmcnt(0)
	v_lshlrev_b32_e32 v4, 16, v4
	v_cvt_i32_f32_e32 v4, v4
	s_branch .LBB47_599
.LBB47_595:
	s_mov_b64 s[52:53], -1
                                        ; implicit-def: $vgpr4
	s_branch .LBB47_600
.LBB47_596:
	s_andn2_saveexec_b64 s[0:1], s[0:1]
	s_cbranch_execz .LBB47_577
.LBB47_597:
	v_cmp_ne_u16_e32 vcc, 0, v5
	s_andn2_b64 s[52:53], s[52:53], exec
	s_and_b64 s[56:57], vcc, exec
	s_or_b64 s[52:53], s[52:53], s[56:57]
	s_or_b64 exec, exec, s[0:1]
	v_mov_b32_e32 v4, 0
	s_and_saveexec_b64 s[0:1], s[52:53]
	s_cbranch_execnz .LBB47_578
	s_branch .LBB47_579
.LBB47_598:
	s_mov_b64 s[50:51], -1
                                        ; implicit-def: $vgpr4
.LBB47_599:
	s_mov_b64 s[52:53], 0
.LBB47_600:
	s_and_b64 vcc, exec, s[52:53]
	s_cbranch_vccz .LBB47_604
; %bb.601:
	s_cmp_eq_u32 s29, 11
	s_cbranch_scc0 .LBB47_603
; %bb.602:
	global_load_ubyte v4, v[2:3], off
	s_mov_b64 s[0:1], -1
	s_mov_b64 s[50:51], 0
	s_waitcnt vmcnt(0)
	v_cmp_ne_u16_e32 vcc, 0, v4
	v_cndmask_b32_e64 v4, 0, 1, vcc
	s_branch .LBB47_604
.LBB47_603:
	s_mov_b64 s[50:51], -1
                                        ; implicit-def: $vgpr4
.LBB47_604:
	s_mov_b64 s[52:53], 0
.LBB47_605:
	s_and_b64 vcc, exec, s[52:53]
	s_cbranch_vccz .LBB47_654
; %bb.606:
	s_and_b32 s14, 0xffff, s14
	s_cmp_lt_i32 s14, 5
	s_cbranch_scc1 .LBB47_611
; %bb.607:
	s_cmp_lt_i32 s14, 8
	s_cbranch_scc1 .LBB47_612
; %bb.608:
	;; [unrolled: 3-line block ×3, first 2 shown]
	s_cmp_gt_i32 s14, 9
	s_cbranch_scc0 .LBB47_614
; %bb.610:
	global_load_dwordx2 v[4:5], v[2:3], off
	s_mov_b64 s[0:1], 0
	s_waitcnt vmcnt(0)
	v_cvt_i32_f64_e32 v4, v[4:5]
	s_branch .LBB47_615
.LBB47_611:
	s_mov_b64 s[0:1], -1
                                        ; implicit-def: $vgpr4
	s_branch .LBB47_633
.LBB47_612:
	s_mov_b64 s[0:1], -1
                                        ; implicit-def: $vgpr4
	s_branch .LBB47_621
.LBB47_613:
	s_mov_b64 s[0:1], -1
                                        ; implicit-def: $vgpr4
	s_branch .LBB47_618
.LBB47_614:
	s_mov_b64 s[0:1], -1
                                        ; implicit-def: $vgpr4
.LBB47_615:
	s_andn2_b64 vcc, exec, s[0:1]
	s_cbranch_vccnz .LBB47_617
; %bb.616:
	global_load_dword v4, v[2:3], off
	s_waitcnt vmcnt(0)
	v_cvt_i32_f32_e32 v4, v4
.LBB47_617:
	s_mov_b64 s[0:1], 0
.LBB47_618:
	s_andn2_b64 vcc, exec, s[0:1]
	s_cbranch_vccnz .LBB47_620
; %bb.619:
	global_load_dword v4, v[2:3], off
	s_waitcnt vmcnt(0)
	v_cvt_i16_f16_e32 v4, v4
.LBB47_620:
	s_mov_b64 s[0:1], 0
.LBB47_621:
	s_andn2_b64 vcc, exec, s[0:1]
	s_cbranch_vccnz .LBB47_632
; %bb.622:
	s_cmp_lt_i32 s14, 6
	s_cbranch_scc1 .LBB47_625
; %bb.623:
	s_cmp_gt_i32 s14, 6
	s_cbranch_scc0 .LBB47_626
; %bb.624:
	global_load_dwordx2 v[4:5], v[2:3], off
	s_mov_b64 s[0:1], 0
	s_waitcnt vmcnt(0)
	v_cvt_i32_f64_e32 v4, v[4:5]
	s_branch .LBB47_627
.LBB47_625:
	s_mov_b64 s[0:1], -1
                                        ; implicit-def: $vgpr4
	s_branch .LBB47_630
.LBB47_626:
	s_mov_b64 s[0:1], -1
                                        ; implicit-def: $vgpr4
.LBB47_627:
	s_andn2_b64 vcc, exec, s[0:1]
	s_cbranch_vccnz .LBB47_629
; %bb.628:
	global_load_dword v4, v[2:3], off
	s_waitcnt vmcnt(0)
	v_cvt_i32_f32_e32 v4, v4
.LBB47_629:
	s_mov_b64 s[0:1], 0
.LBB47_630:
	s_andn2_b64 vcc, exec, s[0:1]
	s_cbranch_vccnz .LBB47_632
; %bb.631:
	global_load_ushort v4, v[2:3], off
	s_waitcnt vmcnt(0)
	v_cvt_i16_f16_e32 v4, v4
.LBB47_632:
	s_mov_b64 s[0:1], 0
.LBB47_633:
	s_andn2_b64 vcc, exec, s[0:1]
	s_cbranch_vccnz .LBB47_653
; %bb.634:
	s_cmp_lt_i32 s14, 2
	s_cbranch_scc1 .LBB47_638
; %bb.635:
	s_cmp_lt_i32 s14, 3
	s_cbranch_scc1 .LBB47_639
; %bb.636:
	s_cmp_gt_i32 s14, 3
	s_cbranch_scc0 .LBB47_640
; %bb.637:
	global_load_dwordx2 v[4:5], v[2:3], off
	s_mov_b64 s[0:1], 0
	s_branch .LBB47_641
.LBB47_638:
	s_mov_b64 s[0:1], -1
                                        ; implicit-def: $vgpr4
	s_branch .LBB47_647
.LBB47_639:
	s_mov_b64 s[0:1], -1
                                        ; implicit-def: $vgpr4
	s_branch .LBB47_644
.LBB47_640:
	s_mov_b64 s[0:1], -1
                                        ; implicit-def: $vgpr4
.LBB47_641:
	s_andn2_b64 vcc, exec, s[0:1]
	s_cbranch_vccnz .LBB47_643
; %bb.642:
	global_load_dword v4, v[2:3], off
.LBB47_643:
	s_mov_b64 s[0:1], 0
.LBB47_644:
	s_andn2_b64 vcc, exec, s[0:1]
	s_cbranch_vccnz .LBB47_646
; %bb.645:
	global_load_ushort v4, v[2:3], off
.LBB47_646:
	s_mov_b64 s[0:1], 0
.LBB47_647:
	s_andn2_b64 vcc, exec, s[0:1]
	s_cbranch_vccnz .LBB47_653
; %bb.648:
	s_cmp_gt_i32 s14, 0
	s_cbranch_scc0 .LBB47_650
; %bb.649:
	global_load_ubyte v4, v[2:3], off
	s_mov_b64 s[0:1], 0
	s_branch .LBB47_651
.LBB47_650:
	s_mov_b64 s[0:1], -1
                                        ; implicit-def: $vgpr4
.LBB47_651:
	s_andn2_b64 vcc, exec, s[0:1]
	s_cbranch_vccnz .LBB47_653
; %bb.652:
	global_load_ubyte v4, v[2:3], off
.LBB47_653:
	s_mov_b64 s[0:1], -1
.LBB47_654:
	s_andn2_b64 vcc, exec, s[0:1]
	s_cbranch_vccnz .LBB47_662
; %bb.655:
	v_mov_b32_e32 v2, s75
	v_cmp_gt_i16_sdwa vcc, sext(v1), s74 src0_sel:BYTE_0 src1_sel:DWORD
	s_waitcnt vmcnt(0)
	v_cndmask_b32_e32 v2, v2, v4, vcc
	v_mov_b32_e32 v1, s9
	s_and_b32 s14, s73, 0xff
	v_add_co_u32_e32 v0, vcc, s8, v0
	s_cmp_lt_i32 s14, 11
	v_addc_co_u32_e32 v1, vcc, 0, v1, vcc
	s_cbranch_scc1 .LBB47_663
; %bb.656:
	s_and_b32 s29, 0xffff, s14
	s_cmp_gt_i32 s29, 25
	s_cbranch_scc0 .LBB47_664
; %bb.657:
	s_cmp_gt_i32 s29, 28
	s_cbranch_scc0 .LBB47_665
; %bb.658:
	;; [unrolled: 3-line block ×4, first 2 shown]
	s_mov_b64 s[56:57], 0
	s_mov_b64 s[0:1], -1
	s_cmp_eq_u32 s29, 46
	s_mov_b64 s[52:53], 0
	s_cbranch_scc0 .LBB47_668
; %bb.661:
	v_bfe_i32 v3, v2, 0, 8
	v_cvt_f32_i32_sdwa v3, sext(v3) dst_sel:DWORD dst_unused:UNUSED_PAD src0_sel:WORD_0
	s_movk_i32 s0, 0x7fff
	s_mov_b64 s[52:53], -1
	v_bfe_u32 v4, v3, 16, 1
	v_add3_u32 v3, v3, v4, s0
	v_lshrrev_b32_e32 v3, 16, v3
	global_store_dword v[0:1], v3, off
	s_mov_b64 s[0:1], 0
	s_branch .LBB47_668
.LBB47_662:
	s_mov_b64 s[56:57], 0
                                        ; implicit-def: $vgpr10
	s_mov_b64 s[0:1], s[40:41]
	s_branch .LBB47_778
.LBB47_663:
	s_mov_b64 s[56:57], -1
	s_mov_b64 s[52:53], 0
	s_mov_b64 s[0:1], s[40:41]
	s_branch .LBB47_737
.LBB47_664:
	s_mov_b64 s[56:57], -1
	s_mov_b64 s[52:53], 0
	s_mov_b64 s[0:1], s[40:41]
	s_branch .LBB47_695
.LBB47_665:
	s_mov_b64 s[56:57], -1
	s_mov_b64 s[52:53], 0
	s_mov_b64 s[0:1], s[40:41]
	s_branch .LBB47_678
.LBB47_666:
	s_mov_b64 s[56:57], -1
	s_mov_b64 s[52:53], 0
	s_mov_b64 s[0:1], s[40:41]
	s_branch .LBB47_674
.LBB47_667:
	s_mov_b64 s[56:57], -1
	s_mov_b64 s[52:53], 0
	s_mov_b64 s[0:1], s[40:41]
.LBB47_668:
	s_and_b64 vcc, exec, s[56:57]
	s_cbranch_vccz .LBB47_673
; %bb.669:
	s_cmp_eq_u32 s29, 44
	s_mov_b64 s[0:1], -1
	s_cbranch_scc0 .LBB47_673
; %bb.670:
	v_bfe_i32 v3, v2, 0, 8
	v_cvt_f32_i32_sdwa v3, sext(v3) dst_sel:DWORD dst_unused:UNUSED_PAD src0_sel:WORD_0
	s_movk_i32 s0, 0xff
	v_mov_b32_e32 v5, 0xff
	v_bfe_u32 v4, v3, 23, 8
	v_cmp_ne_u32_e32 vcc, s0, v4
	s_and_saveexec_b64 s[52:53], vcc
; %bb.671:
	s_mov_b32 s0, 0x3fffff
	v_lshrrev_b32_e32 v5, 23, v3
	v_and_b32_e32 v6, 0x400000, v3
	v_and_or_b32 v3, v3, s0, v4
	v_cmp_ne_u32_e32 vcc, 0, v6
	v_cmp_ne_u32_e64 s[0:1], 0, v3
	s_and_b64 s[0:1], vcc, s[0:1]
	v_cndmask_b32_e64 v3, 0, 1, s[0:1]
	v_add_u32_e32 v5, v5, v3
; %bb.672:
	s_or_b64 exec, exec, s[52:53]
	s_mov_b64 s[52:53], -1
	s_mov_b64 s[0:1], 0
	global_store_byte v[0:1], v5, off
.LBB47_673:
	s_mov_b64 s[56:57], 0
.LBB47_674:
	s_and_b64 vcc, exec, s[56:57]
	s_cbranch_vccz .LBB47_677
; %bb.675:
	s_cmp_eq_u32 s29, 29
	s_mov_b64 s[0:1], -1
	s_cbranch_scc0 .LBB47_677
; %bb.676:
	v_bfe_i32 v3, v2, 0, 8
	v_ashrrev_i32_e32 v4, 31, v3
	global_store_dwordx2 v[0:1], v[3:4], off
	s_mov_b64 s[52:53], -1
	s_mov_b64 s[0:1], 0
.LBB47_677:
	s_mov_b64 s[56:57], 0
.LBB47_678:
	s_and_b64 vcc, exec, s[56:57]
	s_cbranch_vccz .LBB47_694
; %bb.679:
	s_cmp_lt_i32 s29, 27
	s_mov_b64 s[52:53], -1
	s_cbranch_scc1 .LBB47_685
; %bb.680:
	s_cmp_gt_i32 s29, 27
	s_cbranch_scc0 .LBB47_682
; %bb.681:
	v_bfe_i32 v3, v2, 0, 8
	s_mov_b64 s[52:53], 0
	global_store_dword v[0:1], v3, off
.LBB47_682:
	s_andn2_b64 vcc, exec, s[52:53]
	s_cbranch_vccnz .LBB47_684
; %bb.683:
	v_bfe_i32 v3, v2, 0, 8
	global_store_short v[0:1], v3, off
.LBB47_684:
	s_mov_b64 s[52:53], 0
.LBB47_685:
	s_andn2_b64 vcc, exec, s[52:53]
	s_cbranch_vccnz .LBB47_693
; %bb.686:
	v_bfe_i32 v3, v2, 0, 8
	v_cvt_f32_i32_sdwa v3, sext(v3) dst_sel:DWORD dst_unused:UNUSED_PAD src0_sel:WORD_0
	s_mov_b32 s52, 0x43800000
	v_mov_b32_e32 v5, 0x80
	v_and_b32_e32 v4, 0x7fffffff, v3
	v_cmp_gt_u32_e32 vcc, s52, v4
	s_and_saveexec_b64 s[52:53], vcc
	s_cbranch_execz .LBB47_692
; %bb.687:
	s_mov_b32 s56, 0x3bffffff
	v_cmp_lt_u32_e32 vcc, s56, v4
	s_mov_b64 s[56:57], 0
                                        ; implicit-def: $vgpr4
	s_and_saveexec_b64 s[58:59], vcc
	s_xor_b64 s[58:59], exec, s[58:59]
	s_cbranch_execz .LBB47_806
; %bb.688:
	v_bfe_u32 v4, v3, 20, 1
	s_mov_b32 s60, 0x487ffff
	v_add3_u32 v4, v3, v4, s60
	s_mov_b64 s[56:57], exec
	v_lshrrev_b32_e32 v4, 20, v4
	s_andn2_saveexec_b64 s[58:59], s[58:59]
	s_cbranch_execnz .LBB47_807
.LBB47_689:
	s_or_b64 exec, exec, s[58:59]
	v_mov_b32_e32 v5, 0
	s_and_saveexec_b64 s[58:59], s[56:57]
.LBB47_690:
	v_lshrrev_b32_e32 v3, 24, v3
	s_movk_i32 s56, 0x80
	v_and_or_b32 v5, v3, s56, v4
.LBB47_691:
	s_or_b64 exec, exec, s[58:59]
.LBB47_692:
	s_or_b64 exec, exec, s[52:53]
	global_store_byte v[0:1], v5, off
.LBB47_693:
	s_mov_b64 s[52:53], -1
.LBB47_694:
	s_mov_b64 s[56:57], 0
.LBB47_695:
	s_and_b64 vcc, exec, s[56:57]
	s_cbranch_vccz .LBB47_736
; %bb.696:
	s_cmp_gt_i32 s29, 22
	s_mov_b64 s[56:57], -1
	s_cbranch_scc0 .LBB47_728
; %bb.697:
	s_cmp_lt_i32 s29, 24
	s_mov_b64 s[52:53], -1
	s_cbranch_scc1 .LBB47_717
; %bb.698:
	s_cmp_gt_i32 s29, 24
	s_cbranch_scc0 .LBB47_706
; %bb.699:
	v_bfe_i32 v3, v2, 0, 8
	v_cvt_f32_i32_sdwa v3, sext(v3) dst_sel:DWORD dst_unused:UNUSED_PAD src0_sel:WORD_0
	s_mov_b32 s52, 0x47800000
	v_mov_b32_e32 v5, 0x80
	v_and_b32_e32 v4, 0x7fffffff, v3
	v_cmp_gt_u32_e32 vcc, s52, v4
	s_and_saveexec_b64 s[52:53], vcc
	s_cbranch_execz .LBB47_705
; %bb.700:
	s_mov_b32 s56, 0x37ffffff
	v_cmp_lt_u32_e32 vcc, s56, v4
	s_mov_b64 s[56:57], 0
                                        ; implicit-def: $vgpr4
	s_and_saveexec_b64 s[58:59], vcc
	s_xor_b64 s[58:59], exec, s[58:59]
	s_cbranch_execz .LBB47_934
; %bb.701:
	v_bfe_u32 v4, v3, 21, 1
	s_mov_b32 s60, 0x88fffff
	v_add3_u32 v4, v3, v4, s60
	s_mov_b64 s[56:57], exec
	v_lshrrev_b32_e32 v4, 21, v4
	s_andn2_saveexec_b64 s[58:59], s[58:59]
	s_cbranch_execnz .LBB47_935
.LBB47_702:
	s_or_b64 exec, exec, s[58:59]
	v_mov_b32_e32 v5, 0
	s_and_saveexec_b64 s[58:59], s[56:57]
.LBB47_703:
	v_lshrrev_b32_e32 v3, 24, v3
	s_movk_i32 s56, 0x80
	v_and_or_b32 v5, v3, s56, v4
.LBB47_704:
	s_or_b64 exec, exec, s[58:59]
.LBB47_705:
	s_or_b64 exec, exec, s[52:53]
	s_mov_b64 s[52:53], 0
	global_store_byte v[0:1], v5, off
.LBB47_706:
	s_and_b64 vcc, exec, s[52:53]
	s_cbranch_vccz .LBB47_716
; %bb.707:
	v_bfe_i32 v3, v2, 0, 8
	v_cvt_f32_i32_sdwa v3, sext(v3) dst_sel:DWORD dst_unused:UNUSED_PAD src0_sel:WORD_0
	s_mov_b32 s52, 0x43f00000
                                        ; implicit-def: $vgpr4
	v_and_b32_e32 v5, 0x7fffffff, v3
	v_cmp_gt_u32_e32 vcc, s52, v5
	s_and_saveexec_b64 s[52:53], vcc
	s_xor_b64 s[52:53], exec, s[52:53]
	s_cbranch_execz .LBB47_713
; %bb.708:
	s_mov_b32 s56, 0x3c7fffff
	v_cmp_lt_u32_e32 vcc, s56, v5
                                        ; implicit-def: $vgpr4
	s_and_saveexec_b64 s[56:57], vcc
	s_xor_b64 s[56:57], exec, s[56:57]
; %bb.709:
	v_bfe_u32 v4, v3, 20, 1
	s_mov_b32 s58, 0x407ffff
	v_add3_u32 v4, v3, v4, s58
	v_lshrrev_b32_e32 v5, 20, v4
	v_and_b32_e32 v4, 0xff00000, v4
	s_mov_b32 s58, 0x7f00000
	v_mov_b32_e32 v6, 0x7e
	v_cmp_ne_u32_e32 vcc, s58, v4
	v_cndmask_b32_e32 v4, v6, v5, vcc
; %bb.710:
	s_andn2_saveexec_b64 s[56:57], s[56:57]
; %bb.711:
	s_mov_b32 s58, 0x46800000
	v_add_f32_e64 v4, |v3|, s58
; %bb.712:
	s_or_b64 exec, exec, s[56:57]
                                        ; implicit-def: $vgpr5
.LBB47_713:
	s_andn2_saveexec_b64 s[52:53], s[52:53]
; %bb.714:
	s_mov_b32 s56, 0x7f800000
	v_mov_b32_e32 v4, 0x7e
	v_mov_b32_e32 v6, 0x7f
	v_cmp_lt_u32_e32 vcc, s56, v5
	v_cndmask_b32_e32 v4, v4, v6, vcc
; %bb.715:
	s_or_b64 exec, exec, s[52:53]
	v_lshrrev_b32_e32 v3, 24, v3
	s_movk_i32 s52, 0x80
	v_and_or_b32 v3, v3, s52, v4
	global_store_byte v[0:1], v3, off
.LBB47_716:
	s_mov_b64 s[52:53], 0
.LBB47_717:
	s_andn2_b64 vcc, exec, s[52:53]
	s_cbranch_vccnz .LBB47_727
; %bb.718:
	v_bfe_i32 v3, v2, 0, 8
	v_cvt_f32_i32_sdwa v3, sext(v3) dst_sel:DWORD dst_unused:UNUSED_PAD src0_sel:WORD_0
	s_mov_b32 s52, 0x47800000
                                        ; implicit-def: $vgpr4
	v_and_b32_e32 v5, 0x7fffffff, v3
	v_cmp_gt_u32_e32 vcc, s52, v5
	s_and_saveexec_b64 s[52:53], vcc
	s_xor_b64 s[52:53], exec, s[52:53]
	s_cbranch_execz .LBB47_724
; %bb.719:
	s_mov_b32 s56, 0x387fffff
	v_cmp_lt_u32_e32 vcc, s56, v5
                                        ; implicit-def: $vgpr4
	s_and_saveexec_b64 s[56:57], vcc
	s_xor_b64 s[56:57], exec, s[56:57]
; %bb.720:
	v_bfe_u32 v4, v3, 21, 1
	s_mov_b32 s58, 0x80fffff
	v_add3_u32 v4, v3, v4, s58
	v_lshrrev_b32_e32 v4, 21, v4
; %bb.721:
	s_andn2_saveexec_b64 s[56:57], s[56:57]
; %bb.722:
	s_mov_b32 s58, 0x43000000
	v_add_f32_e64 v4, |v3|, s58
; %bb.723:
	s_or_b64 exec, exec, s[56:57]
                                        ; implicit-def: $vgpr5
.LBB47_724:
	s_andn2_saveexec_b64 s[52:53], s[52:53]
; %bb.725:
	s_mov_b32 s56, 0x7f800000
	v_mov_b32_e32 v4, 0x7c
	v_mov_b32_e32 v6, 0x7f
	v_cmp_lt_u32_e32 vcc, s56, v5
	v_cndmask_b32_e32 v4, v4, v6, vcc
; %bb.726:
	s_or_b64 exec, exec, s[52:53]
	v_lshrrev_b32_e32 v3, 24, v3
	s_movk_i32 s52, 0x80
	v_and_or_b32 v3, v3, s52, v4
	global_store_byte v[0:1], v3, off
.LBB47_727:
	s_mov_b64 s[56:57], 0
	s_mov_b64 s[52:53], -1
.LBB47_728:
	s_andn2_b64 vcc, exec, s[56:57]
	s_cbranch_vccnz .LBB47_736
; %bb.729:
	s_cmp_gt_i32 s29, 14
	s_mov_b64 s[56:57], -1
	s_cbranch_scc0 .LBB47_733
; %bb.730:
	s_cmp_eq_u32 s29, 15
	s_mov_b64 s[0:1], -1
	s_cbranch_scc0 .LBB47_732
; %bb.731:
	v_bfe_i32 v3, v2, 0, 8
	v_cvt_f32_i32_sdwa v3, sext(v3) dst_sel:DWORD dst_unused:UNUSED_PAD src0_sel:WORD_0
	s_movk_i32 s0, 0x7fff
	s_mov_b64 s[52:53], -1
	v_bfe_u32 v4, v3, 16, 1
	v_add3_u32 v3, v3, v4, s0
	global_store_short_d16_hi v[0:1], v3, off
	s_mov_b64 s[0:1], 0
.LBB47_732:
	s_mov_b64 s[56:57], 0
.LBB47_733:
	s_and_b64 vcc, exec, s[56:57]
	s_cbranch_vccz .LBB47_736
; %bb.734:
	s_cmp_eq_u32 s29, 11
	s_mov_b64 s[0:1], -1
	s_cbranch_scc0 .LBB47_736
; %bb.735:
	v_mov_b32_e32 v3, 0
	v_cmp_ne_u16_sdwa s[0:1], v2, v3 src0_sel:BYTE_0 src1_sel:DWORD
	v_cndmask_b32_e64 v3, 0, 1, s[0:1]
	s_mov_b64 s[52:53], -1
	s_mov_b64 s[0:1], 0
	global_store_byte v[0:1], v3, off
.LBB47_736:
	s_mov_b64 s[56:57], 0
.LBB47_737:
	s_and_b64 vcc, exec, s[56:57]
	s_cbranch_vccz .LBB47_776
; %bb.738:
	s_and_b32 s14, 0xffff, s14
	s_cmp_lt_i32 s14, 5
	s_mov_b64 s[52:53], -1
	s_cbranch_scc1 .LBB47_759
; %bb.739:
	s_cmp_lt_i32 s14, 8
	s_cbranch_scc1 .LBB47_749
; %bb.740:
	s_cmp_lt_i32 s14, 9
	s_cbranch_scc1 .LBB47_746
; %bb.741:
	s_cmp_gt_i32 s14, 9
	s_cbranch_scc0 .LBB47_743
; %bb.742:
	v_bfe_i32 v3, v2, 0, 8
	v_bfe_i32 v3, v3, 0, 16
	v_cvt_f64_i32_e32 v[3:4], v3
	v_mov_b32_e32 v5, 0
	v_mov_b32_e32 v6, v5
	s_mov_b64 s[52:53], 0
	global_store_dwordx4 v[0:1], v[3:6], off
.LBB47_743:
	s_andn2_b64 vcc, exec, s[52:53]
	s_cbranch_vccnz .LBB47_745
; %bb.744:
	v_bfe_i32 v3, v2, 0, 8
	v_cvt_f32_i32_sdwa v3, sext(v3) dst_sel:DWORD dst_unused:UNUSED_PAD src0_sel:WORD_0
	v_mov_b32_e32 v4, 0
	global_store_dwordx2 v[0:1], v[3:4], off
.LBB47_745:
	s_mov_b64 s[52:53], 0
.LBB47_746:
	s_andn2_b64 vcc, exec, s[52:53]
	s_cbranch_vccnz .LBB47_748
; %bb.747:
	v_cvt_f16_i16_sdwa v3, sext(v2) dst_sel:DWORD dst_unused:UNUSED_PAD src0_sel:BYTE_0
	global_store_dword v[0:1], v3, off
.LBB47_748:
	s_mov_b64 s[52:53], 0
.LBB47_749:
	s_andn2_b64 vcc, exec, s[52:53]
	s_cbranch_vccnz .LBB47_758
; %bb.750:
	s_cmp_lt_i32 s14, 6
	s_mov_b64 s[52:53], -1
	s_cbranch_scc1 .LBB47_756
; %bb.751:
	s_cmp_gt_i32 s14, 6
	s_cbranch_scc0 .LBB47_753
; %bb.752:
	v_bfe_i32 v3, v2, 0, 8
	v_bfe_i32 v3, v3, 0, 16
	v_cvt_f64_i32_e32 v[3:4], v3
	s_mov_b64 s[52:53], 0
	global_store_dwordx2 v[0:1], v[3:4], off
.LBB47_753:
	s_andn2_b64 vcc, exec, s[52:53]
	s_cbranch_vccnz .LBB47_755
; %bb.754:
	v_bfe_i32 v3, v2, 0, 8
	v_cvt_f32_i32_sdwa v3, sext(v3) dst_sel:DWORD dst_unused:UNUSED_PAD src0_sel:WORD_0
	global_store_dword v[0:1], v3, off
.LBB47_755:
	s_mov_b64 s[52:53], 0
.LBB47_756:
	s_andn2_b64 vcc, exec, s[52:53]
	s_cbranch_vccnz .LBB47_758
; %bb.757:
	v_cvt_f16_i16_sdwa v3, sext(v2) dst_sel:DWORD dst_unused:UNUSED_PAD src0_sel:BYTE_0
	global_store_short v[0:1], v3, off
.LBB47_758:
	s_mov_b64 s[52:53], 0
.LBB47_759:
	s_andn2_b64 vcc, exec, s[52:53]
	s_cbranch_vccnz .LBB47_775
; %bb.760:
	s_cmp_lt_i32 s14, 2
	s_mov_b64 s[52:53], -1
	s_cbranch_scc1 .LBB47_770
; %bb.761:
	s_cmp_lt_i32 s14, 3
	s_cbranch_scc1 .LBB47_767
; %bb.762:
	s_cmp_gt_i32 s14, 3
	s_cbranch_scc0 .LBB47_764
; %bb.763:
	v_bfe_i32 v3, v2, 0, 8
	v_ashrrev_i32_e32 v4, 31, v3
	s_mov_b64 s[52:53], 0
	global_store_dwordx2 v[0:1], v[3:4], off
.LBB47_764:
	s_andn2_b64 vcc, exec, s[52:53]
	s_cbranch_vccnz .LBB47_766
; %bb.765:
	v_bfe_i32 v3, v2, 0, 8
	global_store_dword v[0:1], v3, off
.LBB47_766:
	s_mov_b64 s[52:53], 0
.LBB47_767:
	s_andn2_b64 vcc, exec, s[52:53]
	s_cbranch_vccnz .LBB47_769
; %bb.768:
	v_bfe_i32 v3, v2, 0, 8
	global_store_short v[0:1], v3, off
.LBB47_769:
	s_mov_b64 s[52:53], 0
.LBB47_770:
	s_andn2_b64 vcc, exec, s[52:53]
	s_cbranch_vccnz .LBB47_775
; %bb.771:
	s_cmp_gt_i32 s14, 0
	s_mov_b64 s[52:53], -1
	s_cbranch_scc0 .LBB47_773
; %bb.772:
	s_mov_b64 s[52:53], 0
	global_store_byte v[0:1], v2, off
.LBB47_773:
	s_andn2_b64 vcc, exec, s[52:53]
	s_cbranch_vccnz .LBB47_775
; %bb.774:
	global_store_byte v[0:1], v2, off
.LBB47_775:
	s_mov_b64 s[52:53], -1
.LBB47_776:
	s_andn2_b64 vcc, exec, s[52:53]
	s_cbranch_vccnz .LBB47_788
; %bb.777:
	v_add_u32_e32 v10, 0x80, v10
	s_mov_b64 s[56:57], -1
.LBB47_778:
	s_andn2_b64 s[52:53], s[40:41], exec
	s_and_b64 s[0:1], s[0:1], exec
	s_or_b64 s[52:53], s[52:53], s[0:1]
	s_andn2_b64 s[0:1], s[42:43], exec
	s_and_b64 s[50:51], s[50:51], exec
	s_or_b64 s[50:51], s[0:1], s[50:51]
	;; [unrolled: 3-line block ×3, first 2 shown]
	s_orn2_b64 s[0:1], s[56:57], exec
.LBB47_779:
	s_or_b64 exec, exec, s[54:55]
	s_mov_b64 s[56:57], 0
	s_mov_b64 s[58:59], 0
	;; [unrolled: 1-line block ×3, first 2 shown]
                                        ; implicit-def: $sgpr14
                                        ; implicit-def: $vgpr4_vgpr5
                                        ; implicit-def: $vgpr0
                                        ; implicit-def: $vgpr3
                                        ; implicit-def: $vgpr1
	s_and_saveexec_b64 s[54:55], s[0:1]
	s_cbranch_execz .LBB47_1264
; %bb.780:
	v_cmp_gt_i32_e32 vcc, s70, v10
	s_mov_b64 s[68:69], -1
	s_mov_b64 s[0:1], s[48:49]
	s_mov_b64 s[60:61], s[50:51]
	;; [unrolled: 1-line block ×3, first 2 shown]
	s_and_saveexec_b64 s[56:57], vcc
	s_cbranch_execz .LBB47_1172
; %bb.781:
	s_andn2_b64 vcc, exec, s[24:25]
	s_cbranch_vccnz .LBB47_787
; %bb.782:
	s_andn2_b64 vcc, exec, s[38:39]
	s_cbranch_vccnz .LBB47_789
; %bb.783:
	s_add_i32 s0, s76, 1
	s_and_b32 s14, s0, 30
	s_add_u32 s0, s2, 0xffffffe8
	s_addc_u32 s1, s3, -1
	v_mov_b32_e32 v3, 0
	s_waitcnt vmcnt(0)
	v_mov_b32_e32 v5, 0
	v_mov_b32_e32 v0, 0
	;; [unrolled: 1-line block ×3, first 2 shown]
.LBB47_784:                             ; =>This Inner Loop Header: Depth=1
	s_load_dwordx4 s[60:63], s[0:1], 0x1c
	s_load_dwordx2 s[58:59], s[0:1], 0x2c
	s_load_dwordx2 s[68:69], s[0:1], 0xec
	s_load_dwordx4 s[64:67], s[0:1], 0xdc
	s_add_u32 s0, s0, 24
	s_waitcnt lgkmcnt(0)
	v_mul_hi_u32 v2, s61, v1
	s_addc_u32 s1, s1, 0
	s_add_i32 s14, s14, -2
	s_cmp_eq_u32 s14, 0
	v_add_u32_e32 v2, v1, v2
	v_lshrrev_b32_e32 v2, s62, v2
	v_mul_lo_u32 v4, v2, s60
	v_mul_hi_u32 v6, s58, v2
	v_sub_u32_e32 v4, v1, v4
	v_add_u32_e32 v1, v2, v6
	v_lshrrev_b32_e32 v1, s59, v1
	v_mul_lo_u32 v8, v1, s63
	v_mul_lo_u32 v6, v4, s64
	;; [unrolled: 1-line block ×4, first 2 shown]
	v_sub_u32_e32 v2, v2, v8
	v_mul_lo_u32 v8, v2, s67
	v_mul_lo_u32 v9, v2, s68
	;; [unrolled: 1-line block ×3, first 2 shown]
	v_add3_u32 v0, v6, v0, v8
	v_add3_u32 v5, v7, v5, v9
	;; [unrolled: 1-line block ×3, first 2 shown]
	s_cbranch_scc0 .LBB47_784
; %bb.785:
	s_bitcmp1_b32 s76, 0
	s_cselect_b64 s[58:59], -1, 0
	s_and_b64 vcc, exec, s[58:59]
	s_cbranch_vccnz .LBB47_790
; %bb.786:
	s_load_dwordx2 s[58:59], s[0:1], 0x1c
	s_load_dword s14, s[0:1], 0x24
	s_load_dwordx2 s[60:61], s[0:1], 0xdc
	s_waitcnt lgkmcnt(0)
	v_mul_hi_u32 v2, s59, v1
	v_add_u32_e32 v2, v1, v2
	v_lshrrev_b32_e32 v2, s14, v2
	v_mul_lo_u32 v2, v2, s58
	s_load_dword s14, s[0:1], 0xe4
	v_sub_u32_e32 v2, v1, v2
	v_mad_u64_u32 v[0:1], s[0:1], v2, s60, v[0:1]
	v_mad_u64_u32 v[5:6], s[0:1], v2, s61, v[5:6]
	s_waitcnt lgkmcnt(0)
	v_mad_u64_u32 v[3:4], s[0:1], v2, s14, v[3:4]
	s_branch .LBB47_790
.LBB47_787:
	s_mov_b64 s[0:1], -1
                                        ; implicit-def: $vgpr0
                                        ; implicit-def: $vgpr5
                                        ; implicit-def: $vgpr3
	s_branch .LBB47_791
.LBB47_788:
	s_mov_b64 s[56:57], 0
	s_branch .LBB47_540
.LBB47_789:
	v_mov_b32_e32 v0, 0
	s_waitcnt vmcnt(0)
	v_mov_b32_e32 v5, 0
	v_mov_b32_e32 v3, 0
.LBB47_790:
	s_mov_b64 s[0:1], 0
.LBB47_791:
	s_andn2_b64 vcc, exec, s[0:1]
	s_cbranch_vccnz .LBB47_794
; %bb.792:
	v_mul_hi_u32 v0, s17, v10
	s_andn2_b64 vcc, exec, s[36:37]
	v_add_u32_e32 v0, v10, v0
	s_waitcnt vmcnt(0)
	v_lshrrev_b32_e32 v1, s18, v0
	v_mul_lo_u32 v0, v1, s16
	v_sub_u32_e32 v2, v10, v0
	v_mul_lo_u32 v0, v2, s20
	v_mul_lo_u32 v5, v2, s21
	;; [unrolled: 1-line block ×3, first 2 shown]
	s_cbranch_vccnz .LBB47_794
; %bb.793:
	v_mul_hi_u32 v2, s34, v1
	v_add_u32_e32 v2, v1, v2
	v_lshrrev_b32_e32 v2, s35, v2
	v_mul_lo_u32 v2, v2, s19
	v_sub_u32_e32 v2, v1, v2
	v_mad_u64_u32 v[0:1], s[0:1], v2, s23, v[0:1]
	v_mad_u64_u32 v[5:6], s[0:1], v2, s30, v[5:6]
	;; [unrolled: 1-line block ×3, first 2 shown]
.LBB47_794:
	s_waitcnt vmcnt(0)
	v_mov_b32_e32 v1, s11
	s_and_b32 s14, s28, 0xff
	v_add_co_u32_e32 v4, vcc, s10, v5
	s_cmp_lt_i32 s14, 11
	v_addc_co_u32_e32 v5, vcc, 0, v1, vcc
	s_cbranch_scc1 .LBB47_801
; %bb.795:
	s_and_b32 s29, 0xffff, s14
	s_cmp_gt_i32 s29, 25
	s_cbranch_scc0 .LBB47_802
; %bb.796:
	s_cmp_gt_i32 s29, 28
	s_cbranch_scc0 .LBB47_803
; %bb.797:
	;; [unrolled: 3-line block ×4, first 2 shown]
	s_cmp_eq_u32 s29, 46
	s_mov_b64 s[60:61], 0
	s_cbranch_scc0 .LBB47_808
; %bb.800:
	global_load_dword v1, v[4:5], off
	s_mov_b64 s[0:1], -1
	s_mov_b64 s[58:59], 0
	s_waitcnt vmcnt(0)
	v_lshlrev_b32_e32 v1, 16, v1
	v_cvt_i32_f32_e32 v1, v1
	s_branch .LBB47_809
.LBB47_801:
	s_mov_b64 s[60:61], -1
	s_mov_b64 s[0:1], 0
                                        ; implicit-def: $vgpr1
	s_mov_b64 s[58:59], s[48:49]
	s_branch .LBB47_870
.LBB47_802:
	s_mov_b64 s[60:61], -1
	s_mov_b64 s[0:1], 0
	s_mov_b64 s[58:59], s[48:49]
                                        ; implicit-def: $vgpr1
	s_branch .LBB47_836
.LBB47_803:
	s_mov_b64 s[60:61], -1
	s_mov_b64 s[0:1], 0
	s_mov_b64 s[58:59], s[48:49]
                                        ; implicit-def: $vgpr1
	s_branch .LBB47_819
.LBB47_804:
	s_mov_b64 s[60:61], -1
	s_mov_b64 s[0:1], 0
	s_mov_b64 s[58:59], s[48:49]
                                        ; implicit-def: $vgpr1
	s_branch .LBB47_814
.LBB47_805:
	s_mov_b64 s[60:61], -1
	s_mov_b64 s[0:1], 0
	s_mov_b64 s[58:59], s[48:49]
                                        ; implicit-def: $vgpr1
	s_branch .LBB47_809
.LBB47_806:
	s_andn2_saveexec_b64 s[58:59], s[58:59]
	s_cbranch_execz .LBB47_689
.LBB47_807:
	s_mov_b32 s60, 0x46000000
	v_add_f32_e64 v4, |v3|, s60
	v_and_b32_e32 v4, 0xff, v4
	v_cmp_ne_u32_e32 vcc, 0, v4
	s_andn2_b64 s[56:57], s[56:57], exec
	s_and_b64 s[60:61], vcc, exec
	s_or_b64 s[56:57], s[56:57], s[60:61]
	s_or_b64 exec, exec, s[58:59]
	v_mov_b32_e32 v5, 0
	s_and_saveexec_b64 s[58:59], s[56:57]
	s_cbranch_execnz .LBB47_690
	s_branch .LBB47_691
.LBB47_808:
	s_mov_b64 s[58:59], -1
                                        ; implicit-def: $vgpr1
	s_mov_b64 s[0:1], 0
.LBB47_809:
	s_and_b64 vcc, exec, s[60:61]
	s_cbranch_vccz .LBB47_813
; %bb.810:
	s_cmp_eq_u32 s29, 44
	s_cbranch_scc0 .LBB47_812
; %bb.811:
	global_load_ubyte v1, v[4:5], off
	s_mov_b64 s[0:1], -1
	s_mov_b64 s[58:59], 0
	s_waitcnt vmcnt(0)
	v_lshlrev_b32_e32 v2, 23, v1
	v_cvt_i32_f32_e32 v2, v2
	v_cmp_ne_u32_e32 vcc, 0, v1
	v_cndmask_b32_e32 v1, 0, v2, vcc
	s_branch .LBB47_813
.LBB47_812:
	s_mov_b64 s[58:59], -1
                                        ; implicit-def: $vgpr1
.LBB47_813:
	s_mov_b64 s[60:61], 0
.LBB47_814:
	s_and_b64 vcc, exec, s[60:61]
	s_cbranch_vccz .LBB47_818
; %bb.815:
	s_cmp_eq_u32 s29, 29
	s_cbranch_scc0 .LBB47_817
; %bb.816:
	global_load_dwordx2 v[1:2], v[4:5], off
	s_mov_b64 s[0:1], -1
	s_mov_b64 s[58:59], 0
	s_branch .LBB47_818
.LBB47_817:
	s_mov_b64 s[58:59], -1
                                        ; implicit-def: $vgpr1
.LBB47_818:
	s_mov_b64 s[60:61], 0
.LBB47_819:
	s_and_b64 vcc, exec, s[60:61]
	s_cbranch_vccz .LBB47_835
; %bb.820:
	s_cmp_lt_i32 s29, 27
	s_cbranch_scc1 .LBB47_823
; %bb.821:
	s_cmp_gt_i32 s29, 27
	s_cbranch_scc0 .LBB47_824
; %bb.822:
	global_load_dword v1, v[4:5], off
	s_mov_b64 s[0:1], 0
	s_branch .LBB47_825
.LBB47_823:
	s_mov_b64 s[0:1], -1
                                        ; implicit-def: $vgpr1
	s_branch .LBB47_828
.LBB47_824:
	s_mov_b64 s[0:1], -1
                                        ; implicit-def: $vgpr1
.LBB47_825:
	s_andn2_b64 vcc, exec, s[0:1]
	s_cbranch_vccnz .LBB47_827
; %bb.826:
	global_load_ushort v1, v[4:5], off
.LBB47_827:
	s_mov_b64 s[0:1], 0
.LBB47_828:
	s_andn2_b64 vcc, exec, s[0:1]
	s_cbranch_vccnz .LBB47_834
; %bb.829:
	global_load_ubyte v2, v[4:5], off
	s_movk_i32 s0, 0x7f
	s_mov_b64 s[60:61], 0
	s_waitcnt vmcnt(0)
	v_cmp_lt_i16_e32 vcc, s0, v2
	s_and_saveexec_b64 s[0:1], vcc
	s_xor_b64 s[0:1], exec, s[0:1]
	s_cbranch_execz .LBB47_846
; %bb.830:
	s_movk_i32 s60, 0x80
	v_cmp_ne_u16_e32 vcc, s60, v2
	s_and_b64 s[60:61], vcc, exec
	s_andn2_saveexec_b64 s[0:1], s[0:1]
	s_cbranch_execnz .LBB47_847
.LBB47_831:
	s_or_b64 exec, exec, s[0:1]
	v_mov_b32_e32 v1, 0
	s_and_saveexec_b64 s[0:1], s[60:61]
	s_cbranch_execz .LBB47_833
.LBB47_832:
	v_lshlrev_b32_e32 v1, 24, v2
	v_and_b32_e32 v2, 0xffff, v2
	v_and_b32_e32 v6, 7, v2
	v_ffbh_u32_e32 v8, v6
	v_min_u32_e32 v8, 32, v8
	v_subrev_u32_e32 v9, 28, v8
	v_bfe_u32 v7, v2, 3, 4
	v_lshlrev_b32_e32 v2, v9, v2
	v_sub_u32_e32 v8, 29, v8
	v_and_b32_e32 v2, 7, v2
	v_cmp_eq_u32_e32 vcc, 0, v7
	v_cndmask_b32_e32 v7, v7, v8, vcc
	v_cndmask_b32_e32 v2, v6, v2, vcc
	v_mov_b32_e32 v6, 0x3b800000
	v_lshlrev_b32_e32 v2, 20, v2
	v_and_b32_e32 v1, 0x80000000, v1
	v_lshl_add_u32 v6, v7, 23, v6
	v_or3_b32 v1, v1, v6, v2
	v_cvt_i32_f32_e32 v1, v1
.LBB47_833:
	s_or_b64 exec, exec, s[0:1]
.LBB47_834:
	s_mov_b64 s[0:1], -1
.LBB47_835:
	s_mov_b64 s[60:61], 0
.LBB47_836:
	s_and_b64 vcc, exec, s[60:61]
	s_cbranch_vccz .LBB47_869
; %bb.837:
	s_cmp_gt_i32 s29, 22
	s_cbranch_scc0 .LBB47_845
; %bb.838:
	s_cmp_lt_i32 s29, 24
	s_cbranch_scc1 .LBB47_848
; %bb.839:
	s_cmp_gt_i32 s29, 24
	s_cbranch_scc0 .LBB47_849
; %bb.840:
	global_load_ubyte v2, v[4:5], off
	s_movk_i32 s0, 0x7f
	s_mov_b64 s[60:61], 0
	s_waitcnt vmcnt(0)
	v_cmp_lt_i16_e32 vcc, s0, v2
	s_and_saveexec_b64 s[0:1], vcc
	s_xor_b64 s[0:1], exec, s[0:1]
	s_cbranch_execz .LBB47_861
; %bb.841:
	s_movk_i32 s60, 0x80
	v_cmp_ne_u16_e32 vcc, s60, v2
	s_and_b64 s[60:61], vcc, exec
	s_andn2_saveexec_b64 s[0:1], s[0:1]
	s_cbranch_execnz .LBB47_862
.LBB47_842:
	s_or_b64 exec, exec, s[0:1]
	v_mov_b32_e32 v1, 0
	s_and_saveexec_b64 s[0:1], s[60:61]
	s_cbranch_execz .LBB47_844
.LBB47_843:
	v_lshlrev_b32_e32 v1, 24, v2
	v_and_b32_e32 v2, 0xffff, v2
	v_and_b32_e32 v6, 3, v2
	v_ffbh_u32_e32 v8, v6
	v_min_u32_e32 v8, 32, v8
	v_subrev_u32_e32 v9, 29, v8
	v_bfe_u32 v7, v2, 2, 5
	v_lshlrev_b32_e32 v2, v9, v2
	v_sub_u32_e32 v8, 30, v8
	v_and_b32_e32 v2, 3, v2
	v_cmp_eq_u32_e32 vcc, 0, v7
	v_cndmask_b32_e32 v7, v7, v8, vcc
	v_cndmask_b32_e32 v2, v6, v2, vcc
	v_mov_b32_e32 v6, 0x37800000
	v_lshlrev_b32_e32 v2, 21, v2
	v_and_b32_e32 v1, 0x80000000, v1
	v_lshl_add_u32 v6, v7, 23, v6
	v_or3_b32 v1, v1, v6, v2
	v_cvt_i32_f32_e32 v1, v1
.LBB47_844:
	s_or_b64 exec, exec, s[0:1]
	s_mov_b64 s[0:1], 0
	s_branch .LBB47_850
.LBB47_845:
	s_mov_b64 s[60:61], -1
                                        ; implicit-def: $vgpr1
	s_branch .LBB47_856
.LBB47_846:
	s_andn2_saveexec_b64 s[0:1], s[0:1]
	s_cbranch_execz .LBB47_831
.LBB47_847:
	v_cmp_ne_u16_e32 vcc, 0, v2
	s_andn2_b64 s[60:61], s[60:61], exec
	s_and_b64 s[62:63], vcc, exec
	s_or_b64 s[60:61], s[60:61], s[62:63]
	s_or_b64 exec, exec, s[0:1]
	v_mov_b32_e32 v1, 0
	s_and_saveexec_b64 s[0:1], s[60:61]
	s_cbranch_execnz .LBB47_832
	s_branch .LBB47_833
.LBB47_848:
	s_mov_b64 s[0:1], -1
                                        ; implicit-def: $vgpr1
	s_branch .LBB47_853
.LBB47_849:
	s_mov_b64 s[0:1], -1
                                        ; implicit-def: $vgpr1
.LBB47_850:
	s_and_b64 vcc, exec, s[0:1]
	s_cbranch_vccz .LBB47_852
; %bb.851:
	global_load_ubyte v1, v[4:5], off
	s_mov_b32 s0, 0x7f800000
	s_waitcnt vmcnt(0)
	v_lshlrev_b32_e32 v1, 24, v1
	v_and_b32_e32 v2, 0x7f000000, v1
	v_ffbh_u32_e32 v6, v2
	v_min_u32_e32 v6, 32, v6
	v_sub_u32_e64 v6, v6, 4 clamp
	v_lshlrev_b32_e32 v8, v6, v2
	v_lshlrev_b32_e32 v6, 23, v6
	v_lshrrev_b32_e32 v8, 4, v8
	v_add_u32_e32 v7, 0x1000000, v2
	v_sub_u32_e32 v6, v8, v6
	v_ashrrev_i32_e32 v7, 8, v7
	v_add_u32_e32 v6, 0x3c000000, v6
	v_and_or_b32 v6, v7, s0, v6
	v_cmp_ne_u32_e32 vcc, 0, v2
	v_cndmask_b32_e32 v2, 0, v6, vcc
	s_brev_b32 s0, 1
	v_and_or_b32 v1, v1, s0, v2
	v_cvt_i32_f32_e32 v1, v1
.LBB47_852:
	s_mov_b64 s[0:1], 0
.LBB47_853:
	s_andn2_b64 vcc, exec, s[0:1]
	s_cbranch_vccnz .LBB47_855
; %bb.854:
	global_load_ubyte v1, v[4:5], off
	s_movk_i32 s0, 0x7f00
	s_brev_b32 s1, 16
	s_waitcnt vmcnt(0)
	v_lshlrev_b16_e32 v2, 8, v1
	v_lshlrev_b32_e32 v1, 25, v1
	v_lshrrev_b32_e32 v6, 4, v1
	v_and_or_b32 v7, v2, s0, 0.5
	v_or_b32_e32 v6, 0x70000000, v6
	v_add_f32_e32 v7, -0.5, v7
	v_mul_f32_e32 v6, 0x7800000, v6
	v_cmp_gt_u32_e32 vcc, s1, v1
	v_bfe_i32 v2, v2, 0, 16
	v_cndmask_b32_e32 v1, v6, v7, vcc
	s_brev_b32 s0, 1
	v_and_or_b32 v1, v2, s0, v1
	v_cvt_i32_f32_e32 v1, v1
.LBB47_855:
	s_mov_b64 s[60:61], 0
	s_mov_b64 s[0:1], -1
.LBB47_856:
	s_andn2_b64 vcc, exec, s[60:61]
	s_cbranch_vccnz .LBB47_869
; %bb.857:
	s_cmp_gt_i32 s29, 14
	s_cbranch_scc0 .LBB47_860
; %bb.858:
	s_cmp_eq_u32 s29, 15
	s_cbranch_scc0 .LBB47_863
; %bb.859:
	global_load_ushort v1, v[4:5], off
	s_mov_b64 s[0:1], -1
	s_mov_b64 s[58:59], 0
	s_waitcnt vmcnt(0)
	v_lshlrev_b32_e32 v1, 16, v1
	v_cvt_i32_f32_e32 v1, v1
	s_branch .LBB47_864
.LBB47_860:
	s_mov_b64 s[60:61], -1
                                        ; implicit-def: $vgpr1
	s_branch .LBB47_865
.LBB47_861:
	s_andn2_saveexec_b64 s[0:1], s[0:1]
	s_cbranch_execz .LBB47_842
.LBB47_862:
	v_cmp_ne_u16_e32 vcc, 0, v2
	s_andn2_b64 s[60:61], s[60:61], exec
	s_and_b64 s[62:63], vcc, exec
	s_or_b64 s[60:61], s[60:61], s[62:63]
	s_or_b64 exec, exec, s[0:1]
	v_mov_b32_e32 v1, 0
	s_and_saveexec_b64 s[0:1], s[60:61]
	s_cbranch_execnz .LBB47_843
	s_branch .LBB47_844
.LBB47_863:
	s_mov_b64 s[58:59], -1
                                        ; implicit-def: $vgpr1
.LBB47_864:
	s_mov_b64 s[60:61], 0
.LBB47_865:
	s_and_b64 vcc, exec, s[60:61]
	s_cbranch_vccz .LBB47_869
; %bb.866:
	s_cmp_eq_u32 s29, 11
	s_cbranch_scc0 .LBB47_868
; %bb.867:
	global_load_ubyte v1, v[4:5], off
	s_mov_b64 s[0:1], -1
	s_mov_b64 s[58:59], 0
	s_waitcnt vmcnt(0)
	v_cmp_ne_u16_e32 vcc, 0, v1
	v_cndmask_b32_e64 v1, 0, 1, vcc
	s_branch .LBB47_869
.LBB47_868:
	s_mov_b64 s[58:59], -1
                                        ; implicit-def: $vgpr1
.LBB47_869:
	s_mov_b64 s[60:61], 0
.LBB47_870:
	s_and_b64 vcc, exec, s[60:61]
	s_cbranch_vccz .LBB47_919
; %bb.871:
	s_and_b32 s14, 0xffff, s14
	s_cmp_lt_i32 s14, 5
	s_cbranch_scc1 .LBB47_876
; %bb.872:
	s_cmp_lt_i32 s14, 8
	s_cbranch_scc1 .LBB47_877
; %bb.873:
	s_cmp_lt_i32 s14, 9
	s_cbranch_scc1 .LBB47_878
; %bb.874:
	s_cmp_gt_i32 s14, 9
	s_cbranch_scc0 .LBB47_879
; %bb.875:
	global_load_dwordx2 v[1:2], v[4:5], off
	s_mov_b64 s[0:1], 0
	s_waitcnt vmcnt(0)
	v_cvt_i32_f64_e32 v1, v[1:2]
	s_branch .LBB47_880
.LBB47_876:
	s_mov_b64 s[0:1], -1
                                        ; implicit-def: $vgpr1
	s_branch .LBB47_898
.LBB47_877:
	s_mov_b64 s[0:1], -1
                                        ; implicit-def: $vgpr1
	s_branch .LBB47_886
.LBB47_878:
	s_mov_b64 s[0:1], -1
                                        ; implicit-def: $vgpr1
	s_branch .LBB47_883
.LBB47_879:
	s_mov_b64 s[0:1], -1
                                        ; implicit-def: $vgpr1
.LBB47_880:
	s_andn2_b64 vcc, exec, s[0:1]
	s_cbranch_vccnz .LBB47_882
; %bb.881:
	global_load_dword v1, v[4:5], off
	s_waitcnt vmcnt(0)
	v_cvt_i32_f32_e32 v1, v1
.LBB47_882:
	s_mov_b64 s[0:1], 0
.LBB47_883:
	s_andn2_b64 vcc, exec, s[0:1]
	s_cbranch_vccnz .LBB47_885
; %bb.884:
	global_load_dword v1, v[4:5], off
	s_waitcnt vmcnt(0)
	v_cvt_i16_f16_e32 v1, v1
.LBB47_885:
	s_mov_b64 s[0:1], 0
.LBB47_886:
	s_andn2_b64 vcc, exec, s[0:1]
	s_cbranch_vccnz .LBB47_897
; %bb.887:
	s_cmp_lt_i32 s14, 6
	s_cbranch_scc1 .LBB47_890
; %bb.888:
	s_cmp_gt_i32 s14, 6
	s_cbranch_scc0 .LBB47_891
; %bb.889:
	global_load_dwordx2 v[1:2], v[4:5], off
	s_mov_b64 s[0:1], 0
	s_waitcnt vmcnt(0)
	v_cvt_i32_f64_e32 v1, v[1:2]
	s_branch .LBB47_892
.LBB47_890:
	s_mov_b64 s[0:1], -1
                                        ; implicit-def: $vgpr1
	s_branch .LBB47_895
.LBB47_891:
	s_mov_b64 s[0:1], -1
                                        ; implicit-def: $vgpr1
.LBB47_892:
	s_andn2_b64 vcc, exec, s[0:1]
	s_cbranch_vccnz .LBB47_894
; %bb.893:
	global_load_dword v1, v[4:5], off
	s_waitcnt vmcnt(0)
	v_cvt_i32_f32_e32 v1, v1
.LBB47_894:
	s_mov_b64 s[0:1], 0
.LBB47_895:
	s_andn2_b64 vcc, exec, s[0:1]
	s_cbranch_vccnz .LBB47_897
; %bb.896:
	global_load_ushort v1, v[4:5], off
	s_waitcnt vmcnt(0)
	v_cvt_i16_f16_e32 v1, v1
.LBB47_897:
	s_mov_b64 s[0:1], 0
.LBB47_898:
	s_andn2_b64 vcc, exec, s[0:1]
	s_cbranch_vccnz .LBB47_918
; %bb.899:
	s_cmp_lt_i32 s14, 2
	s_cbranch_scc1 .LBB47_903
; %bb.900:
	s_cmp_lt_i32 s14, 3
	s_cbranch_scc1 .LBB47_904
; %bb.901:
	s_cmp_gt_i32 s14, 3
	s_cbranch_scc0 .LBB47_905
; %bb.902:
	global_load_dwordx2 v[1:2], v[4:5], off
	s_mov_b64 s[0:1], 0
	s_branch .LBB47_906
.LBB47_903:
	s_mov_b64 s[0:1], -1
                                        ; implicit-def: $vgpr1
	s_branch .LBB47_912
.LBB47_904:
	s_mov_b64 s[0:1], -1
                                        ; implicit-def: $vgpr1
	s_branch .LBB47_909
.LBB47_905:
	s_mov_b64 s[0:1], -1
                                        ; implicit-def: $vgpr1
.LBB47_906:
	s_andn2_b64 vcc, exec, s[0:1]
	s_cbranch_vccnz .LBB47_908
; %bb.907:
	global_load_dword v1, v[4:5], off
.LBB47_908:
	s_mov_b64 s[0:1], 0
.LBB47_909:
	s_andn2_b64 vcc, exec, s[0:1]
	s_cbranch_vccnz .LBB47_911
; %bb.910:
	global_load_ushort v1, v[4:5], off
.LBB47_911:
	s_mov_b64 s[0:1], 0
.LBB47_912:
	s_andn2_b64 vcc, exec, s[0:1]
	s_cbranch_vccnz .LBB47_918
; %bb.913:
	s_cmp_gt_i32 s14, 0
	s_cbranch_scc0 .LBB47_915
; %bb.914:
	global_load_ubyte v1, v[4:5], off
	s_mov_b64 s[0:1], 0
	s_branch .LBB47_916
.LBB47_915:
	s_mov_b64 s[0:1], -1
                                        ; implicit-def: $vgpr1
.LBB47_916:
	s_andn2_b64 vcc, exec, s[0:1]
	s_cbranch_vccnz .LBB47_918
; %bb.917:
	global_load_ubyte v1, v[4:5], off
.LBB47_918:
	s_mov_b64 s[0:1], -1
.LBB47_919:
	s_andn2_b64 vcc, exec, s[0:1]
	s_cbranch_vccnz .LBB47_927
; %bb.920:
	v_mov_b32_e32 v4, s13
	s_and_b32 s14, s15, 0xff
	s_waitcnt vmcnt(0)
	v_add_co_u32_e32 v2, vcc, s12, v3
	s_cmp_lt_i32 s14, 11
	v_addc_co_u32_e32 v3, vcc, 0, v4, vcc
	s_cbranch_scc1 .LBB47_929
; %bb.921:
	s_and_b32 s29, 0xffff, s14
	s_cmp_gt_i32 s29, 25
	s_cbranch_scc0 .LBB47_930
; %bb.922:
	s_cmp_gt_i32 s29, 28
	s_cbranch_scc0 .LBB47_931
; %bb.923:
	;; [unrolled: 3-line block ×4, first 2 shown]
	s_cmp_eq_u32 s29, 46
	s_mov_b64 s[62:63], 0
	s_cbranch_scc0 .LBB47_936
; %bb.926:
	global_load_dword v4, v[2:3], off
	s_mov_b64 s[0:1], -1
	s_mov_b64 s[60:61], 0
	s_waitcnt vmcnt(0)
	v_lshlrev_b32_e32 v4, 16, v4
	v_cvt_i32_f32_e32 v4, v4
	s_branch .LBB47_937
.LBB47_927:
	s_mov_b64 s[64:65], 0
	s_mov_b64 s[0:1], s[52:53]
	s_mov_b64 s[60:61], s[50:51]
.LBB47_928:
                                        ; implicit-def: $vgpr10
	s_branch .LBB47_1171
.LBB47_929:
	s_mov_b64 s[62:63], -1
	s_mov_b64 s[0:1], 0
                                        ; implicit-def: $vgpr4
	s_mov_b64 s[60:61], s[50:51]
	s_branch .LBB47_998
.LBB47_930:
	s_mov_b64 s[62:63], -1
	s_mov_b64 s[0:1], 0
	s_mov_b64 s[60:61], s[50:51]
                                        ; implicit-def: $vgpr4
	s_branch .LBB47_964
.LBB47_931:
	s_mov_b64 s[62:63], -1
	s_mov_b64 s[0:1], 0
	s_mov_b64 s[60:61], s[50:51]
                                        ; implicit-def: $vgpr4
	s_branch .LBB47_947
.LBB47_932:
	s_mov_b64 s[62:63], -1
	s_mov_b64 s[0:1], 0
	s_mov_b64 s[60:61], s[50:51]
                                        ; implicit-def: $vgpr4
	s_branch .LBB47_942
.LBB47_933:
	s_mov_b64 s[62:63], -1
	s_mov_b64 s[0:1], 0
	s_mov_b64 s[60:61], s[50:51]
                                        ; implicit-def: $vgpr4
	s_branch .LBB47_937
.LBB47_934:
	s_andn2_saveexec_b64 s[58:59], s[58:59]
	s_cbranch_execz .LBB47_702
.LBB47_935:
	s_mov_b32 s60, 0x42800000
	v_add_f32_e64 v4, |v3|, s60
	v_and_b32_e32 v4, 0xff, v4
	v_cmp_ne_u32_e32 vcc, 0, v4
	s_andn2_b64 s[56:57], s[56:57], exec
	s_and_b64 s[60:61], vcc, exec
	s_or_b64 s[56:57], s[56:57], s[60:61]
	s_or_b64 exec, exec, s[58:59]
	v_mov_b32_e32 v5, 0
	s_and_saveexec_b64 s[58:59], s[56:57]
	s_cbranch_execnz .LBB47_703
	s_branch .LBB47_704
.LBB47_936:
	s_mov_b64 s[60:61], -1
                                        ; implicit-def: $vgpr4
	s_mov_b64 s[0:1], 0
.LBB47_937:
	s_and_b64 vcc, exec, s[62:63]
	s_cbranch_vccz .LBB47_941
; %bb.938:
	s_cmp_eq_u32 s29, 44
	s_cbranch_scc0 .LBB47_940
; %bb.939:
	global_load_ubyte v4, v[2:3], off
	s_mov_b64 s[0:1], -1
	s_mov_b64 s[60:61], 0
	s_waitcnt vmcnt(0)
	v_lshlrev_b32_e32 v5, 23, v4
	v_cvt_i32_f32_e32 v5, v5
	v_cmp_ne_u32_e32 vcc, 0, v4
	v_cndmask_b32_e32 v4, 0, v5, vcc
	s_branch .LBB47_941
.LBB47_940:
	s_mov_b64 s[60:61], -1
                                        ; implicit-def: $vgpr4
.LBB47_941:
	s_mov_b64 s[62:63], 0
.LBB47_942:
	s_and_b64 vcc, exec, s[62:63]
	s_cbranch_vccz .LBB47_946
; %bb.943:
	s_cmp_eq_u32 s29, 29
	s_cbranch_scc0 .LBB47_945
; %bb.944:
	global_load_dwordx2 v[4:5], v[2:3], off
	s_mov_b64 s[0:1], -1
	s_mov_b64 s[60:61], 0
	s_branch .LBB47_946
.LBB47_945:
	s_mov_b64 s[60:61], -1
                                        ; implicit-def: $vgpr4
.LBB47_946:
	s_mov_b64 s[62:63], 0
.LBB47_947:
	s_and_b64 vcc, exec, s[62:63]
	s_cbranch_vccz .LBB47_963
; %bb.948:
	s_cmp_lt_i32 s29, 27
	s_cbranch_scc1 .LBB47_951
; %bb.949:
	s_cmp_gt_i32 s29, 27
	s_cbranch_scc0 .LBB47_952
; %bb.950:
	global_load_dword v4, v[2:3], off
	s_mov_b64 s[0:1], 0
	s_branch .LBB47_953
.LBB47_951:
	s_mov_b64 s[0:1], -1
                                        ; implicit-def: $vgpr4
	s_branch .LBB47_956
.LBB47_952:
	s_mov_b64 s[0:1], -1
                                        ; implicit-def: $vgpr4
.LBB47_953:
	s_andn2_b64 vcc, exec, s[0:1]
	s_cbranch_vccnz .LBB47_955
; %bb.954:
	global_load_ushort v4, v[2:3], off
.LBB47_955:
	s_mov_b64 s[0:1], 0
.LBB47_956:
	s_andn2_b64 vcc, exec, s[0:1]
	s_cbranch_vccnz .LBB47_962
; %bb.957:
	global_load_ubyte v5, v[2:3], off
	s_movk_i32 s0, 0x7f
	s_mov_b64 s[62:63], 0
	s_waitcnt vmcnt(0)
	v_cmp_lt_i16_e32 vcc, s0, v5
	s_and_saveexec_b64 s[0:1], vcc
	s_xor_b64 s[0:1], exec, s[0:1]
	s_cbranch_execz .LBB47_974
; %bb.958:
	s_movk_i32 s62, 0x80
	v_cmp_ne_u16_e32 vcc, s62, v5
	s_and_b64 s[62:63], vcc, exec
	s_andn2_saveexec_b64 s[0:1], s[0:1]
	s_cbranch_execnz .LBB47_975
.LBB47_959:
	s_or_b64 exec, exec, s[0:1]
	v_mov_b32_e32 v4, 0
	s_and_saveexec_b64 s[0:1], s[62:63]
	s_cbranch_execz .LBB47_961
.LBB47_960:
	v_lshlrev_b32_e32 v4, 24, v5
	v_and_b32_e32 v5, 0xffff, v5
	v_and_b32_e32 v6, 7, v5
	v_ffbh_u32_e32 v8, v6
	v_min_u32_e32 v8, 32, v8
	v_subrev_u32_e32 v9, 28, v8
	v_bfe_u32 v7, v5, 3, 4
	v_lshlrev_b32_e32 v5, v9, v5
	v_sub_u32_e32 v8, 29, v8
	v_and_b32_e32 v5, 7, v5
	v_cmp_eq_u32_e32 vcc, 0, v7
	v_cndmask_b32_e32 v7, v7, v8, vcc
	v_cndmask_b32_e32 v5, v6, v5, vcc
	v_mov_b32_e32 v6, 0x3b800000
	v_lshlrev_b32_e32 v5, 20, v5
	v_and_b32_e32 v4, 0x80000000, v4
	v_lshl_add_u32 v6, v7, 23, v6
	v_or3_b32 v4, v4, v6, v5
	v_cvt_i32_f32_e32 v4, v4
.LBB47_961:
	s_or_b64 exec, exec, s[0:1]
.LBB47_962:
	s_mov_b64 s[0:1], -1
.LBB47_963:
	s_mov_b64 s[62:63], 0
.LBB47_964:
	s_and_b64 vcc, exec, s[62:63]
	s_cbranch_vccz .LBB47_997
; %bb.965:
	s_cmp_gt_i32 s29, 22
	s_cbranch_scc0 .LBB47_973
; %bb.966:
	s_cmp_lt_i32 s29, 24
	s_cbranch_scc1 .LBB47_976
; %bb.967:
	s_cmp_gt_i32 s29, 24
	s_cbranch_scc0 .LBB47_977
; %bb.968:
	global_load_ubyte v5, v[2:3], off
	s_movk_i32 s0, 0x7f
	s_mov_b64 s[62:63], 0
	s_waitcnt vmcnt(0)
	v_cmp_lt_i16_e32 vcc, s0, v5
	s_and_saveexec_b64 s[0:1], vcc
	s_xor_b64 s[0:1], exec, s[0:1]
	s_cbranch_execz .LBB47_989
; %bb.969:
	s_movk_i32 s62, 0x80
	v_cmp_ne_u16_e32 vcc, s62, v5
	s_and_b64 s[62:63], vcc, exec
	s_andn2_saveexec_b64 s[0:1], s[0:1]
	s_cbranch_execnz .LBB47_990
.LBB47_970:
	s_or_b64 exec, exec, s[0:1]
	v_mov_b32_e32 v4, 0
	s_and_saveexec_b64 s[0:1], s[62:63]
	s_cbranch_execz .LBB47_972
.LBB47_971:
	v_lshlrev_b32_e32 v4, 24, v5
	v_and_b32_e32 v5, 0xffff, v5
	v_and_b32_e32 v6, 3, v5
	v_ffbh_u32_e32 v8, v6
	v_min_u32_e32 v8, 32, v8
	v_subrev_u32_e32 v9, 29, v8
	v_bfe_u32 v7, v5, 2, 5
	v_lshlrev_b32_e32 v5, v9, v5
	v_sub_u32_e32 v8, 30, v8
	v_and_b32_e32 v5, 3, v5
	v_cmp_eq_u32_e32 vcc, 0, v7
	v_cndmask_b32_e32 v7, v7, v8, vcc
	v_cndmask_b32_e32 v5, v6, v5, vcc
	v_mov_b32_e32 v6, 0x37800000
	v_lshlrev_b32_e32 v5, 21, v5
	v_and_b32_e32 v4, 0x80000000, v4
	v_lshl_add_u32 v6, v7, 23, v6
	v_or3_b32 v4, v4, v6, v5
	v_cvt_i32_f32_e32 v4, v4
.LBB47_972:
	s_or_b64 exec, exec, s[0:1]
	s_mov_b64 s[0:1], 0
	s_branch .LBB47_978
.LBB47_973:
	s_mov_b64 s[62:63], -1
                                        ; implicit-def: $vgpr4
	s_branch .LBB47_984
.LBB47_974:
	s_andn2_saveexec_b64 s[0:1], s[0:1]
	s_cbranch_execz .LBB47_959
.LBB47_975:
	v_cmp_ne_u16_e32 vcc, 0, v5
	s_andn2_b64 s[62:63], s[62:63], exec
	s_and_b64 s[64:65], vcc, exec
	s_or_b64 s[62:63], s[62:63], s[64:65]
	s_or_b64 exec, exec, s[0:1]
	v_mov_b32_e32 v4, 0
	s_and_saveexec_b64 s[0:1], s[62:63]
	s_cbranch_execnz .LBB47_960
	s_branch .LBB47_961
.LBB47_976:
	s_mov_b64 s[0:1], -1
                                        ; implicit-def: $vgpr4
	s_branch .LBB47_981
.LBB47_977:
	s_mov_b64 s[0:1], -1
                                        ; implicit-def: $vgpr4
.LBB47_978:
	s_and_b64 vcc, exec, s[0:1]
	s_cbranch_vccz .LBB47_980
; %bb.979:
	global_load_ubyte v4, v[2:3], off
	s_mov_b32 s0, 0x7f800000
	s_waitcnt vmcnt(0)
	v_lshlrev_b32_e32 v4, 24, v4
	v_and_b32_e32 v5, 0x7f000000, v4
	v_ffbh_u32_e32 v6, v5
	v_min_u32_e32 v6, 32, v6
	v_sub_u32_e64 v6, v6, 4 clamp
	v_lshlrev_b32_e32 v8, v6, v5
	v_lshlrev_b32_e32 v6, 23, v6
	v_lshrrev_b32_e32 v8, 4, v8
	v_add_u32_e32 v7, 0x1000000, v5
	v_sub_u32_e32 v6, v8, v6
	v_ashrrev_i32_e32 v7, 8, v7
	v_add_u32_e32 v6, 0x3c000000, v6
	v_and_or_b32 v6, v7, s0, v6
	v_cmp_ne_u32_e32 vcc, 0, v5
	v_cndmask_b32_e32 v5, 0, v6, vcc
	s_brev_b32 s0, 1
	v_and_or_b32 v4, v4, s0, v5
	v_cvt_i32_f32_e32 v4, v4
.LBB47_980:
	s_mov_b64 s[0:1], 0
.LBB47_981:
	s_andn2_b64 vcc, exec, s[0:1]
	s_cbranch_vccnz .LBB47_983
; %bb.982:
	global_load_ubyte v4, v[2:3], off
	s_movk_i32 s0, 0x7f00
	s_brev_b32 s1, 16
	s_waitcnt vmcnt(0)
	v_lshlrev_b16_e32 v5, 8, v4
	v_lshlrev_b32_e32 v4, 25, v4
	v_lshrrev_b32_e32 v6, 4, v4
	v_and_or_b32 v7, v5, s0, 0.5
	v_or_b32_e32 v6, 0x70000000, v6
	v_add_f32_e32 v7, -0.5, v7
	v_mul_f32_e32 v6, 0x7800000, v6
	v_cmp_gt_u32_e32 vcc, s1, v4
	v_bfe_i32 v5, v5, 0, 16
	v_cndmask_b32_e32 v4, v6, v7, vcc
	s_brev_b32 s0, 1
	v_and_or_b32 v4, v5, s0, v4
	v_cvt_i32_f32_e32 v4, v4
.LBB47_983:
	s_mov_b64 s[62:63], 0
	s_mov_b64 s[0:1], -1
.LBB47_984:
	s_andn2_b64 vcc, exec, s[62:63]
	s_cbranch_vccnz .LBB47_997
; %bb.985:
	s_cmp_gt_i32 s29, 14
	s_cbranch_scc0 .LBB47_988
; %bb.986:
	s_cmp_eq_u32 s29, 15
	s_cbranch_scc0 .LBB47_991
; %bb.987:
	global_load_ushort v4, v[2:3], off
	s_mov_b64 s[0:1], -1
	s_mov_b64 s[60:61], 0
	s_waitcnt vmcnt(0)
	v_lshlrev_b32_e32 v4, 16, v4
	v_cvt_i32_f32_e32 v4, v4
	s_branch .LBB47_992
.LBB47_988:
	s_mov_b64 s[62:63], -1
                                        ; implicit-def: $vgpr4
	s_branch .LBB47_993
.LBB47_989:
	s_andn2_saveexec_b64 s[0:1], s[0:1]
	s_cbranch_execz .LBB47_970
.LBB47_990:
	v_cmp_ne_u16_e32 vcc, 0, v5
	s_andn2_b64 s[62:63], s[62:63], exec
	s_and_b64 s[64:65], vcc, exec
	s_or_b64 s[62:63], s[62:63], s[64:65]
	s_or_b64 exec, exec, s[0:1]
	v_mov_b32_e32 v4, 0
	s_and_saveexec_b64 s[0:1], s[62:63]
	s_cbranch_execnz .LBB47_971
	s_branch .LBB47_972
.LBB47_991:
	s_mov_b64 s[60:61], -1
                                        ; implicit-def: $vgpr4
.LBB47_992:
	s_mov_b64 s[62:63], 0
.LBB47_993:
	s_and_b64 vcc, exec, s[62:63]
	s_cbranch_vccz .LBB47_997
; %bb.994:
	s_cmp_eq_u32 s29, 11
	s_cbranch_scc0 .LBB47_996
; %bb.995:
	global_load_ubyte v4, v[2:3], off
	s_mov_b64 s[0:1], -1
	s_mov_b64 s[60:61], 0
	s_waitcnt vmcnt(0)
	v_cmp_ne_u16_e32 vcc, 0, v4
	v_cndmask_b32_e64 v4, 0, 1, vcc
	s_branch .LBB47_997
.LBB47_996:
	s_mov_b64 s[60:61], -1
                                        ; implicit-def: $vgpr4
.LBB47_997:
	s_mov_b64 s[62:63], 0
.LBB47_998:
	s_and_b64 vcc, exec, s[62:63]
	s_cbranch_vccz .LBB47_1047
; %bb.999:
	s_and_b32 s14, 0xffff, s14
	s_cmp_lt_i32 s14, 5
	s_cbranch_scc1 .LBB47_1004
; %bb.1000:
	s_cmp_lt_i32 s14, 8
	s_cbranch_scc1 .LBB47_1005
; %bb.1001:
	;; [unrolled: 3-line block ×3, first 2 shown]
	s_cmp_gt_i32 s14, 9
	s_cbranch_scc0 .LBB47_1007
; %bb.1003:
	global_load_dwordx2 v[4:5], v[2:3], off
	s_mov_b64 s[0:1], 0
	s_waitcnt vmcnt(0)
	v_cvt_i32_f64_e32 v4, v[4:5]
	s_branch .LBB47_1008
.LBB47_1004:
	s_mov_b64 s[0:1], -1
                                        ; implicit-def: $vgpr4
	s_branch .LBB47_1026
.LBB47_1005:
	s_mov_b64 s[0:1], -1
                                        ; implicit-def: $vgpr4
	s_branch .LBB47_1014
.LBB47_1006:
	s_mov_b64 s[0:1], -1
                                        ; implicit-def: $vgpr4
	s_branch .LBB47_1011
.LBB47_1007:
	s_mov_b64 s[0:1], -1
                                        ; implicit-def: $vgpr4
.LBB47_1008:
	s_andn2_b64 vcc, exec, s[0:1]
	s_cbranch_vccnz .LBB47_1010
; %bb.1009:
	global_load_dword v4, v[2:3], off
	s_waitcnt vmcnt(0)
	v_cvt_i32_f32_e32 v4, v4
.LBB47_1010:
	s_mov_b64 s[0:1], 0
.LBB47_1011:
	s_andn2_b64 vcc, exec, s[0:1]
	s_cbranch_vccnz .LBB47_1013
; %bb.1012:
	global_load_dword v4, v[2:3], off
	s_waitcnt vmcnt(0)
	v_cvt_i16_f16_e32 v4, v4
.LBB47_1013:
	s_mov_b64 s[0:1], 0
.LBB47_1014:
	s_andn2_b64 vcc, exec, s[0:1]
	s_cbranch_vccnz .LBB47_1025
; %bb.1015:
	s_cmp_lt_i32 s14, 6
	s_cbranch_scc1 .LBB47_1018
; %bb.1016:
	s_cmp_gt_i32 s14, 6
	s_cbranch_scc0 .LBB47_1019
; %bb.1017:
	global_load_dwordx2 v[4:5], v[2:3], off
	s_mov_b64 s[0:1], 0
	s_waitcnt vmcnt(0)
	v_cvt_i32_f64_e32 v4, v[4:5]
	s_branch .LBB47_1020
.LBB47_1018:
	s_mov_b64 s[0:1], -1
                                        ; implicit-def: $vgpr4
	s_branch .LBB47_1023
.LBB47_1019:
	s_mov_b64 s[0:1], -1
                                        ; implicit-def: $vgpr4
.LBB47_1020:
	s_andn2_b64 vcc, exec, s[0:1]
	s_cbranch_vccnz .LBB47_1022
; %bb.1021:
	global_load_dword v4, v[2:3], off
	s_waitcnt vmcnt(0)
	v_cvt_i32_f32_e32 v4, v4
.LBB47_1022:
	s_mov_b64 s[0:1], 0
.LBB47_1023:
	s_andn2_b64 vcc, exec, s[0:1]
	s_cbranch_vccnz .LBB47_1025
; %bb.1024:
	global_load_ushort v4, v[2:3], off
	s_waitcnt vmcnt(0)
	v_cvt_i16_f16_e32 v4, v4
.LBB47_1025:
	s_mov_b64 s[0:1], 0
.LBB47_1026:
	s_andn2_b64 vcc, exec, s[0:1]
	s_cbranch_vccnz .LBB47_1046
; %bb.1027:
	s_cmp_lt_i32 s14, 2
	s_cbranch_scc1 .LBB47_1031
; %bb.1028:
	s_cmp_lt_i32 s14, 3
	s_cbranch_scc1 .LBB47_1032
; %bb.1029:
	s_cmp_gt_i32 s14, 3
	s_cbranch_scc0 .LBB47_1033
; %bb.1030:
	global_load_dwordx2 v[4:5], v[2:3], off
	s_mov_b64 s[0:1], 0
	s_branch .LBB47_1034
.LBB47_1031:
	s_mov_b64 s[0:1], -1
                                        ; implicit-def: $vgpr4
	s_branch .LBB47_1040
.LBB47_1032:
	s_mov_b64 s[0:1], -1
                                        ; implicit-def: $vgpr4
	s_branch .LBB47_1037
.LBB47_1033:
	s_mov_b64 s[0:1], -1
                                        ; implicit-def: $vgpr4
.LBB47_1034:
	s_andn2_b64 vcc, exec, s[0:1]
	s_cbranch_vccnz .LBB47_1036
; %bb.1035:
	global_load_dword v4, v[2:3], off
.LBB47_1036:
	s_mov_b64 s[0:1], 0
.LBB47_1037:
	s_andn2_b64 vcc, exec, s[0:1]
	s_cbranch_vccnz .LBB47_1039
; %bb.1038:
	global_load_ushort v4, v[2:3], off
.LBB47_1039:
	s_mov_b64 s[0:1], 0
.LBB47_1040:
	s_andn2_b64 vcc, exec, s[0:1]
	s_cbranch_vccnz .LBB47_1046
; %bb.1041:
	s_cmp_gt_i32 s14, 0
	s_cbranch_scc0 .LBB47_1043
; %bb.1042:
	global_load_ubyte v4, v[2:3], off
	s_mov_b64 s[0:1], 0
	s_branch .LBB47_1044
.LBB47_1043:
	s_mov_b64 s[0:1], -1
                                        ; implicit-def: $vgpr4
.LBB47_1044:
	s_andn2_b64 vcc, exec, s[0:1]
	s_cbranch_vccnz .LBB47_1046
; %bb.1045:
	global_load_ubyte v4, v[2:3], off
.LBB47_1046:
	s_mov_b64 s[0:1], -1
.LBB47_1047:
	s_andn2_b64 vcc, exec, s[0:1]
	s_cbranch_vccnz .LBB47_1055
; %bb.1048:
	v_mov_b32_e32 v2, s75
	v_cmp_gt_i16_sdwa vcc, sext(v1), s74 src0_sel:BYTE_0 src1_sel:DWORD
	s_waitcnt vmcnt(0)
	v_cndmask_b32_e32 v2, v2, v4, vcc
	v_mov_b32_e32 v1, s9
	s_and_b32 s14, s73, 0xff
	v_add_co_u32_e32 v0, vcc, s8, v0
	s_cmp_lt_i32 s14, 11
	v_addc_co_u32_e32 v1, vcc, 0, v1, vcc
	s_cbranch_scc1 .LBB47_1056
; %bb.1049:
	s_and_b32 s29, 0xffff, s14
	s_cmp_gt_i32 s29, 25
	s_cbranch_scc0 .LBB47_1057
; %bb.1050:
	s_cmp_gt_i32 s29, 28
	s_cbranch_scc0 .LBB47_1058
; %bb.1051:
	;; [unrolled: 3-line block ×4, first 2 shown]
	s_mov_b64 s[64:65], 0
	s_mov_b64 s[0:1], -1
	s_cmp_eq_u32 s29, 46
	s_mov_b64 s[62:63], 0
	s_cbranch_scc0 .LBB47_1061
; %bb.1054:
	v_bfe_i32 v3, v2, 0, 8
	v_cvt_f32_i32_sdwa v3, sext(v3) dst_sel:DWORD dst_unused:UNUSED_PAD src0_sel:WORD_0
	s_movk_i32 s0, 0x7fff
	s_mov_b64 s[62:63], -1
	v_bfe_u32 v4, v3, 16, 1
	v_add3_u32 v3, v3, v4, s0
	v_lshrrev_b32_e32 v3, 16, v3
	global_store_dword v[0:1], v3, off
	s_mov_b64 s[0:1], 0
	s_branch .LBB47_1061
.LBB47_1055:
	s_mov_b64 s[64:65], 0
                                        ; implicit-def: $vgpr10
	s_mov_b64 s[0:1], s[52:53]
	s_branch .LBB47_1171
.LBB47_1056:
	s_mov_b64 s[64:65], -1
	s_mov_b64 s[62:63], 0
	s_mov_b64 s[0:1], s[52:53]
	s_branch .LBB47_1130
.LBB47_1057:
	s_mov_b64 s[64:65], -1
	s_mov_b64 s[62:63], 0
	s_mov_b64 s[0:1], s[52:53]
	s_branch .LBB47_1088
.LBB47_1058:
	s_mov_b64 s[64:65], -1
	s_mov_b64 s[62:63], 0
	s_mov_b64 s[0:1], s[52:53]
	s_branch .LBB47_1071
.LBB47_1059:
	s_mov_b64 s[64:65], -1
	s_mov_b64 s[62:63], 0
	s_mov_b64 s[0:1], s[52:53]
	s_branch .LBB47_1067
.LBB47_1060:
	s_mov_b64 s[64:65], -1
	s_mov_b64 s[62:63], 0
	s_mov_b64 s[0:1], s[52:53]
.LBB47_1061:
	s_and_b64 vcc, exec, s[64:65]
	s_cbranch_vccz .LBB47_1066
; %bb.1062:
	s_cmp_eq_u32 s29, 44
	s_mov_b64 s[0:1], -1
	s_cbranch_scc0 .LBB47_1066
; %bb.1063:
	v_bfe_i32 v3, v2, 0, 8
	v_cvt_f32_i32_sdwa v3, sext(v3) dst_sel:DWORD dst_unused:UNUSED_PAD src0_sel:WORD_0
	s_movk_i32 s0, 0xff
	v_mov_b32_e32 v5, 0xff
	v_bfe_u32 v4, v3, 23, 8
	v_cmp_ne_u32_e32 vcc, s0, v4
	s_and_saveexec_b64 s[62:63], vcc
; %bb.1064:
	s_mov_b32 s0, 0x3fffff
	v_lshrrev_b32_e32 v5, 23, v3
	v_and_b32_e32 v6, 0x400000, v3
	v_and_or_b32 v3, v3, s0, v4
	v_cmp_ne_u32_e32 vcc, 0, v6
	v_cmp_ne_u32_e64 s[0:1], 0, v3
	s_and_b64 s[0:1], vcc, s[0:1]
	v_cndmask_b32_e64 v3, 0, 1, s[0:1]
	v_add_u32_e32 v5, v5, v3
; %bb.1065:
	s_or_b64 exec, exec, s[62:63]
	s_mov_b64 s[62:63], -1
	s_mov_b64 s[0:1], 0
	global_store_byte v[0:1], v5, off
.LBB47_1066:
	s_mov_b64 s[64:65], 0
.LBB47_1067:
	s_and_b64 vcc, exec, s[64:65]
	s_cbranch_vccz .LBB47_1070
; %bb.1068:
	s_cmp_eq_u32 s29, 29
	s_mov_b64 s[0:1], -1
	s_cbranch_scc0 .LBB47_1070
; %bb.1069:
	v_bfe_i32 v3, v2, 0, 8
	v_ashrrev_i32_e32 v4, 31, v3
	global_store_dwordx2 v[0:1], v[3:4], off
	s_mov_b64 s[62:63], -1
	s_mov_b64 s[0:1], 0
.LBB47_1070:
	s_mov_b64 s[64:65], 0
.LBB47_1071:
	s_and_b64 vcc, exec, s[64:65]
	s_cbranch_vccz .LBB47_1087
; %bb.1072:
	s_cmp_lt_i32 s29, 27
	s_mov_b64 s[62:63], -1
	s_cbranch_scc1 .LBB47_1078
; %bb.1073:
	s_cmp_gt_i32 s29, 27
	s_cbranch_scc0 .LBB47_1075
; %bb.1074:
	v_bfe_i32 v3, v2, 0, 8
	s_mov_b64 s[62:63], 0
	global_store_dword v[0:1], v3, off
.LBB47_1075:
	s_andn2_b64 vcc, exec, s[62:63]
	s_cbranch_vccnz .LBB47_1077
; %bb.1076:
	v_bfe_i32 v3, v2, 0, 8
	global_store_short v[0:1], v3, off
.LBB47_1077:
	s_mov_b64 s[62:63], 0
.LBB47_1078:
	s_andn2_b64 vcc, exec, s[62:63]
	s_cbranch_vccnz .LBB47_1086
; %bb.1079:
	v_bfe_i32 v3, v2, 0, 8
	v_cvt_f32_i32_sdwa v3, sext(v3) dst_sel:DWORD dst_unused:UNUSED_PAD src0_sel:WORD_0
	s_mov_b32 s62, 0x43800000
	v_mov_b32_e32 v5, 0x80
	v_and_b32_e32 v4, 0x7fffffff, v3
	v_cmp_gt_u32_e32 vcc, s62, v4
	s_and_saveexec_b64 s[62:63], vcc
	s_cbranch_execz .LBB47_1085
; %bb.1080:
	s_mov_b32 s64, 0x3bffffff
	v_cmp_lt_u32_e32 vcc, s64, v4
	s_mov_b64 s[64:65], 0
                                        ; implicit-def: $vgpr4
	s_and_saveexec_b64 s[66:67], vcc
	s_xor_b64 s[66:67], exec, s[66:67]
	s_cbranch_execz .LBB47_1199
; %bb.1081:
	v_bfe_u32 v4, v3, 20, 1
	s_mov_b32 s68, 0x487ffff
	v_add3_u32 v4, v3, v4, s68
	s_mov_b64 s[64:65], exec
	v_lshrrev_b32_e32 v4, 20, v4
	s_andn2_saveexec_b64 s[66:67], s[66:67]
	s_cbranch_execnz .LBB47_1200
.LBB47_1082:
	s_or_b64 exec, exec, s[66:67]
	v_mov_b32_e32 v5, 0
	s_and_saveexec_b64 s[66:67], s[64:65]
.LBB47_1083:
	v_lshrrev_b32_e32 v3, 24, v3
	s_movk_i32 s64, 0x80
	v_and_or_b32 v5, v3, s64, v4
.LBB47_1084:
	s_or_b64 exec, exec, s[66:67]
.LBB47_1085:
	s_or_b64 exec, exec, s[62:63]
	global_store_byte v[0:1], v5, off
.LBB47_1086:
	s_mov_b64 s[62:63], -1
.LBB47_1087:
	s_mov_b64 s[64:65], 0
.LBB47_1088:
	s_and_b64 vcc, exec, s[64:65]
	s_cbranch_vccz .LBB47_1129
; %bb.1089:
	s_cmp_gt_i32 s29, 22
	s_mov_b64 s[64:65], -1
	s_cbranch_scc0 .LBB47_1121
; %bb.1090:
	s_cmp_lt_i32 s29, 24
	s_mov_b64 s[62:63], -1
	s_cbranch_scc1 .LBB47_1110
; %bb.1091:
	s_cmp_gt_i32 s29, 24
	s_cbranch_scc0 .LBB47_1099
; %bb.1092:
	v_bfe_i32 v3, v2, 0, 8
	v_cvt_f32_i32_sdwa v3, sext(v3) dst_sel:DWORD dst_unused:UNUSED_PAD src0_sel:WORD_0
	s_mov_b32 s62, 0x47800000
	v_mov_b32_e32 v5, 0x80
	v_and_b32_e32 v4, 0x7fffffff, v3
	v_cmp_gt_u32_e32 vcc, s62, v4
	s_and_saveexec_b64 s[62:63], vcc
	s_cbranch_execz .LBB47_1098
; %bb.1093:
	s_mov_b32 s64, 0x37ffffff
	v_cmp_lt_u32_e32 vcc, s64, v4
	s_mov_b64 s[64:65], 0
                                        ; implicit-def: $vgpr4
	s_and_saveexec_b64 s[66:67], vcc
	s_xor_b64 s[66:67], exec, s[66:67]
	s_cbranch_execz .LBB47_2236
; %bb.1094:
	v_bfe_u32 v4, v3, 21, 1
	s_mov_b32 s68, 0x88fffff
	v_add3_u32 v4, v3, v4, s68
	s_mov_b64 s[64:65], exec
	v_lshrrev_b32_e32 v4, 21, v4
	s_andn2_saveexec_b64 s[66:67], s[66:67]
	s_cbranch_execnz .LBB47_2237
.LBB47_1095:
	s_or_b64 exec, exec, s[66:67]
	v_mov_b32_e32 v5, 0
	s_and_saveexec_b64 s[66:67], s[64:65]
.LBB47_1096:
	v_lshrrev_b32_e32 v3, 24, v3
	s_movk_i32 s64, 0x80
	v_and_or_b32 v5, v3, s64, v4
.LBB47_1097:
	s_or_b64 exec, exec, s[66:67]
.LBB47_1098:
	s_or_b64 exec, exec, s[62:63]
	s_mov_b64 s[62:63], 0
	global_store_byte v[0:1], v5, off
.LBB47_1099:
	s_and_b64 vcc, exec, s[62:63]
	s_cbranch_vccz .LBB47_1109
; %bb.1100:
	v_bfe_i32 v3, v2, 0, 8
	v_cvt_f32_i32_sdwa v3, sext(v3) dst_sel:DWORD dst_unused:UNUSED_PAD src0_sel:WORD_0
	s_mov_b32 s62, 0x43f00000
                                        ; implicit-def: $vgpr4
	v_and_b32_e32 v5, 0x7fffffff, v3
	v_cmp_gt_u32_e32 vcc, s62, v5
	s_and_saveexec_b64 s[62:63], vcc
	s_xor_b64 s[62:63], exec, s[62:63]
	s_cbranch_execz .LBB47_1106
; %bb.1101:
	s_mov_b32 s64, 0x3c7fffff
	v_cmp_lt_u32_e32 vcc, s64, v5
                                        ; implicit-def: $vgpr4
	s_and_saveexec_b64 s[64:65], vcc
	s_xor_b64 s[64:65], exec, s[64:65]
; %bb.1102:
	v_bfe_u32 v4, v3, 20, 1
	s_mov_b32 s66, 0x407ffff
	v_add3_u32 v4, v3, v4, s66
	v_lshrrev_b32_e32 v5, 20, v4
	v_and_b32_e32 v4, 0xff00000, v4
	s_mov_b32 s66, 0x7f00000
	v_mov_b32_e32 v6, 0x7e
	v_cmp_ne_u32_e32 vcc, s66, v4
	v_cndmask_b32_e32 v4, v6, v5, vcc
; %bb.1103:
	s_andn2_saveexec_b64 s[64:65], s[64:65]
; %bb.1104:
	s_mov_b32 s66, 0x46800000
	v_add_f32_e64 v4, |v3|, s66
; %bb.1105:
	s_or_b64 exec, exec, s[64:65]
                                        ; implicit-def: $vgpr5
.LBB47_1106:
	s_andn2_saveexec_b64 s[62:63], s[62:63]
; %bb.1107:
	s_mov_b32 s64, 0x7f800000
	v_mov_b32_e32 v4, 0x7e
	v_mov_b32_e32 v6, 0x7f
	v_cmp_lt_u32_e32 vcc, s64, v5
	v_cndmask_b32_e32 v4, v4, v6, vcc
; %bb.1108:
	s_or_b64 exec, exec, s[62:63]
	v_lshrrev_b32_e32 v3, 24, v3
	s_movk_i32 s62, 0x80
	v_and_or_b32 v3, v3, s62, v4
	global_store_byte v[0:1], v3, off
.LBB47_1109:
	s_mov_b64 s[62:63], 0
.LBB47_1110:
	s_andn2_b64 vcc, exec, s[62:63]
	s_cbranch_vccnz .LBB47_1120
; %bb.1111:
	v_bfe_i32 v3, v2, 0, 8
	v_cvt_f32_i32_sdwa v3, sext(v3) dst_sel:DWORD dst_unused:UNUSED_PAD src0_sel:WORD_0
	s_mov_b32 s62, 0x47800000
                                        ; implicit-def: $vgpr4
	v_and_b32_e32 v5, 0x7fffffff, v3
	v_cmp_gt_u32_e32 vcc, s62, v5
	s_and_saveexec_b64 s[62:63], vcc
	s_xor_b64 s[62:63], exec, s[62:63]
	s_cbranch_execz .LBB47_1117
; %bb.1112:
	s_mov_b32 s64, 0x387fffff
	v_cmp_lt_u32_e32 vcc, s64, v5
                                        ; implicit-def: $vgpr4
	s_and_saveexec_b64 s[64:65], vcc
	s_xor_b64 s[64:65], exec, s[64:65]
; %bb.1113:
	v_bfe_u32 v4, v3, 21, 1
	s_mov_b32 s66, 0x80fffff
	v_add3_u32 v4, v3, v4, s66
	v_lshrrev_b32_e32 v4, 21, v4
; %bb.1114:
	s_andn2_saveexec_b64 s[64:65], s[64:65]
; %bb.1115:
	s_mov_b32 s66, 0x43000000
	v_add_f32_e64 v4, |v3|, s66
; %bb.1116:
	s_or_b64 exec, exec, s[64:65]
                                        ; implicit-def: $vgpr5
.LBB47_1117:
	s_andn2_saveexec_b64 s[62:63], s[62:63]
; %bb.1118:
	s_mov_b32 s64, 0x7f800000
	v_mov_b32_e32 v4, 0x7c
	v_mov_b32_e32 v6, 0x7f
	v_cmp_lt_u32_e32 vcc, s64, v5
	v_cndmask_b32_e32 v4, v4, v6, vcc
; %bb.1119:
	s_or_b64 exec, exec, s[62:63]
	v_lshrrev_b32_e32 v3, 24, v3
	s_movk_i32 s62, 0x80
	v_and_or_b32 v3, v3, s62, v4
	global_store_byte v[0:1], v3, off
.LBB47_1120:
	s_mov_b64 s[64:65], 0
	s_mov_b64 s[62:63], -1
.LBB47_1121:
	s_andn2_b64 vcc, exec, s[64:65]
	s_cbranch_vccnz .LBB47_1129
; %bb.1122:
	s_cmp_gt_i32 s29, 14
	s_mov_b64 s[64:65], -1
	s_cbranch_scc0 .LBB47_1126
; %bb.1123:
	s_cmp_eq_u32 s29, 15
	s_mov_b64 s[0:1], -1
	s_cbranch_scc0 .LBB47_1125
; %bb.1124:
	v_bfe_i32 v3, v2, 0, 8
	v_cvt_f32_i32_sdwa v3, sext(v3) dst_sel:DWORD dst_unused:UNUSED_PAD src0_sel:WORD_0
	s_movk_i32 s0, 0x7fff
	s_mov_b64 s[62:63], -1
	v_bfe_u32 v4, v3, 16, 1
	v_add3_u32 v3, v3, v4, s0
	global_store_short_d16_hi v[0:1], v3, off
	s_mov_b64 s[0:1], 0
.LBB47_1125:
	s_mov_b64 s[64:65], 0
.LBB47_1126:
	s_and_b64 vcc, exec, s[64:65]
	s_cbranch_vccz .LBB47_1129
; %bb.1127:
	s_cmp_eq_u32 s29, 11
	s_mov_b64 s[0:1], -1
	s_cbranch_scc0 .LBB47_1129
; %bb.1128:
	v_mov_b32_e32 v3, 0
	v_cmp_ne_u16_sdwa s[0:1], v2, v3 src0_sel:BYTE_0 src1_sel:DWORD
	v_cndmask_b32_e64 v3, 0, 1, s[0:1]
	s_mov_b64 s[62:63], -1
	s_mov_b64 s[0:1], 0
	global_store_byte v[0:1], v3, off
.LBB47_1129:
	s_mov_b64 s[64:65], 0
.LBB47_1130:
	s_and_b64 vcc, exec, s[64:65]
	s_cbranch_vccz .LBB47_1169
; %bb.1131:
	s_and_b32 s14, 0xffff, s14
	s_cmp_lt_i32 s14, 5
	s_mov_b64 s[62:63], -1
	s_cbranch_scc1 .LBB47_1152
; %bb.1132:
	s_cmp_lt_i32 s14, 8
	s_cbranch_scc1 .LBB47_1142
; %bb.1133:
	s_cmp_lt_i32 s14, 9
	s_cbranch_scc1 .LBB47_1139
; %bb.1134:
	s_cmp_gt_i32 s14, 9
	s_cbranch_scc0 .LBB47_1136
; %bb.1135:
	v_bfe_i32 v3, v2, 0, 8
	v_bfe_i32 v3, v3, 0, 16
	v_cvt_f64_i32_e32 v[3:4], v3
	v_mov_b32_e32 v5, 0
	v_mov_b32_e32 v6, v5
	s_mov_b64 s[62:63], 0
	global_store_dwordx4 v[0:1], v[3:6], off
.LBB47_1136:
	s_andn2_b64 vcc, exec, s[62:63]
	s_cbranch_vccnz .LBB47_1138
; %bb.1137:
	v_bfe_i32 v3, v2, 0, 8
	v_cvt_f32_i32_sdwa v3, sext(v3) dst_sel:DWORD dst_unused:UNUSED_PAD src0_sel:WORD_0
	v_mov_b32_e32 v4, 0
	global_store_dwordx2 v[0:1], v[3:4], off
.LBB47_1138:
	s_mov_b64 s[62:63], 0
.LBB47_1139:
	s_andn2_b64 vcc, exec, s[62:63]
	s_cbranch_vccnz .LBB47_1141
; %bb.1140:
	v_cvt_f16_i16_sdwa v3, sext(v2) dst_sel:DWORD dst_unused:UNUSED_PAD src0_sel:BYTE_0
	global_store_dword v[0:1], v3, off
.LBB47_1141:
	s_mov_b64 s[62:63], 0
.LBB47_1142:
	s_andn2_b64 vcc, exec, s[62:63]
	s_cbranch_vccnz .LBB47_1151
; %bb.1143:
	s_cmp_lt_i32 s14, 6
	s_mov_b64 s[62:63], -1
	s_cbranch_scc1 .LBB47_1149
; %bb.1144:
	s_cmp_gt_i32 s14, 6
	s_cbranch_scc0 .LBB47_1146
; %bb.1145:
	v_bfe_i32 v3, v2, 0, 8
	v_bfe_i32 v3, v3, 0, 16
	v_cvt_f64_i32_e32 v[3:4], v3
	s_mov_b64 s[62:63], 0
	global_store_dwordx2 v[0:1], v[3:4], off
.LBB47_1146:
	s_andn2_b64 vcc, exec, s[62:63]
	s_cbranch_vccnz .LBB47_1148
; %bb.1147:
	v_bfe_i32 v3, v2, 0, 8
	v_cvt_f32_i32_sdwa v3, sext(v3) dst_sel:DWORD dst_unused:UNUSED_PAD src0_sel:WORD_0
	global_store_dword v[0:1], v3, off
.LBB47_1148:
	s_mov_b64 s[62:63], 0
.LBB47_1149:
	s_andn2_b64 vcc, exec, s[62:63]
	s_cbranch_vccnz .LBB47_1151
; %bb.1150:
	v_cvt_f16_i16_sdwa v3, sext(v2) dst_sel:DWORD dst_unused:UNUSED_PAD src0_sel:BYTE_0
	global_store_short v[0:1], v3, off
.LBB47_1151:
	s_mov_b64 s[62:63], 0
.LBB47_1152:
	s_andn2_b64 vcc, exec, s[62:63]
	s_cbranch_vccnz .LBB47_1168
; %bb.1153:
	s_cmp_lt_i32 s14, 2
	s_mov_b64 s[62:63], -1
	s_cbranch_scc1 .LBB47_1163
; %bb.1154:
	s_cmp_lt_i32 s14, 3
	s_cbranch_scc1 .LBB47_1160
; %bb.1155:
	s_cmp_gt_i32 s14, 3
	s_cbranch_scc0 .LBB47_1157
; %bb.1156:
	v_bfe_i32 v3, v2, 0, 8
	v_ashrrev_i32_e32 v4, 31, v3
	s_mov_b64 s[62:63], 0
	global_store_dwordx2 v[0:1], v[3:4], off
.LBB47_1157:
	s_andn2_b64 vcc, exec, s[62:63]
	s_cbranch_vccnz .LBB47_1159
; %bb.1158:
	v_bfe_i32 v3, v2, 0, 8
	global_store_dword v[0:1], v3, off
.LBB47_1159:
	s_mov_b64 s[62:63], 0
.LBB47_1160:
	s_andn2_b64 vcc, exec, s[62:63]
	s_cbranch_vccnz .LBB47_1162
; %bb.1161:
	v_bfe_i32 v3, v2, 0, 8
	global_store_short v[0:1], v3, off
.LBB47_1162:
	s_mov_b64 s[62:63], 0
.LBB47_1163:
	s_andn2_b64 vcc, exec, s[62:63]
	s_cbranch_vccnz .LBB47_1168
; %bb.1164:
	s_cmp_gt_i32 s14, 0
	s_mov_b64 s[62:63], -1
	s_cbranch_scc0 .LBB47_1166
; %bb.1165:
	s_mov_b64 s[62:63], 0
	global_store_byte v[0:1], v2, off
.LBB47_1166:
	s_andn2_b64 vcc, exec, s[62:63]
	s_cbranch_vccnz .LBB47_1168
; %bb.1167:
	global_store_byte v[0:1], v2, off
.LBB47_1168:
	s_mov_b64 s[62:63], -1
.LBB47_1169:
	s_andn2_b64 vcc, exec, s[62:63]
	s_cbranch_vccnz .LBB47_1181
; %bb.1170:
	v_add_u32_e32 v10, 0x80, v10
	s_mov_b64 s[64:65], -1
.LBB47_1171:
	s_andn2_b64 s[62:63], s[52:53], exec
	s_and_b64 s[0:1], s[0:1], exec
	s_or_b64 s[62:63], s[62:63], s[0:1]
	s_andn2_b64 s[0:1], s[50:51], exec
	s_and_b64 s[60:61], s[60:61], exec
	s_or_b64 s[60:61], s[0:1], s[60:61]
	;; [unrolled: 3-line block ×3, first 2 shown]
	s_orn2_b64 s[68:69], s[64:65], exec
.LBB47_1172:
	s_or_b64 exec, exec, s[56:57]
	s_mov_b64 s[64:65], 0
	s_mov_b64 s[58:59], 0
	;; [unrolled: 1-line block ×3, first 2 shown]
                                        ; implicit-def: $sgpr14
                                        ; implicit-def: $vgpr4_vgpr5
                                        ; implicit-def: $vgpr0
                                        ; implicit-def: $vgpr3
                                        ; implicit-def: $vgpr1
	s_and_saveexec_b64 s[56:57], s[68:69]
	s_cbranch_execz .LBB47_1263
; %bb.1173:
	v_cmp_gt_i32_e32 vcc, s70, v10
	s_mov_b64 s[68:69], s[0:1]
	s_mov_b64 s[70:71], 0
                                        ; implicit-def: $sgpr14
                                        ; implicit-def: $vgpr4_vgpr5
                                        ; implicit-def: $vgpr0
                                        ; implicit-def: $vgpr3
                                        ; implicit-def: $vgpr1
	s_and_saveexec_b64 s[58:59], vcc
	s_cbranch_execz .LBB47_1262
; %bb.1174:
	s_andn2_b64 vcc, exec, s[24:25]
	s_cbranch_vccnz .LBB47_1180
; %bb.1175:
	s_andn2_b64 vcc, exec, s[38:39]
	s_cbranch_vccnz .LBB47_1182
; %bb.1176:
	s_add_i32 s14, s76, 1
	s_and_b32 s14, s14, 30
	s_add_u32 s38, s2, 0xffffffe8
	s_addc_u32 s39, s3, -1
	v_mov_b32_e32 v3, 0
	s_waitcnt vmcnt(0)
	v_mov_b32_e32 v5, 0
	v_mov_b32_e32 v0, 0
	;; [unrolled: 1-line block ×3, first 2 shown]
.LBB47_1177:                            ; =>This Inner Loop Header: Depth=1
	s_load_dwordx4 s[64:67], s[38:39], 0x1c
	s_load_dwordx2 s[78:79], s[38:39], 0x2c
	s_load_dwordx2 s[80:81], s[38:39], 0xec
	s_load_dwordx4 s[68:71], s[38:39], 0xdc
	s_add_u32 s38, s38, 24
	s_waitcnt lgkmcnt(0)
	v_mul_hi_u32 v2, s65, v1
	s_addc_u32 s39, s39, 0
	s_add_i32 s14, s14, -2
	s_cmp_eq_u32 s14, 0
	v_add_u32_e32 v2, v1, v2
	v_lshrrev_b32_e32 v2, s66, v2
	v_mul_lo_u32 v4, v2, s64
	v_mul_hi_u32 v6, s78, v2
	v_sub_u32_e32 v4, v1, v4
	v_add_u32_e32 v1, v2, v6
	v_lshrrev_b32_e32 v1, s79, v1
	v_mul_lo_u32 v8, v1, s67
	v_mul_lo_u32 v6, v4, s68
	;; [unrolled: 1-line block ×4, first 2 shown]
	v_sub_u32_e32 v2, v2, v8
	v_mul_lo_u32 v8, v2, s71
	v_mul_lo_u32 v9, v2, s80
	;; [unrolled: 1-line block ×3, first 2 shown]
	v_add3_u32 v0, v6, v0, v8
	v_add3_u32 v5, v7, v5, v9
	v_add3_u32 v3, v4, v3, v2
	s_cbranch_scc0 .LBB47_1177
; %bb.1178:
	s_bitcmp1_b32 s76, 0
	s_cselect_b64 s[64:65], -1, 0
	s_and_b64 vcc, exec, s[64:65]
	s_cbranch_vccnz .LBB47_1183
; %bb.1179:
	s_load_dwordx2 s[64:65], s[38:39], 0x1c
	s_load_dword s14, s[38:39], 0x24
	s_load_dwordx2 s[66:67], s[38:39], 0xdc
	s_waitcnt lgkmcnt(0)
	v_mul_hi_u32 v2, s65, v1
	v_add_u32_e32 v2, v1, v2
	v_lshrrev_b32_e32 v2, s14, v2
	v_mul_lo_u32 v2, v2, s64
	s_load_dword s14, s[38:39], 0xe4
	v_sub_u32_e32 v2, v1, v2
	v_mad_u64_u32 v[0:1], s[38:39], v2, s66, v[0:1]
	v_mad_u64_u32 v[5:6], s[38:39], v2, s67, v[5:6]
	s_waitcnt lgkmcnt(0)
	v_mad_u64_u32 v[3:4], s[38:39], v2, s14, v[3:4]
	s_branch .LBB47_1183
.LBB47_1180:
	s_mov_b64 s[38:39], -1
                                        ; implicit-def: $vgpr0
                                        ; implicit-def: $vgpr5
                                        ; implicit-def: $vgpr3
	s_branch .LBB47_1184
.LBB47_1181:
	s_mov_b64 s[64:65], 0
	s_branch .LBB47_928
.LBB47_1182:
	v_mov_b32_e32 v0, 0
	s_waitcnt vmcnt(0)
	v_mov_b32_e32 v5, 0
	v_mov_b32_e32 v3, 0
.LBB47_1183:
	s_mov_b64 s[38:39], 0
.LBB47_1184:
	s_andn2_b64 vcc, exec, s[38:39]
	s_cbranch_vccnz .LBB47_1187
; %bb.1185:
	v_mul_hi_u32 v0, s17, v10
	s_andn2_b64 vcc, exec, s[36:37]
	v_add_u32_e32 v0, v10, v0
	s_waitcnt vmcnt(0)
	v_lshrrev_b32_e32 v1, s18, v0
	v_mul_lo_u32 v0, v1, s16
	v_sub_u32_e32 v2, v10, v0
	v_mul_lo_u32 v0, v2, s20
	v_mul_lo_u32 v5, v2, s21
	v_mul_lo_u32 v3, v2, s22
	s_cbranch_vccnz .LBB47_1187
; %bb.1186:
	v_mul_hi_u32 v2, s34, v1
	v_add_u32_e32 v2, v1, v2
	v_lshrrev_b32_e32 v2, s35, v2
	v_mul_lo_u32 v2, v2, s19
	v_sub_u32_e32 v2, v1, v2
	v_mad_u64_u32 v[0:1], s[16:17], v2, s23, v[0:1]
	v_mad_u64_u32 v[5:6], s[16:17], v2, s30, v[5:6]
	;; [unrolled: 1-line block ×3, first 2 shown]
.LBB47_1187:
	s_waitcnt vmcnt(0)
	v_mov_b32_e32 v1, s11
	s_and_b32 s14, s28, 0xff
	v_add_co_u32_e32 v4, vcc, s10, v5
	s_cmp_lt_i32 s14, 11
	v_addc_co_u32_e32 v5, vcc, 0, v1, vcc
	s_cbranch_scc1 .LBB47_1194
; %bb.1188:
	s_and_b32 s22, 0xffff, s14
	s_cmp_gt_i32 s22, 25
	s_mov_b64 s[16:17], 0
	s_cbranch_scc0 .LBB47_1195
; %bb.1189:
	s_cmp_gt_i32 s22, 28
	s_cbranch_scc0 .LBB47_1196
; %bb.1190:
	s_cmp_gt_i32 s22, 43
	;; [unrolled: 3-line block ×3, first 2 shown]
	s_cbranch_scc0 .LBB47_1198
; %bb.1192:
	s_cmp_eq_u32 s22, 46
	s_mov_b64 s[20:21], 0
	s_cbranch_scc0 .LBB47_1201
; %bb.1193:
	global_load_dword v1, v[4:5], off
	s_mov_b64 s[10:11], 0
	s_mov_b64 s[18:19], -1
	s_waitcnt vmcnt(0)
	v_lshlrev_b32_e32 v1, 16, v1
	v_cvt_i32_f32_e32 v1, v1
	s_branch .LBB47_1202
.LBB47_1194:
	s_mov_b64 s[20:21], -1
	s_mov_b64 s[18:19], 0
	s_mov_b64 s[16:17], 0
	;; [unrolled: 1-line block ×3, first 2 shown]
                                        ; implicit-def: $vgpr1
	s_branch .LBB47_1261
.LBB47_1195:
	s_mov_b64 s[20:21], -1
	s_mov_b64 s[18:19], 0
	s_mov_b64 s[10:11], s[0:1]
                                        ; implicit-def: $vgpr1
	s_branch .LBB47_1229
.LBB47_1196:
	s_mov_b64 s[20:21], -1
	s_mov_b64 s[18:19], 0
	s_mov_b64 s[10:11], s[0:1]
                                        ; implicit-def: $vgpr1
	s_branch .LBB47_1212
.LBB47_1197:
	s_mov_b64 s[20:21], -1
	s_mov_b64 s[18:19], 0
	s_mov_b64 s[10:11], s[0:1]
                                        ; implicit-def: $vgpr1
	s_branch .LBB47_1207
.LBB47_1198:
	s_mov_b64 s[20:21], -1
	s_mov_b64 s[18:19], 0
	s_mov_b64 s[10:11], s[0:1]
                                        ; implicit-def: $vgpr1
	s_branch .LBB47_1202
.LBB47_1199:
	s_andn2_saveexec_b64 s[66:67], s[66:67]
	s_cbranch_execz .LBB47_1082
.LBB47_1200:
	s_mov_b32 s68, 0x46000000
	v_add_f32_e64 v4, |v3|, s68
	v_and_b32_e32 v4, 0xff, v4
	v_cmp_ne_u32_e32 vcc, 0, v4
	s_andn2_b64 s[64:65], s[64:65], exec
	s_and_b64 s[68:69], vcc, exec
	s_or_b64 s[64:65], s[64:65], s[68:69]
	s_or_b64 exec, exec, s[66:67]
	v_mov_b32_e32 v5, 0
	s_and_saveexec_b64 s[66:67], s[64:65]
	s_cbranch_execnz .LBB47_1083
	s_branch .LBB47_1084
.LBB47_1201:
	s_mov_b64 s[10:11], -1
                                        ; implicit-def: $vgpr1
	s_mov_b64 s[18:19], 0
.LBB47_1202:
	s_and_b64 vcc, exec, s[20:21]
	s_cbranch_vccz .LBB47_1206
; %bb.1203:
	s_cmp_eq_u32 s22, 44
	s_cbranch_scc0 .LBB47_1205
; %bb.1204:
	global_load_ubyte v1, v[4:5], off
	s_mov_b64 s[10:11], 0
	s_mov_b64 s[18:19], -1
	s_waitcnt vmcnt(0)
	v_lshlrev_b32_e32 v2, 23, v1
	v_cvt_i32_f32_e32 v2, v2
	v_cmp_ne_u32_e32 vcc, 0, v1
	v_cndmask_b32_e32 v1, 0, v2, vcc
	s_branch .LBB47_1206
.LBB47_1205:
	s_mov_b64 s[10:11], -1
                                        ; implicit-def: $vgpr1
.LBB47_1206:
	s_mov_b64 s[20:21], 0
.LBB47_1207:
	s_and_b64 vcc, exec, s[20:21]
	s_cbranch_vccz .LBB47_1211
; %bb.1208:
	s_cmp_eq_u32 s22, 29
	s_cbranch_scc0 .LBB47_1210
; %bb.1209:
	global_load_dwordx2 v[1:2], v[4:5], off
	s_mov_b64 s[10:11], 0
	s_mov_b64 s[18:19], -1
	s_branch .LBB47_1211
.LBB47_1210:
	s_mov_b64 s[10:11], -1
                                        ; implicit-def: $vgpr1
.LBB47_1211:
	s_mov_b64 s[20:21], 0
.LBB47_1212:
	s_and_b64 vcc, exec, s[20:21]
	s_cbranch_vccz .LBB47_1228
; %bb.1213:
	s_cmp_lt_i32 s22, 27
	s_cbranch_scc1 .LBB47_1216
; %bb.1214:
	s_cmp_gt_i32 s22, 27
	s_cbranch_scc0 .LBB47_1217
; %bb.1215:
	global_load_dword v1, v[4:5], off
	s_mov_b64 s[18:19], 0
	s_branch .LBB47_1218
.LBB47_1216:
	s_mov_b64 s[18:19], -1
                                        ; implicit-def: $vgpr1
	s_branch .LBB47_1221
.LBB47_1217:
	s_mov_b64 s[18:19], -1
                                        ; implicit-def: $vgpr1
.LBB47_1218:
	s_andn2_b64 vcc, exec, s[18:19]
	s_cbranch_vccnz .LBB47_1220
; %bb.1219:
	global_load_ushort v1, v[4:5], off
.LBB47_1220:
	s_mov_b64 s[18:19], 0
.LBB47_1221:
	s_andn2_b64 vcc, exec, s[18:19]
	s_cbranch_vccnz .LBB47_1227
; %bb.1222:
	global_load_ubyte v2, v[4:5], off
	s_movk_i32 s18, 0x7f
	s_mov_b64 s[20:21], 0
	s_waitcnt vmcnt(0)
	v_cmp_lt_i16_e32 vcc, s18, v2
	s_and_saveexec_b64 s[18:19], vcc
	s_xor_b64 s[18:19], exec, s[18:19]
	s_cbranch_execz .LBB47_1239
; %bb.1223:
	s_movk_i32 s20, 0x80
	v_cmp_ne_u16_e32 vcc, s20, v2
	s_and_b64 s[20:21], vcc, exec
	s_andn2_saveexec_b64 s[18:19], s[18:19]
	s_cbranch_execnz .LBB47_1240
.LBB47_1224:
	s_or_b64 exec, exec, s[18:19]
	v_mov_b32_e32 v1, 0
	s_and_saveexec_b64 s[18:19], s[20:21]
	s_cbranch_execz .LBB47_1226
.LBB47_1225:
	v_lshlrev_b32_e32 v1, 24, v2
	v_and_b32_e32 v2, 0xffff, v2
	v_and_b32_e32 v6, 7, v2
	v_ffbh_u32_e32 v8, v6
	v_min_u32_e32 v8, 32, v8
	v_subrev_u32_e32 v9, 28, v8
	v_bfe_u32 v7, v2, 3, 4
	v_lshlrev_b32_e32 v2, v9, v2
	v_sub_u32_e32 v8, 29, v8
	v_and_b32_e32 v2, 7, v2
	v_cmp_eq_u32_e32 vcc, 0, v7
	v_cndmask_b32_e32 v7, v7, v8, vcc
	v_cndmask_b32_e32 v2, v6, v2, vcc
	v_mov_b32_e32 v6, 0x3b800000
	v_lshlrev_b32_e32 v2, 20, v2
	v_and_b32_e32 v1, 0x80000000, v1
	v_lshl_add_u32 v6, v7, 23, v6
	v_or3_b32 v1, v1, v6, v2
	v_cvt_i32_f32_e32 v1, v1
.LBB47_1226:
	s_or_b64 exec, exec, s[18:19]
.LBB47_1227:
	s_mov_b64 s[18:19], -1
.LBB47_1228:
	s_mov_b64 s[20:21], 0
.LBB47_1229:
	s_and_b64 vcc, exec, s[20:21]
	s_cbranch_vccz .LBB47_1260
; %bb.1230:
	s_cmp_gt_i32 s22, 22
	s_cbranch_scc0 .LBB47_1238
; %bb.1231:
	s_cmp_lt_i32 s22, 24
	s_cbranch_scc1 .LBB47_1241
; %bb.1232:
	s_cmp_gt_i32 s22, 24
	s_cbranch_scc0 .LBB47_1242
; %bb.1233:
	global_load_ubyte v2, v[4:5], off
	s_movk_i32 s16, 0x7f
	s_mov_b64 s[18:19], 0
	s_waitcnt vmcnt(0)
	v_cmp_lt_i16_e32 vcc, s16, v2
	s_and_saveexec_b64 s[16:17], vcc
	s_xor_b64 s[16:17], exec, s[16:17]
	s_cbranch_execz .LBB47_1254
; %bb.1234:
	s_movk_i32 s18, 0x80
	v_cmp_ne_u16_e32 vcc, s18, v2
	s_and_b64 s[18:19], vcc, exec
	s_andn2_saveexec_b64 s[16:17], s[16:17]
	s_cbranch_execnz .LBB47_1255
.LBB47_1235:
	s_or_b64 exec, exec, s[16:17]
	v_mov_b32_e32 v1, 0
	s_and_saveexec_b64 s[16:17], s[18:19]
	s_cbranch_execz .LBB47_1237
.LBB47_1236:
	v_lshlrev_b32_e32 v1, 24, v2
	v_and_b32_e32 v2, 0xffff, v2
	v_and_b32_e32 v6, 3, v2
	v_ffbh_u32_e32 v8, v6
	v_min_u32_e32 v8, 32, v8
	v_subrev_u32_e32 v9, 29, v8
	v_bfe_u32 v7, v2, 2, 5
	v_lshlrev_b32_e32 v2, v9, v2
	v_sub_u32_e32 v8, 30, v8
	v_and_b32_e32 v2, 3, v2
	v_cmp_eq_u32_e32 vcc, 0, v7
	v_cndmask_b32_e32 v7, v7, v8, vcc
	v_cndmask_b32_e32 v2, v6, v2, vcc
	v_mov_b32_e32 v6, 0x37800000
	v_lshlrev_b32_e32 v2, 21, v2
	v_and_b32_e32 v1, 0x80000000, v1
	v_lshl_add_u32 v6, v7, 23, v6
	v_or3_b32 v1, v1, v6, v2
	v_cvt_i32_f32_e32 v1, v1
.LBB47_1237:
	s_or_b64 exec, exec, s[16:17]
	s_mov_b64 s[16:17], 0
	s_branch .LBB47_1243
.LBB47_1238:
	s_mov_b64 s[16:17], -1
                                        ; implicit-def: $vgpr1
	s_branch .LBB47_1249
.LBB47_1239:
	s_andn2_saveexec_b64 s[18:19], s[18:19]
	s_cbranch_execz .LBB47_1224
.LBB47_1240:
	v_cmp_ne_u16_e32 vcc, 0, v2
	s_andn2_b64 s[20:21], s[20:21], exec
	s_and_b64 s[28:29], vcc, exec
	s_or_b64 s[20:21], s[20:21], s[28:29]
	s_or_b64 exec, exec, s[18:19]
	v_mov_b32_e32 v1, 0
	s_and_saveexec_b64 s[18:19], s[20:21]
	s_cbranch_execnz .LBB47_1225
	s_branch .LBB47_1226
.LBB47_1241:
	s_mov_b64 s[16:17], -1
                                        ; implicit-def: $vgpr1
	s_branch .LBB47_1246
.LBB47_1242:
	s_mov_b64 s[16:17], -1
                                        ; implicit-def: $vgpr1
.LBB47_1243:
	s_and_b64 vcc, exec, s[16:17]
	s_cbranch_vccz .LBB47_1245
; %bb.1244:
	global_load_ubyte v1, v[4:5], off
	s_mov_b32 s16, 0x7f800000
	s_waitcnt vmcnt(0)
	v_lshlrev_b32_e32 v1, 24, v1
	v_and_b32_e32 v2, 0x7f000000, v1
	v_ffbh_u32_e32 v6, v2
	v_min_u32_e32 v6, 32, v6
	v_sub_u32_e64 v6, v6, 4 clamp
	v_lshlrev_b32_e32 v8, v6, v2
	v_lshlrev_b32_e32 v6, 23, v6
	v_lshrrev_b32_e32 v8, 4, v8
	v_add_u32_e32 v7, 0x1000000, v2
	v_sub_u32_e32 v6, v8, v6
	v_ashrrev_i32_e32 v7, 8, v7
	v_add_u32_e32 v6, 0x3c000000, v6
	v_and_or_b32 v6, v7, s16, v6
	v_cmp_ne_u32_e32 vcc, 0, v2
	v_cndmask_b32_e32 v2, 0, v6, vcc
	s_brev_b32 s16, 1
	v_and_or_b32 v1, v1, s16, v2
	v_cvt_i32_f32_e32 v1, v1
.LBB47_1245:
	s_mov_b64 s[16:17], 0
.LBB47_1246:
	s_andn2_b64 vcc, exec, s[16:17]
	s_cbranch_vccnz .LBB47_1248
; %bb.1247:
	global_load_ubyte v1, v[4:5], off
	s_movk_i32 s16, 0x7f00
	s_brev_b32 s17, 16
	s_waitcnt vmcnt(0)
	v_lshlrev_b16_e32 v2, 8, v1
	v_lshlrev_b32_e32 v1, 25, v1
	v_lshrrev_b32_e32 v6, 4, v1
	v_and_or_b32 v7, v2, s16, 0.5
	v_or_b32_e32 v6, 0x70000000, v6
	v_add_f32_e32 v7, -0.5, v7
	v_mul_f32_e32 v6, 0x7800000, v6
	v_cmp_gt_u32_e32 vcc, s17, v1
	v_bfe_i32 v2, v2, 0, 16
	v_cndmask_b32_e32 v1, v6, v7, vcc
	s_brev_b32 s16, 1
	v_and_or_b32 v1, v2, s16, v1
	v_cvt_i32_f32_e32 v1, v1
.LBB47_1248:
	s_mov_b64 s[16:17], 0
	s_mov_b64 s[18:19], -1
.LBB47_1249:
	s_andn2_b64 vcc, exec, s[16:17]
	s_mov_b64 s[16:17], 0
	s_cbranch_vccnz .LBB47_1260
; %bb.1250:
	s_cmp_gt_i32 s22, 14
	s_cbranch_scc0 .LBB47_1253
; %bb.1251:
	s_cmp_eq_u32 s22, 15
	s_cbranch_scc0 .LBB47_1256
; %bb.1252:
	global_load_ushort v1, v[4:5], off
	s_mov_b64 s[10:11], 0
	s_mov_b64 s[18:19], -1
	s_waitcnt vmcnt(0)
	v_lshlrev_b32_e32 v1, 16, v1
	v_cvt_i32_f32_e32 v1, v1
	s_branch .LBB47_1257
.LBB47_1253:
	s_mov_b64 s[20:21], -1
                                        ; implicit-def: $vgpr1
	s_branch .LBB47_1258
.LBB47_1254:
	s_andn2_saveexec_b64 s[16:17], s[16:17]
	s_cbranch_execz .LBB47_1235
.LBB47_1255:
	v_cmp_ne_u16_e32 vcc, 0, v2
	s_andn2_b64 s[18:19], s[18:19], exec
	s_and_b64 s[20:21], vcc, exec
	s_or_b64 s[18:19], s[18:19], s[20:21]
	s_or_b64 exec, exec, s[16:17]
	v_mov_b32_e32 v1, 0
	s_and_saveexec_b64 s[16:17], s[18:19]
	s_cbranch_execnz .LBB47_1236
	s_branch .LBB47_1237
.LBB47_1256:
	s_mov_b64 s[10:11], -1
                                        ; implicit-def: $vgpr1
.LBB47_1257:
	s_mov_b64 s[20:21], 0
.LBB47_1258:
	s_and_b64 vcc, exec, s[20:21]
	s_cbranch_vccz .LBB47_1260
; %bb.1259:
	s_cmp_lg_u32 s22, 11
	s_cselect_b64 s[20:21], -1, 0
	s_andn2_b64 s[10:11], s[10:11], exec
	s_and_b64 s[20:21], s[20:21], exec
	s_mov_b64 s[16:17], -1
	s_or_b64 s[10:11], s[10:11], s[20:21]
.LBB47_1260:
	s_mov_b64 s[20:21], 0
.LBB47_1261:
	s_and_b64 s[64:65], s[16:17], exec
	s_andn2_b64 s[16:17], s[0:1], exec
	s_and_b64 s[10:11], s[10:11], exec
	s_and_b64 s[66:67], s[18:19], exec
	;; [unrolled: 1-line block ×3, first 2 shown]
	s_or_b64 s[68:69], s[16:17], s[10:11]
.LBB47_1262:
	s_or_b64 exec, exec, s[58:59]
	s_andn2_b64 s[0:1], s[0:1], exec
	s_and_b64 s[10:11], s[68:69], exec
	s_and_b64 s[66:67], s[66:67], exec
	s_and_b64 s[58:59], s[70:71], exec
	s_and_b64 s[64:65], s[64:65], exec
	s_or_b64 s[0:1], s[0:1], s[10:11]
.LBB47_1263:
	s_or_b64 exec, exec, s[56:57]
	s_andn2_b64 s[10:11], s[52:53], exec
	s_and_b64 s[16:17], s[62:63], exec
	s_or_b64 s[52:53], s[10:11], s[16:17]
	s_andn2_b64 s[10:11], s[50:51], exec
	s_and_b64 s[16:17], s[60:61], exec
	s_or_b64 s[50:51], s[10:11], s[16:17]
	s_andn2_b64 s[10:11], s[48:49], exec
	s_and_b64 s[0:1], s[0:1], exec
	s_and_b64 s[60:61], s[66:67], exec
	;; [unrolled: 1-line block ×4, first 2 shown]
	s_or_b64 s[48:49], s[10:11], s[0:1]
.LBB47_1264:
	s_or_b64 exec, exec, s[54:55]
	s_andn2_b64 s[0:1], s[40:41], exec
	s_and_b64 s[10:11], s[52:53], exec
	s_or_b64 s[40:41], s[0:1], s[10:11]
	s_andn2_b64 s[0:1], s[42:43], exec
	s_and_b64 s[10:11], s[50:51], exec
	s_or_b64 s[42:43], s[0:1], s[10:11]
	s_andn2_b64 s[0:1], s[44:45], exec
	s_and_b64 s[10:11], s[48:49], exec
	s_and_b64 s[52:53], s[60:61], exec
	s_and_b64 s[54:55], s[58:59], exec
	s_and_b64 s[50:51], s[56:57], exec
	s_or_b64 s[44:45], s[0:1], s[10:11]
	s_or_b64 exec, exec, s[46:47]
	s_mov_b64 s[10:11], 0
	s_and_saveexec_b64 s[0:1], s[44:45]
	s_cbranch_execz .LBB47_395
.LBB47_1265:
	s_mov_b64 s[10:11], exec
	s_andn2_b64 s[50:51], s[50:51], exec
	s_trap 2
	s_or_b64 exec, exec, s[0:1]
	s_and_saveexec_b64 s[0:1], s[50:51]
	s_xor_b64 s[0:1], exec, s[0:1]
	s_cbranch_execnz .LBB47_396
.LBB47_1266:
	s_or_b64 exec, exec, s[0:1]
	s_and_saveexec_b64 s[0:1], s[54:55]
	s_cbranch_execz .LBB47_1312
.LBB47_1267:
	s_sext_i32_i16 s16, s14
	s_cmp_lt_i32 s16, 5
	s_cbranch_scc1 .LBB47_1272
; %bb.1268:
	s_cmp_lt_i32 s16, 8
	s_cbranch_scc1 .LBB47_1273
; %bb.1269:
	;; [unrolled: 3-line block ×3, first 2 shown]
	s_cmp_gt_i32 s16, 9
	s_cbranch_scc0 .LBB47_1275
; %bb.1271:
	s_waitcnt vmcnt(0)
	global_load_dwordx2 v[1:2], v[4:5], off
	s_mov_b64 s[16:17], 0
	s_waitcnt vmcnt(0)
	v_cvt_i32_f64_e32 v1, v[1:2]
	s_branch .LBB47_1276
.LBB47_1272:
                                        ; implicit-def: $vgpr1
	s_branch .LBB47_1293
.LBB47_1273:
                                        ; implicit-def: $vgpr1
	s_branch .LBB47_1282
.LBB47_1274:
	s_mov_b64 s[16:17], -1
                                        ; implicit-def: $vgpr1
	s_branch .LBB47_1279
.LBB47_1275:
	s_mov_b64 s[16:17], -1
                                        ; implicit-def: $vgpr1
.LBB47_1276:
	s_andn2_b64 vcc, exec, s[16:17]
	s_cbranch_vccnz .LBB47_1278
; %bb.1277:
	s_waitcnt vmcnt(0)
	global_load_dword v1, v[4:5], off
	s_waitcnt vmcnt(0)
	v_cvt_i32_f32_e32 v1, v1
.LBB47_1278:
	s_mov_b64 s[16:17], 0
.LBB47_1279:
	s_andn2_b64 vcc, exec, s[16:17]
	s_cbranch_vccnz .LBB47_1281
; %bb.1280:
	s_waitcnt vmcnt(0)
	global_load_dword v1, v[4:5], off
	s_waitcnt vmcnt(0)
	v_cvt_i16_f16_e32 v1, v1
.LBB47_1281:
	s_cbranch_execnz .LBB47_1292
.LBB47_1282:
	s_sext_i32_i16 s16, s14
	s_cmp_lt_i32 s16, 6
	s_cbranch_scc1 .LBB47_1285
; %bb.1283:
	s_cmp_gt_i32 s16, 6
	s_cbranch_scc0 .LBB47_1286
; %bb.1284:
	s_waitcnt vmcnt(0)
	global_load_dwordx2 v[1:2], v[4:5], off
	s_mov_b64 s[16:17], 0
	s_waitcnt vmcnt(0)
	v_cvt_i32_f64_e32 v1, v[1:2]
	s_branch .LBB47_1287
.LBB47_1285:
	s_mov_b64 s[16:17], -1
                                        ; implicit-def: $vgpr1
	s_branch .LBB47_1290
.LBB47_1286:
	s_mov_b64 s[16:17], -1
                                        ; implicit-def: $vgpr1
.LBB47_1287:
	s_andn2_b64 vcc, exec, s[16:17]
	s_cbranch_vccnz .LBB47_1289
; %bb.1288:
	s_waitcnt vmcnt(0)
	global_load_dword v1, v[4:5], off
	s_waitcnt vmcnt(0)
	v_cvt_i32_f32_e32 v1, v1
.LBB47_1289:
	s_mov_b64 s[16:17], 0
.LBB47_1290:
	s_andn2_b64 vcc, exec, s[16:17]
	s_cbranch_vccnz .LBB47_1292
; %bb.1291:
	s_waitcnt vmcnt(0)
	global_load_ushort v1, v[4:5], off
	s_waitcnt vmcnt(0)
	v_cvt_i16_f16_e32 v1, v1
.LBB47_1292:
	s_cbranch_execnz .LBB47_1311
.LBB47_1293:
	s_sext_i32_i16 s16, s14
	s_cmp_lt_i32 s16, 2
	s_cbranch_scc1 .LBB47_1297
; %bb.1294:
	s_cmp_lt_i32 s16, 3
	s_cbranch_scc1 .LBB47_1298
; %bb.1295:
	s_cmp_gt_i32 s16, 3
	s_cbranch_scc0 .LBB47_1299
; %bb.1296:
	s_waitcnt vmcnt(0)
	global_load_dwordx2 v[1:2], v[4:5], off
	s_mov_b64 s[16:17], 0
	s_branch .LBB47_1300
.LBB47_1297:
                                        ; implicit-def: $vgpr1
	s_branch .LBB47_1306
.LBB47_1298:
	s_mov_b64 s[16:17], -1
                                        ; implicit-def: $vgpr1
	s_branch .LBB47_1303
.LBB47_1299:
	s_mov_b64 s[16:17], -1
                                        ; implicit-def: $vgpr1
.LBB47_1300:
	s_andn2_b64 vcc, exec, s[16:17]
	s_cbranch_vccnz .LBB47_1302
; %bb.1301:
	s_waitcnt vmcnt(0)
	global_load_dword v1, v[4:5], off
.LBB47_1302:
	s_mov_b64 s[16:17], 0
.LBB47_1303:
	s_andn2_b64 vcc, exec, s[16:17]
	s_cbranch_vccnz .LBB47_1305
; %bb.1304:
	s_waitcnt vmcnt(0)
	global_load_ushort v1, v[4:5], off
.LBB47_1305:
	s_cbranch_execnz .LBB47_1311
.LBB47_1306:
	s_sext_i32_i16 s14, s14
	s_cmp_gt_i32 s14, 0
	s_cbranch_scc0 .LBB47_1308
; %bb.1307:
	s_waitcnt vmcnt(0)
	global_load_ubyte v1, v[4:5], off
	s_mov_b64 s[16:17], 0
	s_branch .LBB47_1309
.LBB47_1308:
	s_mov_b64 s[16:17], -1
                                        ; implicit-def: $vgpr1
.LBB47_1309:
	s_andn2_b64 vcc, exec, s[16:17]
	s_cbranch_vccnz .LBB47_1311
; %bb.1310:
	s_waitcnt vmcnt(0)
	global_load_ubyte v1, v[4:5], off
.LBB47_1311:
	s_or_b64 s[52:53], s[52:53], exec
.LBB47_1312:
	s_or_b64 exec, exec, s[0:1]
	s_mov_b64 s[20:21], 0
	s_mov_b64 s[18:19], 0
	;; [unrolled: 1-line block ×3, first 2 shown]
                                        ; implicit-def: $sgpr22
                                        ; implicit-def: $vgpr4_vgpr5
                                        ; implicit-def: $vgpr6
	s_and_saveexec_b64 s[0:1], s[52:53]
	s_cbranch_execz .LBB47_1320
; %bb.1313:
	s_waitcnt vmcnt(0)
	v_mov_b32_e32 v2, s13
	s_and_b32 s22, s15, 0xff
	v_add_co_u32_e32 v4, vcc, s12, v3
	s_cmp_lt_i32 s22, 11
	v_addc_co_u32_e32 v5, vcc, 0, v2, vcc
	s_cbranch_scc1 .LBB47_1323
; %bb.1314:
	s_and_b32 s20, 0xffff, s22
	s_cmp_gt_i32 s20, 25
	s_mov_b64 s[14:15], 0
	s_cbranch_scc0 .LBB47_1324
; %bb.1315:
	s_cmp_gt_i32 s20, 28
	s_cbranch_scc0 .LBB47_1325
; %bb.1316:
	s_cmp_gt_i32 s20, 43
	;; [unrolled: 3-line block ×3, first 2 shown]
	s_cbranch_scc0 .LBB47_1327
; %bb.1318:
	s_cmp_eq_u32 s20, 46
	s_cbranch_scc0 .LBB47_1328
; %bb.1319:
	global_load_dword v2, v[4:5], off
	s_mov_b64 s[12:13], 0
	s_mov_b64 s[16:17], -1
	s_waitcnt vmcnt(0)
	v_lshlrev_b32_e32 v2, 16, v2
	v_cvt_i32_f32_e32 v6, v2
	s_branch .LBB47_1330
.LBB47_1320:
	s_or_b64 exec, exec, s[0:1]
	s_and_saveexec_b64 s[0:1], s[42:43]
	s_cbranch_execnz .LBB47_1389
.LBB47_1321:
	s_or_b64 exec, exec, s[0:1]
	s_and_saveexec_b64 s[0:1], s[20:21]
	s_xor_b64 s[0:1], exec, s[0:1]
	s_cbranch_execz .LBB47_1390
.LBB47_1322:
	s_waitcnt vmcnt(0)
	global_load_ubyte v2, v[4:5], off
	s_or_b64 s[16:17], s[16:17], exec
	s_waitcnt vmcnt(0)
	v_cmp_ne_u16_e32 vcc, 0, v2
	v_cndmask_b32_e64 v6, 0, 1, vcc
	s_or_b64 exec, exec, s[0:1]
	s_and_saveexec_b64 s[0:1], s[18:19]
	s_cbranch_execz .LBB47_1436
	s_branch .LBB47_1391
.LBB47_1323:
	s_mov_b64 s[18:19], -1
                                        ; implicit-def: $vgpr6
	s_mov_b64 s[14:15], 0
	s_mov_b64 s[12:13], s[42:43]
	s_branch .LBB47_1388
.LBB47_1324:
	s_mov_b64 s[12:13], s[42:43]
                                        ; implicit-def: $vgpr6
	s_cbranch_execnz .LBB47_1357
	s_branch .LBB47_1387
.LBB47_1325:
	s_mov_b64 s[18:19], -1
	s_mov_b64 s[12:13], s[42:43]
                                        ; implicit-def: $vgpr6
	s_branch .LBB47_1340
.LBB47_1326:
	s_mov_b64 s[18:19], -1
	s_mov_b64 s[12:13], s[42:43]
                                        ; implicit-def: $vgpr6
	s_branch .LBB47_1335
.LBB47_1327:
	s_mov_b64 s[18:19], -1
	s_mov_b64 s[12:13], s[42:43]
	s_branch .LBB47_1329
.LBB47_1328:
	s_mov_b64 s[12:13], -1
.LBB47_1329:
                                        ; implicit-def: $vgpr6
.LBB47_1330:
	s_and_b64 vcc, exec, s[18:19]
	s_cbranch_vccz .LBB47_1334
; %bb.1331:
	s_cmp_eq_u32 s20, 44
	s_cbranch_scc0 .LBB47_1333
; %bb.1332:
	global_load_ubyte v2, v[4:5], off
	s_mov_b64 s[12:13], 0
	s_mov_b64 s[16:17], -1
	s_waitcnt vmcnt(0)
	v_lshlrev_b32_e32 v3, 23, v2
	v_cvt_i32_f32_e32 v3, v3
	v_cmp_ne_u32_e32 vcc, 0, v2
	v_cndmask_b32_e32 v6, 0, v3, vcc
	s_branch .LBB47_1334
.LBB47_1333:
	s_mov_b64 s[12:13], -1
                                        ; implicit-def: $vgpr6
.LBB47_1334:
	s_mov_b64 s[18:19], 0
.LBB47_1335:
	s_and_b64 vcc, exec, s[18:19]
	s_cbranch_vccz .LBB47_1339
; %bb.1336:
	s_cmp_eq_u32 s20, 29
	s_cbranch_scc0 .LBB47_1338
; %bb.1337:
	global_load_dwordx2 v[6:7], v[4:5], off
	s_mov_b64 s[12:13], 0
	s_mov_b64 s[16:17], -1
	s_branch .LBB47_1339
.LBB47_1338:
	s_mov_b64 s[12:13], -1
                                        ; implicit-def: $vgpr6
.LBB47_1339:
	s_mov_b64 s[18:19], 0
.LBB47_1340:
	s_and_b64 vcc, exec, s[18:19]
	s_cbranch_vccz .LBB47_1356
; %bb.1341:
	s_cmp_lt_i32 s20, 27
	s_cbranch_scc1 .LBB47_1344
; %bb.1342:
	s_cmp_gt_i32 s20, 27
	s_cbranch_scc0 .LBB47_1345
; %bb.1343:
	global_load_dword v6, v[4:5], off
	s_mov_b64 s[16:17], 0
	s_branch .LBB47_1346
.LBB47_1344:
	s_mov_b64 s[16:17], -1
                                        ; implicit-def: $vgpr6
	s_branch .LBB47_1349
.LBB47_1345:
	s_mov_b64 s[16:17], -1
                                        ; implicit-def: $vgpr6
.LBB47_1346:
	s_andn2_b64 vcc, exec, s[16:17]
	s_cbranch_vccnz .LBB47_1348
; %bb.1347:
	global_load_ushort v6, v[4:5], off
.LBB47_1348:
	s_mov_b64 s[16:17], 0
.LBB47_1349:
	s_andn2_b64 vcc, exec, s[16:17]
	s_cbranch_vccnz .LBB47_1355
; %bb.1350:
	global_load_ubyte v2, v[4:5], off
	s_movk_i32 s16, 0x7f
	s_mov_b64 s[18:19], 0
	s_waitcnt vmcnt(0)
	v_cmp_lt_i16_e32 vcc, s16, v2
	s_and_saveexec_b64 s[16:17], vcc
	s_xor_b64 s[16:17], exec, s[16:17]
	s_cbranch_execz .LBB47_1366
; %bb.1351:
	s_movk_i32 s18, 0x80
	v_cmp_ne_u16_e32 vcc, s18, v2
	s_and_b64 s[18:19], vcc, exec
	s_andn2_saveexec_b64 s[16:17], s[16:17]
	s_cbranch_execnz .LBB47_1367
.LBB47_1352:
	s_or_b64 exec, exec, s[16:17]
	v_mov_b32_e32 v6, 0
	s_and_saveexec_b64 s[16:17], s[18:19]
	s_cbranch_execz .LBB47_1354
.LBB47_1353:
	v_lshlrev_b32_e32 v3, 24, v2
	v_and_b32_e32 v2, 0xffff, v2
	v_and_b32_e32 v6, 7, v2
	v_ffbh_u32_e32 v8, v6
	v_min_u32_e32 v8, 32, v8
	v_subrev_u32_e32 v9, 28, v8
	v_bfe_u32 v7, v2, 3, 4
	v_lshlrev_b32_e32 v2, v9, v2
	v_sub_u32_e32 v8, 29, v8
	v_and_b32_e32 v2, 7, v2
	v_cmp_eq_u32_e32 vcc, 0, v7
	v_cndmask_b32_e32 v7, v7, v8, vcc
	v_cndmask_b32_e32 v2, v6, v2, vcc
	v_mov_b32_e32 v6, 0x3b800000
	v_lshlrev_b32_e32 v2, 20, v2
	v_and_b32_e32 v3, 0x80000000, v3
	v_lshl_add_u32 v6, v7, 23, v6
	v_or3_b32 v2, v3, v6, v2
	v_cvt_i32_f32_e32 v6, v2
.LBB47_1354:
	s_or_b64 exec, exec, s[16:17]
.LBB47_1355:
	s_mov_b64 s[16:17], -1
.LBB47_1356:
	s_branch .LBB47_1387
.LBB47_1357:
	s_cmp_gt_i32 s20, 22
	s_cbranch_scc0 .LBB47_1365
; %bb.1358:
	s_cmp_lt_i32 s20, 24
	s_cbranch_scc1 .LBB47_1368
; %bb.1359:
	s_cmp_gt_i32 s20, 24
	s_cbranch_scc0 .LBB47_1369
; %bb.1360:
	global_load_ubyte v2, v[4:5], off
	s_movk_i32 s14, 0x7f
	s_mov_b64 s[16:17], 0
	s_waitcnt vmcnt(0)
	v_cmp_lt_i16_e32 vcc, s14, v2
	s_and_saveexec_b64 s[14:15], vcc
	s_xor_b64 s[14:15], exec, s[14:15]
	s_cbranch_execz .LBB47_1381
; %bb.1361:
	s_movk_i32 s16, 0x80
	v_cmp_ne_u16_e32 vcc, s16, v2
	s_and_b64 s[16:17], vcc, exec
	s_andn2_saveexec_b64 s[14:15], s[14:15]
	s_cbranch_execnz .LBB47_1382
.LBB47_1362:
	s_or_b64 exec, exec, s[14:15]
	v_mov_b32_e32 v6, 0
	s_and_saveexec_b64 s[14:15], s[16:17]
	s_cbranch_execz .LBB47_1364
.LBB47_1363:
	v_lshlrev_b32_e32 v3, 24, v2
	v_and_b32_e32 v2, 0xffff, v2
	v_and_b32_e32 v6, 3, v2
	v_ffbh_u32_e32 v8, v6
	v_min_u32_e32 v8, 32, v8
	v_subrev_u32_e32 v9, 29, v8
	v_bfe_u32 v7, v2, 2, 5
	v_lshlrev_b32_e32 v2, v9, v2
	v_sub_u32_e32 v8, 30, v8
	v_and_b32_e32 v2, 3, v2
	v_cmp_eq_u32_e32 vcc, 0, v7
	v_cndmask_b32_e32 v7, v7, v8, vcc
	v_cndmask_b32_e32 v2, v6, v2, vcc
	v_mov_b32_e32 v6, 0x37800000
	v_lshlrev_b32_e32 v2, 21, v2
	v_and_b32_e32 v3, 0x80000000, v3
	v_lshl_add_u32 v6, v7, 23, v6
	v_or3_b32 v2, v3, v6, v2
	v_cvt_i32_f32_e32 v6, v2
.LBB47_1364:
	s_or_b64 exec, exec, s[14:15]
	s_mov_b64 s[14:15], 0
	s_branch .LBB47_1370
.LBB47_1365:
	s_mov_b64 s[14:15], -1
                                        ; implicit-def: $vgpr6
	s_branch .LBB47_1376
.LBB47_1366:
	s_andn2_saveexec_b64 s[16:17], s[16:17]
	s_cbranch_execz .LBB47_1352
.LBB47_1367:
	v_cmp_ne_u16_e32 vcc, 0, v2
	s_andn2_b64 s[18:19], s[18:19], exec
	s_and_b64 s[28:29], vcc, exec
	s_or_b64 s[18:19], s[18:19], s[28:29]
	s_or_b64 exec, exec, s[16:17]
	v_mov_b32_e32 v6, 0
	s_and_saveexec_b64 s[16:17], s[18:19]
	s_cbranch_execnz .LBB47_1353
	s_branch .LBB47_1354
.LBB47_1368:
	s_mov_b64 s[14:15], -1
                                        ; implicit-def: $vgpr6
	s_branch .LBB47_1373
.LBB47_1369:
	s_mov_b64 s[14:15], -1
                                        ; implicit-def: $vgpr6
.LBB47_1370:
	s_and_b64 vcc, exec, s[14:15]
	s_cbranch_vccz .LBB47_1372
; %bb.1371:
	global_load_ubyte v2, v[4:5], off
	s_mov_b32 s14, 0x7f800000
	s_waitcnt vmcnt(0)
	v_lshlrev_b32_e32 v2, 24, v2
	v_and_b32_e32 v3, 0x7f000000, v2
	v_ffbh_u32_e32 v6, v3
	v_min_u32_e32 v6, 32, v6
	v_sub_u32_e64 v6, v6, 4 clamp
	v_lshlrev_b32_e32 v8, v6, v3
	v_lshlrev_b32_e32 v6, 23, v6
	v_lshrrev_b32_e32 v8, 4, v8
	v_add_u32_e32 v7, 0x1000000, v3
	v_sub_u32_e32 v6, v8, v6
	v_ashrrev_i32_e32 v7, 8, v7
	v_add_u32_e32 v6, 0x3c000000, v6
	v_and_or_b32 v6, v7, s14, v6
	v_cmp_ne_u32_e32 vcc, 0, v3
	v_cndmask_b32_e32 v3, 0, v6, vcc
	s_brev_b32 s14, 1
	v_and_or_b32 v2, v2, s14, v3
	v_cvt_i32_f32_e32 v6, v2
.LBB47_1372:
	s_mov_b64 s[14:15], 0
.LBB47_1373:
	s_andn2_b64 vcc, exec, s[14:15]
	s_cbranch_vccnz .LBB47_1375
; %bb.1374:
	global_load_ubyte v2, v[4:5], off
	s_movk_i32 s14, 0x7f00
	s_brev_b32 s15, 16
	s_waitcnt vmcnt(0)
	v_lshlrev_b16_e32 v3, 8, v2
	v_lshlrev_b32_e32 v2, 25, v2
	v_lshrrev_b32_e32 v6, 4, v2
	v_and_or_b32 v7, v3, s14, 0.5
	v_or_b32_e32 v6, 0x70000000, v6
	v_add_f32_e32 v7, -0.5, v7
	v_mul_f32_e32 v6, 0x7800000, v6
	v_cmp_gt_u32_e32 vcc, s15, v2
	v_bfe_i32 v3, v3, 0, 16
	v_cndmask_b32_e32 v2, v6, v7, vcc
	s_brev_b32 s14, 1
	v_and_or_b32 v2, v3, s14, v2
	v_cvt_i32_f32_e32 v6, v2
.LBB47_1375:
	s_mov_b64 s[14:15], 0
	s_mov_b64 s[16:17], -1
.LBB47_1376:
	s_andn2_b64 vcc, exec, s[14:15]
	s_mov_b64 s[14:15], 0
	s_cbranch_vccnz .LBB47_1387
; %bb.1377:
	s_cmp_gt_i32 s20, 14
	s_cbranch_scc0 .LBB47_1380
; %bb.1378:
	s_cmp_eq_u32 s20, 15
	s_cbranch_scc0 .LBB47_1383
; %bb.1379:
	global_load_ushort v2, v[4:5], off
	s_mov_b64 s[12:13], 0
	s_mov_b64 s[16:17], -1
	s_waitcnt vmcnt(0)
	v_lshlrev_b32_e32 v2, 16, v2
	v_cvt_i32_f32_e32 v6, v2
	s_branch .LBB47_1384
.LBB47_1380:
	s_mov_b64 s[18:19], -1
                                        ; implicit-def: $vgpr6
	s_branch .LBB47_1385
.LBB47_1381:
	s_andn2_saveexec_b64 s[14:15], s[14:15]
	s_cbranch_execz .LBB47_1362
.LBB47_1382:
	v_cmp_ne_u16_e32 vcc, 0, v2
	s_andn2_b64 s[16:17], s[16:17], exec
	s_and_b64 s[18:19], vcc, exec
	s_or_b64 s[16:17], s[16:17], s[18:19]
	s_or_b64 exec, exec, s[14:15]
	v_mov_b32_e32 v6, 0
	s_and_saveexec_b64 s[14:15], s[16:17]
	s_cbranch_execnz .LBB47_1363
	s_branch .LBB47_1364
.LBB47_1383:
	s_mov_b64 s[12:13], -1
                                        ; implicit-def: $vgpr6
.LBB47_1384:
	s_mov_b64 s[18:19], 0
.LBB47_1385:
	s_and_b64 vcc, exec, s[18:19]
	s_cbranch_vccz .LBB47_1387
; %bb.1386:
	s_cmp_lg_u32 s20, 11
	s_cselect_b64 s[18:19], -1, 0
	s_andn2_b64 s[12:13], s[12:13], exec
	s_and_b64 s[18:19], s[18:19], exec
	s_mov_b64 s[14:15], -1
	s_or_b64 s[12:13], s[12:13], s[18:19]
.LBB47_1387:
	s_mov_b64 s[18:19], 0
.LBB47_1388:
	s_and_b64 s[20:21], s[14:15], exec
	s_andn2_b64 s[14:15], s[42:43], exec
	s_and_b64 s[12:13], s[12:13], exec
	s_and_b64 s[16:17], s[16:17], exec
	;; [unrolled: 1-line block ×3, first 2 shown]
	s_or_b64 s[42:43], s[14:15], s[12:13]
	s_or_b64 exec, exec, s[0:1]
	s_and_saveexec_b64 s[0:1], s[42:43]
	s_cbranch_execz .LBB47_1321
.LBB47_1389:
	s_or_b64 s[10:11], s[10:11], exec
	s_andn2_b64 s[20:21], s[20:21], exec
	s_trap 2
	s_or_b64 exec, exec, s[0:1]
	s_and_saveexec_b64 s[0:1], s[20:21]
	s_xor_b64 s[0:1], exec, s[0:1]
	s_cbranch_execnz .LBB47_1322
.LBB47_1390:
	s_or_b64 exec, exec, s[0:1]
	s_and_saveexec_b64 s[0:1], s[18:19]
	s_cbranch_execz .LBB47_1436
.LBB47_1391:
	s_sext_i32_i16 s12, s22
	s_cmp_lt_i32 s12, 5
	s_cbranch_scc1 .LBB47_1396
; %bb.1392:
	s_cmp_lt_i32 s12, 8
	s_cbranch_scc1 .LBB47_1397
; %bb.1393:
	;; [unrolled: 3-line block ×3, first 2 shown]
	s_cmp_gt_i32 s12, 9
	s_cbranch_scc0 .LBB47_1399
; %bb.1395:
	s_waitcnt vmcnt(0)
	global_load_dwordx2 v[2:3], v[4:5], off
	s_mov_b64 s[12:13], 0
	s_waitcnt vmcnt(0)
	v_cvt_i32_f64_e32 v6, v[2:3]
	s_branch .LBB47_1400
.LBB47_1396:
                                        ; implicit-def: $vgpr6
	s_branch .LBB47_1417
.LBB47_1397:
                                        ; implicit-def: $vgpr6
	s_branch .LBB47_1406
.LBB47_1398:
	s_mov_b64 s[12:13], -1
                                        ; implicit-def: $vgpr6
	s_branch .LBB47_1403
.LBB47_1399:
	s_mov_b64 s[12:13], -1
                                        ; implicit-def: $vgpr6
.LBB47_1400:
	s_andn2_b64 vcc, exec, s[12:13]
	s_cbranch_vccnz .LBB47_1402
; %bb.1401:
	s_waitcnt vmcnt(0)
	global_load_dword v2, v[4:5], off
	s_waitcnt vmcnt(0)
	v_cvt_i32_f32_e32 v6, v2
.LBB47_1402:
	s_mov_b64 s[12:13], 0
.LBB47_1403:
	s_andn2_b64 vcc, exec, s[12:13]
	s_cbranch_vccnz .LBB47_1405
; %bb.1404:
	s_waitcnt vmcnt(0)
	global_load_dword v2, v[4:5], off
	s_waitcnt vmcnt(0)
	v_cvt_i16_f16_e32 v6, v2
.LBB47_1405:
	s_cbranch_execnz .LBB47_1416
.LBB47_1406:
	s_sext_i32_i16 s12, s22
	s_cmp_lt_i32 s12, 6
	s_cbranch_scc1 .LBB47_1409
; %bb.1407:
	s_cmp_gt_i32 s12, 6
	s_cbranch_scc0 .LBB47_1410
; %bb.1408:
	s_waitcnt vmcnt(0)
	global_load_dwordx2 v[2:3], v[4:5], off
	s_mov_b64 s[12:13], 0
	s_waitcnt vmcnt(0)
	v_cvt_i32_f64_e32 v6, v[2:3]
	s_branch .LBB47_1411
.LBB47_1409:
	s_mov_b64 s[12:13], -1
                                        ; implicit-def: $vgpr6
	s_branch .LBB47_1414
.LBB47_1410:
	s_mov_b64 s[12:13], -1
                                        ; implicit-def: $vgpr6
.LBB47_1411:
	s_andn2_b64 vcc, exec, s[12:13]
	s_cbranch_vccnz .LBB47_1413
; %bb.1412:
	s_waitcnt vmcnt(0)
	global_load_dword v2, v[4:5], off
	s_waitcnt vmcnt(0)
	v_cvt_i32_f32_e32 v6, v2
.LBB47_1413:
	s_mov_b64 s[12:13], 0
.LBB47_1414:
	s_andn2_b64 vcc, exec, s[12:13]
	s_cbranch_vccnz .LBB47_1416
; %bb.1415:
	s_waitcnt vmcnt(0)
	global_load_ushort v2, v[4:5], off
	s_waitcnt vmcnt(0)
	v_cvt_i16_f16_e32 v6, v2
.LBB47_1416:
	s_cbranch_execnz .LBB47_1435
.LBB47_1417:
	s_sext_i32_i16 s12, s22
	s_cmp_lt_i32 s12, 2
	s_cbranch_scc1 .LBB47_1421
; %bb.1418:
	s_cmp_lt_i32 s12, 3
	s_cbranch_scc1 .LBB47_1422
; %bb.1419:
	s_cmp_gt_i32 s12, 3
	s_cbranch_scc0 .LBB47_1423
; %bb.1420:
	s_waitcnt vmcnt(0)
	global_load_dwordx2 v[6:7], v[4:5], off
	s_mov_b64 s[12:13], 0
	s_branch .LBB47_1424
.LBB47_1421:
                                        ; implicit-def: $vgpr6
	s_branch .LBB47_1430
.LBB47_1422:
	s_mov_b64 s[12:13], -1
                                        ; implicit-def: $vgpr6
	s_branch .LBB47_1427
.LBB47_1423:
	s_mov_b64 s[12:13], -1
                                        ; implicit-def: $vgpr6
.LBB47_1424:
	s_andn2_b64 vcc, exec, s[12:13]
	s_cbranch_vccnz .LBB47_1426
; %bb.1425:
	s_waitcnt vmcnt(0)
	global_load_dword v6, v[4:5], off
.LBB47_1426:
	s_mov_b64 s[12:13], 0
.LBB47_1427:
	s_andn2_b64 vcc, exec, s[12:13]
	s_cbranch_vccnz .LBB47_1429
; %bb.1428:
	s_waitcnt vmcnt(0)
	global_load_ushort v6, v[4:5], off
.LBB47_1429:
	s_cbranch_execnz .LBB47_1435
.LBB47_1430:
	s_sext_i32_i16 s12, s22
	s_cmp_gt_i32 s12, 0
	s_cbranch_scc0 .LBB47_1432
; %bb.1431:
	s_waitcnt vmcnt(0)
	global_load_ubyte v6, v[4:5], off
	s_mov_b64 s[12:13], 0
	s_branch .LBB47_1433
.LBB47_1432:
	s_mov_b64 s[12:13], -1
                                        ; implicit-def: $vgpr6
.LBB47_1433:
	s_andn2_b64 vcc, exec, s[12:13]
	s_cbranch_vccnz .LBB47_1435
; %bb.1434:
	s_waitcnt vmcnt(0)
	global_load_ubyte v6, v[4:5], off
.LBB47_1435:
	s_or_b64 s[16:17], s[16:17], exec
.LBB47_1436:
	s_or_b64 exec, exec, s[0:1]
	s_mov_b64 s[18:19], 0
	s_mov_b64 s[14:15], 0
                                        ; implicit-def: $sgpr20
                                        ; implicit-def: $vgpr2_vgpr3
                                        ; implicit-def: $vgpr4
	s_and_saveexec_b64 s[12:13], s[16:17]
	s_cbranch_execz .LBB47_1444
; %bb.1437:
	s_waitcnt vmcnt(0)
	v_mov_b32_e32 v2, s75
	v_cmp_gt_i16_sdwa vcc, sext(v1), s74 src0_sel:BYTE_0 src1_sel:DWORD
	v_cndmask_b32_e32 v4, v2, v6, vcc
	v_mov_b32_e32 v1, s9
	s_and_b32 s20, s73, 0xff
	v_add_co_u32_e32 v2, vcc, s8, v0
	s_cmp_lt_i32 s20, 11
	v_addc_co_u32_e32 v3, vcc, 0, v1, vcc
	s_cbranch_scc1 .LBB47_1447
; %bb.1438:
	s_and_b32 s21, 0xffff, s20
	s_mov_b64 s[14:15], -1
	s_cmp_gt_i32 s21, 25
	s_mov_b64 s[0:1], s[40:41]
	s_cbranch_scc0 .LBB47_1475
; %bb.1439:
	s_mov_b64 s[8:9], -1
	s_cmp_gt_i32 s21, 28
	s_mov_b64 s[0:1], s[40:41]
	s_cbranch_scc0 .LBB47_1459
; %bb.1440:
	s_cmp_gt_i32 s21, 43
	s_mov_b64 s[0:1], s[40:41]
	s_cbranch_scc0 .LBB47_1455
; %bb.1441:
	;; [unrolled: 4-line block ×3, first 2 shown]
	s_cmp_eq_u32 s21, 46
	s_mov_b64 s[0:1], -1
	s_cbranch_scc0 .LBB47_1448
; %bb.1443:
	v_bfe_i32 v0, v4, 0, 8
	v_cvt_f32_i32_sdwa v0, sext(v0) dst_sel:DWORD dst_unused:UNUSED_PAD src0_sel:WORD_0
	s_movk_i32 s0, 0x7fff
	s_mov_b64 s[8:9], 0
	v_bfe_u32 v1, v0, 16, 1
	v_add3_u32 v0, v0, v1, s0
	v_lshrrev_b32_e32 v0, 16, v0
	global_store_dword v[2:3], v0, off
	s_mov_b64 s[0:1], 0
	s_branch .LBB47_1449
.LBB47_1444:
	s_or_b64 exec, exec, s[12:13]
	s_and_saveexec_b64 s[0:1], s[40:41]
	s_cbranch_execnz .LBB47_1517
.LBB47_1445:
	s_or_b64 exec, exec, s[0:1]
	s_and_saveexec_b64 s[0:1], s[18:19]
	s_xor_b64 s[0:1], exec, s[0:1]
	s_cbranch_execz .LBB47_1518
.LBB47_1446:
	v_mov_b32_e32 v0, 0
	s_waitcnt vmcnt(0)
	v_cmp_ne_u16_sdwa s[8:9], v4, v0 src0_sel:BYTE_0 src1_sel:DWORD
	v_cndmask_b32_e64 v0, 0, 1, s[8:9]
	global_store_byte v[2:3], v0, off
	s_or_b64 exec, exec, s[0:1]
	s_and_saveexec_b64 s[0:1], s[14:15]
	s_xor_b64 s[0:1], exec, s[0:1]
	s_cbranch_execz .LBB47_1556
	s_branch .LBB47_1519
.LBB47_1447:
	s_mov_b64 s[16:17], 0
	s_mov_b64 s[8:9], -1
	s_mov_b64 s[0:1], s[40:41]
	s_branch .LBB47_1516
.LBB47_1448:
	s_mov_b64 s[8:9], 0
.LBB47_1449:
	s_and_b64 vcc, exec, s[8:9]
	s_cbranch_vccz .LBB47_1454
; %bb.1450:
	s_cmp_eq_u32 s21, 44
	s_mov_b64 s[0:1], -1
	s_cbranch_scc0 .LBB47_1454
; %bb.1451:
	v_bfe_i32 v0, v4, 0, 8
	v_cvt_f32_i32_sdwa v0, sext(v0) dst_sel:DWORD dst_unused:UNUSED_PAD src0_sel:WORD_0
	s_movk_i32 s0, 0xff
	v_mov_b32_e32 v5, 0xff
	v_bfe_u32 v1, v0, 23, 8
	v_cmp_ne_u32_e32 vcc, s0, v1
	s_and_saveexec_b64 s[8:9], vcc
; %bb.1452:
	s_mov_b32 s0, 0x3fffff
	v_lshrrev_b32_e32 v5, 23, v0
	v_and_b32_e32 v6, 0x400000, v0
	v_and_or_b32 v0, v0, s0, v1
	v_cmp_ne_u32_e32 vcc, 0, v6
	v_cmp_ne_u32_e64 s[0:1], 0, v0
	s_and_b64 s[0:1], vcc, s[0:1]
	v_cndmask_b32_e64 v0, 0, 1, s[0:1]
	v_add_u32_e32 v5, v5, v0
; %bb.1453:
	s_or_b64 exec, exec, s[8:9]
	s_mov_b64 s[0:1], 0
	global_store_byte v[2:3], v5, off
.LBB47_1454:
	s_mov_b64 s[8:9], 0
.LBB47_1455:
	s_and_b64 vcc, exec, s[8:9]
	s_cbranch_vccz .LBB47_1458
; %bb.1456:
	s_cmp_eq_u32 s21, 29
	s_mov_b64 s[0:1], -1
	s_cbranch_scc0 .LBB47_1458
; %bb.1457:
	v_bfe_i32 v0, v4, 0, 8
	v_ashrrev_i32_e32 v1, 31, v0
	global_store_dwordx2 v[2:3], v[0:1], off
	s_mov_b64 s[0:1], 0
.LBB47_1458:
	s_mov_b64 s[8:9], 0
.LBB47_1459:
	s_and_b64 vcc, exec, s[8:9]
	s_cbranch_vccz .LBB47_1474
; %bb.1460:
	s_cmp_lt_i32 s21, 27
	s_mov_b64 s[8:9], -1
	s_cbranch_scc1 .LBB47_1466
; %bb.1461:
	s_cmp_gt_i32 s21, 27
	s_cbranch_scc0 .LBB47_1463
; %bb.1462:
	v_bfe_i32 v0, v4, 0, 8
	s_mov_b64 s[8:9], 0
	global_store_dword v[2:3], v0, off
.LBB47_1463:
	s_andn2_b64 vcc, exec, s[8:9]
	s_cbranch_vccnz .LBB47_1465
; %bb.1464:
	v_bfe_i32 v0, v4, 0, 8
	global_store_short v[2:3], v0, off
.LBB47_1465:
	s_mov_b64 s[8:9], 0
.LBB47_1466:
	s_andn2_b64 vcc, exec, s[8:9]
	s_cbranch_vccnz .LBB47_1474
; %bb.1467:
	v_bfe_i32 v0, v4, 0, 8
	v_cvt_f32_i32_sdwa v0, sext(v0) dst_sel:DWORD dst_unused:UNUSED_PAD src0_sel:WORD_0
	s_mov_b32 s8, 0x43800000
	v_mov_b32_e32 v5, 0x80
	v_and_b32_e32 v1, 0x7fffffff, v0
	v_cmp_gt_u32_e32 vcc, s8, v1
	s_and_saveexec_b64 s[8:9], vcc
	s_cbranch_execz .LBB47_1473
; %bb.1468:
	s_mov_b32 s14, 0x3bffffff
	v_cmp_lt_u32_e32 vcc, s14, v1
	s_mov_b64 s[14:15], 0
                                        ; implicit-def: $vgpr1
	s_and_saveexec_b64 s[16:17], vcc
	s_xor_b64 s[16:17], exec, s[16:17]
	s_cbranch_execz .LBB47_1615
; %bb.1469:
	v_bfe_u32 v1, v0, 20, 1
	s_mov_b32 s18, 0x487ffff
	v_add3_u32 v1, v0, v1, s18
	s_mov_b64 s[14:15], exec
	v_lshrrev_b32_e32 v1, 20, v1
	s_andn2_saveexec_b64 s[16:17], s[16:17]
	s_cbranch_execnz .LBB47_1616
.LBB47_1470:
	s_or_b64 exec, exec, s[16:17]
	v_mov_b32_e32 v5, 0
	s_and_saveexec_b64 s[16:17], s[14:15]
.LBB47_1471:
	v_lshrrev_b32_e32 v0, 24, v0
	s_movk_i32 s14, 0x80
	v_and_or_b32 v5, v0, s14, v1
.LBB47_1472:
	s_or_b64 exec, exec, s[16:17]
.LBB47_1473:
	s_or_b64 exec, exec, s[8:9]
	global_store_byte v[2:3], v5, off
.LBB47_1474:
	s_mov_b64 s[14:15], 0
.LBB47_1475:
	s_mov_b64 s[8:9], 0
	s_and_b64 vcc, exec, s[14:15]
	s_cbranch_vccz .LBB47_1515
; %bb.1476:
	s_cmp_gt_i32 s21, 22
	s_mov_b64 s[14:15], -1
	s_cbranch_scc0 .LBB47_1508
; %bb.1477:
	s_cmp_lt_i32 s21, 24
	s_cbranch_scc1 .LBB47_1497
; %bb.1478:
	s_cmp_gt_i32 s21, 24
	s_cbranch_scc0 .LBB47_1486
; %bb.1479:
	v_bfe_i32 v0, v4, 0, 8
	v_cvt_f32_i32_sdwa v0, sext(v0) dst_sel:DWORD dst_unused:UNUSED_PAD src0_sel:WORD_0
	s_mov_b32 s14, 0x47800000
	v_mov_b32_e32 v5, 0x80
	v_and_b32_e32 v1, 0x7fffffff, v0
	v_cmp_gt_u32_e32 vcc, s14, v1
	s_and_saveexec_b64 s[14:15], vcc
	s_cbranch_execz .LBB47_1485
; %bb.1480:
	s_mov_b32 s16, 0x37ffffff
	v_cmp_lt_u32_e32 vcc, s16, v1
	s_mov_b64 s[16:17], 0
                                        ; implicit-def: $vgpr1
	s_and_saveexec_b64 s[18:19], vcc
	s_xor_b64 s[18:19], exec, s[18:19]
	s_cbranch_execz .LBB47_1735
; %bb.1481:
	v_bfe_u32 v1, v0, 21, 1
	s_mov_b32 s22, 0x88fffff
	v_add3_u32 v1, v0, v1, s22
	s_mov_b64 s[16:17], exec
	v_lshrrev_b32_e32 v1, 21, v1
	s_andn2_saveexec_b64 s[18:19], s[18:19]
	s_cbranch_execnz .LBB47_1736
.LBB47_1482:
	s_or_b64 exec, exec, s[18:19]
	v_mov_b32_e32 v5, 0
	s_and_saveexec_b64 s[18:19], s[16:17]
.LBB47_1483:
	v_lshrrev_b32_e32 v0, 24, v0
	s_movk_i32 s16, 0x80
	v_and_or_b32 v5, v0, s16, v1
.LBB47_1484:
	s_or_b64 exec, exec, s[18:19]
.LBB47_1485:
	s_or_b64 exec, exec, s[14:15]
	s_mov_b64 s[14:15], 0
	global_store_byte v[2:3], v5, off
.LBB47_1486:
	s_and_b64 vcc, exec, s[14:15]
	s_cbranch_vccz .LBB47_1496
; %bb.1487:
	v_bfe_i32 v0, v4, 0, 8
	v_cvt_f32_i32_sdwa v0, sext(v0) dst_sel:DWORD dst_unused:UNUSED_PAD src0_sel:WORD_0
	s_mov_b32 s14, 0x43f00000
                                        ; implicit-def: $vgpr1
	v_and_b32_e32 v5, 0x7fffffff, v0
	v_cmp_gt_u32_e32 vcc, s14, v5
	s_and_saveexec_b64 s[14:15], vcc
	s_xor_b64 s[14:15], exec, s[14:15]
	s_cbranch_execz .LBB47_1493
; %bb.1488:
	s_mov_b32 s16, 0x3c7fffff
	v_cmp_lt_u32_e32 vcc, s16, v5
                                        ; implicit-def: $vgpr1
	s_and_saveexec_b64 s[16:17], vcc
	s_xor_b64 s[16:17], exec, s[16:17]
; %bb.1489:
	v_bfe_u32 v1, v0, 20, 1
	s_mov_b32 s18, 0x407ffff
	v_add3_u32 v1, v0, v1, s18
	v_lshrrev_b32_e32 v5, 20, v1
	v_and_b32_e32 v1, 0xff00000, v1
	s_mov_b32 s18, 0x7f00000
	v_mov_b32_e32 v6, 0x7e
	v_cmp_ne_u32_e32 vcc, s18, v1
	v_cndmask_b32_e32 v1, v6, v5, vcc
; %bb.1490:
	s_andn2_saveexec_b64 s[16:17], s[16:17]
; %bb.1491:
	s_mov_b32 s18, 0x46800000
	v_add_f32_e64 v1, |v0|, s18
; %bb.1492:
	s_or_b64 exec, exec, s[16:17]
                                        ; implicit-def: $vgpr5
.LBB47_1493:
	s_andn2_saveexec_b64 s[14:15], s[14:15]
; %bb.1494:
	s_mov_b32 s16, 0x7f800000
	v_mov_b32_e32 v1, 0x7e
	v_mov_b32_e32 v6, 0x7f
	v_cmp_lt_u32_e32 vcc, s16, v5
	v_cndmask_b32_e32 v1, v1, v6, vcc
; %bb.1495:
	s_or_b64 exec, exec, s[14:15]
	v_lshrrev_b32_e32 v0, 24, v0
	s_movk_i32 s14, 0x80
	v_and_or_b32 v0, v0, s14, v1
	global_store_byte v[2:3], v0, off
.LBB47_1496:
	s_mov_b64 s[14:15], 0
.LBB47_1497:
	s_andn2_b64 vcc, exec, s[14:15]
	s_cbranch_vccnz .LBB47_1507
; %bb.1498:
	v_bfe_i32 v0, v4, 0, 8
	v_cvt_f32_i32_sdwa v0, sext(v0) dst_sel:DWORD dst_unused:UNUSED_PAD src0_sel:WORD_0
	s_mov_b32 s14, 0x47800000
                                        ; implicit-def: $vgpr1
	v_and_b32_e32 v5, 0x7fffffff, v0
	v_cmp_gt_u32_e32 vcc, s14, v5
	s_and_saveexec_b64 s[14:15], vcc
	s_xor_b64 s[14:15], exec, s[14:15]
	s_cbranch_execz .LBB47_1504
; %bb.1499:
	s_mov_b32 s16, 0x387fffff
	v_cmp_lt_u32_e32 vcc, s16, v5
                                        ; implicit-def: $vgpr1
	s_and_saveexec_b64 s[16:17], vcc
	s_xor_b64 s[16:17], exec, s[16:17]
; %bb.1500:
	v_bfe_u32 v1, v0, 21, 1
	s_mov_b32 s18, 0x80fffff
	v_add3_u32 v1, v0, v1, s18
	v_lshrrev_b32_e32 v1, 21, v1
; %bb.1501:
	s_andn2_saveexec_b64 s[16:17], s[16:17]
; %bb.1502:
	s_mov_b32 s18, 0x43000000
	v_add_f32_e64 v1, |v0|, s18
; %bb.1503:
	s_or_b64 exec, exec, s[16:17]
                                        ; implicit-def: $vgpr5
.LBB47_1504:
	s_andn2_saveexec_b64 s[14:15], s[14:15]
; %bb.1505:
	s_mov_b32 s16, 0x7f800000
	v_mov_b32_e32 v1, 0x7c
	v_mov_b32_e32 v6, 0x7f
	v_cmp_lt_u32_e32 vcc, s16, v5
	v_cndmask_b32_e32 v1, v1, v6, vcc
; %bb.1506:
	s_or_b64 exec, exec, s[14:15]
	v_lshrrev_b32_e32 v0, 24, v0
	s_movk_i32 s14, 0x80
	v_and_or_b32 v0, v0, s14, v1
	global_store_byte v[2:3], v0, off
.LBB47_1507:
	s_mov_b64 s[14:15], 0
.LBB47_1508:
	s_andn2_b64 vcc, exec, s[14:15]
	s_mov_b64 s[16:17], 0
	s_cbranch_vccnz .LBB47_1516
; %bb.1509:
	s_cmp_gt_i32 s21, 14
	s_mov_b64 s[14:15], -1
	s_cbranch_scc0 .LBB47_1513
; %bb.1510:
	s_cmp_eq_u32 s21, 15
	s_mov_b64 s[0:1], -1
	s_cbranch_scc0 .LBB47_1512
; %bb.1511:
	v_bfe_i32 v0, v4, 0, 8
	v_cvt_f32_i32_sdwa v0, sext(v0) dst_sel:DWORD dst_unused:UNUSED_PAD src0_sel:WORD_0
	s_movk_i32 s0, 0x7fff
	v_bfe_u32 v1, v0, 16, 1
	v_add3_u32 v0, v0, v1, s0
	global_store_short_d16_hi v[2:3], v0, off
	s_mov_b64 s[0:1], 0
.LBB47_1512:
	s_mov_b64 s[14:15], 0
.LBB47_1513:
	s_and_b64 vcc, exec, s[14:15]
	s_cbranch_vccz .LBB47_1516
; %bb.1514:
	s_cmp_lg_u32 s21, 11
	s_cselect_b64 s[14:15], -1, 0
	s_andn2_b64 s[0:1], s[0:1], exec
	s_and_b64 s[14:15], s[14:15], exec
	s_mov_b64 s[16:17], -1
	s_or_b64 s[0:1], s[0:1], s[14:15]
	s_branch .LBB47_1516
.LBB47_1515:
	s_mov_b64 s[16:17], 0
.LBB47_1516:
	s_and_b64 s[14:15], s[8:9], exec
	s_andn2_b64 s[8:9], s[40:41], exec
	s_and_b64 s[0:1], s[0:1], exec
	s_and_b64 s[18:19], s[16:17], exec
	s_or_b64 s[40:41], s[8:9], s[0:1]
	s_or_b64 exec, exec, s[12:13]
	s_and_saveexec_b64 s[0:1], s[40:41]
	s_cbranch_execz .LBB47_1445
.LBB47_1517:
	s_or_b64 s[10:11], s[10:11], exec
	s_andn2_b64 s[18:19], s[18:19], exec
	s_trap 2
	s_or_b64 exec, exec, s[0:1]
	s_and_saveexec_b64 s[0:1], s[18:19]
	s_xor_b64 s[0:1], exec, s[0:1]
	s_cbranch_execnz .LBB47_1446
.LBB47_1518:
	s_or_b64 exec, exec, s[0:1]
	s_and_saveexec_b64 s[0:1], s[14:15]
	s_xor_b64 s[0:1], exec, s[0:1]
	s_cbranch_execz .LBB47_1556
.LBB47_1519:
	s_sext_i32_i16 s12, s20
	s_cmp_lt_i32 s12, 5
	s_mov_b64 s[8:9], -1
	s_cbranch_scc1 .LBB47_1540
; %bb.1520:
	s_cmp_lt_i32 s12, 8
	s_cbranch_scc1 .LBB47_1530
; %bb.1521:
	s_cmp_lt_i32 s12, 9
	s_cbranch_scc1 .LBB47_1527
; %bb.1522:
	s_cmp_gt_i32 s12, 9
	s_cbranch_scc0 .LBB47_1524
; %bb.1523:
	s_waitcnt vmcnt(0)
	v_bfe_i32 v0, v4, 0, 8
	v_bfe_i32 v0, v0, 0, 16
	v_cvt_f64_i32_e32 v[5:6], v0
	v_mov_b32_e32 v7, 0
	v_mov_b32_e32 v8, v7
	s_mov_b64 s[8:9], 0
	global_store_dwordx4 v[2:3], v[5:8], off
.LBB47_1524:
	s_andn2_b64 vcc, exec, s[8:9]
	s_cbranch_vccnz .LBB47_1526
; %bb.1525:
	s_waitcnt vmcnt(0)
	v_bfe_i32 v0, v4, 0, 8
	v_cvt_f32_i32_sdwa v0, sext(v0) dst_sel:DWORD dst_unused:UNUSED_PAD src0_sel:WORD_0
	v_mov_b32_e32 v1, 0
	global_store_dwordx2 v[2:3], v[0:1], off
.LBB47_1526:
	s_mov_b64 s[8:9], 0
.LBB47_1527:
	s_andn2_b64 vcc, exec, s[8:9]
	s_cbranch_vccnz .LBB47_1529
; %bb.1528:
	s_waitcnt vmcnt(0)
	v_cvt_f16_i16_sdwa v0, sext(v4) dst_sel:DWORD dst_unused:UNUSED_PAD src0_sel:BYTE_0
	global_store_dword v[2:3], v0, off
.LBB47_1529:
	s_mov_b64 s[8:9], 0
.LBB47_1530:
	s_andn2_b64 vcc, exec, s[8:9]
	s_cbranch_vccnz .LBB47_1539
; %bb.1531:
	s_sext_i32_i16 s12, s20
	s_cmp_lt_i32 s12, 6
	s_mov_b64 s[8:9], -1
	s_cbranch_scc1 .LBB47_1537
; %bb.1532:
	s_cmp_gt_i32 s12, 6
	s_cbranch_scc0 .LBB47_1534
; %bb.1533:
	s_waitcnt vmcnt(0)
	v_bfe_i32 v0, v4, 0, 8
	v_bfe_i32 v0, v0, 0, 16
	v_cvt_f64_i32_e32 v[0:1], v0
	s_mov_b64 s[8:9], 0
	global_store_dwordx2 v[2:3], v[0:1], off
.LBB47_1534:
	s_andn2_b64 vcc, exec, s[8:9]
	s_cbranch_vccnz .LBB47_1536
; %bb.1535:
	s_waitcnt vmcnt(0)
	v_bfe_i32 v0, v4, 0, 8
	v_cvt_f32_i32_sdwa v0, sext(v0) dst_sel:DWORD dst_unused:UNUSED_PAD src0_sel:WORD_0
	global_store_dword v[2:3], v0, off
.LBB47_1536:
	s_mov_b64 s[8:9], 0
.LBB47_1537:
	s_andn2_b64 vcc, exec, s[8:9]
	s_cbranch_vccnz .LBB47_1539
; %bb.1538:
	s_waitcnt vmcnt(0)
	v_cvt_f16_i16_sdwa v0, sext(v4) dst_sel:DWORD dst_unused:UNUSED_PAD src0_sel:BYTE_0
	global_store_short v[2:3], v0, off
.LBB47_1539:
	s_mov_b64 s[8:9], 0
.LBB47_1540:
	s_andn2_b64 vcc, exec, s[8:9]
	s_cbranch_vccnz .LBB47_1556
; %bb.1541:
	s_sext_i32_i16 s12, s20
	s_cmp_lt_i32 s12, 2
	s_mov_b64 s[8:9], -1
	s_cbranch_scc1 .LBB47_1551
; %bb.1542:
	s_cmp_lt_i32 s12, 3
	s_cbranch_scc1 .LBB47_1548
; %bb.1543:
	s_cmp_gt_i32 s12, 3
	s_cbranch_scc0 .LBB47_1545
; %bb.1544:
	s_waitcnt vmcnt(0)
	v_bfe_i32 v0, v4, 0, 8
	v_ashrrev_i32_e32 v1, 31, v0
	s_mov_b64 s[8:9], 0
	global_store_dwordx2 v[2:3], v[0:1], off
.LBB47_1545:
	s_andn2_b64 vcc, exec, s[8:9]
	s_cbranch_vccnz .LBB47_1547
; %bb.1546:
	s_waitcnt vmcnt(0)
	v_bfe_i32 v0, v4, 0, 8
	global_store_dword v[2:3], v0, off
.LBB47_1547:
	s_mov_b64 s[8:9], 0
.LBB47_1548:
	s_andn2_b64 vcc, exec, s[8:9]
	s_cbranch_vccnz .LBB47_1550
; %bb.1549:
	s_waitcnt vmcnt(0)
	v_bfe_i32 v0, v4, 0, 8
	global_store_short v[2:3], v0, off
.LBB47_1550:
	s_mov_b64 s[8:9], 0
.LBB47_1551:
	s_andn2_b64 vcc, exec, s[8:9]
	s_cbranch_vccnz .LBB47_1556
; %bb.1552:
	s_sext_i32_i16 s8, s20
	s_cmp_gt_i32 s8, 0
	s_mov_b64 s[8:9], -1
	s_cbranch_scc0 .LBB47_1554
; %bb.1553:
	s_mov_b64 s[8:9], 0
	s_waitcnt vmcnt(0)
	global_store_byte v[2:3], v4, off
.LBB47_1554:
	s_andn2_b64 vcc, exec, s[8:9]
	s_cbranch_vccnz .LBB47_1556
; %bb.1555:
	s_waitcnt vmcnt(0)
	global_store_byte v[2:3], v4, off
.LBB47_1556:
	s_or_b64 exec, exec, s[0:1]
	s_and_b64 s[12:13], s[10:11], exec
                                        ; implicit-def: $vgpr21
                                        ; implicit-def: $vgpr10
.LBB47_1557:
	s_or_saveexec_b64 s[14:15], s[26:27]
	s_mov_b64 s[0:1], 0
                                        ; implicit-def: $vgpr0_vgpr1
                                        ; implicit-def: $sgpr18
                                        ; implicit-def: $vgpr2
	s_xor_b64 exec, exec, s[14:15]
	s_cbranch_execz .LBB47_3038
; %bb.1558:
	v_cndmask_b32_e64 v0, 0, 1, s[24:25]
	v_cmp_ne_u32_e64 s[0:1], 1, v0
	s_andn2_b64 vcc, exec, s[24:25]
	s_cbranch_vccnz .LBB47_1564
; %bb.1559:
	s_cmp_lg_u32 s33, 0
	s_cbranch_scc0 .LBB47_1565
; %bb.1560:
	s_min_u32 s8, s72, 15
	s_add_i32 s6, s8, 1
	s_and_b32 s9, s6, 30
	s_add_u32 s6, s2, 0xffffffe8
	s_addc_u32 s7, s3, -1
	v_mov_b32_e32 v13, 0
	v_mov_b32_e32 v8, 0
	s_waitcnt vmcnt(0)
	v_mov_b32_e32 v6, 0
	v_mov_b32_e32 v0, v10
.LBB47_1561:                            ; =>This Inner Loop Header: Depth=1
	s_load_dwordx4 s[16:19], s[6:7], 0x1c
	s_load_dwordx2 s[10:11], s[6:7], 0x2c
	s_load_dwordx2 s[24:25], s[6:7], 0xec
	s_load_dwordx4 s[20:23], s[6:7], 0xdc
	s_add_u32 s6, s6, 24
	s_waitcnt lgkmcnt(0)
	v_mul_hi_u32 v1, s17, v0
	s_addc_u32 s7, s7, 0
	s_add_i32 s9, s9, -2
	s_cmp_lg_u32 s9, 0
	v_add_u32_e32 v1, v0, v1
	v_lshrrev_b32_e32 v1, s18, v1
	v_mul_lo_u32 v2, v1, s16
	v_mul_hi_u32 v3, s10, v1
	v_sub_u32_e32 v2, v0, v2
	v_add_u32_e32 v0, v1, v3
	v_lshrrev_b32_e32 v0, s11, v0
	v_mul_lo_u32 v5, v0, s19
	v_mul_lo_u32 v3, v2, s20
	;; [unrolled: 1-line block ×4, first 2 shown]
	v_sub_u32_e32 v1, v1, v5
	v_mul_lo_u32 v5, v1, s23
	v_mul_lo_u32 v7, v1, s24
	;; [unrolled: 1-line block ×3, first 2 shown]
	v_add3_u32 v6, v3, v6, v5
	v_add3_u32 v8, v4, v8, v7
	;; [unrolled: 1-line block ×3, first 2 shown]
	s_cbranch_scc1 .LBB47_1561
; %bb.1562:
	s_bitcmp1_b32 s8, 0
	s_cselect_b64 s[8:9], -1, 0
	s_and_b64 vcc, exec, s[8:9]
	s_cbranch_vccnz .LBB47_1566
; %bb.1563:
	s_load_dwordx2 s[8:9], s[6:7], 0x1c
	s_load_dword s16, s[6:7], 0x24
	s_load_dwordx2 s[10:11], s[6:7], 0xdc
	s_waitcnt lgkmcnt(0)
	v_mul_hi_u32 v1, s9, v0
	v_add_u32_e32 v1, v0, v1
	v_lshrrev_b32_e32 v1, s16, v1
	v_mul_lo_u32 v1, v1, s8
	s_load_dword s8, s[6:7], 0xe4
	v_sub_u32_e32 v0, v0, v1
	v_mad_u64_u32 v[6:7], s[6:7], v0, s10, v[6:7]
	v_mad_u64_u32 v[8:9], s[6:7], v0, s11, v[8:9]
	s_waitcnt lgkmcnt(0)
	v_mad_u64_u32 v[13:14], s[6:7], v0, s8, v[13:14]
	s_cbranch_execz .LBB47_1567
	s_branch .LBB47_1569
.LBB47_1564:
                                        ; implicit-def: $vgpr6
                                        ; implicit-def: $vgpr8
                                        ; implicit-def: $vgpr13
	s_branch .LBB47_1567
.LBB47_1565:
	s_waitcnt vmcnt(0)
	v_mov_b32_e32 v6, 0
	v_mov_b32_e32 v8, 0
	;; [unrolled: 1-line block ×3, first 2 shown]
.LBB47_1566:
	s_cbranch_execnz .LBB47_1569
.LBB47_1567:
	s_load_dwordx4 s[8:11], s[2:3], 0x4
	s_load_dwordx4 s[16:19], s[2:3], 0xc4
	s_cmp_lt_u32 s33, 2
	s_waitcnt lgkmcnt(0)
	v_mul_hi_u32 v0, s9, v10
	v_add_u32_e32 v0, v10, v0
	v_lshrrev_b32_e32 v0, s10, v0
	s_waitcnt vmcnt(0)
	v_mul_lo_u32 v1, v0, s8
	v_sub_u32_e32 v1, v10, v1
	v_mul_lo_u32 v6, v1, s16
	v_mul_lo_u32 v8, v1, s17
	;; [unrolled: 1-line block ×3, first 2 shown]
	s_cbranch_scc1 .LBB47_1569
; %bb.1568:
	s_load_dwordx4 s[8:11], s[2:3], 0x10
	s_load_dwordx4 s[16:19], s[2:3], 0xd0
	s_waitcnt lgkmcnt(0)
	v_mul_hi_u32 v1, s9, v0
	v_add_u32_e32 v1, v0, v1
	v_lshrrev_b32_e32 v1, s10, v1
	v_mul_lo_u32 v1, v1, s8
	v_sub_u32_e32 v0, v0, v1
	v_mad_u64_u32 v[6:7], s[6:7], v0, s16, v[6:7]
	v_mad_u64_u32 v[8:9], s[6:7], v0, s17, v[8:9]
	;; [unrolled: 1-line block ×3, first 2 shown]
.LBB47_1569:
	s_and_b64 vcc, exec, s[0:1]
	v_add_u32_e32 v0, 0x80, v10
	s_cbranch_vccnz .LBB47_1575
; %bb.1570:
	s_cmp_lg_u32 s33, 0
	s_cbranch_scc0 .LBB47_1576
; %bb.1571:
	s_min_u32 s8, s72, 15
	s_add_i32 s6, s8, 1
	s_and_b32 s9, s6, 30
	s_add_u32 s6, s2, 0xffffffe8
	s_addc_u32 s7, s3, -1
	v_mov_b32_e32 v18, 0
	v_mov_b32_e32 v11, 0
	s_waitcnt vmcnt(0)
	v_mov_b32_e32 v4, 0
	v_mov_b32_e32 v1, v0
.LBB47_1572:                            ; =>This Inner Loop Header: Depth=1
	s_load_dwordx4 s[16:19], s[6:7], 0x1c
	s_load_dwordx2 s[10:11], s[6:7], 0x2c
	s_load_dwordx2 s[24:25], s[6:7], 0xec
	s_load_dwordx4 s[20:23], s[6:7], 0xdc
	s_add_u32 s6, s6, 24
	s_waitcnt lgkmcnt(0)
	v_mul_hi_u32 v2, s17, v1
	s_addc_u32 s7, s7, 0
	s_add_i32 s9, s9, -2
	s_cmp_lg_u32 s9, 0
	v_add_u32_e32 v2, v1, v2
	v_lshrrev_b32_e32 v2, s18, v2
	v_mul_lo_u32 v3, v2, s16
	v_mul_hi_u32 v5, s10, v2
	v_sub_u32_e32 v3, v1, v3
	v_add_u32_e32 v1, v2, v5
	v_lshrrev_b32_e32 v1, s11, v1
	v_mul_lo_u32 v9, v1, s19
	v_mul_lo_u32 v5, v3, s20
	;; [unrolled: 1-line block ×4, first 2 shown]
	v_sub_u32_e32 v2, v2, v9
	v_mul_lo_u32 v9, v2, s23
	v_mul_lo_u32 v12, v2, s24
	;; [unrolled: 1-line block ×3, first 2 shown]
	v_add3_u32 v4, v5, v4, v9
	v_add3_u32 v11, v7, v11, v12
	;; [unrolled: 1-line block ×3, first 2 shown]
	s_cbranch_scc1 .LBB47_1572
; %bb.1573:
	s_bitcmp1_b32 s8, 0
	s_cselect_b64 s[8:9], -1, 0
	s_and_b64 vcc, exec, s[8:9]
	s_cbranch_vccnz .LBB47_1577
; %bb.1574:
	s_load_dwordx2 s[8:9], s[6:7], 0x1c
	s_load_dword s16, s[6:7], 0x24
	s_load_dwordx2 s[10:11], s[6:7], 0xdc
	s_waitcnt lgkmcnt(0)
	v_mul_hi_u32 v2, s9, v1
	v_add_u32_e32 v2, v1, v2
	v_lshrrev_b32_e32 v2, s16, v2
	v_mul_lo_u32 v2, v2, s8
	s_load_dword s8, s[6:7], 0xe4
	v_sub_u32_e32 v1, v1, v2
	v_mad_u64_u32 v[4:5], s[6:7], v1, s10, v[4:5]
	v_mad_u64_u32 v[11:12], s[6:7], v1, s11, v[11:12]
	s_waitcnt lgkmcnt(0)
	v_mad_u64_u32 v[18:19], s[6:7], v1, s8, v[18:19]
	s_cbranch_execz .LBB47_1578
	s_branch .LBB47_1580
.LBB47_1575:
                                        ; implicit-def: $vgpr4
                                        ; implicit-def: $vgpr11
                                        ; implicit-def: $vgpr18
	s_branch .LBB47_1578
.LBB47_1576:
	s_waitcnt vmcnt(0)
	v_mov_b32_e32 v4, 0
	v_mov_b32_e32 v11, 0
	;; [unrolled: 1-line block ×3, first 2 shown]
.LBB47_1577:
	s_cbranch_execnz .LBB47_1580
.LBB47_1578:
	s_load_dwordx4 s[8:11], s[2:3], 0x4
	s_load_dwordx4 s[16:19], s[2:3], 0xc4
	s_cmp_lt_u32 s33, 2
	s_waitcnt vmcnt(0) lgkmcnt(0)
	v_mul_hi_u32 v1, s9, v0
	v_add_u32_e32 v1, v0, v1
	v_lshrrev_b32_e32 v1, s10, v1
	v_mul_lo_u32 v2, v1, s8
	v_sub_u32_e32 v0, v0, v2
	v_mul_lo_u32 v4, v0, s16
	v_mul_lo_u32 v11, v0, s17
	;; [unrolled: 1-line block ×3, first 2 shown]
	s_cbranch_scc1 .LBB47_1580
; %bb.1579:
	s_load_dwordx4 s[8:11], s[2:3], 0x10
	s_load_dwordx4 s[16:19], s[2:3], 0xd0
	s_waitcnt lgkmcnt(0)
	v_mul_hi_u32 v0, s9, v1
	v_add_u32_e32 v0, v1, v0
	v_lshrrev_b32_e32 v0, s10, v0
	v_mul_lo_u32 v0, v0, s8
	v_sub_u32_e32 v0, v1, v0
	v_mad_u64_u32 v[4:5], s[6:7], v0, s16, v[4:5]
	v_mad_u64_u32 v[11:12], s[6:7], v0, s17, v[11:12]
	;; [unrolled: 1-line block ×3, first 2 shown]
.LBB47_1580:
	s_and_b64 vcc, exec, s[0:1]
	v_add_u32_e32 v0, 0x100, v10
	s_cbranch_vccnz .LBB47_1586
; %bb.1581:
	s_cmp_lg_u32 s33, 0
	s_cbranch_scc0 .LBB47_1587
; %bb.1582:
	s_min_u32 s8, s72, 15
	s_add_i32 s6, s8, 1
	s_and_b32 s9, s6, 30
	s_add_u32 s6, s2, 0xffffffe8
	s_addc_u32 s7, s3, -1
	v_mov_b32_e32 v19, 0
	v_mov_b32_e32 v16, 0
	s_waitcnt vmcnt(0)
	v_mov_b32_e32 v2, 0
	v_mov_b32_e32 v1, v0
.LBB47_1583:                            ; =>This Inner Loop Header: Depth=1
	s_load_dwordx4 s[16:19], s[6:7], 0x1c
	s_load_dwordx2 s[10:11], s[6:7], 0x2c
	s_load_dwordx2 s[24:25], s[6:7], 0xec
	s_load_dwordx4 s[20:23], s[6:7], 0xdc
	s_add_u32 s6, s6, 24
	s_waitcnt lgkmcnt(0)
	v_mul_hi_u32 v3, s17, v1
	s_addc_u32 s7, s7, 0
	s_add_i32 s9, s9, -2
	s_cmp_lg_u32 s9, 0
	v_add_u32_e32 v3, v1, v3
	v_lshrrev_b32_e32 v3, s18, v3
	v_mul_lo_u32 v5, v3, s16
	v_mul_hi_u32 v7, s10, v3
	v_sub_u32_e32 v5, v1, v5
	v_add_u32_e32 v1, v3, v7
	v_lshrrev_b32_e32 v1, s11, v1
	v_mul_lo_u32 v10, v1, s19
	v_mul_lo_u32 v7, v5, s20
	;; [unrolled: 1-line block ×4, first 2 shown]
	v_sub_u32_e32 v3, v3, v10
	v_mul_lo_u32 v10, v3, s23
	v_mul_lo_u32 v12, v3, s24
	;; [unrolled: 1-line block ×3, first 2 shown]
	v_add3_u32 v2, v7, v2, v10
	v_add3_u32 v16, v9, v16, v12
	;; [unrolled: 1-line block ×3, first 2 shown]
	s_cbranch_scc1 .LBB47_1583
; %bb.1584:
	s_bitcmp1_b32 s8, 0
	s_cselect_b64 s[8:9], -1, 0
	s_and_b64 vcc, exec, s[8:9]
	s_cbranch_vccnz .LBB47_1588
; %bb.1585:
	s_load_dwordx2 s[8:9], s[6:7], 0x1c
	s_load_dword s16, s[6:7], 0x24
	s_load_dwordx2 s[10:11], s[6:7], 0xdc
	s_waitcnt lgkmcnt(0)
	v_mul_hi_u32 v3, s9, v1
	v_add_u32_e32 v3, v1, v3
	v_lshrrev_b32_e32 v3, s16, v3
	v_mul_lo_u32 v3, v3, s8
	s_load_dword s8, s[6:7], 0xe4
	v_sub_u32_e32 v1, v1, v3
	v_mad_u64_u32 v[2:3], s[6:7], v1, s10, v[2:3]
	v_mad_u64_u32 v[16:17], s[6:7], v1, s11, v[16:17]
	s_waitcnt lgkmcnt(0)
	v_mad_u64_u32 v[19:20], s[6:7], v1, s8, v[19:20]
	s_cbranch_execz .LBB47_1589
	s_branch .LBB47_1591
.LBB47_1586:
                                        ; implicit-def: $vgpr2
                                        ; implicit-def: $vgpr16
                                        ; implicit-def: $vgpr19
	s_branch .LBB47_1589
.LBB47_1587:
	s_waitcnt vmcnt(0)
	v_mov_b32_e32 v2, 0
	v_mov_b32_e32 v16, 0
	;; [unrolled: 1-line block ×3, first 2 shown]
.LBB47_1588:
	s_cbranch_execnz .LBB47_1591
.LBB47_1589:
	s_load_dwordx4 s[8:11], s[2:3], 0x4
	s_load_dwordx4 s[16:19], s[2:3], 0xc4
	s_cmp_lt_u32 s33, 2
	s_waitcnt vmcnt(0) lgkmcnt(0)
	v_mul_hi_u32 v1, s9, v0
	v_add_u32_e32 v1, v0, v1
	v_lshrrev_b32_e32 v1, s10, v1
	v_mul_lo_u32 v2, v1, s8
	v_sub_u32_e32 v0, v0, v2
	v_mul_lo_u32 v2, v0, s16
	v_mul_lo_u32 v16, v0, s17
	;; [unrolled: 1-line block ×3, first 2 shown]
	s_cbranch_scc1 .LBB47_1591
; %bb.1590:
	s_load_dwordx4 s[8:11], s[2:3], 0x10
	s_load_dwordx4 s[16:19], s[2:3], 0xd0
	s_waitcnt lgkmcnt(0)
	v_mul_hi_u32 v0, s9, v1
	v_add_u32_e32 v0, v1, v0
	v_lshrrev_b32_e32 v0, s10, v0
	v_mul_lo_u32 v0, v0, s8
	v_sub_u32_e32 v0, v1, v0
	v_mad_u64_u32 v[2:3], s[6:7], v0, s16, v[2:3]
	v_mad_u64_u32 v[16:17], s[6:7], v0, s17, v[16:17]
	;; [unrolled: 1-line block ×3, first 2 shown]
.LBB47_1591:
	s_and_b64 vcc, exec, s[0:1]
	s_cbranch_vccnz .LBB47_1597
; %bb.1592:
	s_cmp_lg_u32 s33, 0
	s_cbranch_scc0 .LBB47_1598
; %bb.1593:
	s_min_u32 s6, s72, 15
	s_add_i32 s0, s6, 1
	s_and_b32 s7, s0, 30
	s_add_u32 s0, s2, 0xffffffe8
	s_addc_u32 s1, s3, -1
	v_mov_b32_e32 v9, 0
	v_mov_b32_e32 v14, 0
	;; [unrolled: 1-line block ×3, first 2 shown]
	s_waitcnt vmcnt(0)
	v_mov_b32_e32 v1, v21
.LBB47_1594:                            ; =>This Inner Loop Header: Depth=1
	s_load_dwordx4 s[8:11], s[0:1], 0x1c
	s_load_dwordx2 s[20:21], s[0:1], 0x2c
	s_load_dwordx2 s[22:23], s[0:1], 0xec
	s_load_dwordx4 s[16:19], s[0:1], 0xdc
	s_add_u32 s0, s0, 24
	s_waitcnt lgkmcnt(0)
	v_mul_hi_u32 v3, s9, v1
	s_addc_u32 s1, s1, 0
	s_add_i32 s7, s7, -2
	s_cmp_lg_u32 s7, 0
	v_add_u32_e32 v3, v1, v3
	v_lshrrev_b32_e32 v3, s10, v3
	v_mul_lo_u32 v5, v3, s8
	v_mul_hi_u32 v7, s20, v3
	v_sub_u32_e32 v5, v1, v5
	v_add_u32_e32 v1, v3, v7
	v_lshrrev_b32_e32 v1, s21, v1
	v_mul_lo_u32 v12, v1, s11
	v_mul_lo_u32 v7, v5, s16
	;; [unrolled: 1-line block ×4, first 2 shown]
	v_sub_u32_e32 v3, v3, v12
	v_mul_lo_u32 v12, v3, s19
	v_mul_lo_u32 v15, v3, s22
	;; [unrolled: 1-line block ×3, first 2 shown]
	v_add3_u32 v0, v7, v0, v12
	v_add3_u32 v14, v10, v14, v15
	;; [unrolled: 1-line block ×3, first 2 shown]
	s_cbranch_scc1 .LBB47_1594
; %bb.1595:
	s_bitcmp1_b32 s6, 0
	s_cselect_b64 s[6:7], -1, 0
	s_and_b64 vcc, exec, s[6:7]
	s_cbranch_vccnz .LBB47_1599
; %bb.1596:
	s_load_dwordx2 s[6:7], s[0:1], 0x1c
	s_load_dword s10, s[0:1], 0x24
	s_load_dwordx2 s[8:9], s[0:1], 0xdc
	s_waitcnt lgkmcnt(0)
	v_mul_hi_u32 v3, s7, v1
	v_add_u32_e32 v3, v1, v3
	v_lshrrev_b32_e32 v3, s10, v3
	v_mul_lo_u32 v3, v3, s6
	s_load_dword s6, s[0:1], 0xe4
	v_sub_u32_e32 v3, v1, v3
	v_mad_u64_u32 v[0:1], s[0:1], v3, s8, v[0:1]
	v_mad_u64_u32 v[14:15], s[0:1], v3, s9, v[14:15]
	s_waitcnt lgkmcnt(0)
	v_mad_u64_u32 v[9:10], s[0:1], v3, s6, v[9:10]
	s_cbranch_execz .LBB47_1600
	s_branch .LBB47_1602
.LBB47_1597:
                                        ; implicit-def: $vgpr0
                                        ; implicit-def: $vgpr14
                                        ; implicit-def: $vgpr9
	s_branch .LBB47_1600
.LBB47_1598:
	v_mov_b32_e32 v0, 0
	v_mov_b32_e32 v14, 0
	v_mov_b32_e32 v9, 0
.LBB47_1599:
	s_cbranch_execnz .LBB47_1602
.LBB47_1600:
	s_load_dwordx4 s[8:11], s[2:3], 0x4
	s_load_dwordx4 s[16:19], s[2:3], 0xc4
	s_cmp_lt_u32 s33, 2
	s_waitcnt lgkmcnt(0)
	v_mul_hi_u32 v0, s9, v21
	v_add_u32_e32 v0, v21, v0
	s_waitcnt vmcnt(0)
	v_lshrrev_b32_e32 v1, s10, v0
	v_mul_lo_u32 v0, v1, s8
	v_sub_u32_e32 v3, v21, v0
	v_mul_lo_u32 v0, v3, s16
	v_mul_lo_u32 v14, v3, s17
	;; [unrolled: 1-line block ×3, first 2 shown]
	s_cbranch_scc1 .LBB47_1602
; %bb.1601:
	s_load_dwordx4 s[8:11], s[2:3], 0x10
	s_load_dwordx4 s[16:19], s[2:3], 0xd0
	s_waitcnt lgkmcnt(0)
	v_mul_hi_u32 v3, s9, v1
	v_add_u32_e32 v3, v1, v3
	v_lshrrev_b32_e32 v3, s10, v3
	v_mul_lo_u32 v3, v3, s8
	v_sub_u32_e32 v3, v1, v3
	v_mad_u64_u32 v[0:1], s[0:1], v3, s16, v[0:1]
	v_mad_u64_u32 v[14:15], s[0:1], v3, s17, v[14:15]
	;; [unrolled: 1-line block ×3, first 2 shown]
.LBB47_1602:
	s_load_dword s22, s[4:5], 0x1a8
	s_load_dwordx4 s[8:11], s[2:3], 0x188
	s_waitcnt lgkmcnt(0)
	s_lshr_b32 s23, s22, 24
	s_waitcnt vmcnt(0)
	v_mov_b32_e32 v1, s11
	v_add_co_u32_e32 v20, vcc, s10, v8
	s_cmp_lt_i32 s23, 11
	v_addc_co_u32_e32 v21, vcc, 0, v1, vcc
	s_cbranch_scc1 .LBB47_1609
; %bb.1603:
	s_and_b32 s18, 0xffff, s23
	s_cmp_gt_i32 s18, 25
	s_mov_b64 s[6:7], 0
	s_cbranch_scc0 .LBB47_1611
; %bb.1604:
	s_cmp_gt_i32 s18, 28
	s_cbranch_scc0 .LBB47_1612
; %bb.1605:
	s_cmp_gt_i32 s18, 43
	;; [unrolled: 3-line block ×3, first 2 shown]
	s_cbranch_scc0 .LBB47_1614
; %bb.1607:
	s_cmp_eq_u32 s18, 46
	s_mov_b64 s[4:5], 0
	s_cbranch_scc0 .LBB47_1617
; %bb.1608:
	global_load_dword v1, v[20:21], off
	s_mov_b64 s[0:1], 0
	s_mov_b64 s[16:17], -1
	s_waitcnt vmcnt(0)
	v_lshlrev_b32_e32 v1, 16, v1
	v_cvt_i32_f32_e32 v7, v1
	s_branch .LBB47_1618
.LBB47_1609:
	s_mov_b64 s[16:17], 0
                                        ; implicit-def: $vgpr7
	s_mov_b64 s[4:5], s[12:13]
	s_cbranch_execnz .LBB47_1676
.LBB47_1610:
	s_andn2_b64 vcc, exec, s[16:17]
	s_cbranch_vccz .LBB47_1721
	s_branch .LBB47_3036
.LBB47_1611:
	s_mov_b64 s[16:17], 0
	s_mov_b64 s[0:1], 0
                                        ; implicit-def: $vgpr7
	s_cbranch_execnz .LBB47_1643
	s_branch .LBB47_1672
.LBB47_1612:
	s_mov_b64 s[16:17], 0
	s_mov_b64 s[0:1], 0
                                        ; implicit-def: $vgpr7
	s_cbranch_execz .LBB47_1642
	s_branch .LBB47_1627
.LBB47_1613:
	s_mov_b64 s[16:17], 0
	s_mov_b64 s[0:1], 0
                                        ; implicit-def: $vgpr7
	s_cbranch_execnz .LBB47_1623
	s_branch .LBB47_1626
.LBB47_1614:
	s_mov_b64 s[4:5], -1
	s_mov_b64 s[16:17], 0
	s_mov_b64 s[0:1], 0
                                        ; implicit-def: $vgpr7
	s_branch .LBB47_1618
.LBB47_1615:
	s_andn2_saveexec_b64 s[16:17], s[16:17]
	s_cbranch_execz .LBB47_1470
.LBB47_1616:
	s_mov_b32 s18, 0x46000000
	v_add_f32_e64 v1, |v0|, s18
	v_and_b32_e32 v1, 0xff, v1
	v_cmp_ne_u32_e32 vcc, 0, v1
	s_andn2_b64 s[14:15], s[14:15], exec
	s_and_b64 s[18:19], vcc, exec
	s_or_b64 s[14:15], s[14:15], s[18:19]
	s_or_b64 exec, exec, s[16:17]
	v_mov_b32_e32 v5, 0
	s_and_saveexec_b64 s[16:17], s[14:15]
	s_cbranch_execnz .LBB47_1471
	s_branch .LBB47_1472
.LBB47_1617:
	s_mov_b64 s[0:1], -1
                                        ; implicit-def: $vgpr7
	s_mov_b64 s[16:17], 0
.LBB47_1618:
	s_and_b64 vcc, exec, s[4:5]
	s_cbranch_vccz .LBB47_1621
; %bb.1619:
	s_cmp_eq_u32 s18, 44
	s_cbranch_scc0 .LBB47_1622
; %bb.1620:
	global_load_ubyte v1, v[20:21], off
	s_mov_b64 s[0:1], 0
	s_mov_b64 s[16:17], -1
	s_waitcnt vmcnt(0)
	v_lshlrev_b32_e32 v3, 23, v1
	v_cvt_i32_f32_e32 v3, v3
	v_cmp_ne_u32_e32 vcc, 0, v1
	v_cndmask_b32_e32 v7, 0, v3, vcc
.LBB47_1621:
	s_branch .LBB47_1626
.LBB47_1622:
	s_mov_b64 s[0:1], -1
                                        ; implicit-def: $vgpr7
	s_branch .LBB47_1626
.LBB47_1623:
	s_cmp_eq_u32 s18, 29
	s_cbranch_scc0 .LBB47_1625
; %bb.1624:
	global_load_dwordx2 v[7:8], v[20:21], off
	s_mov_b64 s[0:1], 0
	s_mov_b64 s[16:17], -1
	s_branch .LBB47_1626
.LBB47_1625:
	s_mov_b64 s[0:1], -1
                                        ; implicit-def: $vgpr7
.LBB47_1626:
	s_branch .LBB47_1642
.LBB47_1627:
	s_cmp_lt_i32 s18, 27
	s_cbranch_scc1 .LBB47_1630
; %bb.1628:
	s_cmp_gt_i32 s18, 27
	s_cbranch_scc0 .LBB47_1631
; %bb.1629:
	global_load_dword v7, v[20:21], off
	s_mov_b64 s[4:5], 0
	s_branch .LBB47_1632
.LBB47_1630:
	s_mov_b64 s[4:5], -1
                                        ; implicit-def: $vgpr7
	s_branch .LBB47_1635
.LBB47_1631:
	s_mov_b64 s[4:5], -1
                                        ; implicit-def: $vgpr7
.LBB47_1632:
	s_andn2_b64 vcc, exec, s[4:5]
	s_cbranch_vccnz .LBB47_1634
; %bb.1633:
	global_load_ushort v7, v[20:21], off
.LBB47_1634:
	s_mov_b64 s[4:5], 0
.LBB47_1635:
	s_andn2_b64 vcc, exec, s[4:5]
	s_cbranch_vccnz .LBB47_1641
; %bb.1636:
	global_load_ubyte v1, v[20:21], off
	s_movk_i32 s4, 0x7f
	s_mov_b64 s[16:17], 0
	s_waitcnt vmcnt(0)
	v_cmp_lt_i16_e32 vcc, s4, v1
	s_and_saveexec_b64 s[4:5], vcc
	s_xor_b64 s[4:5], exec, s[4:5]
	s_cbranch_execz .LBB47_1652
; %bb.1637:
	s_movk_i32 s16, 0x80
	v_cmp_ne_u16_e32 vcc, s16, v1
	s_and_b64 s[16:17], vcc, exec
	s_andn2_saveexec_b64 s[4:5], s[4:5]
	s_cbranch_execnz .LBB47_1653
.LBB47_1638:
	s_or_b64 exec, exec, s[4:5]
	v_mov_b32_e32 v7, 0
	s_and_saveexec_b64 s[4:5], s[16:17]
	s_cbranch_execz .LBB47_1640
.LBB47_1639:
	v_lshlrev_b32_e32 v3, 24, v1
	v_and_b32_e32 v1, 0xffff, v1
	v_and_b32_e32 v5, 7, v1
	v_ffbh_u32_e32 v8, v5
	v_min_u32_e32 v8, 32, v8
	v_subrev_u32_e32 v10, 28, v8
	v_bfe_u32 v7, v1, 3, 4
	v_lshlrev_b32_e32 v1, v10, v1
	v_sub_u32_e32 v8, 29, v8
	v_and_b32_e32 v1, 7, v1
	v_cmp_eq_u32_e32 vcc, 0, v7
	v_cndmask_b32_e32 v7, v7, v8, vcc
	v_cndmask_b32_e32 v1, v5, v1, vcc
	v_mov_b32_e32 v5, 0x3b800000
	v_lshlrev_b32_e32 v1, 20, v1
	v_and_b32_e32 v3, 0x80000000, v3
	v_lshl_add_u32 v5, v7, 23, v5
	v_or3_b32 v1, v3, v5, v1
	v_cvt_i32_f32_e32 v7, v1
.LBB47_1640:
	s_or_b64 exec, exec, s[4:5]
.LBB47_1641:
	s_mov_b64 s[16:17], -1
.LBB47_1642:
	s_branch .LBB47_1672
.LBB47_1643:
	s_cmp_gt_i32 s18, 22
	s_cbranch_scc0 .LBB47_1651
; %bb.1644:
	s_cmp_lt_i32 s18, 24
	s_cbranch_scc1 .LBB47_1654
; %bb.1645:
	s_cmp_gt_i32 s18, 24
	s_cbranch_scc0 .LBB47_1655
; %bb.1646:
	global_load_ubyte v1, v[20:21], off
	s_movk_i32 s4, 0x7f
	s_waitcnt vmcnt(0)
	v_cmp_lt_i16_e32 vcc, s4, v1
	s_and_saveexec_b64 s[4:5], vcc
	s_xor_b64 s[4:5], exec, s[4:5]
	s_cbranch_execz .LBB47_1666
; %bb.1647:
	s_movk_i32 s6, 0x80
	v_cmp_ne_u16_e32 vcc, s6, v1
	s_and_b64 s[6:7], vcc, exec
	s_andn2_saveexec_b64 s[4:5], s[4:5]
	s_cbranch_execnz .LBB47_1667
.LBB47_1648:
	s_or_b64 exec, exec, s[4:5]
	v_mov_b32_e32 v7, 0
	s_and_saveexec_b64 s[4:5], s[6:7]
	s_cbranch_execz .LBB47_1650
.LBB47_1649:
	v_lshlrev_b32_e32 v3, 24, v1
	v_and_b32_e32 v1, 0xffff, v1
	v_and_b32_e32 v5, 3, v1
	v_ffbh_u32_e32 v8, v5
	v_min_u32_e32 v8, 32, v8
	v_subrev_u32_e32 v10, 29, v8
	v_bfe_u32 v7, v1, 2, 5
	v_lshlrev_b32_e32 v1, v10, v1
	v_sub_u32_e32 v8, 30, v8
	v_and_b32_e32 v1, 3, v1
	v_cmp_eq_u32_e32 vcc, 0, v7
	v_cndmask_b32_e32 v7, v7, v8, vcc
	v_cndmask_b32_e32 v1, v5, v1, vcc
	v_mov_b32_e32 v5, 0x37800000
	v_lshlrev_b32_e32 v1, 21, v1
	v_and_b32_e32 v3, 0x80000000, v3
	v_lshl_add_u32 v5, v7, 23, v5
	v_or3_b32 v1, v3, v5, v1
	v_cvt_i32_f32_e32 v7, v1
.LBB47_1650:
	s_or_b64 exec, exec, s[4:5]
	s_mov_b64 s[4:5], 0
	s_branch .LBB47_1656
.LBB47_1651:
                                        ; implicit-def: $vgpr7
	s_mov_b64 s[6:7], 0
	s_branch .LBB47_1662
.LBB47_1652:
	s_andn2_saveexec_b64 s[4:5], s[4:5]
	s_cbranch_execz .LBB47_1638
.LBB47_1653:
	v_cmp_ne_u16_e32 vcc, 0, v1
	s_andn2_b64 s[16:17], s[16:17], exec
	s_and_b64 s[20:21], vcc, exec
	s_or_b64 s[16:17], s[16:17], s[20:21]
	s_or_b64 exec, exec, s[4:5]
	v_mov_b32_e32 v7, 0
	s_and_saveexec_b64 s[4:5], s[16:17]
	s_cbranch_execnz .LBB47_1639
	s_branch .LBB47_1640
.LBB47_1654:
	s_mov_b64 s[4:5], -1
                                        ; implicit-def: $vgpr7
	s_branch .LBB47_1659
.LBB47_1655:
	s_mov_b64 s[4:5], -1
                                        ; implicit-def: $vgpr7
.LBB47_1656:
	s_and_b64 vcc, exec, s[4:5]
	s_cbranch_vccz .LBB47_1658
; %bb.1657:
	global_load_ubyte v1, v[20:21], off
	s_mov_b32 s4, 0x7f800000
	s_waitcnt vmcnt(0)
	v_lshlrev_b32_e32 v1, 24, v1
	v_and_b32_e32 v3, 0x7f000000, v1
	v_ffbh_u32_e32 v5, v3
	v_min_u32_e32 v5, 32, v5
	v_sub_u32_e64 v5, v5, 4 clamp
	v_lshlrev_b32_e32 v8, v5, v3
	v_lshlrev_b32_e32 v5, 23, v5
	v_lshrrev_b32_e32 v8, 4, v8
	v_add_u32_e32 v7, 0x1000000, v3
	v_sub_u32_e32 v5, v8, v5
	v_ashrrev_i32_e32 v7, 8, v7
	v_add_u32_e32 v5, 0x3c000000, v5
	v_and_or_b32 v5, v7, s4, v5
	v_cmp_ne_u32_e32 vcc, 0, v3
	v_cndmask_b32_e32 v3, 0, v5, vcc
	s_brev_b32 s4, 1
	v_and_or_b32 v1, v1, s4, v3
	v_cvt_i32_f32_e32 v7, v1
.LBB47_1658:
	s_mov_b64 s[4:5], 0
.LBB47_1659:
	s_andn2_b64 vcc, exec, s[4:5]
	s_cbranch_vccnz .LBB47_1661
; %bb.1660:
	global_load_ubyte v1, v[20:21], off
	s_movk_i32 s4, 0x7f00
	s_brev_b32 s5, 16
	s_waitcnt vmcnt(0)
	v_lshlrev_b16_e32 v3, 8, v1
	v_lshlrev_b32_e32 v1, 25, v1
	v_lshrrev_b32_e32 v5, 4, v1
	v_and_or_b32 v7, v3, s4, 0.5
	v_or_b32_e32 v5, 0x70000000, v5
	v_add_f32_e32 v7, -0.5, v7
	v_mul_f32_e32 v5, 0x7800000, v5
	v_cmp_gt_u32_e32 vcc, s5, v1
	v_bfe_i32 v3, v3, 0, 16
	v_cndmask_b32_e32 v1, v5, v7, vcc
	s_brev_b32 s4, 1
	v_and_or_b32 v1, v3, s4, v1
	v_cvt_i32_f32_e32 v7, v1
.LBB47_1661:
	s_mov_b64 s[16:17], -1
	s_mov_b64 s[6:7], 0
	s_cbranch_execnz .LBB47_1672
.LBB47_1662:
	s_cmp_gt_i32 s18, 14
	s_cbranch_scc0 .LBB47_1665
; %bb.1663:
	s_cmp_eq_u32 s18, 15
	s_cbranch_scc0 .LBB47_1668
; %bb.1664:
	global_load_ushort v1, v[20:21], off
	s_mov_b64 s[0:1], 0
	s_mov_b64 s[16:17], -1
	s_waitcnt vmcnt(0)
	v_lshlrev_b32_e32 v1, 16, v1
	v_cvt_i32_f32_e32 v7, v1
	s_branch .LBB47_1669
.LBB47_1665:
	s_mov_b64 s[4:5], -1
                                        ; implicit-def: $vgpr7
	s_branch .LBB47_1670
.LBB47_1666:
	s_andn2_saveexec_b64 s[4:5], s[4:5]
	s_cbranch_execz .LBB47_1648
.LBB47_1667:
	v_cmp_ne_u16_e32 vcc, 0, v1
	s_andn2_b64 s[6:7], s[6:7], exec
	s_and_b64 s[16:17], vcc, exec
	s_or_b64 s[6:7], s[6:7], s[16:17]
	s_or_b64 exec, exec, s[4:5]
	v_mov_b32_e32 v7, 0
	s_and_saveexec_b64 s[4:5], s[6:7]
	s_cbranch_execnz .LBB47_1649
	s_branch .LBB47_1650
.LBB47_1668:
	s_mov_b64 s[0:1], -1
                                        ; implicit-def: $vgpr7
.LBB47_1669:
	s_mov_b64 s[4:5], 0
.LBB47_1670:
	s_and_b64 vcc, exec, s[4:5]
	s_cbranch_vccz .LBB47_1672
; %bb.1671:
	s_cmp_lg_u32 s18, 11
	s_mov_b64 s[6:7], -1
	s_cselect_b64 s[0:1], -1, 0
.LBB47_1672:
	s_and_b64 vcc, exec, s[0:1]
	s_mov_b64 s[4:5], s[12:13]
	s_cbranch_vccnz .LBB47_1733
; %bb.1673:
	s_andn2_b64 vcc, exec, s[6:7]
	s_cbranch_vccnz .LBB47_1675
.LBB47_1674:
	global_load_ubyte v1, v[20:21], off
	s_mov_b64 s[16:17], -1
	s_waitcnt vmcnt(0)
	v_cmp_ne_u16_e32 vcc, 0, v1
	v_cndmask_b32_e64 v7, 0, 1, vcc
.LBB47_1675:
	s_branch .LBB47_1610
.LBB47_1676:
	s_and_b32 s6, 0xffff, s23
	s_cmp_lt_i32 s6, 5
	s_cbranch_scc1 .LBB47_1681
; %bb.1677:
	s_cmp_lt_i32 s6, 8
	s_cbranch_scc1 .LBB47_1682
; %bb.1678:
	s_cmp_lt_i32 s6, 9
	s_cbranch_scc1 .LBB47_1683
; %bb.1679:
	s_cmp_gt_i32 s6, 9
	s_cbranch_scc0 .LBB47_1684
; %bb.1680:
	global_load_dwordx2 v[7:8], v[20:21], off
	s_mov_b64 s[0:1], 0
	s_waitcnt vmcnt(0)
	v_cvt_i32_f64_e32 v7, v[7:8]
	s_branch .LBB47_1685
.LBB47_1681:
                                        ; implicit-def: $vgpr7
	s_branch .LBB47_1702
.LBB47_1682:
                                        ; implicit-def: $vgpr7
	s_branch .LBB47_1691
.LBB47_1683:
	s_mov_b64 s[0:1], -1
                                        ; implicit-def: $vgpr7
	s_branch .LBB47_1688
.LBB47_1684:
	s_mov_b64 s[0:1], -1
                                        ; implicit-def: $vgpr7
.LBB47_1685:
	s_andn2_b64 vcc, exec, s[0:1]
	s_cbranch_vccnz .LBB47_1687
; %bb.1686:
	global_load_dword v1, v[20:21], off
	s_waitcnt vmcnt(0)
	v_cvt_i32_f32_e32 v7, v1
.LBB47_1687:
	s_mov_b64 s[0:1], 0
.LBB47_1688:
	s_andn2_b64 vcc, exec, s[0:1]
	s_cbranch_vccnz .LBB47_1690
; %bb.1689:
	global_load_dword v1, v[20:21], off
	s_waitcnt vmcnt(0)
	v_cvt_i16_f16_e32 v7, v1
.LBB47_1690:
	s_cbranch_execnz .LBB47_1701
.LBB47_1691:
	s_cmp_lt_i32 s6, 6
	s_cbranch_scc1 .LBB47_1694
; %bb.1692:
	s_cmp_gt_i32 s6, 6
	s_cbranch_scc0 .LBB47_1695
; %bb.1693:
	global_load_dwordx2 v[7:8], v[20:21], off
	s_mov_b64 s[0:1], 0
	s_waitcnt vmcnt(0)
	v_cvt_i32_f64_e32 v7, v[7:8]
	s_branch .LBB47_1696
.LBB47_1694:
	s_mov_b64 s[0:1], -1
                                        ; implicit-def: $vgpr7
	s_branch .LBB47_1699
.LBB47_1695:
	s_mov_b64 s[0:1], -1
                                        ; implicit-def: $vgpr7
.LBB47_1696:
	s_andn2_b64 vcc, exec, s[0:1]
	s_cbranch_vccnz .LBB47_1698
; %bb.1697:
	global_load_dword v1, v[20:21], off
	s_waitcnt vmcnt(0)
	v_cvt_i32_f32_e32 v7, v1
.LBB47_1698:
	s_mov_b64 s[0:1], 0
.LBB47_1699:
	s_andn2_b64 vcc, exec, s[0:1]
	s_cbranch_vccnz .LBB47_1701
; %bb.1700:
	global_load_ushort v1, v[20:21], off
	s_waitcnt vmcnt(0)
	v_cvt_i16_f16_e32 v7, v1
.LBB47_1701:
	s_cbranch_execnz .LBB47_1720
.LBB47_1702:
	s_cmp_lt_i32 s6, 2
	s_cbranch_scc1 .LBB47_1706
; %bb.1703:
	s_cmp_lt_i32 s6, 3
	s_cbranch_scc1 .LBB47_1707
; %bb.1704:
	s_cmp_gt_i32 s6, 3
	s_cbranch_scc0 .LBB47_1708
; %bb.1705:
	global_load_dwordx2 v[7:8], v[20:21], off
	s_mov_b64 s[0:1], 0
	s_branch .LBB47_1709
.LBB47_1706:
                                        ; implicit-def: $vgpr7
	s_branch .LBB47_1715
.LBB47_1707:
	s_mov_b64 s[0:1], -1
                                        ; implicit-def: $vgpr7
	s_branch .LBB47_1712
.LBB47_1708:
	s_mov_b64 s[0:1], -1
                                        ; implicit-def: $vgpr7
.LBB47_1709:
	s_andn2_b64 vcc, exec, s[0:1]
	s_cbranch_vccnz .LBB47_1711
; %bb.1710:
	global_load_dword v7, v[20:21], off
.LBB47_1711:
	s_mov_b64 s[0:1], 0
.LBB47_1712:
	s_andn2_b64 vcc, exec, s[0:1]
	s_cbranch_vccnz .LBB47_1714
; %bb.1713:
	global_load_ushort v7, v[20:21], off
.LBB47_1714:
	s_cbranch_execnz .LBB47_1720
.LBB47_1715:
	s_cmp_gt_i32 s6, 0
	s_cbranch_scc0 .LBB47_1717
; %bb.1716:
	global_load_ubyte v7, v[20:21], off
	s_mov_b64 s[0:1], 0
	s_branch .LBB47_1718
.LBB47_1717:
	s_mov_b64 s[0:1], -1
                                        ; implicit-def: $vgpr7
.LBB47_1718:
	s_andn2_b64 vcc, exec, s[0:1]
	s_cbranch_vccnz .LBB47_1720
; %bb.1719:
	global_load_ubyte v7, v[20:21], off
.LBB47_1720:
.LBB47_1721:
	s_load_dword s6, s[2:3], 0x1a4
	s_load_dwordx2 s[0:1], s[2:3], 0x198
	s_waitcnt lgkmcnt(0)
	s_and_b32 s24, s6, 0xff
	v_mov_b32_e32 v1, s1
	v_add_co_u32_e32 v20, vcc, s0, v13
	s_cmp_lt_i32 s24, 11
	v_addc_co_u32_e32 v21, vcc, 0, v1, vcc
	s_cbranch_scc1 .LBB47_1728
; %bb.1722:
	s_and_b32 s25, 0xffff, s24
	s_cmp_gt_i32 s25, 25
	s_mov_b64 s[16:17], 0
	s_cbranch_scc0 .LBB47_1730
; %bb.1723:
	s_cmp_gt_i32 s25, 28
	s_cbranch_scc0 .LBB47_1731
; %bb.1724:
	s_cmp_gt_i32 s25, 43
	;; [unrolled: 3-line block ×3, first 2 shown]
	s_cbranch_scc0 .LBB47_1734
; %bb.1726:
	s_cmp_eq_u32 s25, 46
	s_mov_b64 s[20:21], 0
	s_cbranch_scc0 .LBB47_1737
; %bb.1727:
	global_load_dword v1, v[20:21], off
	s_mov_b64 s[6:7], 0
	s_mov_b64 s[18:19], -1
	s_waitcnt vmcnt(0)
	v_lshlrev_b32_e32 v1, 16, v1
	v_cvt_i32_f32_e32 v12, v1
	s_branch .LBB47_1738
.LBB47_1728:
	s_mov_b64 s[18:19], 0
                                        ; implicit-def: $vgpr12
	s_cbranch_execnz .LBB47_1799
.LBB47_1729:
	s_andn2_b64 vcc, exec, s[18:19]
	s_cbranch_vccnz .LBB47_3036
	s_branch .LBB47_1846
.LBB47_1730:
	s_mov_b64 s[18:19], 0
	s_mov_b64 s[6:7], 0
                                        ; implicit-def: $vgpr12
	s_cbranch_execnz .LBB47_1765
	s_branch .LBB47_1795
.LBB47_1731:
	s_mov_b64 s[20:21], -1
	s_mov_b64 s[18:19], 0
	s_mov_b64 s[6:7], 0
                                        ; implicit-def: $vgpr12
	s_branch .LBB47_1748
.LBB47_1732:
	s_mov_b64 s[20:21], -1
	s_mov_b64 s[18:19], 0
	s_mov_b64 s[6:7], 0
                                        ; implicit-def: $vgpr12
	s_branch .LBB47_1743
.LBB47_1733:
	s_or_b64 s[4:5], s[12:13], exec
	s_trap 2
	s_cbranch_execz .LBB47_1674
	s_branch .LBB47_1675
.LBB47_1734:
	s_mov_b64 s[20:21], -1
	s_mov_b64 s[18:19], 0
	s_mov_b64 s[6:7], 0
                                        ; implicit-def: $vgpr12
	s_branch .LBB47_1738
.LBB47_1735:
	s_andn2_saveexec_b64 s[18:19], s[18:19]
	s_cbranch_execz .LBB47_1482
.LBB47_1736:
	s_mov_b32 s22, 0x42800000
	v_add_f32_e64 v1, |v0|, s22
	v_and_b32_e32 v1, 0xff, v1
	v_cmp_ne_u32_e32 vcc, 0, v1
	s_andn2_b64 s[16:17], s[16:17], exec
	s_and_b64 s[22:23], vcc, exec
	s_or_b64 s[16:17], s[16:17], s[22:23]
	s_or_b64 exec, exec, s[18:19]
	v_mov_b32_e32 v5, 0
	s_and_saveexec_b64 s[18:19], s[16:17]
	s_cbranch_execnz .LBB47_1483
	s_branch .LBB47_1484
.LBB47_1737:
	s_mov_b64 s[6:7], -1
                                        ; implicit-def: $vgpr12
	s_mov_b64 s[18:19], 0
.LBB47_1738:
	s_and_b64 vcc, exec, s[20:21]
	s_cbranch_vccz .LBB47_1742
; %bb.1739:
	s_cmp_eq_u32 s25, 44
	s_cbranch_scc0 .LBB47_1741
; %bb.1740:
	global_load_ubyte v1, v[20:21], off
	s_mov_b64 s[6:7], 0
	s_mov_b64 s[18:19], -1
	s_waitcnt vmcnt(0)
	v_lshlrev_b32_e32 v3, 23, v1
	v_cvt_i32_f32_e32 v3, v3
	v_cmp_ne_u32_e32 vcc, 0, v1
	v_cndmask_b32_e32 v12, 0, v3, vcc
	s_branch .LBB47_1742
.LBB47_1741:
	s_mov_b64 s[6:7], -1
                                        ; implicit-def: $vgpr12
.LBB47_1742:
	s_mov_b64 s[20:21], 0
.LBB47_1743:
	s_and_b64 vcc, exec, s[20:21]
	s_cbranch_vccz .LBB47_1747
; %bb.1744:
	s_cmp_eq_u32 s25, 29
	s_cbranch_scc0 .LBB47_1746
; %bb.1745:
	global_load_dwordx2 v[12:13], v[20:21], off
	s_mov_b64 s[6:7], 0
	s_mov_b64 s[18:19], -1
	s_branch .LBB47_1747
.LBB47_1746:
	s_mov_b64 s[6:7], -1
                                        ; implicit-def: $vgpr12
.LBB47_1747:
	s_mov_b64 s[20:21], 0
.LBB47_1748:
	s_and_b64 vcc, exec, s[20:21]
	s_cbranch_vccz .LBB47_1764
; %bb.1749:
	s_cmp_lt_i32 s25, 27
	s_cbranch_scc1 .LBB47_1752
; %bb.1750:
	s_cmp_gt_i32 s25, 27
	s_cbranch_scc0 .LBB47_1753
; %bb.1751:
	global_load_dword v12, v[20:21], off
	s_mov_b64 s[18:19], 0
	s_branch .LBB47_1754
.LBB47_1752:
	s_mov_b64 s[18:19], -1
                                        ; implicit-def: $vgpr12
	s_branch .LBB47_1757
.LBB47_1753:
	s_mov_b64 s[18:19], -1
                                        ; implicit-def: $vgpr12
.LBB47_1754:
	s_andn2_b64 vcc, exec, s[18:19]
	s_cbranch_vccnz .LBB47_1756
; %bb.1755:
	global_load_ushort v12, v[20:21], off
.LBB47_1756:
	s_mov_b64 s[18:19], 0
.LBB47_1757:
	s_andn2_b64 vcc, exec, s[18:19]
	s_cbranch_vccnz .LBB47_1763
; %bb.1758:
	global_load_ubyte v1, v[20:21], off
	s_movk_i32 s18, 0x7f
	s_mov_b64 s[20:21], 0
	s_waitcnt vmcnt(0)
	v_cmp_lt_i16_e32 vcc, s18, v1
	s_and_saveexec_b64 s[18:19], vcc
	s_xor_b64 s[18:19], exec, s[18:19]
	s_cbranch_execz .LBB47_1774
; %bb.1759:
	s_movk_i32 s20, 0x80
	v_cmp_ne_u16_e32 vcc, s20, v1
	s_and_b64 s[20:21], vcc, exec
	s_andn2_saveexec_b64 s[18:19], s[18:19]
	s_cbranch_execnz .LBB47_1775
.LBB47_1760:
	s_or_b64 exec, exec, s[18:19]
	v_mov_b32_e32 v12, 0
	s_and_saveexec_b64 s[18:19], s[20:21]
	s_cbranch_execz .LBB47_1762
.LBB47_1761:
	v_lshlrev_b32_e32 v3, 24, v1
	v_and_b32_e32 v1, 0xffff, v1
	v_and_b32_e32 v5, 7, v1
	v_ffbh_u32_e32 v10, v5
	v_min_u32_e32 v10, 32, v10
	v_subrev_u32_e32 v12, 28, v10
	v_bfe_u32 v8, v1, 3, 4
	v_lshlrev_b32_e32 v1, v12, v1
	v_sub_u32_e32 v10, 29, v10
	v_and_b32_e32 v1, 7, v1
	v_cmp_eq_u32_e32 vcc, 0, v8
	v_cndmask_b32_e32 v8, v8, v10, vcc
	v_cndmask_b32_e32 v1, v5, v1, vcc
	v_mov_b32_e32 v5, 0x3b800000
	v_lshlrev_b32_e32 v1, 20, v1
	v_and_b32_e32 v3, 0x80000000, v3
	v_lshl_add_u32 v5, v8, 23, v5
	v_or3_b32 v1, v3, v5, v1
	v_cvt_i32_f32_e32 v12, v1
.LBB47_1762:
	s_or_b64 exec, exec, s[18:19]
.LBB47_1763:
	s_mov_b64 s[18:19], -1
.LBB47_1764:
	s_branch .LBB47_1795
.LBB47_1765:
	s_cmp_gt_i32 s25, 22
	s_cbranch_scc0 .LBB47_1773
; %bb.1766:
	s_cmp_lt_i32 s25, 24
	s_cbranch_scc1 .LBB47_1776
; %bb.1767:
	s_cmp_gt_i32 s25, 24
	s_cbranch_scc0 .LBB47_1777
; %bb.1768:
	global_load_ubyte v1, v[20:21], off
	s_movk_i32 s16, 0x7f
	s_mov_b64 s[18:19], 0
	s_waitcnt vmcnt(0)
	v_cmp_lt_i16_e32 vcc, s16, v1
	s_and_saveexec_b64 s[16:17], vcc
	s_xor_b64 s[16:17], exec, s[16:17]
	s_cbranch_execz .LBB47_1789
; %bb.1769:
	s_movk_i32 s18, 0x80
	v_cmp_ne_u16_e32 vcc, s18, v1
	s_and_b64 s[18:19], vcc, exec
	s_andn2_saveexec_b64 s[16:17], s[16:17]
	s_cbranch_execnz .LBB47_1790
.LBB47_1770:
	s_or_b64 exec, exec, s[16:17]
	v_mov_b32_e32 v12, 0
	s_and_saveexec_b64 s[16:17], s[18:19]
	s_cbranch_execz .LBB47_1772
.LBB47_1771:
	v_lshlrev_b32_e32 v3, 24, v1
	v_and_b32_e32 v1, 0xffff, v1
	v_and_b32_e32 v5, 3, v1
	v_ffbh_u32_e32 v10, v5
	v_min_u32_e32 v10, 32, v10
	v_subrev_u32_e32 v12, 29, v10
	v_bfe_u32 v8, v1, 2, 5
	v_lshlrev_b32_e32 v1, v12, v1
	v_sub_u32_e32 v10, 30, v10
	v_and_b32_e32 v1, 3, v1
	v_cmp_eq_u32_e32 vcc, 0, v8
	v_cndmask_b32_e32 v8, v8, v10, vcc
	v_cndmask_b32_e32 v1, v5, v1, vcc
	v_mov_b32_e32 v5, 0x37800000
	v_lshlrev_b32_e32 v1, 21, v1
	v_and_b32_e32 v3, 0x80000000, v3
	v_lshl_add_u32 v5, v8, 23, v5
	v_or3_b32 v1, v3, v5, v1
	v_cvt_i32_f32_e32 v12, v1
.LBB47_1772:
	s_or_b64 exec, exec, s[16:17]
	s_mov_b64 s[16:17], 0
	s_branch .LBB47_1778
.LBB47_1773:
	s_mov_b64 s[16:17], -1
                                        ; implicit-def: $vgpr12
	s_branch .LBB47_1784
.LBB47_1774:
	s_andn2_saveexec_b64 s[18:19], s[18:19]
	s_cbranch_execz .LBB47_1760
.LBB47_1775:
	v_cmp_ne_u16_e32 vcc, 0, v1
	s_andn2_b64 s[20:21], s[20:21], exec
	s_and_b64 s[26:27], vcc, exec
	s_or_b64 s[20:21], s[20:21], s[26:27]
	s_or_b64 exec, exec, s[18:19]
	v_mov_b32_e32 v12, 0
	s_and_saveexec_b64 s[18:19], s[20:21]
	s_cbranch_execnz .LBB47_1761
	s_branch .LBB47_1762
.LBB47_1776:
	s_mov_b64 s[16:17], -1
                                        ; implicit-def: $vgpr12
	s_branch .LBB47_1781
.LBB47_1777:
	s_mov_b64 s[16:17], -1
                                        ; implicit-def: $vgpr12
.LBB47_1778:
	s_and_b64 vcc, exec, s[16:17]
	s_cbranch_vccz .LBB47_1780
; %bb.1779:
	global_load_ubyte v1, v[20:21], off
	s_mov_b32 s16, 0x7f800000
	s_waitcnt vmcnt(0)
	v_lshlrev_b32_e32 v1, 24, v1
	v_and_b32_e32 v3, 0x7f000000, v1
	v_ffbh_u32_e32 v5, v3
	v_min_u32_e32 v5, 32, v5
	v_sub_u32_e64 v5, v5, 4 clamp
	v_lshlrev_b32_e32 v10, v5, v3
	v_lshlrev_b32_e32 v5, 23, v5
	v_lshrrev_b32_e32 v10, 4, v10
	v_add_u32_e32 v8, 0x1000000, v3
	v_sub_u32_e32 v5, v10, v5
	v_ashrrev_i32_e32 v8, 8, v8
	v_add_u32_e32 v5, 0x3c000000, v5
	v_and_or_b32 v5, v8, s16, v5
	v_cmp_ne_u32_e32 vcc, 0, v3
	v_cndmask_b32_e32 v3, 0, v5, vcc
	s_brev_b32 s16, 1
	v_and_or_b32 v1, v1, s16, v3
	v_cvt_i32_f32_e32 v12, v1
.LBB47_1780:
	s_mov_b64 s[16:17], 0
.LBB47_1781:
	s_andn2_b64 vcc, exec, s[16:17]
	s_cbranch_vccnz .LBB47_1783
; %bb.1782:
	global_load_ubyte v1, v[20:21], off
	s_movk_i32 s16, 0x7f00
	s_brev_b32 s17, 16
	s_waitcnt vmcnt(0)
	v_lshlrev_b16_e32 v3, 8, v1
	v_lshlrev_b32_e32 v1, 25, v1
	v_lshrrev_b32_e32 v5, 4, v1
	v_and_or_b32 v8, v3, s16, 0.5
	v_or_b32_e32 v5, 0x70000000, v5
	v_add_f32_e32 v8, -0.5, v8
	v_mul_f32_e32 v5, 0x7800000, v5
	v_cmp_gt_u32_e32 vcc, s17, v1
	v_bfe_i32 v3, v3, 0, 16
	v_cndmask_b32_e32 v1, v5, v8, vcc
	s_brev_b32 s16, 1
	v_and_or_b32 v1, v3, s16, v1
	v_cvt_i32_f32_e32 v12, v1
.LBB47_1783:
	s_mov_b64 s[16:17], 0
	s_mov_b64 s[18:19], -1
.LBB47_1784:
	s_andn2_b64 vcc, exec, s[16:17]
	s_mov_b64 s[16:17], 0
	s_cbranch_vccnz .LBB47_1795
; %bb.1785:
	s_cmp_gt_i32 s25, 14
	s_cbranch_scc0 .LBB47_1788
; %bb.1786:
	s_cmp_eq_u32 s25, 15
	s_cbranch_scc0 .LBB47_1791
; %bb.1787:
	global_load_ushort v1, v[20:21], off
	s_mov_b64 s[6:7], 0
	s_mov_b64 s[18:19], -1
	s_waitcnt vmcnt(0)
	v_lshlrev_b32_e32 v1, 16, v1
	v_cvt_i32_f32_e32 v12, v1
	s_branch .LBB47_1792
.LBB47_1788:
	s_mov_b64 s[20:21], -1
                                        ; implicit-def: $vgpr12
	s_branch .LBB47_1793
.LBB47_1789:
	s_andn2_saveexec_b64 s[16:17], s[16:17]
	s_cbranch_execz .LBB47_1770
.LBB47_1790:
	v_cmp_ne_u16_e32 vcc, 0, v1
	s_andn2_b64 s[18:19], s[18:19], exec
	s_and_b64 s[20:21], vcc, exec
	s_or_b64 s[18:19], s[18:19], s[20:21]
	s_or_b64 exec, exec, s[16:17]
	v_mov_b32_e32 v12, 0
	s_and_saveexec_b64 s[16:17], s[18:19]
	s_cbranch_execnz .LBB47_1771
	s_branch .LBB47_1772
.LBB47_1791:
	s_mov_b64 s[6:7], -1
                                        ; implicit-def: $vgpr12
.LBB47_1792:
	s_mov_b64 s[20:21], 0
.LBB47_1793:
	s_and_b64 vcc, exec, s[20:21]
	s_cbranch_vccz .LBB47_1795
; %bb.1794:
	s_cmp_lg_u32 s25, 11
	s_mov_b64 s[16:17], -1
	s_cselect_b64 s[6:7], -1, 0
.LBB47_1795:
	s_and_b64 vcc, exec, s[6:7]
	s_cbranch_vccnz .LBB47_1858
; %bb.1796:
	s_andn2_b64 vcc, exec, s[16:17]
	s_cbranch_vccnz .LBB47_1798
.LBB47_1797:
	global_load_ubyte v1, v[20:21], off
	s_mov_b64 s[18:19], -1
	s_waitcnt vmcnt(0)
	v_cmp_ne_u16_e32 vcc, 0, v1
	v_cndmask_b32_e64 v12, 0, 1, vcc
.LBB47_1798:
	s_branch .LBB47_1729
.LBB47_1799:
	s_and_b32 s16, 0xffff, s24
	s_cmp_lt_i32 s16, 5
	s_cbranch_scc1 .LBB47_1804
; %bb.1800:
	s_cmp_lt_i32 s16, 8
	s_cbranch_scc1 .LBB47_1805
; %bb.1801:
	;; [unrolled: 3-line block ×3, first 2 shown]
	s_cmp_gt_i32 s16, 9
	s_cbranch_scc0 .LBB47_1807
; %bb.1803:
	global_load_dwordx2 v[12:13], v[20:21], off
	s_mov_b64 s[6:7], 0
	s_waitcnt vmcnt(0)
	v_cvt_i32_f64_e32 v12, v[12:13]
	s_branch .LBB47_1808
.LBB47_1804:
                                        ; implicit-def: $vgpr12
	s_branch .LBB47_1826
.LBB47_1805:
	s_mov_b64 s[6:7], -1
                                        ; implicit-def: $vgpr12
	s_branch .LBB47_1814
.LBB47_1806:
	s_mov_b64 s[6:7], -1
                                        ; implicit-def: $vgpr12
	s_branch .LBB47_1811
.LBB47_1807:
	s_mov_b64 s[6:7], -1
                                        ; implicit-def: $vgpr12
.LBB47_1808:
	s_andn2_b64 vcc, exec, s[6:7]
	s_cbranch_vccnz .LBB47_1810
; %bb.1809:
	global_load_dword v1, v[20:21], off
	s_waitcnt vmcnt(0)
	v_cvt_i32_f32_e32 v12, v1
.LBB47_1810:
	s_mov_b64 s[6:7], 0
.LBB47_1811:
	s_andn2_b64 vcc, exec, s[6:7]
	s_cbranch_vccnz .LBB47_1813
; %bb.1812:
	global_load_dword v1, v[20:21], off
	s_waitcnt vmcnt(0)
	v_cvt_i16_f16_e32 v12, v1
.LBB47_1813:
	s_mov_b64 s[6:7], 0
.LBB47_1814:
	s_andn2_b64 vcc, exec, s[6:7]
	s_cbranch_vccnz .LBB47_1825
; %bb.1815:
	s_cmp_lt_i32 s16, 6
	s_cbranch_scc1 .LBB47_1818
; %bb.1816:
	s_cmp_gt_i32 s16, 6
	s_cbranch_scc0 .LBB47_1819
; %bb.1817:
	global_load_dwordx2 v[12:13], v[20:21], off
	s_mov_b64 s[6:7], 0
	s_waitcnt vmcnt(0)
	v_cvt_i32_f64_e32 v12, v[12:13]
	s_branch .LBB47_1820
.LBB47_1818:
	s_mov_b64 s[6:7], -1
                                        ; implicit-def: $vgpr12
	s_branch .LBB47_1823
.LBB47_1819:
	s_mov_b64 s[6:7], -1
                                        ; implicit-def: $vgpr12
.LBB47_1820:
	s_andn2_b64 vcc, exec, s[6:7]
	s_cbranch_vccnz .LBB47_1822
; %bb.1821:
	global_load_dword v1, v[20:21], off
	s_waitcnt vmcnt(0)
	v_cvt_i32_f32_e32 v12, v1
.LBB47_1822:
	s_mov_b64 s[6:7], 0
.LBB47_1823:
	s_andn2_b64 vcc, exec, s[6:7]
	s_cbranch_vccnz .LBB47_1825
; %bb.1824:
	global_load_ushort v1, v[20:21], off
	s_waitcnt vmcnt(0)
	v_cvt_i16_f16_e32 v12, v1
.LBB47_1825:
	s_cbranch_execnz .LBB47_1845
.LBB47_1826:
	s_cmp_lt_i32 s16, 2
	s_cbranch_scc1 .LBB47_1830
; %bb.1827:
	s_cmp_lt_i32 s16, 3
	s_cbranch_scc1 .LBB47_1831
; %bb.1828:
	s_cmp_gt_i32 s16, 3
	s_cbranch_scc0 .LBB47_1832
; %bb.1829:
	global_load_dwordx2 v[12:13], v[20:21], off
	s_mov_b64 s[6:7], 0
	s_branch .LBB47_1833
.LBB47_1830:
	s_mov_b64 s[6:7], -1
                                        ; implicit-def: $vgpr12
	s_branch .LBB47_1839
.LBB47_1831:
	s_mov_b64 s[6:7], -1
                                        ; implicit-def: $vgpr12
	s_branch .LBB47_1836
.LBB47_1832:
	s_mov_b64 s[6:7], -1
                                        ; implicit-def: $vgpr12
.LBB47_1833:
	s_andn2_b64 vcc, exec, s[6:7]
	s_cbranch_vccnz .LBB47_1835
; %bb.1834:
	global_load_dword v12, v[20:21], off
.LBB47_1835:
	s_mov_b64 s[6:7], 0
.LBB47_1836:
	s_andn2_b64 vcc, exec, s[6:7]
	s_cbranch_vccnz .LBB47_1838
; %bb.1837:
	global_load_ushort v12, v[20:21], off
.LBB47_1838:
	s_mov_b64 s[6:7], 0
.LBB47_1839:
	s_andn2_b64 vcc, exec, s[6:7]
	s_cbranch_vccnz .LBB47_1845
; %bb.1840:
	s_cmp_gt_i32 s16, 0
	s_cbranch_scc0 .LBB47_1842
; %bb.1841:
	global_load_ubyte v12, v[20:21], off
	s_mov_b64 s[6:7], 0
	s_branch .LBB47_1843
.LBB47_1842:
	s_mov_b64 s[6:7], -1
                                        ; implicit-def: $vgpr12
.LBB47_1843:
	s_andn2_b64 vcc, exec, s[6:7]
	s_cbranch_vccnz .LBB47_1845
; %bb.1844:
	global_load_ubyte v12, v[20:21], off
.LBB47_1845:
.LBB47_1846:
	v_mov_b32_e32 v1, s11
	s_and_b32 s23, 0xffff, s23
	v_add_co_u32_e32 v20, vcc, s10, v11
	s_cmp_lt_i32 s23, 11
	v_addc_co_u32_e32 v21, vcc, 0, v1, vcc
	s_cbranch_scc1 .LBB47_1853
; %bb.1847:
	s_cmp_gt_i32 s23, 25
	s_mov_b64 s[16:17], 0
	s_cbranch_scc0 .LBB47_1855
; %bb.1848:
	s_cmp_gt_i32 s23, 28
	s_cbranch_scc0 .LBB47_1856
; %bb.1849:
	s_cmp_gt_i32 s23, 43
	;; [unrolled: 3-line block ×3, first 2 shown]
	s_cbranch_scc0 .LBB47_1859
; %bb.1851:
	s_cmp_eq_u32 s23, 46
	s_mov_b64 s[20:21], 0
	s_cbranch_scc0 .LBB47_1860
; %bb.1852:
	global_load_dword v1, v[20:21], off
	s_mov_b64 s[6:7], 0
	s_mov_b64 s[18:19], -1
	s_waitcnt vmcnt(0)
	v_lshlrev_b32_e32 v1, 16, v1
	v_cvt_i32_f32_e32 v10, v1
	s_branch .LBB47_1861
.LBB47_1853:
	s_mov_b64 s[18:19], 0
                                        ; implicit-def: $vgpr10
	s_cbranch_execnz .LBB47_1923
.LBB47_1854:
	s_andn2_b64 vcc, exec, s[18:19]
	s_cbranch_vccnz .LBB47_3036
	s_branch .LBB47_1971
.LBB47_1855:
	s_mov_b64 s[20:21], -1
	s_mov_b64 s[18:19], 0
	s_mov_b64 s[6:7], 0
                                        ; implicit-def: $vgpr10
	s_branch .LBB47_1888
.LBB47_1856:
	s_mov_b64 s[20:21], -1
	s_mov_b64 s[18:19], 0
	s_mov_b64 s[6:7], 0
                                        ; implicit-def: $vgpr10
	s_branch .LBB47_1871
.LBB47_1857:
	s_mov_b64 s[20:21], -1
	s_mov_b64 s[18:19], 0
	s_mov_b64 s[6:7], 0
                                        ; implicit-def: $vgpr10
	s_branch .LBB47_1866
.LBB47_1858:
	s_trap 2
	s_or_b64 s[4:5], s[4:5], exec
	s_cbranch_execz .LBB47_1797
	s_branch .LBB47_1798
.LBB47_1859:
	s_mov_b64 s[20:21], -1
	s_mov_b64 s[18:19], 0
	s_mov_b64 s[6:7], 0
                                        ; implicit-def: $vgpr10
	s_branch .LBB47_1861
.LBB47_1860:
	s_mov_b64 s[6:7], -1
                                        ; implicit-def: $vgpr10
	s_mov_b64 s[18:19], 0
.LBB47_1861:
	s_and_b64 vcc, exec, s[20:21]
	s_cbranch_vccz .LBB47_1865
; %bb.1862:
	s_cmp_eq_u32 s23, 44
	s_cbranch_scc0 .LBB47_1864
; %bb.1863:
	global_load_ubyte v1, v[20:21], off
	s_mov_b64 s[6:7], 0
	s_mov_b64 s[18:19], -1
	s_waitcnt vmcnt(0)
	v_lshlrev_b32_e32 v3, 23, v1
	v_cvt_i32_f32_e32 v3, v3
	v_cmp_ne_u32_e32 vcc, 0, v1
	v_cndmask_b32_e32 v10, 0, v3, vcc
	s_branch .LBB47_1865
.LBB47_1864:
	s_mov_b64 s[6:7], -1
                                        ; implicit-def: $vgpr10
.LBB47_1865:
	s_mov_b64 s[20:21], 0
.LBB47_1866:
	s_and_b64 vcc, exec, s[20:21]
	s_cbranch_vccz .LBB47_1870
; %bb.1867:
	s_cmp_eq_u32 s23, 29
	s_cbranch_scc0 .LBB47_1869
; %bb.1868:
	global_load_dwordx2 v[10:11], v[20:21], off
	s_mov_b64 s[6:7], 0
	s_mov_b64 s[18:19], -1
	s_branch .LBB47_1870
.LBB47_1869:
	s_mov_b64 s[6:7], -1
                                        ; implicit-def: $vgpr10
.LBB47_1870:
	s_mov_b64 s[20:21], 0
.LBB47_1871:
	s_and_b64 vcc, exec, s[20:21]
	s_cbranch_vccz .LBB47_1887
; %bb.1872:
	s_cmp_lt_i32 s23, 27
	s_cbranch_scc1 .LBB47_1875
; %bb.1873:
	s_cmp_gt_i32 s23, 27
	s_cbranch_scc0 .LBB47_1876
; %bb.1874:
	global_load_dword v10, v[20:21], off
	s_mov_b64 s[18:19], 0
	s_branch .LBB47_1877
.LBB47_1875:
	s_mov_b64 s[18:19], -1
                                        ; implicit-def: $vgpr10
	s_branch .LBB47_1880
.LBB47_1876:
	s_mov_b64 s[18:19], -1
                                        ; implicit-def: $vgpr10
.LBB47_1877:
	s_andn2_b64 vcc, exec, s[18:19]
	s_cbranch_vccnz .LBB47_1879
; %bb.1878:
	global_load_ushort v10, v[20:21], off
.LBB47_1879:
	s_mov_b64 s[18:19], 0
.LBB47_1880:
	s_andn2_b64 vcc, exec, s[18:19]
	s_cbranch_vccnz .LBB47_1886
; %bb.1881:
	global_load_ubyte v1, v[20:21], off
	s_movk_i32 s18, 0x7f
	s_mov_b64 s[20:21], 0
	s_waitcnt vmcnt(0)
	v_cmp_lt_i16_e32 vcc, s18, v1
	s_and_saveexec_b64 s[18:19], vcc
	s_xor_b64 s[18:19], exec, s[18:19]
	s_cbranch_execz .LBB47_1898
; %bb.1882:
	s_movk_i32 s20, 0x80
	v_cmp_ne_u16_e32 vcc, s20, v1
	s_and_b64 s[20:21], vcc, exec
	s_andn2_saveexec_b64 s[18:19], s[18:19]
	s_cbranch_execnz .LBB47_1899
.LBB47_1883:
	s_or_b64 exec, exec, s[18:19]
	v_mov_b32_e32 v10, 0
	s_and_saveexec_b64 s[18:19], s[20:21]
	s_cbranch_execz .LBB47_1885
.LBB47_1884:
	v_lshlrev_b32_e32 v3, 24, v1
	v_and_b32_e32 v1, 0xffff, v1
	v_and_b32_e32 v5, 7, v1
	v_ffbh_u32_e32 v10, v5
	v_min_u32_e32 v10, 32, v10
	v_subrev_u32_e32 v11, 28, v10
	v_bfe_u32 v8, v1, 3, 4
	v_lshlrev_b32_e32 v1, v11, v1
	v_sub_u32_e32 v10, 29, v10
	v_and_b32_e32 v1, 7, v1
	v_cmp_eq_u32_e32 vcc, 0, v8
	v_cndmask_b32_e32 v8, v8, v10, vcc
	v_cndmask_b32_e32 v1, v5, v1, vcc
	v_mov_b32_e32 v5, 0x3b800000
	v_lshlrev_b32_e32 v1, 20, v1
	v_and_b32_e32 v3, 0x80000000, v3
	v_lshl_add_u32 v5, v8, 23, v5
	v_or3_b32 v1, v3, v5, v1
	v_cvt_i32_f32_e32 v10, v1
.LBB47_1885:
	s_or_b64 exec, exec, s[18:19]
.LBB47_1886:
	s_mov_b64 s[18:19], -1
.LBB47_1887:
	s_mov_b64 s[20:21], 0
.LBB47_1888:
	s_and_b64 vcc, exec, s[20:21]
	s_cbranch_vccz .LBB47_1919
; %bb.1889:
	s_cmp_gt_i32 s23, 22
	s_cbranch_scc0 .LBB47_1897
; %bb.1890:
	s_cmp_lt_i32 s23, 24
	s_cbranch_scc1 .LBB47_1900
; %bb.1891:
	s_cmp_gt_i32 s23, 24
	s_cbranch_scc0 .LBB47_1901
; %bb.1892:
	global_load_ubyte v1, v[20:21], off
	s_movk_i32 s16, 0x7f
	s_mov_b64 s[18:19], 0
	s_waitcnt vmcnt(0)
	v_cmp_lt_i16_e32 vcc, s16, v1
	s_and_saveexec_b64 s[16:17], vcc
	s_xor_b64 s[16:17], exec, s[16:17]
	s_cbranch_execz .LBB47_1913
; %bb.1893:
	s_movk_i32 s18, 0x80
	v_cmp_ne_u16_e32 vcc, s18, v1
	s_and_b64 s[18:19], vcc, exec
	s_andn2_saveexec_b64 s[16:17], s[16:17]
	s_cbranch_execnz .LBB47_1914
.LBB47_1894:
	s_or_b64 exec, exec, s[16:17]
	v_mov_b32_e32 v10, 0
	s_and_saveexec_b64 s[16:17], s[18:19]
	s_cbranch_execz .LBB47_1896
.LBB47_1895:
	v_lshlrev_b32_e32 v3, 24, v1
	v_and_b32_e32 v1, 0xffff, v1
	v_and_b32_e32 v5, 3, v1
	v_ffbh_u32_e32 v10, v5
	v_min_u32_e32 v10, 32, v10
	v_subrev_u32_e32 v11, 29, v10
	v_bfe_u32 v8, v1, 2, 5
	v_lshlrev_b32_e32 v1, v11, v1
	v_sub_u32_e32 v10, 30, v10
	v_and_b32_e32 v1, 3, v1
	v_cmp_eq_u32_e32 vcc, 0, v8
	v_cndmask_b32_e32 v8, v8, v10, vcc
	v_cndmask_b32_e32 v1, v5, v1, vcc
	v_mov_b32_e32 v5, 0x37800000
	v_lshlrev_b32_e32 v1, 21, v1
	v_and_b32_e32 v3, 0x80000000, v3
	v_lshl_add_u32 v5, v8, 23, v5
	v_or3_b32 v1, v3, v5, v1
	v_cvt_i32_f32_e32 v10, v1
.LBB47_1896:
	s_or_b64 exec, exec, s[16:17]
	s_mov_b64 s[16:17], 0
	s_branch .LBB47_1902
.LBB47_1897:
	s_mov_b64 s[16:17], -1
                                        ; implicit-def: $vgpr10
	s_branch .LBB47_1908
.LBB47_1898:
	s_andn2_saveexec_b64 s[18:19], s[18:19]
	s_cbranch_execz .LBB47_1883
.LBB47_1899:
	v_cmp_ne_u16_e32 vcc, 0, v1
	s_andn2_b64 s[20:21], s[20:21], exec
	s_and_b64 s[26:27], vcc, exec
	s_or_b64 s[20:21], s[20:21], s[26:27]
	s_or_b64 exec, exec, s[18:19]
	v_mov_b32_e32 v10, 0
	s_and_saveexec_b64 s[18:19], s[20:21]
	s_cbranch_execnz .LBB47_1884
	s_branch .LBB47_1885
.LBB47_1900:
	s_mov_b64 s[16:17], -1
                                        ; implicit-def: $vgpr10
	s_branch .LBB47_1905
.LBB47_1901:
	s_mov_b64 s[16:17], -1
                                        ; implicit-def: $vgpr10
.LBB47_1902:
	s_and_b64 vcc, exec, s[16:17]
	s_cbranch_vccz .LBB47_1904
; %bb.1903:
	global_load_ubyte v1, v[20:21], off
	s_mov_b32 s16, 0x7f800000
	s_waitcnt vmcnt(0)
	v_lshlrev_b32_e32 v1, 24, v1
	v_and_b32_e32 v3, 0x7f000000, v1
	v_ffbh_u32_e32 v5, v3
	v_min_u32_e32 v5, 32, v5
	v_sub_u32_e64 v5, v5, 4 clamp
	v_lshlrev_b32_e32 v10, v5, v3
	v_lshlrev_b32_e32 v5, 23, v5
	v_lshrrev_b32_e32 v10, 4, v10
	v_add_u32_e32 v8, 0x1000000, v3
	v_sub_u32_e32 v5, v10, v5
	v_ashrrev_i32_e32 v8, 8, v8
	v_add_u32_e32 v5, 0x3c000000, v5
	v_and_or_b32 v5, v8, s16, v5
	v_cmp_ne_u32_e32 vcc, 0, v3
	v_cndmask_b32_e32 v3, 0, v5, vcc
	s_brev_b32 s16, 1
	v_and_or_b32 v1, v1, s16, v3
	v_cvt_i32_f32_e32 v10, v1
.LBB47_1904:
	s_mov_b64 s[16:17], 0
.LBB47_1905:
	s_andn2_b64 vcc, exec, s[16:17]
	s_cbranch_vccnz .LBB47_1907
; %bb.1906:
	global_load_ubyte v1, v[20:21], off
	s_movk_i32 s16, 0x7f00
	s_brev_b32 s17, 16
	s_waitcnt vmcnt(0)
	v_lshlrev_b16_e32 v3, 8, v1
	v_lshlrev_b32_e32 v1, 25, v1
	v_lshrrev_b32_e32 v5, 4, v1
	v_and_or_b32 v8, v3, s16, 0.5
	v_or_b32_e32 v5, 0x70000000, v5
	v_add_f32_e32 v8, -0.5, v8
	v_mul_f32_e32 v5, 0x7800000, v5
	v_cmp_gt_u32_e32 vcc, s17, v1
	v_bfe_i32 v3, v3, 0, 16
	v_cndmask_b32_e32 v1, v5, v8, vcc
	s_brev_b32 s16, 1
	v_and_or_b32 v1, v3, s16, v1
	v_cvt_i32_f32_e32 v10, v1
.LBB47_1907:
	s_mov_b64 s[16:17], 0
	s_mov_b64 s[18:19], -1
.LBB47_1908:
	s_andn2_b64 vcc, exec, s[16:17]
	s_mov_b64 s[16:17], 0
	s_cbranch_vccnz .LBB47_1919
; %bb.1909:
	s_cmp_gt_i32 s23, 14
	s_cbranch_scc0 .LBB47_1912
; %bb.1910:
	s_cmp_eq_u32 s23, 15
	s_cbranch_scc0 .LBB47_1915
; %bb.1911:
	global_load_ushort v1, v[20:21], off
	s_mov_b64 s[6:7], 0
	s_mov_b64 s[18:19], -1
	s_waitcnt vmcnt(0)
	v_lshlrev_b32_e32 v1, 16, v1
	v_cvt_i32_f32_e32 v10, v1
	s_branch .LBB47_1916
.LBB47_1912:
	s_mov_b64 s[20:21], -1
                                        ; implicit-def: $vgpr10
	s_branch .LBB47_1917
.LBB47_1913:
	s_andn2_saveexec_b64 s[16:17], s[16:17]
	s_cbranch_execz .LBB47_1894
.LBB47_1914:
	v_cmp_ne_u16_e32 vcc, 0, v1
	s_andn2_b64 s[18:19], s[18:19], exec
	s_and_b64 s[20:21], vcc, exec
	s_or_b64 s[18:19], s[18:19], s[20:21]
	s_or_b64 exec, exec, s[16:17]
	v_mov_b32_e32 v10, 0
	s_and_saveexec_b64 s[16:17], s[18:19]
	s_cbranch_execnz .LBB47_1895
	s_branch .LBB47_1896
.LBB47_1915:
	s_mov_b64 s[6:7], -1
                                        ; implicit-def: $vgpr10
.LBB47_1916:
	s_mov_b64 s[20:21], 0
.LBB47_1917:
	s_and_b64 vcc, exec, s[20:21]
	s_cbranch_vccz .LBB47_1919
; %bb.1918:
	s_cmp_lg_u32 s23, 11
	s_mov_b64 s[16:17], -1
	s_cselect_b64 s[6:7], -1, 0
.LBB47_1919:
	s_and_b64 vcc, exec, s[6:7]
	s_cbranch_vccnz .LBB47_1982
; %bb.1920:
	s_andn2_b64 vcc, exec, s[16:17]
	s_cbranch_vccnz .LBB47_1922
.LBB47_1921:
	global_load_ubyte v1, v[20:21], off
	s_mov_b64 s[18:19], -1
	s_waitcnt vmcnt(0)
	v_cmp_ne_u16_e32 vcc, 0, v1
	v_cndmask_b32_e64 v10, 0, 1, vcc
.LBB47_1922:
	s_branch .LBB47_1854
.LBB47_1923:
	s_cmp_lt_i32 s23, 5
	s_cbranch_scc1 .LBB47_1928
; %bb.1924:
	s_cmp_lt_i32 s23, 8
	s_cbranch_scc1 .LBB47_1929
; %bb.1925:
	;; [unrolled: 3-line block ×3, first 2 shown]
	s_cmp_gt_i32 s23, 9
	s_cbranch_scc0 .LBB47_1931
; %bb.1927:
	global_load_dwordx2 v[10:11], v[20:21], off
	s_mov_b64 s[6:7], 0
	s_waitcnt vmcnt(0)
	v_cvt_i32_f64_e32 v10, v[10:11]
	s_branch .LBB47_1932
.LBB47_1928:
	s_mov_b64 s[6:7], -1
                                        ; implicit-def: $vgpr10
	s_branch .LBB47_1950
.LBB47_1929:
	s_mov_b64 s[6:7], -1
                                        ; implicit-def: $vgpr10
	s_branch .LBB47_1938
.LBB47_1930:
	s_mov_b64 s[6:7], -1
                                        ; implicit-def: $vgpr10
	s_branch .LBB47_1935
.LBB47_1931:
	s_mov_b64 s[6:7], -1
                                        ; implicit-def: $vgpr10
.LBB47_1932:
	s_andn2_b64 vcc, exec, s[6:7]
	s_cbranch_vccnz .LBB47_1934
; %bb.1933:
	global_load_dword v1, v[20:21], off
	s_waitcnt vmcnt(0)
	v_cvt_i32_f32_e32 v10, v1
.LBB47_1934:
	s_mov_b64 s[6:7], 0
.LBB47_1935:
	s_andn2_b64 vcc, exec, s[6:7]
	s_cbranch_vccnz .LBB47_1937
; %bb.1936:
	global_load_dword v1, v[20:21], off
	s_waitcnt vmcnt(0)
	v_cvt_i16_f16_e32 v10, v1
.LBB47_1937:
	s_mov_b64 s[6:7], 0
.LBB47_1938:
	s_andn2_b64 vcc, exec, s[6:7]
	s_cbranch_vccnz .LBB47_1949
; %bb.1939:
	s_cmp_lt_i32 s23, 6
	s_cbranch_scc1 .LBB47_1942
; %bb.1940:
	s_cmp_gt_i32 s23, 6
	s_cbranch_scc0 .LBB47_1943
; %bb.1941:
	global_load_dwordx2 v[10:11], v[20:21], off
	s_mov_b64 s[6:7], 0
	s_waitcnt vmcnt(0)
	v_cvt_i32_f64_e32 v10, v[10:11]
	s_branch .LBB47_1944
.LBB47_1942:
	s_mov_b64 s[6:7], -1
                                        ; implicit-def: $vgpr10
	s_branch .LBB47_1947
.LBB47_1943:
	s_mov_b64 s[6:7], -1
                                        ; implicit-def: $vgpr10
.LBB47_1944:
	s_andn2_b64 vcc, exec, s[6:7]
	s_cbranch_vccnz .LBB47_1946
; %bb.1945:
	global_load_dword v1, v[20:21], off
	s_waitcnt vmcnt(0)
	v_cvt_i32_f32_e32 v10, v1
.LBB47_1946:
	s_mov_b64 s[6:7], 0
.LBB47_1947:
	s_andn2_b64 vcc, exec, s[6:7]
	s_cbranch_vccnz .LBB47_1949
; %bb.1948:
	global_load_ushort v1, v[20:21], off
	s_waitcnt vmcnt(0)
	v_cvt_i16_f16_e32 v10, v1
.LBB47_1949:
	s_mov_b64 s[6:7], 0
.LBB47_1950:
	s_andn2_b64 vcc, exec, s[6:7]
	s_cbranch_vccnz .LBB47_1970
; %bb.1951:
	s_cmp_lt_i32 s23, 2
	s_cbranch_scc1 .LBB47_1955
; %bb.1952:
	s_cmp_lt_i32 s23, 3
	s_cbranch_scc1 .LBB47_1956
; %bb.1953:
	s_cmp_gt_i32 s23, 3
	s_cbranch_scc0 .LBB47_1957
; %bb.1954:
	global_load_dwordx2 v[10:11], v[20:21], off
	s_mov_b64 s[6:7], 0
	s_branch .LBB47_1958
.LBB47_1955:
	s_mov_b64 s[6:7], -1
                                        ; implicit-def: $vgpr10
	s_branch .LBB47_1964
.LBB47_1956:
	s_mov_b64 s[6:7], -1
                                        ; implicit-def: $vgpr10
	s_branch .LBB47_1961
.LBB47_1957:
	s_mov_b64 s[6:7], -1
                                        ; implicit-def: $vgpr10
.LBB47_1958:
	s_andn2_b64 vcc, exec, s[6:7]
	s_cbranch_vccnz .LBB47_1960
; %bb.1959:
	global_load_dword v10, v[20:21], off
.LBB47_1960:
	s_mov_b64 s[6:7], 0
.LBB47_1961:
	s_andn2_b64 vcc, exec, s[6:7]
	s_cbranch_vccnz .LBB47_1963
; %bb.1962:
	global_load_ushort v10, v[20:21], off
.LBB47_1963:
	s_mov_b64 s[6:7], 0
.LBB47_1964:
	s_andn2_b64 vcc, exec, s[6:7]
	s_cbranch_vccnz .LBB47_1970
; %bb.1965:
	s_cmp_gt_i32 s23, 0
	s_cbranch_scc0 .LBB47_1967
; %bb.1966:
	global_load_ubyte v10, v[20:21], off
	s_mov_b64 s[6:7], 0
	s_branch .LBB47_1968
.LBB47_1967:
	s_mov_b64 s[6:7], -1
                                        ; implicit-def: $vgpr10
.LBB47_1968:
	s_andn2_b64 vcc, exec, s[6:7]
	s_cbranch_vccnz .LBB47_1970
; %bb.1969:
	global_load_ubyte v10, v[20:21], off
.LBB47_1970:
.LBB47_1971:
	v_mov_b32_e32 v1, s1
	s_and_b32 s24, 0xffff, s24
	v_add_co_u32_e32 v20, vcc, s0, v18
	s_cmp_lt_i32 s24, 11
	v_addc_co_u32_e32 v21, vcc, 0, v1, vcc
	s_cbranch_scc1 .LBB47_1978
; %bb.1972:
	s_cmp_gt_i32 s24, 25
	s_mov_b64 s[16:17], 0
	s_cbranch_scc0 .LBB47_1979
; %bb.1973:
	s_cmp_gt_i32 s24, 28
	s_cbranch_scc0 .LBB47_1980
; %bb.1974:
	s_cmp_gt_i32 s24, 43
	;; [unrolled: 3-line block ×3, first 2 shown]
	s_cbranch_scc0 .LBB47_1983
; %bb.1976:
	s_cmp_eq_u32 s24, 46
	s_mov_b64 s[20:21], 0
	s_cbranch_scc0 .LBB47_1984
; %bb.1977:
	global_load_dword v1, v[20:21], off
	s_mov_b64 s[6:7], 0
	s_mov_b64 s[18:19], -1
	s_waitcnt vmcnt(0)
	v_lshlrev_b32_e32 v1, 16, v1
	v_cvt_i32_f32_e32 v17, v1
	s_branch .LBB47_1985
.LBB47_1978:
	s_mov_b64 s[6:7], -1
	s_mov_b64 s[18:19], 0
                                        ; implicit-def: $vgpr17
	s_branch .LBB47_2047
.LBB47_1979:
	s_mov_b64 s[20:21], -1
	s_mov_b64 s[18:19], 0
	s_mov_b64 s[6:7], 0
                                        ; implicit-def: $vgpr17
	s_branch .LBB47_2012
.LBB47_1980:
	s_mov_b64 s[20:21], -1
	s_mov_b64 s[18:19], 0
	s_mov_b64 s[6:7], 0
                                        ; implicit-def: $vgpr17
	s_branch .LBB47_1995
.LBB47_1981:
	s_mov_b64 s[20:21], -1
	s_mov_b64 s[18:19], 0
	s_mov_b64 s[6:7], 0
                                        ; implicit-def: $vgpr17
	s_branch .LBB47_1990
.LBB47_1982:
	s_trap 2
	s_or_b64 s[4:5], s[4:5], exec
	s_cbranch_execz .LBB47_1921
	s_branch .LBB47_1922
.LBB47_1983:
	s_mov_b64 s[20:21], -1
	s_mov_b64 s[18:19], 0
	s_mov_b64 s[6:7], 0
                                        ; implicit-def: $vgpr17
	s_branch .LBB47_1985
.LBB47_1984:
	s_mov_b64 s[6:7], -1
                                        ; implicit-def: $vgpr17
	s_mov_b64 s[18:19], 0
.LBB47_1985:
	s_and_b64 vcc, exec, s[20:21]
	s_cbranch_vccz .LBB47_1989
; %bb.1986:
	s_cmp_eq_u32 s24, 44
	s_cbranch_scc0 .LBB47_1988
; %bb.1987:
	global_load_ubyte v1, v[20:21], off
	s_mov_b64 s[6:7], 0
	s_mov_b64 s[18:19], -1
	s_waitcnt vmcnt(0)
	v_lshlrev_b32_e32 v3, 23, v1
	v_cvt_i32_f32_e32 v3, v3
	v_cmp_ne_u32_e32 vcc, 0, v1
	v_cndmask_b32_e32 v17, 0, v3, vcc
	s_branch .LBB47_1989
.LBB47_1988:
	s_mov_b64 s[6:7], -1
                                        ; implicit-def: $vgpr17
.LBB47_1989:
	s_mov_b64 s[20:21], 0
.LBB47_1990:
	s_and_b64 vcc, exec, s[20:21]
	s_cbranch_vccz .LBB47_1994
; %bb.1991:
	s_cmp_eq_u32 s24, 29
	s_cbranch_scc0 .LBB47_1993
; %bb.1992:
	global_load_dwordx2 v[17:18], v[20:21], off
	s_mov_b64 s[6:7], 0
	s_mov_b64 s[18:19], -1
	s_branch .LBB47_1994
.LBB47_1993:
	s_mov_b64 s[6:7], -1
                                        ; implicit-def: $vgpr17
.LBB47_1994:
	s_mov_b64 s[20:21], 0
.LBB47_1995:
	s_and_b64 vcc, exec, s[20:21]
	s_cbranch_vccz .LBB47_2011
; %bb.1996:
	s_cmp_lt_i32 s24, 27
	s_cbranch_scc1 .LBB47_1999
; %bb.1997:
	s_cmp_gt_i32 s24, 27
	s_cbranch_scc0 .LBB47_2000
; %bb.1998:
	global_load_dword v17, v[20:21], off
	s_mov_b64 s[18:19], 0
	s_branch .LBB47_2001
.LBB47_1999:
	s_mov_b64 s[18:19], -1
                                        ; implicit-def: $vgpr17
	s_branch .LBB47_2004
.LBB47_2000:
	s_mov_b64 s[18:19], -1
                                        ; implicit-def: $vgpr17
.LBB47_2001:
	s_andn2_b64 vcc, exec, s[18:19]
	s_cbranch_vccnz .LBB47_2003
; %bb.2002:
	global_load_ushort v17, v[20:21], off
.LBB47_2003:
	s_mov_b64 s[18:19], 0
.LBB47_2004:
	s_andn2_b64 vcc, exec, s[18:19]
	s_cbranch_vccnz .LBB47_2010
; %bb.2005:
	global_load_ubyte v1, v[20:21], off
	s_movk_i32 s18, 0x7f
	s_mov_b64 s[20:21], 0
	s_waitcnt vmcnt(0)
	v_cmp_lt_i16_e32 vcc, s18, v1
	s_and_saveexec_b64 s[18:19], vcc
	s_xor_b64 s[18:19], exec, s[18:19]
	s_cbranch_execz .LBB47_2022
; %bb.2006:
	s_movk_i32 s20, 0x80
	v_cmp_ne_u16_e32 vcc, s20, v1
	s_and_b64 s[20:21], vcc, exec
	s_andn2_saveexec_b64 s[18:19], s[18:19]
	s_cbranch_execnz .LBB47_2023
.LBB47_2007:
	s_or_b64 exec, exec, s[18:19]
	v_mov_b32_e32 v17, 0
	s_and_saveexec_b64 s[18:19], s[20:21]
	s_cbranch_execz .LBB47_2009
.LBB47_2008:
	v_lshlrev_b32_e32 v3, 24, v1
	v_and_b32_e32 v1, 0xffff, v1
	v_and_b32_e32 v5, 7, v1
	v_ffbh_u32_e32 v11, v5
	v_min_u32_e32 v11, 32, v11
	v_subrev_u32_e32 v13, 28, v11
	v_bfe_u32 v8, v1, 3, 4
	v_lshlrev_b32_e32 v1, v13, v1
	v_sub_u32_e32 v11, 29, v11
	v_and_b32_e32 v1, 7, v1
	v_cmp_eq_u32_e32 vcc, 0, v8
	v_cndmask_b32_e32 v8, v8, v11, vcc
	v_cndmask_b32_e32 v1, v5, v1, vcc
	v_mov_b32_e32 v5, 0x3b800000
	v_lshlrev_b32_e32 v1, 20, v1
	v_and_b32_e32 v3, 0x80000000, v3
	v_lshl_add_u32 v5, v8, 23, v5
	v_or3_b32 v1, v3, v5, v1
	v_cvt_i32_f32_e32 v17, v1
.LBB47_2009:
	s_or_b64 exec, exec, s[18:19]
.LBB47_2010:
	s_mov_b64 s[18:19], -1
.LBB47_2011:
	s_mov_b64 s[20:21], 0
.LBB47_2012:
	s_and_b64 vcc, exec, s[20:21]
	s_cbranch_vccz .LBB47_2043
; %bb.2013:
	s_cmp_gt_i32 s24, 22
	s_cbranch_scc0 .LBB47_2021
; %bb.2014:
	s_cmp_lt_i32 s24, 24
	s_cbranch_scc1 .LBB47_2024
; %bb.2015:
	s_cmp_gt_i32 s24, 24
	s_cbranch_scc0 .LBB47_2025
; %bb.2016:
	global_load_ubyte v1, v[20:21], off
	s_movk_i32 s16, 0x7f
	s_mov_b64 s[18:19], 0
	s_waitcnt vmcnt(0)
	v_cmp_lt_i16_e32 vcc, s16, v1
	s_and_saveexec_b64 s[16:17], vcc
	s_xor_b64 s[16:17], exec, s[16:17]
	s_cbranch_execz .LBB47_2037
; %bb.2017:
	s_movk_i32 s18, 0x80
	v_cmp_ne_u16_e32 vcc, s18, v1
	s_and_b64 s[18:19], vcc, exec
	s_andn2_saveexec_b64 s[16:17], s[16:17]
	s_cbranch_execnz .LBB47_2038
.LBB47_2018:
	s_or_b64 exec, exec, s[16:17]
	v_mov_b32_e32 v17, 0
	s_and_saveexec_b64 s[16:17], s[18:19]
	s_cbranch_execz .LBB47_2020
.LBB47_2019:
	v_lshlrev_b32_e32 v3, 24, v1
	v_and_b32_e32 v1, 0xffff, v1
	v_and_b32_e32 v5, 3, v1
	v_ffbh_u32_e32 v11, v5
	v_min_u32_e32 v11, 32, v11
	v_subrev_u32_e32 v13, 29, v11
	v_bfe_u32 v8, v1, 2, 5
	v_lshlrev_b32_e32 v1, v13, v1
	v_sub_u32_e32 v11, 30, v11
	v_and_b32_e32 v1, 3, v1
	v_cmp_eq_u32_e32 vcc, 0, v8
	v_cndmask_b32_e32 v8, v8, v11, vcc
	v_cndmask_b32_e32 v1, v5, v1, vcc
	v_mov_b32_e32 v5, 0x37800000
	v_lshlrev_b32_e32 v1, 21, v1
	v_and_b32_e32 v3, 0x80000000, v3
	v_lshl_add_u32 v5, v8, 23, v5
	v_or3_b32 v1, v3, v5, v1
	v_cvt_i32_f32_e32 v17, v1
.LBB47_2020:
	s_or_b64 exec, exec, s[16:17]
	s_mov_b64 s[16:17], 0
	s_branch .LBB47_2026
.LBB47_2021:
	s_mov_b64 s[16:17], -1
                                        ; implicit-def: $vgpr17
	s_branch .LBB47_2032
.LBB47_2022:
	s_andn2_saveexec_b64 s[18:19], s[18:19]
	s_cbranch_execz .LBB47_2007
.LBB47_2023:
	v_cmp_ne_u16_e32 vcc, 0, v1
	s_andn2_b64 s[20:21], s[20:21], exec
	s_and_b64 s[26:27], vcc, exec
	s_or_b64 s[20:21], s[20:21], s[26:27]
	s_or_b64 exec, exec, s[18:19]
	v_mov_b32_e32 v17, 0
	s_and_saveexec_b64 s[18:19], s[20:21]
	s_cbranch_execnz .LBB47_2008
	s_branch .LBB47_2009
.LBB47_2024:
	s_mov_b64 s[16:17], -1
                                        ; implicit-def: $vgpr17
	s_branch .LBB47_2029
.LBB47_2025:
	s_mov_b64 s[16:17], -1
                                        ; implicit-def: $vgpr17
.LBB47_2026:
	s_and_b64 vcc, exec, s[16:17]
	s_cbranch_vccz .LBB47_2028
; %bb.2027:
	global_load_ubyte v1, v[20:21], off
	s_mov_b32 s16, 0x7f800000
	s_waitcnt vmcnt(0)
	v_lshlrev_b32_e32 v1, 24, v1
	v_and_b32_e32 v3, 0x7f000000, v1
	v_ffbh_u32_e32 v5, v3
	v_min_u32_e32 v5, 32, v5
	v_sub_u32_e64 v5, v5, 4 clamp
	v_lshlrev_b32_e32 v11, v5, v3
	v_lshlrev_b32_e32 v5, 23, v5
	v_lshrrev_b32_e32 v11, 4, v11
	v_add_u32_e32 v8, 0x1000000, v3
	v_sub_u32_e32 v5, v11, v5
	v_ashrrev_i32_e32 v8, 8, v8
	v_add_u32_e32 v5, 0x3c000000, v5
	v_and_or_b32 v5, v8, s16, v5
	v_cmp_ne_u32_e32 vcc, 0, v3
	v_cndmask_b32_e32 v3, 0, v5, vcc
	s_brev_b32 s16, 1
	v_and_or_b32 v1, v1, s16, v3
	v_cvt_i32_f32_e32 v17, v1
.LBB47_2028:
	s_mov_b64 s[16:17], 0
.LBB47_2029:
	s_andn2_b64 vcc, exec, s[16:17]
	s_cbranch_vccnz .LBB47_2031
; %bb.2030:
	global_load_ubyte v1, v[20:21], off
	s_movk_i32 s16, 0x7f00
	s_brev_b32 s17, 16
	s_waitcnt vmcnt(0)
	v_lshlrev_b16_e32 v3, 8, v1
	v_lshlrev_b32_e32 v1, 25, v1
	v_lshrrev_b32_e32 v5, 4, v1
	v_and_or_b32 v8, v3, s16, 0.5
	v_or_b32_e32 v5, 0x70000000, v5
	v_add_f32_e32 v8, -0.5, v8
	v_mul_f32_e32 v5, 0x7800000, v5
	v_cmp_gt_u32_e32 vcc, s17, v1
	v_bfe_i32 v3, v3, 0, 16
	v_cndmask_b32_e32 v1, v5, v8, vcc
	s_brev_b32 s16, 1
	v_and_or_b32 v1, v3, s16, v1
	v_cvt_i32_f32_e32 v17, v1
.LBB47_2031:
	s_mov_b64 s[16:17], 0
	s_mov_b64 s[18:19], -1
.LBB47_2032:
	s_andn2_b64 vcc, exec, s[16:17]
	s_mov_b64 s[16:17], 0
	s_cbranch_vccnz .LBB47_2043
; %bb.2033:
	s_cmp_gt_i32 s24, 14
	s_cbranch_scc0 .LBB47_2036
; %bb.2034:
	s_cmp_eq_u32 s24, 15
	s_cbranch_scc0 .LBB47_2039
; %bb.2035:
	global_load_ushort v1, v[20:21], off
	s_mov_b64 s[6:7], 0
	s_mov_b64 s[18:19], -1
	s_waitcnt vmcnt(0)
	v_lshlrev_b32_e32 v1, 16, v1
	v_cvt_i32_f32_e32 v17, v1
	s_branch .LBB47_2040
.LBB47_2036:
	s_mov_b64 s[20:21], -1
                                        ; implicit-def: $vgpr17
	s_branch .LBB47_2041
.LBB47_2037:
	s_andn2_saveexec_b64 s[16:17], s[16:17]
	s_cbranch_execz .LBB47_2018
.LBB47_2038:
	v_cmp_ne_u16_e32 vcc, 0, v1
	s_andn2_b64 s[18:19], s[18:19], exec
	s_and_b64 s[20:21], vcc, exec
	s_or_b64 s[18:19], s[18:19], s[20:21]
	s_or_b64 exec, exec, s[16:17]
	v_mov_b32_e32 v17, 0
	s_and_saveexec_b64 s[16:17], s[18:19]
	s_cbranch_execnz .LBB47_2019
	s_branch .LBB47_2020
.LBB47_2039:
	s_mov_b64 s[6:7], -1
                                        ; implicit-def: $vgpr17
.LBB47_2040:
	s_mov_b64 s[20:21], 0
.LBB47_2041:
	s_and_b64 vcc, exec, s[20:21]
	s_cbranch_vccz .LBB47_2043
; %bb.2042:
	s_cmp_lg_u32 s24, 11
	s_mov_b64 s[16:17], -1
	s_cselect_b64 s[6:7], -1, 0
.LBB47_2043:
	s_and_b64 vcc, exec, s[6:7]
	s_cbranch_vccnz .LBB47_2108
; %bb.2044:
	s_andn2_b64 vcc, exec, s[16:17]
	s_cbranch_vccnz .LBB47_2046
.LBB47_2045:
	global_load_ubyte v1, v[20:21], off
	s_mov_b64 s[18:19], -1
	s_waitcnt vmcnt(0)
	v_cmp_ne_u16_e32 vcc, 0, v1
	v_cndmask_b32_e64 v17, 0, 1, vcc
.LBB47_2046:
	s_mov_b64 s[6:7], 0
.LBB47_2047:
	s_and_b64 vcc, exec, s[6:7]
	s_cbranch_vccz .LBB47_2096
; %bb.2048:
	s_cmp_lt_i32 s24, 5
	s_cbranch_scc1 .LBB47_2053
; %bb.2049:
	s_cmp_lt_i32 s24, 8
	s_cbranch_scc1 .LBB47_2054
	;; [unrolled: 3-line block ×3, first 2 shown]
; %bb.2051:
	s_cmp_gt_i32 s24, 9
	s_cbranch_scc0 .LBB47_2056
; %bb.2052:
	global_load_dwordx2 v[17:18], v[20:21], off
	s_mov_b64 s[6:7], 0
	s_waitcnt vmcnt(0)
	v_cvt_i32_f64_e32 v17, v[17:18]
	s_branch .LBB47_2057
.LBB47_2053:
	s_mov_b64 s[6:7], -1
                                        ; implicit-def: $vgpr17
	s_branch .LBB47_2075
.LBB47_2054:
	s_mov_b64 s[6:7], -1
                                        ; implicit-def: $vgpr17
	s_branch .LBB47_2063
.LBB47_2055:
	s_mov_b64 s[6:7], -1
                                        ; implicit-def: $vgpr17
	s_branch .LBB47_2060
.LBB47_2056:
	s_mov_b64 s[6:7], -1
                                        ; implicit-def: $vgpr17
.LBB47_2057:
	s_andn2_b64 vcc, exec, s[6:7]
	s_cbranch_vccnz .LBB47_2059
; %bb.2058:
	global_load_dword v1, v[20:21], off
	s_waitcnt vmcnt(0)
	v_cvt_i32_f32_e32 v17, v1
.LBB47_2059:
	s_mov_b64 s[6:7], 0
.LBB47_2060:
	s_andn2_b64 vcc, exec, s[6:7]
	s_cbranch_vccnz .LBB47_2062
; %bb.2061:
	global_load_dword v1, v[20:21], off
	s_waitcnt vmcnt(0)
	v_cvt_i16_f16_e32 v17, v1
.LBB47_2062:
	s_mov_b64 s[6:7], 0
.LBB47_2063:
	s_andn2_b64 vcc, exec, s[6:7]
	s_cbranch_vccnz .LBB47_2074
; %bb.2064:
	s_cmp_lt_i32 s24, 6
	s_cbranch_scc1 .LBB47_2067
; %bb.2065:
	s_cmp_gt_i32 s24, 6
	s_cbranch_scc0 .LBB47_2068
; %bb.2066:
	global_load_dwordx2 v[17:18], v[20:21], off
	s_mov_b64 s[6:7], 0
	s_waitcnt vmcnt(0)
	v_cvt_i32_f64_e32 v17, v[17:18]
	s_branch .LBB47_2069
.LBB47_2067:
	s_mov_b64 s[6:7], -1
                                        ; implicit-def: $vgpr17
	s_branch .LBB47_2072
.LBB47_2068:
	s_mov_b64 s[6:7], -1
                                        ; implicit-def: $vgpr17
.LBB47_2069:
	s_andn2_b64 vcc, exec, s[6:7]
	s_cbranch_vccnz .LBB47_2071
; %bb.2070:
	global_load_dword v1, v[20:21], off
	s_waitcnt vmcnt(0)
	v_cvt_i32_f32_e32 v17, v1
.LBB47_2071:
	s_mov_b64 s[6:7], 0
.LBB47_2072:
	s_andn2_b64 vcc, exec, s[6:7]
	s_cbranch_vccnz .LBB47_2074
; %bb.2073:
	global_load_ushort v1, v[20:21], off
	s_waitcnt vmcnt(0)
	v_cvt_i16_f16_e32 v17, v1
.LBB47_2074:
	s_mov_b64 s[6:7], 0
.LBB47_2075:
	s_andn2_b64 vcc, exec, s[6:7]
	s_cbranch_vccnz .LBB47_2095
; %bb.2076:
	s_cmp_lt_i32 s24, 2
	s_cbranch_scc1 .LBB47_2080
; %bb.2077:
	s_cmp_lt_i32 s24, 3
	s_cbranch_scc1 .LBB47_2081
; %bb.2078:
	s_cmp_gt_i32 s24, 3
	s_cbranch_scc0 .LBB47_2082
; %bb.2079:
	global_load_dwordx2 v[17:18], v[20:21], off
	s_mov_b64 s[6:7], 0
	s_branch .LBB47_2083
.LBB47_2080:
	s_mov_b64 s[6:7], -1
                                        ; implicit-def: $vgpr17
	s_branch .LBB47_2089
.LBB47_2081:
	s_mov_b64 s[6:7], -1
                                        ; implicit-def: $vgpr17
	s_branch .LBB47_2086
.LBB47_2082:
	s_mov_b64 s[6:7], -1
                                        ; implicit-def: $vgpr17
.LBB47_2083:
	s_andn2_b64 vcc, exec, s[6:7]
	s_cbranch_vccnz .LBB47_2085
; %bb.2084:
	global_load_dword v17, v[20:21], off
.LBB47_2085:
	s_mov_b64 s[6:7], 0
.LBB47_2086:
	s_andn2_b64 vcc, exec, s[6:7]
	s_cbranch_vccnz .LBB47_2088
; %bb.2087:
	global_load_ushort v17, v[20:21], off
.LBB47_2088:
	s_mov_b64 s[6:7], 0
.LBB47_2089:
	s_andn2_b64 vcc, exec, s[6:7]
	s_cbranch_vccnz .LBB47_2095
; %bb.2090:
	s_cmp_gt_i32 s24, 0
	s_cbranch_scc0 .LBB47_2092
; %bb.2091:
	global_load_ubyte v17, v[20:21], off
	s_mov_b64 s[6:7], 0
	s_branch .LBB47_2093
.LBB47_2092:
	s_mov_b64 s[6:7], -1
                                        ; implicit-def: $vgpr17
.LBB47_2093:
	s_andn2_b64 vcc, exec, s[6:7]
	s_cbranch_vccnz .LBB47_2095
; %bb.2094:
	global_load_ubyte v17, v[20:21], off
.LBB47_2095:
	s_mov_b64 s[18:19], -1
.LBB47_2096:
	s_andn2_b64 vcc, exec, s[18:19]
	s_cbranch_vccnz .LBB47_3036
; %bb.2097:
	v_mov_b32_e32 v1, s11
	v_add_co_u32_e32 v20, vcc, s10, v16
	s_cmp_lt_i32 s23, 11
	v_addc_co_u32_e32 v21, vcc, 0, v1, vcc
	s_cbranch_scc1 .LBB47_2104
; %bb.2098:
	s_cmp_gt_i32 s23, 25
	s_mov_b64 s[16:17], 0
	s_cbranch_scc0 .LBB47_2105
; %bb.2099:
	s_cmp_gt_i32 s23, 28
	s_cbranch_scc0 .LBB47_2106
; %bb.2100:
	s_cmp_gt_i32 s23, 43
	;; [unrolled: 3-line block ×3, first 2 shown]
	s_cbranch_scc0 .LBB47_2109
; %bb.2102:
	s_cmp_eq_u32 s23, 46
	s_mov_b64 s[20:21], 0
	s_cbranch_scc0 .LBB47_2110
; %bb.2103:
	global_load_dword v1, v[20:21], off
	s_mov_b64 s[6:7], 0
	s_mov_b64 s[18:19], -1
	s_waitcnt vmcnt(0)
	v_lshlrev_b32_e32 v1, 16, v1
	v_cvt_i32_f32_e32 v15, v1
	s_branch .LBB47_2111
.LBB47_2104:
	s_mov_b64 s[6:7], -1
	s_mov_b64 s[18:19], 0
                                        ; implicit-def: $vgpr15
	s_branch .LBB47_2173
.LBB47_2105:
	s_mov_b64 s[20:21], -1
	s_mov_b64 s[18:19], 0
	s_mov_b64 s[6:7], 0
                                        ; implicit-def: $vgpr15
	s_branch .LBB47_2138
.LBB47_2106:
	s_mov_b64 s[20:21], -1
	s_mov_b64 s[18:19], 0
	s_mov_b64 s[6:7], 0
                                        ; implicit-def: $vgpr15
	s_branch .LBB47_2121
.LBB47_2107:
	s_mov_b64 s[20:21], -1
	s_mov_b64 s[18:19], 0
	s_mov_b64 s[6:7], 0
                                        ; implicit-def: $vgpr15
	s_branch .LBB47_2116
.LBB47_2108:
	s_trap 2
	s_or_b64 s[4:5], s[4:5], exec
	s_cbranch_execz .LBB47_2045
	s_branch .LBB47_2046
.LBB47_2109:
	s_mov_b64 s[20:21], -1
	s_mov_b64 s[18:19], 0
	s_mov_b64 s[6:7], 0
                                        ; implicit-def: $vgpr15
	s_branch .LBB47_2111
.LBB47_2110:
	s_mov_b64 s[6:7], -1
                                        ; implicit-def: $vgpr15
	s_mov_b64 s[18:19], 0
.LBB47_2111:
	s_and_b64 vcc, exec, s[20:21]
	s_cbranch_vccz .LBB47_2115
; %bb.2112:
	s_cmp_eq_u32 s23, 44
	s_cbranch_scc0 .LBB47_2114
; %bb.2113:
	global_load_ubyte v1, v[20:21], off
	s_mov_b64 s[6:7], 0
	s_mov_b64 s[18:19], -1
	s_waitcnt vmcnt(0)
	v_lshlrev_b32_e32 v3, 23, v1
	v_cvt_i32_f32_e32 v3, v3
	v_cmp_ne_u32_e32 vcc, 0, v1
	v_cndmask_b32_e32 v15, 0, v3, vcc
	s_branch .LBB47_2115
.LBB47_2114:
	s_mov_b64 s[6:7], -1
                                        ; implicit-def: $vgpr15
.LBB47_2115:
	s_mov_b64 s[20:21], 0
.LBB47_2116:
	s_and_b64 vcc, exec, s[20:21]
	s_cbranch_vccz .LBB47_2120
; %bb.2117:
	s_cmp_eq_u32 s23, 29
	s_cbranch_scc0 .LBB47_2119
; %bb.2118:
	global_load_dwordx2 v[15:16], v[20:21], off
	s_mov_b64 s[6:7], 0
	s_mov_b64 s[18:19], -1
	s_branch .LBB47_2120
.LBB47_2119:
	s_mov_b64 s[6:7], -1
                                        ; implicit-def: $vgpr15
.LBB47_2120:
	s_mov_b64 s[20:21], 0
.LBB47_2121:
	s_and_b64 vcc, exec, s[20:21]
	s_cbranch_vccz .LBB47_2137
; %bb.2122:
	s_cmp_lt_i32 s23, 27
	s_cbranch_scc1 .LBB47_2125
; %bb.2123:
	s_cmp_gt_i32 s23, 27
	s_cbranch_scc0 .LBB47_2126
; %bb.2124:
	global_load_dword v15, v[20:21], off
	s_mov_b64 s[18:19], 0
	s_branch .LBB47_2127
.LBB47_2125:
	s_mov_b64 s[18:19], -1
                                        ; implicit-def: $vgpr15
	s_branch .LBB47_2130
.LBB47_2126:
	s_mov_b64 s[18:19], -1
                                        ; implicit-def: $vgpr15
.LBB47_2127:
	s_andn2_b64 vcc, exec, s[18:19]
	s_cbranch_vccnz .LBB47_2129
; %bb.2128:
	global_load_ushort v15, v[20:21], off
.LBB47_2129:
	s_mov_b64 s[18:19], 0
.LBB47_2130:
	s_andn2_b64 vcc, exec, s[18:19]
	s_cbranch_vccnz .LBB47_2136
; %bb.2131:
	global_load_ubyte v1, v[20:21], off
	s_movk_i32 s18, 0x7f
	s_mov_b64 s[20:21], 0
	s_waitcnt vmcnt(0)
	v_cmp_lt_i16_e32 vcc, s18, v1
	s_and_saveexec_b64 s[18:19], vcc
	s_xor_b64 s[18:19], exec, s[18:19]
	s_cbranch_execz .LBB47_2148
; %bb.2132:
	s_movk_i32 s20, 0x80
	v_cmp_ne_u16_e32 vcc, s20, v1
	s_and_b64 s[20:21], vcc, exec
	s_andn2_saveexec_b64 s[18:19], s[18:19]
	s_cbranch_execnz .LBB47_2149
.LBB47_2133:
	s_or_b64 exec, exec, s[18:19]
	v_mov_b32_e32 v15, 0
	s_and_saveexec_b64 s[18:19], s[20:21]
	s_cbranch_execz .LBB47_2135
.LBB47_2134:
	v_lshlrev_b32_e32 v3, 24, v1
	v_and_b32_e32 v1, 0xffff, v1
	v_and_b32_e32 v5, 7, v1
	v_ffbh_u32_e32 v11, v5
	v_min_u32_e32 v11, 32, v11
	v_subrev_u32_e32 v13, 28, v11
	v_bfe_u32 v8, v1, 3, 4
	v_lshlrev_b32_e32 v1, v13, v1
	v_sub_u32_e32 v11, 29, v11
	v_and_b32_e32 v1, 7, v1
	v_cmp_eq_u32_e32 vcc, 0, v8
	v_cndmask_b32_e32 v8, v8, v11, vcc
	v_cndmask_b32_e32 v1, v5, v1, vcc
	v_mov_b32_e32 v5, 0x3b800000
	v_lshlrev_b32_e32 v1, 20, v1
	v_and_b32_e32 v3, 0x80000000, v3
	v_lshl_add_u32 v5, v8, 23, v5
	v_or3_b32 v1, v3, v5, v1
	v_cvt_i32_f32_e32 v15, v1
.LBB47_2135:
	s_or_b64 exec, exec, s[18:19]
.LBB47_2136:
	s_mov_b64 s[18:19], -1
.LBB47_2137:
	s_mov_b64 s[20:21], 0
.LBB47_2138:
	s_and_b64 vcc, exec, s[20:21]
	s_cbranch_vccz .LBB47_2169
; %bb.2139:
	s_cmp_gt_i32 s23, 22
	s_cbranch_scc0 .LBB47_2147
; %bb.2140:
	s_cmp_lt_i32 s23, 24
	s_cbranch_scc1 .LBB47_2150
; %bb.2141:
	s_cmp_gt_i32 s23, 24
	s_cbranch_scc0 .LBB47_2151
; %bb.2142:
	global_load_ubyte v1, v[20:21], off
	s_movk_i32 s16, 0x7f
	s_mov_b64 s[18:19], 0
	s_waitcnt vmcnt(0)
	v_cmp_lt_i16_e32 vcc, s16, v1
	s_and_saveexec_b64 s[16:17], vcc
	s_xor_b64 s[16:17], exec, s[16:17]
	s_cbranch_execz .LBB47_2163
; %bb.2143:
	s_movk_i32 s18, 0x80
	v_cmp_ne_u16_e32 vcc, s18, v1
	s_and_b64 s[18:19], vcc, exec
	s_andn2_saveexec_b64 s[16:17], s[16:17]
	s_cbranch_execnz .LBB47_2164
.LBB47_2144:
	s_or_b64 exec, exec, s[16:17]
	v_mov_b32_e32 v15, 0
	s_and_saveexec_b64 s[16:17], s[18:19]
	s_cbranch_execz .LBB47_2146
.LBB47_2145:
	v_lshlrev_b32_e32 v3, 24, v1
	v_and_b32_e32 v1, 0xffff, v1
	v_and_b32_e32 v5, 3, v1
	v_ffbh_u32_e32 v11, v5
	v_min_u32_e32 v11, 32, v11
	v_subrev_u32_e32 v13, 29, v11
	v_bfe_u32 v8, v1, 2, 5
	v_lshlrev_b32_e32 v1, v13, v1
	v_sub_u32_e32 v11, 30, v11
	v_and_b32_e32 v1, 3, v1
	v_cmp_eq_u32_e32 vcc, 0, v8
	v_cndmask_b32_e32 v8, v8, v11, vcc
	v_cndmask_b32_e32 v1, v5, v1, vcc
	v_mov_b32_e32 v5, 0x37800000
	v_lshlrev_b32_e32 v1, 21, v1
	v_and_b32_e32 v3, 0x80000000, v3
	v_lshl_add_u32 v5, v8, 23, v5
	v_or3_b32 v1, v3, v5, v1
	v_cvt_i32_f32_e32 v15, v1
.LBB47_2146:
	s_or_b64 exec, exec, s[16:17]
	s_mov_b64 s[16:17], 0
	s_branch .LBB47_2152
.LBB47_2147:
	s_mov_b64 s[16:17], -1
                                        ; implicit-def: $vgpr15
	s_branch .LBB47_2158
.LBB47_2148:
	s_andn2_saveexec_b64 s[18:19], s[18:19]
	s_cbranch_execz .LBB47_2133
.LBB47_2149:
	v_cmp_ne_u16_e32 vcc, 0, v1
	s_andn2_b64 s[20:21], s[20:21], exec
	s_and_b64 s[26:27], vcc, exec
	s_or_b64 s[20:21], s[20:21], s[26:27]
	s_or_b64 exec, exec, s[18:19]
	v_mov_b32_e32 v15, 0
	s_and_saveexec_b64 s[18:19], s[20:21]
	s_cbranch_execnz .LBB47_2134
	s_branch .LBB47_2135
.LBB47_2150:
	s_mov_b64 s[16:17], -1
                                        ; implicit-def: $vgpr15
	s_branch .LBB47_2155
.LBB47_2151:
	s_mov_b64 s[16:17], -1
                                        ; implicit-def: $vgpr15
.LBB47_2152:
	s_and_b64 vcc, exec, s[16:17]
	s_cbranch_vccz .LBB47_2154
; %bb.2153:
	global_load_ubyte v1, v[20:21], off
	s_mov_b32 s16, 0x7f800000
	s_waitcnt vmcnt(0)
	v_lshlrev_b32_e32 v1, 24, v1
	v_and_b32_e32 v3, 0x7f000000, v1
	v_ffbh_u32_e32 v5, v3
	v_min_u32_e32 v5, 32, v5
	v_sub_u32_e64 v5, v5, 4 clamp
	v_lshlrev_b32_e32 v11, v5, v3
	v_lshlrev_b32_e32 v5, 23, v5
	v_lshrrev_b32_e32 v11, 4, v11
	v_add_u32_e32 v8, 0x1000000, v3
	v_sub_u32_e32 v5, v11, v5
	v_ashrrev_i32_e32 v8, 8, v8
	v_add_u32_e32 v5, 0x3c000000, v5
	v_and_or_b32 v5, v8, s16, v5
	v_cmp_ne_u32_e32 vcc, 0, v3
	v_cndmask_b32_e32 v3, 0, v5, vcc
	s_brev_b32 s16, 1
	v_and_or_b32 v1, v1, s16, v3
	v_cvt_i32_f32_e32 v15, v1
.LBB47_2154:
	s_mov_b64 s[16:17], 0
.LBB47_2155:
	s_andn2_b64 vcc, exec, s[16:17]
	s_cbranch_vccnz .LBB47_2157
; %bb.2156:
	global_load_ubyte v1, v[20:21], off
	s_movk_i32 s16, 0x7f00
	s_brev_b32 s17, 16
	s_waitcnt vmcnt(0)
	v_lshlrev_b16_e32 v3, 8, v1
	v_lshlrev_b32_e32 v1, 25, v1
	v_lshrrev_b32_e32 v5, 4, v1
	v_and_or_b32 v8, v3, s16, 0.5
	v_or_b32_e32 v5, 0x70000000, v5
	v_add_f32_e32 v8, -0.5, v8
	v_mul_f32_e32 v5, 0x7800000, v5
	v_cmp_gt_u32_e32 vcc, s17, v1
	v_bfe_i32 v3, v3, 0, 16
	v_cndmask_b32_e32 v1, v5, v8, vcc
	s_brev_b32 s16, 1
	v_and_or_b32 v1, v3, s16, v1
	v_cvt_i32_f32_e32 v15, v1
.LBB47_2157:
	s_mov_b64 s[16:17], 0
	s_mov_b64 s[18:19], -1
.LBB47_2158:
	s_andn2_b64 vcc, exec, s[16:17]
	s_mov_b64 s[16:17], 0
	s_cbranch_vccnz .LBB47_2169
; %bb.2159:
	s_cmp_gt_i32 s23, 14
	s_cbranch_scc0 .LBB47_2162
; %bb.2160:
	s_cmp_eq_u32 s23, 15
	s_cbranch_scc0 .LBB47_2165
; %bb.2161:
	global_load_ushort v1, v[20:21], off
	s_mov_b64 s[6:7], 0
	s_mov_b64 s[18:19], -1
	s_waitcnt vmcnt(0)
	v_lshlrev_b32_e32 v1, 16, v1
	v_cvt_i32_f32_e32 v15, v1
	s_branch .LBB47_2166
.LBB47_2162:
	s_mov_b64 s[20:21], -1
                                        ; implicit-def: $vgpr15
	s_branch .LBB47_2167
.LBB47_2163:
	s_andn2_saveexec_b64 s[16:17], s[16:17]
	s_cbranch_execz .LBB47_2144
.LBB47_2164:
	v_cmp_ne_u16_e32 vcc, 0, v1
	s_andn2_b64 s[18:19], s[18:19], exec
	s_and_b64 s[20:21], vcc, exec
	s_or_b64 s[18:19], s[18:19], s[20:21]
	s_or_b64 exec, exec, s[16:17]
	v_mov_b32_e32 v15, 0
	s_and_saveexec_b64 s[16:17], s[18:19]
	s_cbranch_execnz .LBB47_2145
	s_branch .LBB47_2146
.LBB47_2165:
	s_mov_b64 s[6:7], -1
                                        ; implicit-def: $vgpr15
.LBB47_2166:
	s_mov_b64 s[20:21], 0
.LBB47_2167:
	s_and_b64 vcc, exec, s[20:21]
	s_cbranch_vccz .LBB47_2169
; %bb.2168:
	s_cmp_lg_u32 s23, 11
	s_mov_b64 s[16:17], -1
	s_cselect_b64 s[6:7], -1, 0
.LBB47_2169:
	s_and_b64 vcc, exec, s[6:7]
	s_cbranch_vccnz .LBB47_2234
; %bb.2170:
	s_andn2_b64 vcc, exec, s[16:17]
	s_cbranch_vccnz .LBB47_2172
.LBB47_2171:
	global_load_ubyte v1, v[20:21], off
	s_mov_b64 s[18:19], -1
	s_waitcnt vmcnt(0)
	v_cmp_ne_u16_e32 vcc, 0, v1
	v_cndmask_b32_e64 v15, 0, 1, vcc
.LBB47_2172:
	s_mov_b64 s[6:7], 0
.LBB47_2173:
	s_and_b64 vcc, exec, s[6:7]
	s_cbranch_vccz .LBB47_2222
; %bb.2174:
	s_cmp_lt_i32 s23, 5
	s_cbranch_scc1 .LBB47_2179
; %bb.2175:
	s_cmp_lt_i32 s23, 8
	s_cbranch_scc1 .LBB47_2180
	;; [unrolled: 3-line block ×3, first 2 shown]
; %bb.2177:
	s_cmp_gt_i32 s23, 9
	s_cbranch_scc0 .LBB47_2182
; %bb.2178:
	global_load_dwordx2 v[15:16], v[20:21], off
	s_mov_b64 s[6:7], 0
	s_waitcnt vmcnt(0)
	v_cvt_i32_f64_e32 v15, v[15:16]
	s_branch .LBB47_2183
.LBB47_2179:
	s_mov_b64 s[6:7], -1
                                        ; implicit-def: $vgpr15
	s_branch .LBB47_2201
.LBB47_2180:
	s_mov_b64 s[6:7], -1
                                        ; implicit-def: $vgpr15
	s_branch .LBB47_2189
.LBB47_2181:
	s_mov_b64 s[6:7], -1
                                        ; implicit-def: $vgpr15
	s_branch .LBB47_2186
.LBB47_2182:
	s_mov_b64 s[6:7], -1
                                        ; implicit-def: $vgpr15
.LBB47_2183:
	s_andn2_b64 vcc, exec, s[6:7]
	s_cbranch_vccnz .LBB47_2185
; %bb.2184:
	global_load_dword v1, v[20:21], off
	s_waitcnt vmcnt(0)
	v_cvt_i32_f32_e32 v15, v1
.LBB47_2185:
	s_mov_b64 s[6:7], 0
.LBB47_2186:
	s_andn2_b64 vcc, exec, s[6:7]
	s_cbranch_vccnz .LBB47_2188
; %bb.2187:
	global_load_dword v1, v[20:21], off
	s_waitcnt vmcnt(0)
	v_cvt_i16_f16_e32 v15, v1
.LBB47_2188:
	s_mov_b64 s[6:7], 0
.LBB47_2189:
	s_andn2_b64 vcc, exec, s[6:7]
	s_cbranch_vccnz .LBB47_2200
; %bb.2190:
	s_cmp_lt_i32 s23, 6
	s_cbranch_scc1 .LBB47_2193
; %bb.2191:
	s_cmp_gt_i32 s23, 6
	s_cbranch_scc0 .LBB47_2194
; %bb.2192:
	global_load_dwordx2 v[15:16], v[20:21], off
	s_mov_b64 s[6:7], 0
	s_waitcnt vmcnt(0)
	v_cvt_i32_f64_e32 v15, v[15:16]
	s_branch .LBB47_2195
.LBB47_2193:
	s_mov_b64 s[6:7], -1
                                        ; implicit-def: $vgpr15
	s_branch .LBB47_2198
.LBB47_2194:
	s_mov_b64 s[6:7], -1
                                        ; implicit-def: $vgpr15
.LBB47_2195:
	s_andn2_b64 vcc, exec, s[6:7]
	s_cbranch_vccnz .LBB47_2197
; %bb.2196:
	global_load_dword v1, v[20:21], off
	s_waitcnt vmcnt(0)
	v_cvt_i32_f32_e32 v15, v1
.LBB47_2197:
	s_mov_b64 s[6:7], 0
.LBB47_2198:
	s_andn2_b64 vcc, exec, s[6:7]
	s_cbranch_vccnz .LBB47_2200
; %bb.2199:
	global_load_ushort v1, v[20:21], off
	s_waitcnt vmcnt(0)
	v_cvt_i16_f16_e32 v15, v1
.LBB47_2200:
	s_mov_b64 s[6:7], 0
.LBB47_2201:
	s_andn2_b64 vcc, exec, s[6:7]
	s_cbranch_vccnz .LBB47_2221
; %bb.2202:
	s_cmp_lt_i32 s23, 2
	s_cbranch_scc1 .LBB47_2206
; %bb.2203:
	s_cmp_lt_i32 s23, 3
	s_cbranch_scc1 .LBB47_2207
; %bb.2204:
	s_cmp_gt_i32 s23, 3
	s_cbranch_scc0 .LBB47_2208
; %bb.2205:
	global_load_dwordx2 v[15:16], v[20:21], off
	s_mov_b64 s[6:7], 0
	s_branch .LBB47_2209
.LBB47_2206:
	s_mov_b64 s[6:7], -1
                                        ; implicit-def: $vgpr15
	s_branch .LBB47_2215
.LBB47_2207:
	s_mov_b64 s[6:7], -1
                                        ; implicit-def: $vgpr15
	s_branch .LBB47_2212
.LBB47_2208:
	s_mov_b64 s[6:7], -1
                                        ; implicit-def: $vgpr15
.LBB47_2209:
	s_andn2_b64 vcc, exec, s[6:7]
	s_cbranch_vccnz .LBB47_2211
; %bb.2210:
	global_load_dword v15, v[20:21], off
.LBB47_2211:
	s_mov_b64 s[6:7], 0
.LBB47_2212:
	s_andn2_b64 vcc, exec, s[6:7]
	s_cbranch_vccnz .LBB47_2214
; %bb.2213:
	global_load_ushort v15, v[20:21], off
.LBB47_2214:
	s_mov_b64 s[6:7], 0
.LBB47_2215:
	s_andn2_b64 vcc, exec, s[6:7]
	s_cbranch_vccnz .LBB47_2221
; %bb.2216:
	s_cmp_gt_i32 s23, 0
	s_cbranch_scc0 .LBB47_2218
; %bb.2217:
	global_load_ubyte v15, v[20:21], off
	s_mov_b64 s[6:7], 0
	s_branch .LBB47_2219
.LBB47_2218:
	s_mov_b64 s[6:7], -1
                                        ; implicit-def: $vgpr15
.LBB47_2219:
	s_andn2_b64 vcc, exec, s[6:7]
	s_cbranch_vccnz .LBB47_2221
; %bb.2220:
	global_load_ubyte v15, v[20:21], off
.LBB47_2221:
	s_mov_b64 s[18:19], -1
.LBB47_2222:
	s_andn2_b64 vcc, exec, s[18:19]
	s_cbranch_vccnz .LBB47_3036
; %bb.2223:
	v_mov_b32_e32 v1, s1
	v_add_co_u32_e32 v20, vcc, s0, v19
	s_cmp_lt_i32 s24, 11
	v_addc_co_u32_e32 v21, vcc, 0, v1, vcc
	s_cbranch_scc1 .LBB47_2230
; %bb.2224:
	s_cmp_gt_i32 s24, 25
	s_mov_b64 s[16:17], 0
	s_cbranch_scc0 .LBB47_2231
; %bb.2225:
	s_cmp_gt_i32 s24, 28
	s_cbranch_scc0 .LBB47_2232
; %bb.2226:
	s_cmp_gt_i32 s24, 43
	;; [unrolled: 3-line block ×3, first 2 shown]
	s_cbranch_scc0 .LBB47_2235
; %bb.2228:
	s_cmp_eq_u32 s24, 46
	s_mov_b64 s[20:21], 0
	s_cbranch_scc0 .LBB47_2238
; %bb.2229:
	global_load_dword v1, v[20:21], off
	s_mov_b64 s[6:7], 0
	s_mov_b64 s[18:19], -1
	s_waitcnt vmcnt(0)
	v_lshlrev_b32_e32 v1, 16, v1
	v_cvt_i32_f32_e32 v18, v1
	s_branch .LBB47_2239
.LBB47_2230:
	s_mov_b64 s[6:7], -1
	s_mov_b64 s[18:19], 0
                                        ; implicit-def: $vgpr18
	s_branch .LBB47_2301
.LBB47_2231:
	s_mov_b64 s[20:21], -1
	s_mov_b64 s[18:19], 0
	s_mov_b64 s[6:7], 0
                                        ; implicit-def: $vgpr18
	s_branch .LBB47_2266
.LBB47_2232:
	s_mov_b64 s[20:21], -1
	s_mov_b64 s[18:19], 0
	s_mov_b64 s[6:7], 0
                                        ; implicit-def: $vgpr18
	s_branch .LBB47_2249
.LBB47_2233:
	s_mov_b64 s[20:21], -1
	s_mov_b64 s[18:19], 0
	s_mov_b64 s[6:7], 0
                                        ; implicit-def: $vgpr18
	s_branch .LBB47_2244
.LBB47_2234:
	s_trap 2
	s_or_b64 s[4:5], s[4:5], exec
	s_cbranch_execz .LBB47_2171
	s_branch .LBB47_2172
.LBB47_2235:
	s_mov_b64 s[20:21], -1
	s_mov_b64 s[18:19], 0
	s_mov_b64 s[6:7], 0
                                        ; implicit-def: $vgpr18
	s_branch .LBB47_2239
.LBB47_2236:
	s_andn2_saveexec_b64 s[66:67], s[66:67]
	s_cbranch_execz .LBB47_1095
.LBB47_2237:
	s_mov_b32 s68, 0x42800000
	v_add_f32_e64 v4, |v3|, s68
	v_and_b32_e32 v4, 0xff, v4
	v_cmp_ne_u32_e32 vcc, 0, v4
	s_andn2_b64 s[64:65], s[64:65], exec
	s_and_b64 s[68:69], vcc, exec
	s_or_b64 s[64:65], s[64:65], s[68:69]
	s_or_b64 exec, exec, s[66:67]
	v_mov_b32_e32 v5, 0
	s_and_saveexec_b64 s[66:67], s[64:65]
	s_cbranch_execnz .LBB47_1096
	s_branch .LBB47_1097
.LBB47_2238:
	s_mov_b64 s[6:7], -1
                                        ; implicit-def: $vgpr18
	s_mov_b64 s[18:19], 0
.LBB47_2239:
	s_and_b64 vcc, exec, s[20:21]
	s_cbranch_vccz .LBB47_2243
; %bb.2240:
	s_cmp_eq_u32 s24, 44
	s_cbranch_scc0 .LBB47_2242
; %bb.2241:
	global_load_ubyte v1, v[20:21], off
	s_mov_b64 s[6:7], 0
	s_mov_b64 s[18:19], -1
	s_waitcnt vmcnt(0)
	v_lshlrev_b32_e32 v3, 23, v1
	v_cvt_i32_f32_e32 v3, v3
	v_cmp_ne_u32_e32 vcc, 0, v1
	v_cndmask_b32_e32 v18, 0, v3, vcc
	s_branch .LBB47_2243
.LBB47_2242:
	s_mov_b64 s[6:7], -1
                                        ; implicit-def: $vgpr18
.LBB47_2243:
	s_mov_b64 s[20:21], 0
.LBB47_2244:
	s_and_b64 vcc, exec, s[20:21]
	s_cbranch_vccz .LBB47_2248
; %bb.2245:
	s_cmp_eq_u32 s24, 29
	s_cbranch_scc0 .LBB47_2247
; %bb.2246:
	global_load_dwordx2 v[18:19], v[20:21], off
	s_mov_b64 s[6:7], 0
	s_mov_b64 s[18:19], -1
	s_branch .LBB47_2248
.LBB47_2247:
	s_mov_b64 s[6:7], -1
                                        ; implicit-def: $vgpr18
.LBB47_2248:
	s_mov_b64 s[20:21], 0
.LBB47_2249:
	s_and_b64 vcc, exec, s[20:21]
	s_cbranch_vccz .LBB47_2265
; %bb.2250:
	s_cmp_lt_i32 s24, 27
	s_cbranch_scc1 .LBB47_2253
; %bb.2251:
	s_cmp_gt_i32 s24, 27
	s_cbranch_scc0 .LBB47_2254
; %bb.2252:
	global_load_dword v18, v[20:21], off
	s_mov_b64 s[18:19], 0
	s_branch .LBB47_2255
.LBB47_2253:
	s_mov_b64 s[18:19], -1
                                        ; implicit-def: $vgpr18
	s_branch .LBB47_2258
.LBB47_2254:
	s_mov_b64 s[18:19], -1
                                        ; implicit-def: $vgpr18
.LBB47_2255:
	s_andn2_b64 vcc, exec, s[18:19]
	s_cbranch_vccnz .LBB47_2257
; %bb.2256:
	global_load_ushort v18, v[20:21], off
.LBB47_2257:
	s_mov_b64 s[18:19], 0
.LBB47_2258:
	s_andn2_b64 vcc, exec, s[18:19]
	s_cbranch_vccnz .LBB47_2264
; %bb.2259:
	global_load_ubyte v1, v[20:21], off
	s_movk_i32 s18, 0x7f
	s_mov_b64 s[20:21], 0
	s_waitcnt vmcnt(0)
	v_cmp_lt_i16_e32 vcc, s18, v1
	s_and_saveexec_b64 s[18:19], vcc
	s_xor_b64 s[18:19], exec, s[18:19]
	s_cbranch_execz .LBB47_2276
; %bb.2260:
	s_movk_i32 s20, 0x80
	v_cmp_ne_u16_e32 vcc, s20, v1
	s_and_b64 s[20:21], vcc, exec
	s_andn2_saveexec_b64 s[18:19], s[18:19]
	s_cbranch_execnz .LBB47_2277
.LBB47_2261:
	s_or_b64 exec, exec, s[18:19]
	v_mov_b32_e32 v18, 0
	s_and_saveexec_b64 s[18:19], s[20:21]
	s_cbranch_execz .LBB47_2263
.LBB47_2262:
	v_lshlrev_b32_e32 v3, 24, v1
	v_and_b32_e32 v1, 0xffff, v1
	v_and_b32_e32 v5, 7, v1
	v_ffbh_u32_e32 v11, v5
	v_min_u32_e32 v11, 32, v11
	v_subrev_u32_e32 v13, 28, v11
	v_bfe_u32 v8, v1, 3, 4
	v_lshlrev_b32_e32 v1, v13, v1
	v_sub_u32_e32 v11, 29, v11
	v_and_b32_e32 v1, 7, v1
	v_cmp_eq_u32_e32 vcc, 0, v8
	v_cndmask_b32_e32 v8, v8, v11, vcc
	v_cndmask_b32_e32 v1, v5, v1, vcc
	v_mov_b32_e32 v5, 0x3b800000
	v_lshlrev_b32_e32 v1, 20, v1
	v_and_b32_e32 v3, 0x80000000, v3
	v_lshl_add_u32 v5, v8, 23, v5
	v_or3_b32 v1, v3, v5, v1
	v_cvt_i32_f32_e32 v18, v1
.LBB47_2263:
	s_or_b64 exec, exec, s[18:19]
.LBB47_2264:
	s_mov_b64 s[18:19], -1
.LBB47_2265:
	s_mov_b64 s[20:21], 0
.LBB47_2266:
	s_and_b64 vcc, exec, s[20:21]
	s_cbranch_vccz .LBB47_2297
; %bb.2267:
	s_cmp_gt_i32 s24, 22
	s_cbranch_scc0 .LBB47_2275
; %bb.2268:
	s_cmp_lt_i32 s24, 24
	s_cbranch_scc1 .LBB47_2278
; %bb.2269:
	s_cmp_gt_i32 s24, 24
	s_cbranch_scc0 .LBB47_2279
; %bb.2270:
	global_load_ubyte v1, v[20:21], off
	s_movk_i32 s16, 0x7f
	s_mov_b64 s[18:19], 0
	s_waitcnt vmcnt(0)
	v_cmp_lt_i16_e32 vcc, s16, v1
	s_and_saveexec_b64 s[16:17], vcc
	s_xor_b64 s[16:17], exec, s[16:17]
	s_cbranch_execz .LBB47_2291
; %bb.2271:
	s_movk_i32 s18, 0x80
	v_cmp_ne_u16_e32 vcc, s18, v1
	s_and_b64 s[18:19], vcc, exec
	s_andn2_saveexec_b64 s[16:17], s[16:17]
	s_cbranch_execnz .LBB47_2292
.LBB47_2272:
	s_or_b64 exec, exec, s[16:17]
	v_mov_b32_e32 v18, 0
	s_and_saveexec_b64 s[16:17], s[18:19]
	s_cbranch_execz .LBB47_2274
.LBB47_2273:
	v_lshlrev_b32_e32 v3, 24, v1
	v_and_b32_e32 v1, 0xffff, v1
	v_and_b32_e32 v5, 3, v1
	v_ffbh_u32_e32 v11, v5
	v_min_u32_e32 v11, 32, v11
	v_subrev_u32_e32 v13, 29, v11
	v_bfe_u32 v8, v1, 2, 5
	v_lshlrev_b32_e32 v1, v13, v1
	v_sub_u32_e32 v11, 30, v11
	v_and_b32_e32 v1, 3, v1
	v_cmp_eq_u32_e32 vcc, 0, v8
	v_cndmask_b32_e32 v8, v8, v11, vcc
	v_cndmask_b32_e32 v1, v5, v1, vcc
	v_mov_b32_e32 v5, 0x37800000
	v_lshlrev_b32_e32 v1, 21, v1
	v_and_b32_e32 v3, 0x80000000, v3
	v_lshl_add_u32 v5, v8, 23, v5
	v_or3_b32 v1, v3, v5, v1
	v_cvt_i32_f32_e32 v18, v1
.LBB47_2274:
	s_or_b64 exec, exec, s[16:17]
	s_mov_b64 s[16:17], 0
	s_branch .LBB47_2280
.LBB47_2275:
	s_mov_b64 s[16:17], -1
                                        ; implicit-def: $vgpr18
	s_branch .LBB47_2286
.LBB47_2276:
	s_andn2_saveexec_b64 s[18:19], s[18:19]
	s_cbranch_execz .LBB47_2261
.LBB47_2277:
	v_cmp_ne_u16_e32 vcc, 0, v1
	s_andn2_b64 s[20:21], s[20:21], exec
	s_and_b64 s[26:27], vcc, exec
	s_or_b64 s[20:21], s[20:21], s[26:27]
	s_or_b64 exec, exec, s[18:19]
	v_mov_b32_e32 v18, 0
	s_and_saveexec_b64 s[18:19], s[20:21]
	s_cbranch_execnz .LBB47_2262
	s_branch .LBB47_2263
.LBB47_2278:
	s_mov_b64 s[16:17], -1
                                        ; implicit-def: $vgpr18
	s_branch .LBB47_2283
.LBB47_2279:
	s_mov_b64 s[16:17], -1
                                        ; implicit-def: $vgpr18
.LBB47_2280:
	s_and_b64 vcc, exec, s[16:17]
	s_cbranch_vccz .LBB47_2282
; %bb.2281:
	global_load_ubyte v1, v[20:21], off
	s_mov_b32 s16, 0x7f800000
	s_waitcnt vmcnt(0)
	v_lshlrev_b32_e32 v1, 24, v1
	v_and_b32_e32 v3, 0x7f000000, v1
	v_ffbh_u32_e32 v5, v3
	v_min_u32_e32 v5, 32, v5
	v_sub_u32_e64 v5, v5, 4 clamp
	v_lshlrev_b32_e32 v11, v5, v3
	v_lshlrev_b32_e32 v5, 23, v5
	v_lshrrev_b32_e32 v11, 4, v11
	v_add_u32_e32 v8, 0x1000000, v3
	v_sub_u32_e32 v5, v11, v5
	v_ashrrev_i32_e32 v8, 8, v8
	v_add_u32_e32 v5, 0x3c000000, v5
	v_and_or_b32 v5, v8, s16, v5
	v_cmp_ne_u32_e32 vcc, 0, v3
	v_cndmask_b32_e32 v3, 0, v5, vcc
	s_brev_b32 s16, 1
	v_and_or_b32 v1, v1, s16, v3
	v_cvt_i32_f32_e32 v18, v1
.LBB47_2282:
	s_mov_b64 s[16:17], 0
.LBB47_2283:
	s_andn2_b64 vcc, exec, s[16:17]
	s_cbranch_vccnz .LBB47_2285
; %bb.2284:
	global_load_ubyte v1, v[20:21], off
	s_movk_i32 s16, 0x7f00
	s_brev_b32 s17, 16
	s_waitcnt vmcnt(0)
	v_lshlrev_b16_e32 v3, 8, v1
	v_lshlrev_b32_e32 v1, 25, v1
	v_lshrrev_b32_e32 v5, 4, v1
	v_and_or_b32 v8, v3, s16, 0.5
	v_or_b32_e32 v5, 0x70000000, v5
	v_add_f32_e32 v8, -0.5, v8
	v_mul_f32_e32 v5, 0x7800000, v5
	v_cmp_gt_u32_e32 vcc, s17, v1
	v_bfe_i32 v3, v3, 0, 16
	v_cndmask_b32_e32 v1, v5, v8, vcc
	s_brev_b32 s16, 1
	v_and_or_b32 v1, v3, s16, v1
	v_cvt_i32_f32_e32 v18, v1
.LBB47_2285:
	s_mov_b64 s[16:17], 0
	s_mov_b64 s[18:19], -1
.LBB47_2286:
	s_andn2_b64 vcc, exec, s[16:17]
	s_mov_b64 s[16:17], 0
	s_cbranch_vccnz .LBB47_2297
; %bb.2287:
	s_cmp_gt_i32 s24, 14
	s_cbranch_scc0 .LBB47_2290
; %bb.2288:
	s_cmp_eq_u32 s24, 15
	s_cbranch_scc0 .LBB47_2293
; %bb.2289:
	global_load_ushort v1, v[20:21], off
	s_mov_b64 s[6:7], 0
	s_mov_b64 s[18:19], -1
	s_waitcnt vmcnt(0)
	v_lshlrev_b32_e32 v1, 16, v1
	v_cvt_i32_f32_e32 v18, v1
	s_branch .LBB47_2294
.LBB47_2290:
	s_mov_b64 s[20:21], -1
                                        ; implicit-def: $vgpr18
	s_branch .LBB47_2295
.LBB47_2291:
	s_andn2_saveexec_b64 s[16:17], s[16:17]
	s_cbranch_execz .LBB47_2272
.LBB47_2292:
	v_cmp_ne_u16_e32 vcc, 0, v1
	s_andn2_b64 s[18:19], s[18:19], exec
	s_and_b64 s[20:21], vcc, exec
	s_or_b64 s[18:19], s[18:19], s[20:21]
	s_or_b64 exec, exec, s[16:17]
	v_mov_b32_e32 v18, 0
	s_and_saveexec_b64 s[16:17], s[18:19]
	s_cbranch_execnz .LBB47_2273
	s_branch .LBB47_2274
.LBB47_2293:
	s_mov_b64 s[6:7], -1
                                        ; implicit-def: $vgpr18
.LBB47_2294:
	s_mov_b64 s[20:21], 0
.LBB47_2295:
	s_and_b64 vcc, exec, s[20:21]
	s_cbranch_vccz .LBB47_2297
; %bb.2296:
	s_cmp_lg_u32 s24, 11
	s_mov_b64 s[16:17], -1
	s_cselect_b64 s[6:7], -1, 0
.LBB47_2297:
	s_and_b64 vcc, exec, s[6:7]
	s_cbranch_vccnz .LBB47_2362
; %bb.2298:
	s_andn2_b64 vcc, exec, s[16:17]
	s_cbranch_vccnz .LBB47_2300
.LBB47_2299:
	global_load_ubyte v1, v[20:21], off
	s_mov_b64 s[18:19], -1
	s_waitcnt vmcnt(0)
	v_cmp_ne_u16_e32 vcc, 0, v1
	v_cndmask_b32_e64 v18, 0, 1, vcc
.LBB47_2300:
	s_mov_b64 s[6:7], 0
.LBB47_2301:
	s_and_b64 vcc, exec, s[6:7]
	s_cbranch_vccz .LBB47_2350
; %bb.2302:
	s_cmp_lt_i32 s24, 5
	s_cbranch_scc1 .LBB47_2307
; %bb.2303:
	s_cmp_lt_i32 s24, 8
	s_cbranch_scc1 .LBB47_2308
	;; [unrolled: 3-line block ×3, first 2 shown]
; %bb.2305:
	s_cmp_gt_i32 s24, 9
	s_cbranch_scc0 .LBB47_2310
; %bb.2306:
	global_load_dwordx2 v[18:19], v[20:21], off
	s_mov_b64 s[6:7], 0
	s_waitcnt vmcnt(0)
	v_cvt_i32_f64_e32 v18, v[18:19]
	s_branch .LBB47_2311
.LBB47_2307:
	s_mov_b64 s[6:7], -1
                                        ; implicit-def: $vgpr18
	s_branch .LBB47_2329
.LBB47_2308:
	s_mov_b64 s[6:7], -1
                                        ; implicit-def: $vgpr18
	s_branch .LBB47_2317
.LBB47_2309:
	s_mov_b64 s[6:7], -1
                                        ; implicit-def: $vgpr18
	s_branch .LBB47_2314
.LBB47_2310:
	s_mov_b64 s[6:7], -1
                                        ; implicit-def: $vgpr18
.LBB47_2311:
	s_andn2_b64 vcc, exec, s[6:7]
	s_cbranch_vccnz .LBB47_2313
; %bb.2312:
	global_load_dword v1, v[20:21], off
	s_waitcnt vmcnt(0)
	v_cvt_i32_f32_e32 v18, v1
.LBB47_2313:
	s_mov_b64 s[6:7], 0
.LBB47_2314:
	s_andn2_b64 vcc, exec, s[6:7]
	s_cbranch_vccnz .LBB47_2316
; %bb.2315:
	global_load_dword v1, v[20:21], off
	s_waitcnt vmcnt(0)
	v_cvt_i16_f16_e32 v18, v1
.LBB47_2316:
	s_mov_b64 s[6:7], 0
.LBB47_2317:
	s_andn2_b64 vcc, exec, s[6:7]
	s_cbranch_vccnz .LBB47_2328
; %bb.2318:
	s_cmp_lt_i32 s24, 6
	s_cbranch_scc1 .LBB47_2321
; %bb.2319:
	s_cmp_gt_i32 s24, 6
	s_cbranch_scc0 .LBB47_2322
; %bb.2320:
	global_load_dwordx2 v[18:19], v[20:21], off
	s_mov_b64 s[6:7], 0
	s_waitcnt vmcnt(0)
	v_cvt_i32_f64_e32 v18, v[18:19]
	s_branch .LBB47_2323
.LBB47_2321:
	s_mov_b64 s[6:7], -1
                                        ; implicit-def: $vgpr18
	s_branch .LBB47_2326
.LBB47_2322:
	s_mov_b64 s[6:7], -1
                                        ; implicit-def: $vgpr18
.LBB47_2323:
	s_andn2_b64 vcc, exec, s[6:7]
	s_cbranch_vccnz .LBB47_2325
; %bb.2324:
	global_load_dword v1, v[20:21], off
	s_waitcnt vmcnt(0)
	v_cvt_i32_f32_e32 v18, v1
.LBB47_2325:
	s_mov_b64 s[6:7], 0
.LBB47_2326:
	s_andn2_b64 vcc, exec, s[6:7]
	s_cbranch_vccnz .LBB47_2328
; %bb.2327:
	global_load_ushort v1, v[20:21], off
	s_waitcnt vmcnt(0)
	v_cvt_i16_f16_e32 v18, v1
.LBB47_2328:
	s_mov_b64 s[6:7], 0
.LBB47_2329:
	s_andn2_b64 vcc, exec, s[6:7]
	s_cbranch_vccnz .LBB47_2349
; %bb.2330:
	s_cmp_lt_i32 s24, 2
	s_cbranch_scc1 .LBB47_2334
; %bb.2331:
	s_cmp_lt_i32 s24, 3
	s_cbranch_scc1 .LBB47_2335
; %bb.2332:
	s_cmp_gt_i32 s24, 3
	s_cbranch_scc0 .LBB47_2336
; %bb.2333:
	global_load_dwordx2 v[18:19], v[20:21], off
	s_mov_b64 s[6:7], 0
	s_branch .LBB47_2337
.LBB47_2334:
	s_mov_b64 s[6:7], -1
                                        ; implicit-def: $vgpr18
	s_branch .LBB47_2343
.LBB47_2335:
	s_mov_b64 s[6:7], -1
                                        ; implicit-def: $vgpr18
	s_branch .LBB47_2340
.LBB47_2336:
	s_mov_b64 s[6:7], -1
                                        ; implicit-def: $vgpr18
.LBB47_2337:
	s_andn2_b64 vcc, exec, s[6:7]
	s_cbranch_vccnz .LBB47_2339
; %bb.2338:
	global_load_dword v18, v[20:21], off
.LBB47_2339:
	s_mov_b64 s[6:7], 0
.LBB47_2340:
	s_andn2_b64 vcc, exec, s[6:7]
	s_cbranch_vccnz .LBB47_2342
; %bb.2341:
	global_load_ushort v18, v[20:21], off
.LBB47_2342:
	s_mov_b64 s[6:7], 0
.LBB47_2343:
	s_andn2_b64 vcc, exec, s[6:7]
	s_cbranch_vccnz .LBB47_2349
; %bb.2344:
	s_cmp_gt_i32 s24, 0
	s_cbranch_scc0 .LBB47_2346
; %bb.2345:
	global_load_ubyte v18, v[20:21], off
	s_mov_b64 s[6:7], 0
	s_branch .LBB47_2347
.LBB47_2346:
	s_mov_b64 s[6:7], -1
                                        ; implicit-def: $vgpr18
.LBB47_2347:
	s_andn2_b64 vcc, exec, s[6:7]
	s_cbranch_vccnz .LBB47_2349
; %bb.2348:
	global_load_ubyte v18, v[20:21], off
.LBB47_2349:
	s_mov_b64 s[18:19], -1
.LBB47_2350:
	s_andn2_b64 vcc, exec, s[18:19]
	s_cbranch_vccnz .LBB47_3036
; %bb.2351:
	v_mov_b32_e32 v1, s11
	s_waitcnt vmcnt(0)
	v_add_co_u32_e32 v19, vcc, s10, v14
	s_cmp_lt_i32 s23, 11
	v_addc_co_u32_e32 v20, vcc, 0, v1, vcc
	s_cbranch_scc1 .LBB47_2358
; %bb.2352:
	s_cmp_gt_i32 s23, 25
	s_mov_b64 s[10:11], 0
	s_cbranch_scc0 .LBB47_2359
; %bb.2353:
	s_cmp_gt_i32 s23, 28
	s_cbranch_scc0 .LBB47_2360
; %bb.2354:
	s_cmp_gt_i32 s23, 43
	;; [unrolled: 3-line block ×3, first 2 shown]
	s_cbranch_scc0 .LBB47_2363
; %bb.2356:
	s_cmp_eq_u32 s23, 46
	s_mov_b64 s[18:19], 0
	s_cbranch_scc0 .LBB47_2364
; %bb.2357:
	global_load_dword v1, v[19:20], off
	s_mov_b64 s[6:7], 0
	s_mov_b64 s[16:17], -1
	s_waitcnt vmcnt(0)
	v_lshlrev_b32_e32 v1, 16, v1
	v_cvt_i32_f32_e32 v13, v1
	s_branch .LBB47_2365
.LBB47_2358:
	s_mov_b64 s[6:7], -1
	s_mov_b64 s[16:17], 0
                                        ; implicit-def: $vgpr13
	s_branch .LBB47_2427
.LBB47_2359:
	s_mov_b64 s[18:19], -1
	s_mov_b64 s[16:17], 0
	s_mov_b64 s[6:7], 0
                                        ; implicit-def: $vgpr13
	s_branch .LBB47_2392
.LBB47_2360:
	s_mov_b64 s[18:19], -1
	s_mov_b64 s[16:17], 0
	s_mov_b64 s[6:7], 0
                                        ; implicit-def: $vgpr13
	s_branch .LBB47_2375
.LBB47_2361:
	s_mov_b64 s[18:19], -1
	s_mov_b64 s[16:17], 0
	s_mov_b64 s[6:7], 0
                                        ; implicit-def: $vgpr13
	s_branch .LBB47_2370
.LBB47_2362:
	s_trap 2
	s_or_b64 s[4:5], s[4:5], exec
	s_cbranch_execz .LBB47_2299
	s_branch .LBB47_2300
.LBB47_2363:
	s_mov_b64 s[18:19], -1
	s_mov_b64 s[16:17], 0
	s_mov_b64 s[6:7], 0
                                        ; implicit-def: $vgpr13
	s_branch .LBB47_2365
.LBB47_2364:
	s_mov_b64 s[6:7], -1
                                        ; implicit-def: $vgpr13
	s_mov_b64 s[16:17], 0
.LBB47_2365:
	s_and_b64 vcc, exec, s[18:19]
	s_cbranch_vccz .LBB47_2369
; %bb.2366:
	s_cmp_eq_u32 s23, 44
	s_cbranch_scc0 .LBB47_2368
; %bb.2367:
	global_load_ubyte v1, v[19:20], off
	s_mov_b64 s[6:7], 0
	s_mov_b64 s[16:17], -1
	s_waitcnt vmcnt(0)
	v_lshlrev_b32_e32 v3, 23, v1
	v_cvt_i32_f32_e32 v3, v3
	v_cmp_ne_u32_e32 vcc, 0, v1
	v_cndmask_b32_e32 v13, 0, v3, vcc
	s_branch .LBB47_2369
.LBB47_2368:
	s_mov_b64 s[6:7], -1
                                        ; implicit-def: $vgpr13
.LBB47_2369:
	s_mov_b64 s[18:19], 0
.LBB47_2370:
	s_and_b64 vcc, exec, s[18:19]
	s_cbranch_vccz .LBB47_2374
; %bb.2371:
	s_cmp_eq_u32 s23, 29
	s_cbranch_scc0 .LBB47_2373
; %bb.2372:
	global_load_dwordx2 v[13:14], v[19:20], off
	s_mov_b64 s[6:7], 0
	s_mov_b64 s[16:17], -1
	s_branch .LBB47_2374
.LBB47_2373:
	s_mov_b64 s[6:7], -1
                                        ; implicit-def: $vgpr13
.LBB47_2374:
	s_mov_b64 s[18:19], 0
.LBB47_2375:
	s_and_b64 vcc, exec, s[18:19]
	s_cbranch_vccz .LBB47_2391
; %bb.2376:
	s_cmp_lt_i32 s23, 27
	s_cbranch_scc1 .LBB47_2379
; %bb.2377:
	s_cmp_gt_i32 s23, 27
	s_cbranch_scc0 .LBB47_2380
; %bb.2378:
	global_load_dword v13, v[19:20], off
	s_mov_b64 s[16:17], 0
	s_branch .LBB47_2381
.LBB47_2379:
	s_mov_b64 s[16:17], -1
                                        ; implicit-def: $vgpr13
	s_branch .LBB47_2384
.LBB47_2380:
	s_mov_b64 s[16:17], -1
                                        ; implicit-def: $vgpr13
.LBB47_2381:
	s_andn2_b64 vcc, exec, s[16:17]
	s_cbranch_vccnz .LBB47_2383
; %bb.2382:
	global_load_ushort v13, v[19:20], off
.LBB47_2383:
	s_mov_b64 s[16:17], 0
.LBB47_2384:
	s_andn2_b64 vcc, exec, s[16:17]
	s_cbranch_vccnz .LBB47_2390
; %bb.2385:
	global_load_ubyte v1, v[19:20], off
	s_movk_i32 s16, 0x7f
	s_mov_b64 s[18:19], 0
	s_waitcnt vmcnt(0)
	v_cmp_lt_i16_e32 vcc, s16, v1
	s_and_saveexec_b64 s[16:17], vcc
	s_xor_b64 s[16:17], exec, s[16:17]
	s_cbranch_execz .LBB47_2402
; %bb.2386:
	s_movk_i32 s18, 0x80
	v_cmp_ne_u16_e32 vcc, s18, v1
	s_and_b64 s[18:19], vcc, exec
	s_andn2_saveexec_b64 s[16:17], s[16:17]
	s_cbranch_execnz .LBB47_2403
.LBB47_2387:
	s_or_b64 exec, exec, s[16:17]
	v_mov_b32_e32 v13, 0
	s_and_saveexec_b64 s[16:17], s[18:19]
	s_cbranch_execz .LBB47_2389
.LBB47_2388:
	v_lshlrev_b32_e32 v3, 24, v1
	v_and_b32_e32 v1, 0xffff, v1
	v_and_b32_e32 v5, 7, v1
	v_ffbh_u32_e32 v11, v5
	v_min_u32_e32 v11, 32, v11
	v_subrev_u32_e32 v13, 28, v11
	v_bfe_u32 v8, v1, 3, 4
	v_lshlrev_b32_e32 v1, v13, v1
	v_sub_u32_e32 v11, 29, v11
	v_and_b32_e32 v1, 7, v1
	v_cmp_eq_u32_e32 vcc, 0, v8
	v_cndmask_b32_e32 v8, v8, v11, vcc
	v_cndmask_b32_e32 v1, v5, v1, vcc
	v_mov_b32_e32 v5, 0x3b800000
	v_lshlrev_b32_e32 v1, 20, v1
	v_and_b32_e32 v3, 0x80000000, v3
	v_lshl_add_u32 v5, v8, 23, v5
	v_or3_b32 v1, v3, v5, v1
	v_cvt_i32_f32_e32 v13, v1
.LBB47_2389:
	s_or_b64 exec, exec, s[16:17]
.LBB47_2390:
	s_mov_b64 s[16:17], -1
.LBB47_2391:
	s_mov_b64 s[18:19], 0
.LBB47_2392:
	s_and_b64 vcc, exec, s[18:19]
	s_cbranch_vccz .LBB47_2423
; %bb.2393:
	s_cmp_gt_i32 s23, 22
	s_cbranch_scc0 .LBB47_2401
; %bb.2394:
	s_cmp_lt_i32 s23, 24
	s_cbranch_scc1 .LBB47_2404
; %bb.2395:
	s_cmp_gt_i32 s23, 24
	s_cbranch_scc0 .LBB47_2405
; %bb.2396:
	global_load_ubyte v1, v[19:20], off
	s_movk_i32 s10, 0x7f
	s_mov_b64 s[16:17], 0
	s_waitcnt vmcnt(0)
	v_cmp_lt_i16_e32 vcc, s10, v1
	s_and_saveexec_b64 s[10:11], vcc
	s_xor_b64 s[10:11], exec, s[10:11]
	s_cbranch_execz .LBB47_2417
; %bb.2397:
	s_movk_i32 s16, 0x80
	v_cmp_ne_u16_e32 vcc, s16, v1
	s_and_b64 s[16:17], vcc, exec
	s_andn2_saveexec_b64 s[10:11], s[10:11]
	s_cbranch_execnz .LBB47_2418
.LBB47_2398:
	s_or_b64 exec, exec, s[10:11]
	v_mov_b32_e32 v13, 0
	s_and_saveexec_b64 s[10:11], s[16:17]
	s_cbranch_execz .LBB47_2400
.LBB47_2399:
	v_lshlrev_b32_e32 v3, 24, v1
	v_and_b32_e32 v1, 0xffff, v1
	v_and_b32_e32 v5, 3, v1
	v_ffbh_u32_e32 v11, v5
	v_min_u32_e32 v11, 32, v11
	v_subrev_u32_e32 v13, 29, v11
	v_bfe_u32 v8, v1, 2, 5
	v_lshlrev_b32_e32 v1, v13, v1
	v_sub_u32_e32 v11, 30, v11
	v_and_b32_e32 v1, 3, v1
	v_cmp_eq_u32_e32 vcc, 0, v8
	v_cndmask_b32_e32 v8, v8, v11, vcc
	v_cndmask_b32_e32 v1, v5, v1, vcc
	v_mov_b32_e32 v5, 0x37800000
	v_lshlrev_b32_e32 v1, 21, v1
	v_and_b32_e32 v3, 0x80000000, v3
	v_lshl_add_u32 v5, v8, 23, v5
	v_or3_b32 v1, v3, v5, v1
	v_cvt_i32_f32_e32 v13, v1
.LBB47_2400:
	s_or_b64 exec, exec, s[10:11]
	s_mov_b64 s[10:11], 0
	s_branch .LBB47_2406
.LBB47_2401:
	s_mov_b64 s[10:11], -1
                                        ; implicit-def: $vgpr13
	s_branch .LBB47_2412
.LBB47_2402:
	s_andn2_saveexec_b64 s[16:17], s[16:17]
	s_cbranch_execz .LBB47_2387
.LBB47_2403:
	v_cmp_ne_u16_e32 vcc, 0, v1
	s_andn2_b64 s[18:19], s[18:19], exec
	s_and_b64 s[20:21], vcc, exec
	s_or_b64 s[18:19], s[18:19], s[20:21]
	s_or_b64 exec, exec, s[16:17]
	v_mov_b32_e32 v13, 0
	s_and_saveexec_b64 s[16:17], s[18:19]
	s_cbranch_execnz .LBB47_2388
	s_branch .LBB47_2389
.LBB47_2404:
	s_mov_b64 s[10:11], -1
                                        ; implicit-def: $vgpr13
	s_branch .LBB47_2409
.LBB47_2405:
	s_mov_b64 s[10:11], -1
                                        ; implicit-def: $vgpr13
.LBB47_2406:
	s_and_b64 vcc, exec, s[10:11]
	s_cbranch_vccz .LBB47_2408
; %bb.2407:
	global_load_ubyte v1, v[19:20], off
	s_mov_b32 s10, 0x7f800000
	s_waitcnt vmcnt(0)
	v_lshlrev_b32_e32 v1, 24, v1
	v_and_b32_e32 v3, 0x7f000000, v1
	v_ffbh_u32_e32 v5, v3
	v_min_u32_e32 v5, 32, v5
	v_sub_u32_e64 v5, v5, 4 clamp
	v_lshlrev_b32_e32 v11, v5, v3
	v_lshlrev_b32_e32 v5, 23, v5
	v_lshrrev_b32_e32 v11, 4, v11
	v_add_u32_e32 v8, 0x1000000, v3
	v_sub_u32_e32 v5, v11, v5
	v_ashrrev_i32_e32 v8, 8, v8
	v_add_u32_e32 v5, 0x3c000000, v5
	v_and_or_b32 v5, v8, s10, v5
	v_cmp_ne_u32_e32 vcc, 0, v3
	v_cndmask_b32_e32 v3, 0, v5, vcc
	s_brev_b32 s10, 1
	v_and_or_b32 v1, v1, s10, v3
	v_cvt_i32_f32_e32 v13, v1
.LBB47_2408:
	s_mov_b64 s[10:11], 0
.LBB47_2409:
	s_andn2_b64 vcc, exec, s[10:11]
	s_cbranch_vccnz .LBB47_2411
; %bb.2410:
	global_load_ubyte v1, v[19:20], off
	s_movk_i32 s10, 0x7f00
	s_brev_b32 s11, 16
	s_waitcnt vmcnt(0)
	v_lshlrev_b16_e32 v3, 8, v1
	v_lshlrev_b32_e32 v1, 25, v1
	v_lshrrev_b32_e32 v5, 4, v1
	v_and_or_b32 v8, v3, s10, 0.5
	v_or_b32_e32 v5, 0x70000000, v5
	v_add_f32_e32 v8, -0.5, v8
	v_mul_f32_e32 v5, 0x7800000, v5
	v_cmp_gt_u32_e32 vcc, s11, v1
	v_bfe_i32 v3, v3, 0, 16
	v_cndmask_b32_e32 v1, v5, v8, vcc
	s_brev_b32 s10, 1
	v_and_or_b32 v1, v3, s10, v1
	v_cvt_i32_f32_e32 v13, v1
.LBB47_2411:
	s_mov_b64 s[10:11], 0
	s_mov_b64 s[16:17], -1
.LBB47_2412:
	s_andn2_b64 vcc, exec, s[10:11]
	s_mov_b64 s[10:11], 0
	s_cbranch_vccnz .LBB47_2423
; %bb.2413:
	s_cmp_gt_i32 s23, 14
	s_cbranch_scc0 .LBB47_2416
; %bb.2414:
	s_cmp_eq_u32 s23, 15
	s_cbranch_scc0 .LBB47_2419
; %bb.2415:
	global_load_ushort v1, v[19:20], off
	s_mov_b64 s[6:7], 0
	s_mov_b64 s[16:17], -1
	s_waitcnt vmcnt(0)
	v_lshlrev_b32_e32 v1, 16, v1
	v_cvt_i32_f32_e32 v13, v1
	s_branch .LBB47_2420
.LBB47_2416:
	s_mov_b64 s[18:19], -1
                                        ; implicit-def: $vgpr13
	s_branch .LBB47_2421
.LBB47_2417:
	s_andn2_saveexec_b64 s[10:11], s[10:11]
	s_cbranch_execz .LBB47_2398
.LBB47_2418:
	v_cmp_ne_u16_e32 vcc, 0, v1
	s_andn2_b64 s[16:17], s[16:17], exec
	s_and_b64 s[18:19], vcc, exec
	s_or_b64 s[16:17], s[16:17], s[18:19]
	s_or_b64 exec, exec, s[10:11]
	v_mov_b32_e32 v13, 0
	s_and_saveexec_b64 s[10:11], s[16:17]
	s_cbranch_execnz .LBB47_2399
	s_branch .LBB47_2400
.LBB47_2419:
	s_mov_b64 s[6:7], -1
                                        ; implicit-def: $vgpr13
.LBB47_2420:
	s_mov_b64 s[18:19], 0
.LBB47_2421:
	s_and_b64 vcc, exec, s[18:19]
	s_cbranch_vccz .LBB47_2423
; %bb.2422:
	s_cmp_lg_u32 s23, 11
	s_mov_b64 s[10:11], -1
	s_cselect_b64 s[6:7], -1, 0
.LBB47_2423:
	s_and_b64 vcc, exec, s[6:7]
	s_cbranch_vccnz .LBB47_2488
; %bb.2424:
	s_andn2_b64 vcc, exec, s[10:11]
	s_cbranch_vccnz .LBB47_2426
.LBB47_2425:
	global_load_ubyte v1, v[19:20], off
	s_mov_b64 s[16:17], -1
	s_waitcnt vmcnt(0)
	v_cmp_ne_u16_e32 vcc, 0, v1
	v_cndmask_b32_e64 v13, 0, 1, vcc
.LBB47_2426:
	s_mov_b64 s[6:7], 0
.LBB47_2427:
	s_and_b64 vcc, exec, s[6:7]
	s_cbranch_vccz .LBB47_2476
; %bb.2428:
	s_cmp_lt_i32 s23, 5
	s_cbranch_scc1 .LBB47_2433
; %bb.2429:
	s_cmp_lt_i32 s23, 8
	s_cbranch_scc1 .LBB47_2434
	;; [unrolled: 3-line block ×3, first 2 shown]
; %bb.2431:
	s_cmp_gt_i32 s23, 9
	s_cbranch_scc0 .LBB47_2436
; %bb.2432:
	global_load_dwordx2 v[13:14], v[19:20], off
	s_mov_b64 s[6:7], 0
	s_waitcnt vmcnt(0)
	v_cvt_i32_f64_e32 v13, v[13:14]
	s_branch .LBB47_2437
.LBB47_2433:
	s_mov_b64 s[6:7], -1
                                        ; implicit-def: $vgpr13
	s_branch .LBB47_2455
.LBB47_2434:
	s_mov_b64 s[6:7], -1
                                        ; implicit-def: $vgpr13
	s_branch .LBB47_2443
.LBB47_2435:
	s_mov_b64 s[6:7], -1
                                        ; implicit-def: $vgpr13
	s_branch .LBB47_2440
.LBB47_2436:
	s_mov_b64 s[6:7], -1
                                        ; implicit-def: $vgpr13
.LBB47_2437:
	s_andn2_b64 vcc, exec, s[6:7]
	s_cbranch_vccnz .LBB47_2439
; %bb.2438:
	global_load_dword v1, v[19:20], off
	s_waitcnt vmcnt(0)
	v_cvt_i32_f32_e32 v13, v1
.LBB47_2439:
	s_mov_b64 s[6:7], 0
.LBB47_2440:
	s_andn2_b64 vcc, exec, s[6:7]
	s_cbranch_vccnz .LBB47_2442
; %bb.2441:
	global_load_dword v1, v[19:20], off
	s_waitcnt vmcnt(0)
	v_cvt_i16_f16_e32 v13, v1
.LBB47_2442:
	s_mov_b64 s[6:7], 0
.LBB47_2443:
	s_andn2_b64 vcc, exec, s[6:7]
	s_cbranch_vccnz .LBB47_2454
; %bb.2444:
	s_cmp_lt_i32 s23, 6
	s_cbranch_scc1 .LBB47_2447
; %bb.2445:
	s_cmp_gt_i32 s23, 6
	s_cbranch_scc0 .LBB47_2448
; %bb.2446:
	global_load_dwordx2 v[13:14], v[19:20], off
	s_mov_b64 s[6:7], 0
	s_waitcnt vmcnt(0)
	v_cvt_i32_f64_e32 v13, v[13:14]
	s_branch .LBB47_2449
.LBB47_2447:
	s_mov_b64 s[6:7], -1
                                        ; implicit-def: $vgpr13
	s_branch .LBB47_2452
.LBB47_2448:
	s_mov_b64 s[6:7], -1
                                        ; implicit-def: $vgpr13
.LBB47_2449:
	s_andn2_b64 vcc, exec, s[6:7]
	s_cbranch_vccnz .LBB47_2451
; %bb.2450:
	global_load_dword v1, v[19:20], off
	s_waitcnt vmcnt(0)
	v_cvt_i32_f32_e32 v13, v1
.LBB47_2451:
	s_mov_b64 s[6:7], 0
.LBB47_2452:
	s_andn2_b64 vcc, exec, s[6:7]
	s_cbranch_vccnz .LBB47_2454
; %bb.2453:
	global_load_ushort v1, v[19:20], off
	s_waitcnt vmcnt(0)
	v_cvt_i16_f16_e32 v13, v1
.LBB47_2454:
	s_mov_b64 s[6:7], 0
.LBB47_2455:
	s_andn2_b64 vcc, exec, s[6:7]
	s_cbranch_vccnz .LBB47_2475
; %bb.2456:
	s_cmp_lt_i32 s23, 2
	s_cbranch_scc1 .LBB47_2460
; %bb.2457:
	s_cmp_lt_i32 s23, 3
	s_cbranch_scc1 .LBB47_2461
; %bb.2458:
	s_cmp_gt_i32 s23, 3
	s_cbranch_scc0 .LBB47_2462
; %bb.2459:
	global_load_dwordx2 v[13:14], v[19:20], off
	s_mov_b64 s[6:7], 0
	s_branch .LBB47_2463
.LBB47_2460:
	s_mov_b64 s[6:7], -1
                                        ; implicit-def: $vgpr13
	s_branch .LBB47_2469
.LBB47_2461:
	s_mov_b64 s[6:7], -1
                                        ; implicit-def: $vgpr13
	s_branch .LBB47_2466
.LBB47_2462:
	s_mov_b64 s[6:7], -1
                                        ; implicit-def: $vgpr13
.LBB47_2463:
	s_andn2_b64 vcc, exec, s[6:7]
	s_cbranch_vccnz .LBB47_2465
; %bb.2464:
	global_load_dword v13, v[19:20], off
.LBB47_2465:
	s_mov_b64 s[6:7], 0
.LBB47_2466:
	s_andn2_b64 vcc, exec, s[6:7]
	s_cbranch_vccnz .LBB47_2468
; %bb.2467:
	global_load_ushort v13, v[19:20], off
.LBB47_2468:
	s_mov_b64 s[6:7], 0
.LBB47_2469:
	s_andn2_b64 vcc, exec, s[6:7]
	s_cbranch_vccnz .LBB47_2475
; %bb.2470:
	s_cmp_gt_i32 s23, 0
	s_cbranch_scc0 .LBB47_2472
; %bb.2471:
	global_load_ubyte v13, v[19:20], off
	s_mov_b64 s[6:7], 0
	s_branch .LBB47_2473
.LBB47_2472:
	s_mov_b64 s[6:7], -1
                                        ; implicit-def: $vgpr13
.LBB47_2473:
	s_andn2_b64 vcc, exec, s[6:7]
	s_cbranch_vccnz .LBB47_2475
; %bb.2474:
	global_load_ubyte v13, v[19:20], off
.LBB47_2475:
	s_mov_b64 s[16:17], -1
.LBB47_2476:
	s_andn2_b64 vcc, exec, s[16:17]
	s_cbranch_vccnz .LBB47_3036
; %bb.2477:
	v_mov_b32_e32 v1, s1
	v_add_co_u32_e32 v19, vcc, s0, v9
	s_cmp_lt_i32 s24, 11
	v_addc_co_u32_e32 v20, vcc, 0, v1, vcc
	s_cbranch_scc1 .LBB47_2484
; %bb.2478:
	s_cmp_gt_i32 s24, 25
	s_mov_b64 s[6:7], 0
	s_cbranch_scc0 .LBB47_2485
; %bb.2479:
	s_cmp_gt_i32 s24, 28
	s_cbranch_scc0 .LBB47_2486
; %bb.2480:
	s_cmp_gt_i32 s24, 43
	;; [unrolled: 3-line block ×3, first 2 shown]
	s_cbranch_scc0 .LBB47_2489
; %bb.2482:
	s_cmp_eq_u32 s24, 46
	s_mov_b64 s[16:17], 0
	s_cbranch_scc0 .LBB47_2490
; %bb.2483:
	global_load_dword v1, v[19:20], off
	s_mov_b64 s[0:1], 0
	s_mov_b64 s[10:11], -1
	s_waitcnt vmcnt(0)
	v_lshlrev_b32_e32 v1, 16, v1
	v_cvt_i32_f32_e32 v8, v1
	s_branch .LBB47_2491
.LBB47_2484:
	s_mov_b64 s[0:1], -1
	s_mov_b64 s[10:11], 0
                                        ; implicit-def: $vgpr8
	s_branch .LBB47_2553
.LBB47_2485:
	s_mov_b64 s[16:17], -1
	s_mov_b64 s[10:11], 0
	s_mov_b64 s[0:1], 0
                                        ; implicit-def: $vgpr8
	s_branch .LBB47_2518
.LBB47_2486:
	s_mov_b64 s[16:17], -1
	s_mov_b64 s[10:11], 0
	s_mov_b64 s[0:1], 0
                                        ; implicit-def: $vgpr8
	s_branch .LBB47_2501
.LBB47_2487:
	s_mov_b64 s[16:17], -1
	s_mov_b64 s[10:11], 0
	s_mov_b64 s[0:1], 0
                                        ; implicit-def: $vgpr8
	s_branch .LBB47_2496
.LBB47_2488:
	s_trap 2
	s_or_b64 s[4:5], s[4:5], exec
	s_cbranch_execz .LBB47_2425
	s_branch .LBB47_2426
.LBB47_2489:
	s_mov_b64 s[16:17], -1
	s_mov_b64 s[10:11], 0
	s_mov_b64 s[0:1], 0
                                        ; implicit-def: $vgpr8
	s_branch .LBB47_2491
.LBB47_2490:
	s_mov_b64 s[0:1], -1
                                        ; implicit-def: $vgpr8
	s_mov_b64 s[10:11], 0
.LBB47_2491:
	s_and_b64 vcc, exec, s[16:17]
	s_cbranch_vccz .LBB47_2495
; %bb.2492:
	s_cmp_eq_u32 s24, 44
	s_cbranch_scc0 .LBB47_2494
; %bb.2493:
	global_load_ubyte v1, v[19:20], off
	s_mov_b64 s[0:1], 0
	s_mov_b64 s[10:11], -1
	s_waitcnt vmcnt(0)
	v_lshlrev_b32_e32 v3, 23, v1
	v_cvt_i32_f32_e32 v3, v3
	v_cmp_ne_u32_e32 vcc, 0, v1
	v_cndmask_b32_e32 v8, 0, v3, vcc
	s_branch .LBB47_2495
.LBB47_2494:
	s_mov_b64 s[0:1], -1
                                        ; implicit-def: $vgpr8
.LBB47_2495:
	s_mov_b64 s[16:17], 0
.LBB47_2496:
	s_and_b64 vcc, exec, s[16:17]
	s_cbranch_vccz .LBB47_2500
; %bb.2497:
	s_cmp_eq_u32 s24, 29
	s_cbranch_scc0 .LBB47_2499
; %bb.2498:
	global_load_dwordx2 v[8:9], v[19:20], off
	s_mov_b64 s[0:1], 0
	s_mov_b64 s[10:11], -1
	s_branch .LBB47_2500
.LBB47_2499:
	s_mov_b64 s[0:1], -1
                                        ; implicit-def: $vgpr8
.LBB47_2500:
	s_mov_b64 s[16:17], 0
.LBB47_2501:
	s_and_b64 vcc, exec, s[16:17]
	s_cbranch_vccz .LBB47_2517
; %bb.2502:
	s_cmp_lt_i32 s24, 27
	s_cbranch_scc1 .LBB47_2505
; %bb.2503:
	s_cmp_gt_i32 s24, 27
	s_cbranch_scc0 .LBB47_2506
; %bb.2504:
	global_load_dword v8, v[19:20], off
	s_mov_b64 s[10:11], 0
	s_branch .LBB47_2507
.LBB47_2505:
	s_mov_b64 s[10:11], -1
                                        ; implicit-def: $vgpr8
	s_branch .LBB47_2510
.LBB47_2506:
	s_mov_b64 s[10:11], -1
                                        ; implicit-def: $vgpr8
.LBB47_2507:
	s_andn2_b64 vcc, exec, s[10:11]
	s_cbranch_vccnz .LBB47_2509
; %bb.2508:
	global_load_ushort v8, v[19:20], off
.LBB47_2509:
	s_mov_b64 s[10:11], 0
.LBB47_2510:
	s_andn2_b64 vcc, exec, s[10:11]
	s_cbranch_vccnz .LBB47_2516
; %bb.2511:
	global_load_ubyte v1, v[19:20], off
	s_movk_i32 s10, 0x7f
	s_mov_b64 s[16:17], 0
	s_waitcnt vmcnt(0)
	v_cmp_lt_i16_e32 vcc, s10, v1
	s_and_saveexec_b64 s[10:11], vcc
	s_xor_b64 s[10:11], exec, s[10:11]
	s_cbranch_execz .LBB47_2528
; %bb.2512:
	s_movk_i32 s16, 0x80
	v_cmp_ne_u16_e32 vcc, s16, v1
	s_and_b64 s[16:17], vcc, exec
	s_andn2_saveexec_b64 s[10:11], s[10:11]
	s_cbranch_execnz .LBB47_2529
.LBB47_2513:
	s_or_b64 exec, exec, s[10:11]
	v_mov_b32_e32 v8, 0
	s_and_saveexec_b64 s[10:11], s[16:17]
	s_cbranch_execz .LBB47_2515
.LBB47_2514:
	v_lshlrev_b32_e32 v3, 24, v1
	v_and_b32_e32 v1, 0xffff, v1
	v_and_b32_e32 v5, 7, v1
	v_ffbh_u32_e32 v9, v5
	v_min_u32_e32 v9, 32, v9
	v_subrev_u32_e32 v11, 28, v9
	v_bfe_u32 v8, v1, 3, 4
	v_lshlrev_b32_e32 v1, v11, v1
	v_sub_u32_e32 v9, 29, v9
	v_and_b32_e32 v1, 7, v1
	v_cmp_eq_u32_e32 vcc, 0, v8
	v_cndmask_b32_e32 v8, v8, v9, vcc
	v_cndmask_b32_e32 v1, v5, v1, vcc
	v_mov_b32_e32 v5, 0x3b800000
	v_lshlrev_b32_e32 v1, 20, v1
	v_and_b32_e32 v3, 0x80000000, v3
	v_lshl_add_u32 v5, v8, 23, v5
	v_or3_b32 v1, v3, v5, v1
	v_cvt_i32_f32_e32 v8, v1
.LBB47_2515:
	s_or_b64 exec, exec, s[10:11]
.LBB47_2516:
	s_mov_b64 s[10:11], -1
.LBB47_2517:
	s_mov_b64 s[16:17], 0
.LBB47_2518:
	s_and_b64 vcc, exec, s[16:17]
	s_cbranch_vccz .LBB47_2549
; %bb.2519:
	s_cmp_gt_i32 s24, 22
	s_cbranch_scc0 .LBB47_2527
; %bb.2520:
	s_cmp_lt_i32 s24, 24
	s_cbranch_scc1 .LBB47_2530
; %bb.2521:
	s_cmp_gt_i32 s24, 24
	s_cbranch_scc0 .LBB47_2531
; %bb.2522:
	global_load_ubyte v1, v[19:20], off
	s_movk_i32 s6, 0x7f
	s_mov_b64 s[10:11], 0
	s_waitcnt vmcnt(0)
	v_cmp_lt_i16_e32 vcc, s6, v1
	s_and_saveexec_b64 s[6:7], vcc
	s_xor_b64 s[6:7], exec, s[6:7]
	s_cbranch_execz .LBB47_2543
; %bb.2523:
	s_movk_i32 s10, 0x80
	v_cmp_ne_u16_e32 vcc, s10, v1
	s_and_b64 s[10:11], vcc, exec
	s_andn2_saveexec_b64 s[6:7], s[6:7]
	s_cbranch_execnz .LBB47_2544
.LBB47_2524:
	s_or_b64 exec, exec, s[6:7]
	v_mov_b32_e32 v8, 0
	s_and_saveexec_b64 s[6:7], s[10:11]
	s_cbranch_execz .LBB47_2526
.LBB47_2525:
	v_lshlrev_b32_e32 v3, 24, v1
	v_and_b32_e32 v1, 0xffff, v1
	v_and_b32_e32 v5, 3, v1
	v_ffbh_u32_e32 v9, v5
	v_min_u32_e32 v9, 32, v9
	v_subrev_u32_e32 v11, 29, v9
	v_bfe_u32 v8, v1, 2, 5
	v_lshlrev_b32_e32 v1, v11, v1
	v_sub_u32_e32 v9, 30, v9
	v_and_b32_e32 v1, 3, v1
	v_cmp_eq_u32_e32 vcc, 0, v8
	v_cndmask_b32_e32 v8, v8, v9, vcc
	v_cndmask_b32_e32 v1, v5, v1, vcc
	v_mov_b32_e32 v5, 0x37800000
	v_lshlrev_b32_e32 v1, 21, v1
	v_and_b32_e32 v3, 0x80000000, v3
	v_lshl_add_u32 v5, v8, 23, v5
	v_or3_b32 v1, v3, v5, v1
	v_cvt_i32_f32_e32 v8, v1
.LBB47_2526:
	s_or_b64 exec, exec, s[6:7]
	s_mov_b64 s[6:7], 0
	s_branch .LBB47_2532
.LBB47_2527:
	s_mov_b64 s[6:7], -1
                                        ; implicit-def: $vgpr8
	s_branch .LBB47_2538
.LBB47_2528:
	s_andn2_saveexec_b64 s[10:11], s[10:11]
	s_cbranch_execz .LBB47_2513
.LBB47_2529:
	v_cmp_ne_u16_e32 vcc, 0, v1
	s_andn2_b64 s[16:17], s[16:17], exec
	s_and_b64 s[18:19], vcc, exec
	s_or_b64 s[16:17], s[16:17], s[18:19]
	s_or_b64 exec, exec, s[10:11]
	v_mov_b32_e32 v8, 0
	s_and_saveexec_b64 s[10:11], s[16:17]
	s_cbranch_execnz .LBB47_2514
	s_branch .LBB47_2515
.LBB47_2530:
	s_mov_b64 s[6:7], -1
                                        ; implicit-def: $vgpr8
	s_branch .LBB47_2535
.LBB47_2531:
	s_mov_b64 s[6:7], -1
                                        ; implicit-def: $vgpr8
.LBB47_2532:
	s_and_b64 vcc, exec, s[6:7]
	s_cbranch_vccz .LBB47_2534
; %bb.2533:
	global_load_ubyte v1, v[19:20], off
	s_mov_b32 s6, 0x7f800000
	s_waitcnt vmcnt(0)
	v_lshlrev_b32_e32 v1, 24, v1
	v_and_b32_e32 v3, 0x7f000000, v1
	v_ffbh_u32_e32 v5, v3
	v_min_u32_e32 v5, 32, v5
	v_sub_u32_e64 v5, v5, 4 clamp
	v_lshlrev_b32_e32 v9, v5, v3
	v_lshlrev_b32_e32 v5, 23, v5
	v_lshrrev_b32_e32 v9, 4, v9
	v_add_u32_e32 v8, 0x1000000, v3
	v_sub_u32_e32 v5, v9, v5
	v_ashrrev_i32_e32 v8, 8, v8
	v_add_u32_e32 v5, 0x3c000000, v5
	v_and_or_b32 v5, v8, s6, v5
	v_cmp_ne_u32_e32 vcc, 0, v3
	v_cndmask_b32_e32 v3, 0, v5, vcc
	s_brev_b32 s6, 1
	v_and_or_b32 v1, v1, s6, v3
	v_cvt_i32_f32_e32 v8, v1
.LBB47_2534:
	s_mov_b64 s[6:7], 0
.LBB47_2535:
	s_andn2_b64 vcc, exec, s[6:7]
	s_cbranch_vccnz .LBB47_2537
; %bb.2536:
	global_load_ubyte v1, v[19:20], off
	s_movk_i32 s6, 0x7f00
	s_brev_b32 s7, 16
	s_waitcnt vmcnt(0)
	v_lshlrev_b16_e32 v3, 8, v1
	v_lshlrev_b32_e32 v1, 25, v1
	v_lshrrev_b32_e32 v5, 4, v1
	v_and_or_b32 v8, v3, s6, 0.5
	v_or_b32_e32 v5, 0x70000000, v5
	v_add_f32_e32 v8, -0.5, v8
	v_mul_f32_e32 v5, 0x7800000, v5
	v_cmp_gt_u32_e32 vcc, s7, v1
	v_bfe_i32 v3, v3, 0, 16
	v_cndmask_b32_e32 v1, v5, v8, vcc
	s_brev_b32 s6, 1
	v_and_or_b32 v1, v3, s6, v1
	v_cvt_i32_f32_e32 v8, v1
.LBB47_2537:
	s_mov_b64 s[6:7], 0
	s_mov_b64 s[10:11], -1
.LBB47_2538:
	s_andn2_b64 vcc, exec, s[6:7]
	s_mov_b64 s[6:7], 0
	s_cbranch_vccnz .LBB47_2549
; %bb.2539:
	s_cmp_gt_i32 s24, 14
	s_cbranch_scc0 .LBB47_2542
; %bb.2540:
	s_cmp_eq_u32 s24, 15
	s_cbranch_scc0 .LBB47_2545
; %bb.2541:
	global_load_ushort v1, v[19:20], off
	s_mov_b64 s[0:1], 0
	s_mov_b64 s[10:11], -1
	s_waitcnt vmcnt(0)
	v_lshlrev_b32_e32 v1, 16, v1
	v_cvt_i32_f32_e32 v8, v1
	s_branch .LBB47_2546
.LBB47_2542:
	s_mov_b64 s[16:17], -1
                                        ; implicit-def: $vgpr8
	s_branch .LBB47_2547
.LBB47_2543:
	s_andn2_saveexec_b64 s[6:7], s[6:7]
	s_cbranch_execz .LBB47_2524
.LBB47_2544:
	v_cmp_ne_u16_e32 vcc, 0, v1
	s_andn2_b64 s[10:11], s[10:11], exec
	s_and_b64 s[16:17], vcc, exec
	s_or_b64 s[10:11], s[10:11], s[16:17]
	s_or_b64 exec, exec, s[6:7]
	v_mov_b32_e32 v8, 0
	s_and_saveexec_b64 s[6:7], s[10:11]
	s_cbranch_execnz .LBB47_2525
	s_branch .LBB47_2526
.LBB47_2545:
	s_mov_b64 s[0:1], -1
                                        ; implicit-def: $vgpr8
.LBB47_2546:
	s_mov_b64 s[16:17], 0
.LBB47_2547:
	s_and_b64 vcc, exec, s[16:17]
	s_cbranch_vccz .LBB47_2549
; %bb.2548:
	s_cmp_lg_u32 s24, 11
	s_mov_b64 s[6:7], -1
	s_cselect_b64 s[0:1], -1, 0
.LBB47_2549:
	s_and_b64 vcc, exec, s[0:1]
	s_cbranch_vccnz .LBB47_3082
; %bb.2550:
	s_andn2_b64 vcc, exec, s[6:7]
	s_cbranch_vccnz .LBB47_2552
.LBB47_2551:
	global_load_ubyte v1, v[19:20], off
	s_mov_b64 s[10:11], -1
	s_waitcnt vmcnt(0)
	v_cmp_ne_u16_e32 vcc, 0, v1
	v_cndmask_b32_e64 v8, 0, 1, vcc
.LBB47_2552:
	s_mov_b64 s[0:1], 0
.LBB47_2553:
	s_and_b64 vcc, exec, s[0:1]
	s_cbranch_vccz .LBB47_2602
; %bb.2554:
	s_cmp_lt_i32 s24, 5
	s_cbranch_scc1 .LBB47_2559
; %bb.2555:
	s_cmp_lt_i32 s24, 8
	s_cbranch_scc1 .LBB47_2560
	;; [unrolled: 3-line block ×3, first 2 shown]
; %bb.2557:
	s_cmp_gt_i32 s24, 9
	s_cbranch_scc0 .LBB47_2562
; %bb.2558:
	global_load_dwordx2 v[8:9], v[19:20], off
	s_mov_b64 s[0:1], 0
	s_waitcnt vmcnt(0)
	v_cvt_i32_f64_e32 v8, v[8:9]
	s_branch .LBB47_2563
.LBB47_2559:
	s_mov_b64 s[0:1], -1
                                        ; implicit-def: $vgpr8
	s_branch .LBB47_2581
.LBB47_2560:
	s_mov_b64 s[0:1], -1
                                        ; implicit-def: $vgpr8
	s_branch .LBB47_2569
.LBB47_2561:
	s_mov_b64 s[0:1], -1
                                        ; implicit-def: $vgpr8
	s_branch .LBB47_2566
.LBB47_2562:
	s_mov_b64 s[0:1], -1
                                        ; implicit-def: $vgpr8
.LBB47_2563:
	s_andn2_b64 vcc, exec, s[0:1]
	s_cbranch_vccnz .LBB47_2565
; %bb.2564:
	global_load_dword v1, v[19:20], off
	s_waitcnt vmcnt(0)
	v_cvt_i32_f32_e32 v8, v1
.LBB47_2565:
	s_mov_b64 s[0:1], 0
.LBB47_2566:
	s_andn2_b64 vcc, exec, s[0:1]
	s_cbranch_vccnz .LBB47_2568
; %bb.2567:
	global_load_dword v1, v[19:20], off
	s_waitcnt vmcnt(0)
	v_cvt_i16_f16_e32 v8, v1
.LBB47_2568:
	s_mov_b64 s[0:1], 0
.LBB47_2569:
	s_andn2_b64 vcc, exec, s[0:1]
	s_cbranch_vccnz .LBB47_2580
; %bb.2570:
	s_cmp_lt_i32 s24, 6
	s_cbranch_scc1 .LBB47_2573
; %bb.2571:
	s_cmp_gt_i32 s24, 6
	s_cbranch_scc0 .LBB47_2574
; %bb.2572:
	global_load_dwordx2 v[8:9], v[19:20], off
	s_mov_b64 s[0:1], 0
	s_waitcnt vmcnt(0)
	v_cvt_i32_f64_e32 v8, v[8:9]
	s_branch .LBB47_2575
.LBB47_2573:
	s_mov_b64 s[0:1], -1
                                        ; implicit-def: $vgpr8
	s_branch .LBB47_2578
.LBB47_2574:
	s_mov_b64 s[0:1], -1
                                        ; implicit-def: $vgpr8
.LBB47_2575:
	s_andn2_b64 vcc, exec, s[0:1]
	s_cbranch_vccnz .LBB47_2577
; %bb.2576:
	global_load_dword v1, v[19:20], off
	s_waitcnt vmcnt(0)
	v_cvt_i32_f32_e32 v8, v1
.LBB47_2577:
	s_mov_b64 s[0:1], 0
.LBB47_2578:
	s_andn2_b64 vcc, exec, s[0:1]
	s_cbranch_vccnz .LBB47_2580
; %bb.2579:
	global_load_ushort v1, v[19:20], off
	s_waitcnt vmcnt(0)
	v_cvt_i16_f16_e32 v8, v1
.LBB47_2580:
	s_mov_b64 s[0:1], 0
.LBB47_2581:
	s_andn2_b64 vcc, exec, s[0:1]
	s_cbranch_vccnz .LBB47_2601
; %bb.2582:
	s_cmp_lt_i32 s24, 2
	s_cbranch_scc1 .LBB47_2586
; %bb.2583:
	s_cmp_lt_i32 s24, 3
	s_cbranch_scc1 .LBB47_2587
; %bb.2584:
	s_cmp_gt_i32 s24, 3
	s_cbranch_scc0 .LBB47_2588
; %bb.2585:
	global_load_dwordx2 v[8:9], v[19:20], off
	s_mov_b64 s[0:1], 0
	s_branch .LBB47_2589
.LBB47_2586:
	s_mov_b64 s[0:1], -1
                                        ; implicit-def: $vgpr8
	s_branch .LBB47_2595
.LBB47_2587:
	s_mov_b64 s[0:1], -1
                                        ; implicit-def: $vgpr8
	s_branch .LBB47_2592
.LBB47_2588:
	s_mov_b64 s[0:1], -1
                                        ; implicit-def: $vgpr8
.LBB47_2589:
	s_andn2_b64 vcc, exec, s[0:1]
	s_cbranch_vccnz .LBB47_2591
; %bb.2590:
	global_load_dword v8, v[19:20], off
.LBB47_2591:
	s_mov_b64 s[0:1], 0
.LBB47_2592:
	s_andn2_b64 vcc, exec, s[0:1]
	s_cbranch_vccnz .LBB47_2594
; %bb.2593:
	global_load_ushort v8, v[19:20], off
.LBB47_2594:
	s_mov_b64 s[0:1], 0
.LBB47_2595:
	s_andn2_b64 vcc, exec, s[0:1]
	s_cbranch_vccnz .LBB47_2601
; %bb.2596:
	s_cmp_gt_i32 s24, 0
	s_cbranch_scc0 .LBB47_2598
; %bb.2597:
	global_load_ubyte v8, v[19:20], off
	s_mov_b64 s[0:1], 0
	s_branch .LBB47_2599
.LBB47_2598:
	s_mov_b64 s[0:1], -1
                                        ; implicit-def: $vgpr8
.LBB47_2599:
	s_andn2_b64 vcc, exec, s[0:1]
	s_cbranch_vccnz .LBB47_2601
; %bb.2600:
	global_load_ubyte v8, v[19:20], off
.LBB47_2601:
	s_mov_b64 s[10:11], -1
.LBB47_2602:
	s_andn2_b64 vcc, exec, s[10:11]
	s_cbranch_vccnz .LBB47_3036
; %bb.2603:
	s_load_dword s0, s[2:3], 0x1a0
	s_bfe_u32 s18, s22, 0x80010
	v_mov_b32_e32 v3, s9
	s_waitcnt lgkmcnt(0)
	s_bfe_u32 s20, s0, 0x80008
	s_bfe_i32 s19, s0, 0x80000
	v_mov_b32_e32 v1, s20
	v_cmp_gt_i16_sdwa vcc, sext(v7), s19 src0_sel:BYTE_0 src1_sel:DWORD
	v_cndmask_b32_e32 v1, v1, v12, vcc
	v_add_co_u32_e32 v5, vcc, s8, v6
	s_cmp_lt_i32 s18, 11
	v_addc_co_u32_e32 v6, vcc, 0, v3, vcc
	s_cbranch_scc1 .LBB47_2681
; %bb.2604:
	s_and_b32 s21, 0xffff, s18
	s_mov_b64 s[10:11], -1
	s_mov_b64 s[2:3], 0
	s_cmp_gt_i32 s21, 25
	s_mov_b64 s[6:7], 0
	s_mov_b64 s[0:1], 0
	s_cbranch_scc0 .LBB47_2637
; %bb.2605:
	s_cmp_gt_i32 s21, 28
	s_cbranch_scc0 .LBB47_2620
; %bb.2606:
	s_cmp_gt_i32 s21, 43
	;; [unrolled: 3-line block ×3, first 2 shown]
	s_cbranch_scc0 .LBB47_2610
; %bb.2608:
	s_mov_b64 s[0:1], -1
	s_mov_b64 s[10:11], 0
	s_cmp_eq_u32 s21, 46
	s_cbranch_scc0 .LBB47_2610
; %bb.2609:
	v_bfe_i32 v3, v1, 0, 8
	v_cvt_f32_i32_sdwa v3, sext(v3) dst_sel:DWORD dst_unused:UNUSED_PAD src0_sel:WORD_0
	s_movk_i32 s6, 0x7fff
	s_mov_b64 s[0:1], 0
	v_bfe_u32 v7, v3, 16, 1
	v_add3_u32 v3, v3, v7, s6
	v_lshrrev_b32_e32 v3, 16, v3
	global_store_dword v[5:6], v3, off
	s_mov_b64 s[6:7], -1
.LBB47_2610:
	s_and_b64 vcc, exec, s[10:11]
	s_cbranch_vccz .LBB47_2615
; %bb.2611:
	s_cmp_eq_u32 s21, 44
	s_mov_b64 s[0:1], -1
	s_cbranch_scc0 .LBB47_2615
; %bb.2612:
	v_bfe_i32 v3, v1, 0, 8
	v_cvt_f32_i32_sdwa v3, sext(v3) dst_sel:DWORD dst_unused:UNUSED_PAD src0_sel:WORD_0
	s_movk_i32 s0, 0xff
	s_waitcnt vmcnt(0)
	v_mov_b32_e32 v9, 0xff
	v_bfe_u32 v7, v3, 23, 8
	v_cmp_ne_u32_e32 vcc, s0, v7
	s_and_saveexec_b64 s[6:7], vcc
; %bb.2613:
	s_mov_b32 s0, 0x3fffff
	v_lshrrev_b32_e32 v9, 23, v3
	v_and_b32_e32 v11, 0x400000, v3
	v_and_or_b32 v3, v3, s0, v7
	v_cmp_ne_u32_e32 vcc, 0, v11
	v_cmp_ne_u32_e64 s[0:1], 0, v3
	s_and_b64 s[0:1], vcc, s[0:1]
	v_cndmask_b32_e64 v3, 0, 1, s[0:1]
	v_add_u32_e32 v9, v9, v3
; %bb.2614:
	s_or_b64 exec, exec, s[6:7]
	s_mov_b64 s[0:1], 0
	s_mov_b64 s[6:7], -1
	global_store_byte v[5:6], v9, off
.LBB47_2615:
	s_mov_b64 s[10:11], 0
.LBB47_2616:
	s_and_b64 vcc, exec, s[10:11]
	s_cbranch_vccz .LBB47_2619
; %bb.2617:
	s_cmp_eq_u32 s21, 29
	s_mov_b64 s[0:1], -1
	s_cbranch_scc0 .LBB47_2619
; %bb.2618:
	v_bfe_i32 v11, v1, 0, 8
	v_ashrrev_i32_e32 v12, 31, v11
	global_store_dwordx2 v[5:6], v[11:12], off
	s_mov_b64 s[0:1], 0
	s_mov_b64 s[6:7], -1
.LBB47_2619:
	s_mov_b64 s[10:11], 0
.LBB47_2620:
	s_and_b64 vcc, exec, s[10:11]
	s_cbranch_vccz .LBB47_2636
; %bb.2621:
	s_cmp_lt_i32 s21, 27
	s_mov_b64 s[6:7], -1
	s_cbranch_scc1 .LBB47_2627
; %bb.2622:
	s_cmp_gt_i32 s21, 27
	s_cbranch_scc0 .LBB47_2624
; %bb.2623:
	v_bfe_i32 v3, v1, 0, 8
	s_mov_b64 s[6:7], 0
	global_store_dword v[5:6], v3, off
.LBB47_2624:
	s_andn2_b64 vcc, exec, s[6:7]
	s_cbranch_vccnz .LBB47_2626
; %bb.2625:
	v_bfe_i32 v3, v1, 0, 8
	global_store_short v[5:6], v3, off
.LBB47_2626:
	s_mov_b64 s[6:7], 0
.LBB47_2627:
	s_andn2_b64 vcc, exec, s[6:7]
	s_cbranch_vccnz .LBB47_2635
; %bb.2628:
	v_bfe_i32 v3, v1, 0, 8
	v_cvt_f32_i32_sdwa v3, sext(v3) dst_sel:DWORD dst_unused:UNUSED_PAD src0_sel:WORD_0
	s_mov_b32 s6, 0x43800000
	s_waitcnt vmcnt(0)
	v_mov_b32_e32 v9, 0x80
	v_and_b32_e32 v7, 0x7fffffff, v3
	v_cmp_gt_u32_e32 vcc, s6, v7
	s_and_saveexec_b64 s[6:7], vcc
	s_cbranch_execz .LBB47_2634
; %bb.2629:
	s_mov_b32 s10, 0x3bffffff
	v_cmp_lt_u32_e32 vcc, s10, v7
	s_mov_b64 s[10:11], 0
                                        ; implicit-def: $vgpr7
	s_and_saveexec_b64 s[16:17], vcc
	s_xor_b64 s[16:17], exec, s[16:17]
	s_cbranch_execz .LBB47_3083
; %bb.2630:
	v_bfe_u32 v7, v3, 20, 1
	s_mov_b32 s23, 0x487ffff
	v_add3_u32 v7, v3, v7, s23
	s_mov_b64 s[10:11], exec
	v_lshrrev_b32_e32 v7, 20, v7
	s_andn2_saveexec_b64 s[16:17], s[16:17]
	s_cbranch_execnz .LBB47_3084
.LBB47_2631:
	s_or_b64 exec, exec, s[16:17]
	v_mov_b32_e32 v9, 0
	s_and_saveexec_b64 s[16:17], s[10:11]
.LBB47_2632:
	v_lshrrev_b32_e32 v3, 24, v3
	s_movk_i32 s10, 0x80
	v_and_or_b32 v9, v3, s10, v7
.LBB47_2633:
	s_or_b64 exec, exec, s[16:17]
.LBB47_2634:
	s_or_b64 exec, exec, s[6:7]
	global_store_byte v[5:6], v9, off
.LBB47_2635:
	s_mov_b64 s[6:7], -1
.LBB47_2636:
	s_mov_b64 s[10:11], 0
.LBB47_2637:
	s_and_b64 vcc, exec, s[10:11]
	s_cbranch_vccz .LBB47_2677
; %bb.2638:
	s_cmp_gt_i32 s21, 22
	s_mov_b64 s[2:3], -1
	s_cbranch_scc0 .LBB47_2670
; %bb.2639:
	s_cmp_lt_i32 s21, 24
	s_cbranch_scc1 .LBB47_2659
; %bb.2640:
	s_cmp_gt_i32 s21, 24
	s_cbranch_scc0 .LBB47_2648
; %bb.2641:
	v_bfe_i32 v3, v1, 0, 8
	v_cvt_f32_i32_sdwa v3, sext(v3) dst_sel:DWORD dst_unused:UNUSED_PAD src0_sel:WORD_0
	s_mov_b32 s2, 0x47800000
	s_waitcnt vmcnt(0)
	v_mov_b32_e32 v9, 0x80
	v_and_b32_e32 v7, 0x7fffffff, v3
	v_cmp_gt_u32_e32 vcc, s2, v7
	s_and_saveexec_b64 s[2:3], vcc
	s_cbranch_execz .LBB47_2647
; %bb.2642:
	s_mov_b32 s6, 0x37ffffff
	v_cmp_lt_u32_e32 vcc, s6, v7
	s_mov_b64 s[6:7], 0
                                        ; implicit-def: $vgpr7
	s_and_saveexec_b64 s[10:11], vcc
	s_xor_b64 s[10:11], exec, s[10:11]
	s_cbranch_execz .LBB47_3086
; %bb.2643:
	v_bfe_u32 v7, v3, 21, 1
	s_mov_b32 s16, 0x88fffff
	v_add3_u32 v7, v3, v7, s16
	s_mov_b64 s[6:7], exec
	v_lshrrev_b32_e32 v7, 21, v7
	s_andn2_saveexec_b64 s[10:11], s[10:11]
	s_cbranch_execnz .LBB47_3087
.LBB47_2644:
	s_or_b64 exec, exec, s[10:11]
	v_mov_b32_e32 v9, 0
	s_and_saveexec_b64 s[10:11], s[6:7]
.LBB47_2645:
	v_lshrrev_b32_e32 v3, 24, v3
	s_movk_i32 s6, 0x80
	v_and_or_b32 v9, v3, s6, v7
.LBB47_2646:
	s_or_b64 exec, exec, s[10:11]
.LBB47_2647:
	s_or_b64 exec, exec, s[2:3]
	s_mov_b64 s[2:3], 0
	global_store_byte v[5:6], v9, off
.LBB47_2648:
	s_and_b64 vcc, exec, s[2:3]
	s_cbranch_vccz .LBB47_2658
; %bb.2649:
	v_bfe_i32 v3, v1, 0, 8
	v_cvt_f32_i32_sdwa v3, sext(v3) dst_sel:DWORD dst_unused:UNUSED_PAD src0_sel:WORD_0
	s_mov_b32 s2, 0x43f00000
                                        ; implicit-def: $vgpr7
	s_waitcnt vmcnt(0)
	v_and_b32_e32 v9, 0x7fffffff, v3
	v_cmp_gt_u32_e32 vcc, s2, v9
	s_and_saveexec_b64 s[2:3], vcc
	s_xor_b64 s[2:3], exec, s[2:3]
	s_cbranch_execz .LBB47_2655
; %bb.2650:
	s_mov_b32 s6, 0x3c7fffff
	v_cmp_lt_u32_e32 vcc, s6, v9
                                        ; implicit-def: $vgpr7
	s_and_saveexec_b64 s[6:7], vcc
	s_xor_b64 s[6:7], exec, s[6:7]
; %bb.2651:
	v_bfe_u32 v7, v3, 20, 1
	s_mov_b32 s10, 0x407ffff
	v_add3_u32 v7, v3, v7, s10
	v_lshrrev_b32_e32 v9, 20, v7
	v_and_b32_e32 v7, 0xff00000, v7
	s_mov_b32 s10, 0x7f00000
	v_mov_b32_e32 v11, 0x7e
	v_cmp_ne_u32_e32 vcc, s10, v7
	v_cndmask_b32_e32 v7, v11, v9, vcc
; %bb.2652:
	s_andn2_saveexec_b64 s[6:7], s[6:7]
; %bb.2653:
	s_mov_b32 s10, 0x46800000
	v_add_f32_e64 v7, |v3|, s10
; %bb.2654:
	s_or_b64 exec, exec, s[6:7]
                                        ; implicit-def: $vgpr9
.LBB47_2655:
	s_andn2_saveexec_b64 s[2:3], s[2:3]
; %bb.2656:
	s_mov_b32 s6, 0x7f800000
	v_mov_b32_e32 v7, 0x7e
	v_mov_b32_e32 v11, 0x7f
	v_cmp_lt_u32_e32 vcc, s6, v9
	v_cndmask_b32_e32 v7, v7, v11, vcc
; %bb.2657:
	s_or_b64 exec, exec, s[2:3]
	v_lshrrev_b32_e32 v3, 24, v3
	s_movk_i32 s2, 0x80
	v_and_or_b32 v3, v3, s2, v7
	global_store_byte v[5:6], v3, off
.LBB47_2658:
	s_mov_b64 s[2:3], 0
.LBB47_2659:
	s_andn2_b64 vcc, exec, s[2:3]
	s_cbranch_vccnz .LBB47_2669
; %bb.2660:
	v_bfe_i32 v3, v1, 0, 8
	v_cvt_f32_i32_sdwa v3, sext(v3) dst_sel:DWORD dst_unused:UNUSED_PAD src0_sel:WORD_0
	s_mov_b32 s2, 0x47800000
                                        ; implicit-def: $vgpr7
	s_waitcnt vmcnt(0)
	v_and_b32_e32 v9, 0x7fffffff, v3
	v_cmp_gt_u32_e32 vcc, s2, v9
	s_and_saveexec_b64 s[2:3], vcc
	s_xor_b64 s[2:3], exec, s[2:3]
	s_cbranch_execz .LBB47_2666
; %bb.2661:
	s_mov_b32 s6, 0x387fffff
	v_cmp_lt_u32_e32 vcc, s6, v9
                                        ; implicit-def: $vgpr7
	s_and_saveexec_b64 s[6:7], vcc
	s_xor_b64 s[6:7], exec, s[6:7]
; %bb.2662:
	v_bfe_u32 v7, v3, 21, 1
	s_mov_b32 s10, 0x80fffff
	v_add3_u32 v7, v3, v7, s10
	v_lshrrev_b32_e32 v7, 21, v7
; %bb.2663:
	s_andn2_saveexec_b64 s[6:7], s[6:7]
; %bb.2664:
	s_mov_b32 s10, 0x43000000
	v_add_f32_e64 v7, |v3|, s10
; %bb.2665:
	s_or_b64 exec, exec, s[6:7]
                                        ; implicit-def: $vgpr9
.LBB47_2666:
	s_andn2_saveexec_b64 s[2:3], s[2:3]
; %bb.2667:
	s_mov_b32 s6, 0x7f800000
	v_mov_b32_e32 v7, 0x7c
	v_mov_b32_e32 v11, 0x7f
	v_cmp_lt_u32_e32 vcc, s6, v9
	v_cndmask_b32_e32 v7, v7, v11, vcc
; %bb.2668:
	s_or_b64 exec, exec, s[2:3]
	v_lshrrev_b32_e32 v3, 24, v3
	s_movk_i32 s2, 0x80
	v_and_or_b32 v3, v3, s2, v7
	global_store_byte v[5:6], v3, off
.LBB47_2669:
	s_mov_b64 s[2:3], 0
	s_mov_b64 s[6:7], -1
.LBB47_2670:
	s_andn2_b64 vcc, exec, s[2:3]
	s_mov_b64 s[2:3], 0
	s_cbranch_vccnz .LBB47_2677
; %bb.2671:
	s_cmp_gt_i32 s21, 14
	s_mov_b64 s[10:11], -1
	s_cbranch_scc0 .LBB47_2675
; %bb.2672:
	s_cmp_eq_u32 s21, 15
	s_mov_b64 s[0:1], -1
	s_cbranch_scc0 .LBB47_2674
; %bb.2673:
	v_bfe_i32 v3, v1, 0, 8
	v_cvt_f32_i32_sdwa v3, sext(v3) dst_sel:DWORD dst_unused:UNUSED_PAD src0_sel:WORD_0
	s_movk_i32 s2, 0x7fff
	s_mov_b64 s[0:1], 0
	s_mov_b64 s[6:7], -1
	v_bfe_u32 v7, v3, 16, 1
	v_add3_u32 v3, v3, v7, s2
	global_store_short_d16_hi v[5:6], v3, off
.LBB47_2674:
	s_mov_b64 s[10:11], 0
.LBB47_2675:
	s_mov_b64 s[2:3], 0
	s_and_b64 vcc, exec, s[10:11]
	s_cbranch_vccz .LBB47_2677
; %bb.2676:
	s_cmp_lg_u32 s21, 11
	s_mov_b64 s[2:3], -1
	s_cselect_b64 s[0:1], -1, 0
.LBB47_2677:
	s_and_b64 vcc, exec, s[0:1]
	s_cbranch_vccnz .LBB47_3085
; %bb.2678:
	s_andn2_b64 vcc, exec, s[2:3]
	s_cbranch_vccnz .LBB47_2680
.LBB47_2679:
	v_mov_b32_e32 v3, 0
	v_cmp_ne_u16_sdwa s[0:1], v1, v3 src0_sel:BYTE_0 src1_sel:DWORD
	v_cndmask_b32_e64 v3, 0, 1, s[0:1]
	s_mov_b64 s[6:7], -1
	global_store_byte v[5:6], v3, off
.LBB47_2680:
	s_mov_b64 s[0:1], 0
	s_branch .LBB47_2682
.LBB47_2681:
	s_mov_b64 s[0:1], -1
	s_mov_b64 s[6:7], 0
.LBB47_2682:
	s_and_b64 vcc, exec, s[0:1]
	s_cbranch_vccz .LBB47_2721
; %bb.2683:
	s_and_b32 s2, 0xffff, s18
	s_cmp_lt_i32 s2, 5
	s_mov_b64 s[0:1], -1
	s_cbranch_scc1 .LBB47_2704
; %bb.2684:
	s_cmp_lt_i32 s2, 8
	s_cbranch_scc1 .LBB47_2694
; %bb.2685:
	s_cmp_lt_i32 s2, 9
	s_cbranch_scc1 .LBB47_2691
; %bb.2686:
	s_cmp_gt_i32 s2, 9
	s_cbranch_scc0 .LBB47_2688
; %bb.2687:
	v_bfe_i32 v3, v1, 0, 8
	v_bfe_i32 v3, v3, 0, 16
	v_cvt_f64_i32_e32 v[19:20], v3
	v_mov_b32_e32 v21, 0
	v_mov_b32_e32 v22, v21
	s_mov_b64 s[0:1], 0
	global_store_dwordx4 v[5:6], v[19:22], off
.LBB47_2688:
	s_andn2_b64 vcc, exec, s[0:1]
	s_cbranch_vccnz .LBB47_2690
; %bb.2689:
	v_bfe_i32 v3, v1, 0, 8
	v_cvt_f32_i32_sdwa v11, sext(v3) dst_sel:DWORD dst_unused:UNUSED_PAD src0_sel:WORD_0
	v_mov_b32_e32 v12, 0
	global_store_dwordx2 v[5:6], v[11:12], off
.LBB47_2690:
	s_mov_b64 s[0:1], 0
.LBB47_2691:
	s_andn2_b64 vcc, exec, s[0:1]
	s_cbranch_vccnz .LBB47_2693
; %bb.2692:
	v_cvt_f16_i16_sdwa v3, sext(v1) dst_sel:DWORD dst_unused:UNUSED_PAD src0_sel:BYTE_0
	global_store_dword v[5:6], v3, off
.LBB47_2693:
	s_mov_b64 s[0:1], 0
.LBB47_2694:
	s_andn2_b64 vcc, exec, s[0:1]
	s_cbranch_vccnz .LBB47_2703
; %bb.2695:
	s_cmp_lt_i32 s2, 6
	s_mov_b64 s[0:1], -1
	s_cbranch_scc1 .LBB47_2701
; %bb.2696:
	s_cmp_gt_i32 s2, 6
	s_cbranch_scc0 .LBB47_2698
; %bb.2697:
	v_bfe_i32 v3, v1, 0, 8
	v_bfe_i32 v3, v3, 0, 16
	v_cvt_f64_i32_e32 v[11:12], v3
	s_mov_b64 s[0:1], 0
	global_store_dwordx2 v[5:6], v[11:12], off
.LBB47_2698:
	s_andn2_b64 vcc, exec, s[0:1]
	s_cbranch_vccnz .LBB47_2700
; %bb.2699:
	v_bfe_i32 v3, v1, 0, 8
	v_cvt_f32_i32_sdwa v3, sext(v3) dst_sel:DWORD dst_unused:UNUSED_PAD src0_sel:WORD_0
	global_store_dword v[5:6], v3, off
.LBB47_2700:
	s_mov_b64 s[0:1], 0
.LBB47_2701:
	s_andn2_b64 vcc, exec, s[0:1]
	s_cbranch_vccnz .LBB47_2703
; %bb.2702:
	v_cvt_f16_i16_sdwa v3, sext(v1) dst_sel:DWORD dst_unused:UNUSED_PAD src0_sel:BYTE_0
	global_store_short v[5:6], v3, off
.LBB47_2703:
	s_mov_b64 s[0:1], 0
.LBB47_2704:
	s_andn2_b64 vcc, exec, s[0:1]
	s_cbranch_vccnz .LBB47_2720
; %bb.2705:
	s_cmp_lt_i32 s2, 2
	s_mov_b64 s[0:1], -1
	s_cbranch_scc1 .LBB47_2715
; %bb.2706:
	s_cmp_lt_i32 s2, 3
	s_cbranch_scc1 .LBB47_2712
; %bb.2707:
	s_cmp_gt_i32 s2, 3
	s_cbranch_scc0 .LBB47_2709
; %bb.2708:
	v_bfe_i32 v11, v1, 0, 8
	v_ashrrev_i32_e32 v12, 31, v11
	global_store_dwordx2 v[5:6], v[11:12], off
	s_mov_b64 s[0:1], 0
.LBB47_2709:
	s_andn2_b64 vcc, exec, s[0:1]
	s_cbranch_vccnz .LBB47_2711
; %bb.2710:
	v_bfe_i32 v3, v1, 0, 8
	global_store_dword v[5:6], v3, off
.LBB47_2711:
	s_mov_b64 s[0:1], 0
.LBB47_2712:
	s_andn2_b64 vcc, exec, s[0:1]
	s_cbranch_vccnz .LBB47_2714
; %bb.2713:
	v_bfe_i32 v3, v1, 0, 8
	global_store_short v[5:6], v3, off
.LBB47_2714:
	s_mov_b64 s[0:1], 0
.LBB47_2715:
	s_andn2_b64 vcc, exec, s[0:1]
	s_cbranch_vccnz .LBB47_2720
; %bb.2716:
	s_cmp_gt_i32 s2, 0
	s_mov_b64 s[0:1], -1
	s_cbranch_scc0 .LBB47_2718
; %bb.2717:
	global_store_byte v[5:6], v1, off
	s_mov_b64 s[0:1], 0
.LBB47_2718:
	s_andn2_b64 vcc, exec, s[0:1]
	s_cbranch_vccnz .LBB47_2720
; %bb.2719:
	global_store_byte v[5:6], v1, off
.LBB47_2720:
	s_mov_b64 s[6:7], -1
.LBB47_2721:
	s_andn2_b64 vcc, exec, s[6:7]
	s_cbranch_vccnz .LBB47_3036
; %bb.2722:
	s_lshr_b32 s0, s22, 16
	v_mov_b32_e32 v1, s20
	v_cmp_gt_i16_sdwa vcc, sext(v10), s19 src0_sel:BYTE_0 src1_sel:DWORD
	s_and_b32 s18, s0, 0xff
	v_cndmask_b32_e32 v1, v1, v17, vcc
	v_mov_b32_e32 v5, s9
	v_add_co_u32_e32 v3, vcc, s8, v4
	s_cmp_lt_i32 s18, 11
	v_addc_co_u32_e32 v4, vcc, 0, v5, vcc
	s_cbranch_scc1 .LBB47_2800
; %bb.2723:
	s_and_b32 s21, 0xffff, s18
	s_mov_b64 s[10:11], -1
	s_mov_b64 s[2:3], 0
	s_cmp_gt_i32 s21, 25
	s_mov_b64 s[6:7], 0
	s_mov_b64 s[0:1], 0
	s_cbranch_scc0 .LBB47_2756
; %bb.2724:
	s_cmp_gt_i32 s21, 28
	s_cbranch_scc0 .LBB47_2739
; %bb.2725:
	s_cmp_gt_i32 s21, 43
	;; [unrolled: 3-line block ×3, first 2 shown]
	s_cbranch_scc0 .LBB47_2729
; %bb.2727:
	s_mov_b64 s[0:1], -1
	s_mov_b64 s[10:11], 0
	s_cmp_eq_u32 s21, 46
	s_cbranch_scc0 .LBB47_2729
; %bb.2728:
	v_bfe_i32 v5, v1, 0, 8
	v_cvt_f32_i32_sdwa v5, sext(v5) dst_sel:DWORD dst_unused:UNUSED_PAD src0_sel:WORD_0
	s_movk_i32 s6, 0x7fff
	s_mov_b64 s[0:1], 0
	v_bfe_u32 v6, v5, 16, 1
	v_add3_u32 v5, v5, v6, s6
	v_lshrrev_b32_e32 v5, 16, v5
	global_store_dword v[3:4], v5, off
	s_mov_b64 s[6:7], -1
.LBB47_2729:
	s_and_b64 vcc, exec, s[10:11]
	s_cbranch_vccz .LBB47_2734
; %bb.2730:
	s_cmp_eq_u32 s21, 44
	s_mov_b64 s[0:1], -1
	s_cbranch_scc0 .LBB47_2734
; %bb.2731:
	v_bfe_i32 v5, v1, 0, 8
	v_cvt_f32_i32_sdwa v5, sext(v5) dst_sel:DWORD dst_unused:UNUSED_PAD src0_sel:WORD_0
	s_movk_i32 s0, 0xff
	v_mov_b32_e32 v7, 0xff
	v_bfe_u32 v6, v5, 23, 8
	v_cmp_ne_u32_e32 vcc, s0, v6
	s_and_saveexec_b64 s[6:7], vcc
	s_cbranch_execz .LBB47_2733
; %bb.2732:
	s_mov_b32 s0, 0x3fffff
	v_lshrrev_b32_e32 v7, 23, v5
	s_waitcnt vmcnt(0)
	v_and_b32_e32 v9, 0x400000, v5
	v_and_or_b32 v5, v5, s0, v6
	v_cmp_ne_u32_e32 vcc, 0, v9
	v_cmp_ne_u32_e64 s[0:1], 0, v5
	s_and_b64 s[0:1], vcc, s[0:1]
	v_cndmask_b32_e64 v5, 0, 1, s[0:1]
	v_add_u32_e32 v7, v7, v5
.LBB47_2733:
	s_or_b64 exec, exec, s[6:7]
	s_mov_b64 s[0:1], 0
	s_mov_b64 s[6:7], -1
	global_store_byte v[3:4], v7, off
.LBB47_2734:
	s_mov_b64 s[10:11], 0
.LBB47_2735:
	s_and_b64 vcc, exec, s[10:11]
	s_cbranch_vccz .LBB47_2738
; %bb.2736:
	s_cmp_eq_u32 s21, 29
	s_mov_b64 s[0:1], -1
	s_cbranch_scc0 .LBB47_2738
; %bb.2737:
	v_bfe_i32 v5, v1, 0, 8
	v_ashrrev_i32_e32 v6, 31, v5
	global_store_dwordx2 v[3:4], v[5:6], off
	s_mov_b64 s[0:1], 0
	s_mov_b64 s[6:7], -1
.LBB47_2738:
	s_mov_b64 s[10:11], 0
.LBB47_2739:
	s_and_b64 vcc, exec, s[10:11]
	s_cbranch_vccz .LBB47_2755
; %bb.2740:
	s_cmp_lt_i32 s21, 27
	s_mov_b64 s[6:7], -1
	s_cbranch_scc1 .LBB47_2746
; %bb.2741:
	s_cmp_gt_i32 s21, 27
	s_cbranch_scc0 .LBB47_2743
; %bb.2742:
	v_bfe_i32 v5, v1, 0, 8
	s_mov_b64 s[6:7], 0
	global_store_dword v[3:4], v5, off
.LBB47_2743:
	s_andn2_b64 vcc, exec, s[6:7]
	s_cbranch_vccnz .LBB47_2745
; %bb.2744:
	v_bfe_i32 v5, v1, 0, 8
	global_store_short v[3:4], v5, off
.LBB47_2745:
	s_mov_b64 s[6:7], 0
.LBB47_2746:
	s_andn2_b64 vcc, exec, s[6:7]
	s_cbranch_vccnz .LBB47_2754
; %bb.2747:
	v_bfe_i32 v5, v1, 0, 8
	v_cvt_f32_i32_sdwa v5, sext(v5) dst_sel:DWORD dst_unused:UNUSED_PAD src0_sel:WORD_0
	s_mov_b32 s6, 0x43800000
	v_mov_b32_e32 v7, 0x80
	v_and_b32_e32 v6, 0x7fffffff, v5
	v_cmp_gt_u32_e32 vcc, s6, v6
	s_and_saveexec_b64 s[6:7], vcc
	s_cbranch_execz .LBB47_2753
; %bb.2748:
	s_mov_b32 s10, 0x3bffffff
	v_cmp_lt_u32_e32 vcc, s10, v6
	s_mov_b64 s[10:11], 0
                                        ; implicit-def: $vgpr6
	s_and_saveexec_b64 s[16:17], vcc
	s_xor_b64 s[16:17], exec, s[16:17]
	s_cbranch_execz .LBB47_3088
; %bb.2749:
	v_bfe_u32 v6, v5, 20, 1
	s_mov_b32 s22, 0x487ffff
	v_add3_u32 v6, v5, v6, s22
	s_mov_b64 s[10:11], exec
	v_lshrrev_b32_e32 v6, 20, v6
	s_andn2_saveexec_b64 s[16:17], s[16:17]
	s_cbranch_execnz .LBB47_3089
.LBB47_2750:
	s_or_b64 exec, exec, s[16:17]
	v_mov_b32_e32 v7, 0
	s_and_saveexec_b64 s[16:17], s[10:11]
.LBB47_2751:
	v_lshrrev_b32_e32 v5, 24, v5
	s_movk_i32 s10, 0x80
	v_and_or_b32 v7, v5, s10, v6
.LBB47_2752:
	s_or_b64 exec, exec, s[16:17]
.LBB47_2753:
	s_or_b64 exec, exec, s[6:7]
	global_store_byte v[3:4], v7, off
.LBB47_2754:
	s_mov_b64 s[6:7], -1
.LBB47_2755:
	s_mov_b64 s[10:11], 0
.LBB47_2756:
	s_and_b64 vcc, exec, s[10:11]
	s_cbranch_vccz .LBB47_2796
; %bb.2757:
	s_cmp_gt_i32 s21, 22
	s_mov_b64 s[2:3], -1
	s_cbranch_scc0 .LBB47_2789
; %bb.2758:
	s_cmp_lt_i32 s21, 24
	s_cbranch_scc1 .LBB47_2778
; %bb.2759:
	s_cmp_gt_i32 s21, 24
	s_cbranch_scc0 .LBB47_2767
; %bb.2760:
	v_bfe_i32 v5, v1, 0, 8
	v_cvt_f32_i32_sdwa v5, sext(v5) dst_sel:DWORD dst_unused:UNUSED_PAD src0_sel:WORD_0
	s_mov_b32 s2, 0x47800000
	v_mov_b32_e32 v7, 0x80
	v_and_b32_e32 v6, 0x7fffffff, v5
	v_cmp_gt_u32_e32 vcc, s2, v6
	s_and_saveexec_b64 s[2:3], vcc
	s_cbranch_execz .LBB47_2766
; %bb.2761:
	s_mov_b32 s6, 0x37ffffff
	v_cmp_lt_u32_e32 vcc, s6, v6
	s_mov_b64 s[6:7], 0
                                        ; implicit-def: $vgpr6
	s_and_saveexec_b64 s[10:11], vcc
	s_xor_b64 s[10:11], exec, s[10:11]
	s_cbranch_execz .LBB47_3091
; %bb.2762:
	v_bfe_u32 v6, v5, 21, 1
	s_mov_b32 s16, 0x88fffff
	v_add3_u32 v6, v5, v6, s16
	s_mov_b64 s[6:7], exec
	v_lshrrev_b32_e32 v6, 21, v6
	s_andn2_saveexec_b64 s[10:11], s[10:11]
	s_cbranch_execnz .LBB47_3092
.LBB47_2763:
	s_or_b64 exec, exec, s[10:11]
	v_mov_b32_e32 v7, 0
	s_and_saveexec_b64 s[10:11], s[6:7]
.LBB47_2764:
	v_lshrrev_b32_e32 v5, 24, v5
	s_movk_i32 s6, 0x80
	v_and_or_b32 v7, v5, s6, v6
.LBB47_2765:
	s_or_b64 exec, exec, s[10:11]
.LBB47_2766:
	s_or_b64 exec, exec, s[2:3]
	s_mov_b64 s[2:3], 0
	global_store_byte v[3:4], v7, off
.LBB47_2767:
	s_and_b64 vcc, exec, s[2:3]
	s_cbranch_vccz .LBB47_2777
; %bb.2768:
	v_bfe_i32 v5, v1, 0, 8
	v_cvt_f32_i32_sdwa v5, sext(v5) dst_sel:DWORD dst_unused:UNUSED_PAD src0_sel:WORD_0
	s_mov_b32 s2, 0x43f00000
                                        ; implicit-def: $vgpr6
	v_and_b32_e32 v7, 0x7fffffff, v5
	v_cmp_gt_u32_e32 vcc, s2, v7
	s_and_saveexec_b64 s[2:3], vcc
	s_xor_b64 s[2:3], exec, s[2:3]
	s_cbranch_execz .LBB47_2774
; %bb.2769:
	s_mov_b32 s6, 0x3c7fffff
	v_cmp_lt_u32_e32 vcc, s6, v7
                                        ; implicit-def: $vgpr6
	s_and_saveexec_b64 s[6:7], vcc
	s_xor_b64 s[6:7], exec, s[6:7]
	s_cbranch_execz .LBB47_2771
; %bb.2770:
	v_bfe_u32 v6, v5, 20, 1
	s_mov_b32 s10, 0x407ffff
	v_add3_u32 v6, v5, v6, s10
	v_lshrrev_b32_e32 v7, 20, v6
	v_and_b32_e32 v6, 0xff00000, v6
	s_mov_b32 s10, 0x7f00000
	s_waitcnt vmcnt(0)
	v_mov_b32_e32 v9, 0x7e
	v_cmp_ne_u32_e32 vcc, s10, v6
	v_cndmask_b32_e32 v6, v9, v7, vcc
.LBB47_2771:
	s_andn2_saveexec_b64 s[6:7], s[6:7]
; %bb.2772:
	s_mov_b32 s10, 0x46800000
	v_add_f32_e64 v6, |v5|, s10
; %bb.2773:
	s_or_b64 exec, exec, s[6:7]
                                        ; implicit-def: $vgpr7
.LBB47_2774:
	s_andn2_saveexec_b64 s[2:3], s[2:3]
	s_cbranch_execz .LBB47_2776
; %bb.2775:
	s_mov_b32 s6, 0x7f800000
	v_mov_b32_e32 v6, 0x7e
	s_waitcnt vmcnt(0)
	v_mov_b32_e32 v9, 0x7f
	v_cmp_lt_u32_e32 vcc, s6, v7
	v_cndmask_b32_e32 v6, v6, v9, vcc
.LBB47_2776:
	s_or_b64 exec, exec, s[2:3]
	v_lshrrev_b32_e32 v5, 24, v5
	s_movk_i32 s2, 0x80
	v_and_or_b32 v5, v5, s2, v6
	global_store_byte v[3:4], v5, off
.LBB47_2777:
	s_mov_b64 s[2:3], 0
.LBB47_2778:
	s_andn2_b64 vcc, exec, s[2:3]
	s_cbranch_vccnz .LBB47_2788
; %bb.2779:
	v_bfe_i32 v5, v1, 0, 8
	v_cvt_f32_i32_sdwa v5, sext(v5) dst_sel:DWORD dst_unused:UNUSED_PAD src0_sel:WORD_0
	s_mov_b32 s2, 0x47800000
                                        ; implicit-def: $vgpr6
	v_and_b32_e32 v7, 0x7fffffff, v5
	v_cmp_gt_u32_e32 vcc, s2, v7
	s_and_saveexec_b64 s[2:3], vcc
	s_xor_b64 s[2:3], exec, s[2:3]
	s_cbranch_execz .LBB47_2785
; %bb.2780:
	s_mov_b32 s6, 0x387fffff
	v_cmp_lt_u32_e32 vcc, s6, v7
                                        ; implicit-def: $vgpr6
	s_and_saveexec_b64 s[6:7], vcc
	s_xor_b64 s[6:7], exec, s[6:7]
; %bb.2781:
	v_bfe_u32 v6, v5, 21, 1
	s_mov_b32 s10, 0x80fffff
	v_add3_u32 v6, v5, v6, s10
	v_lshrrev_b32_e32 v6, 21, v6
; %bb.2782:
	s_andn2_saveexec_b64 s[6:7], s[6:7]
; %bb.2783:
	s_mov_b32 s10, 0x43000000
	v_add_f32_e64 v6, |v5|, s10
; %bb.2784:
	s_or_b64 exec, exec, s[6:7]
                                        ; implicit-def: $vgpr7
.LBB47_2785:
	s_andn2_saveexec_b64 s[2:3], s[2:3]
	s_cbranch_execz .LBB47_2787
; %bb.2786:
	s_mov_b32 s6, 0x7f800000
	v_mov_b32_e32 v6, 0x7c
	s_waitcnt vmcnt(0)
	v_mov_b32_e32 v9, 0x7f
	v_cmp_lt_u32_e32 vcc, s6, v7
	v_cndmask_b32_e32 v6, v6, v9, vcc
.LBB47_2787:
	s_or_b64 exec, exec, s[2:3]
	v_lshrrev_b32_e32 v5, 24, v5
	s_movk_i32 s2, 0x80
	v_and_or_b32 v5, v5, s2, v6
	global_store_byte v[3:4], v5, off
.LBB47_2788:
	s_mov_b64 s[2:3], 0
	s_mov_b64 s[6:7], -1
.LBB47_2789:
	s_andn2_b64 vcc, exec, s[2:3]
	s_mov_b64 s[2:3], 0
	s_cbranch_vccnz .LBB47_2796
; %bb.2790:
	s_cmp_gt_i32 s21, 14
	s_mov_b64 s[10:11], -1
	s_cbranch_scc0 .LBB47_2794
; %bb.2791:
	s_cmp_eq_u32 s21, 15
	s_mov_b64 s[0:1], -1
	s_cbranch_scc0 .LBB47_2793
; %bb.2792:
	v_bfe_i32 v5, v1, 0, 8
	v_cvt_f32_i32_sdwa v5, sext(v5) dst_sel:DWORD dst_unused:UNUSED_PAD src0_sel:WORD_0
	s_movk_i32 s2, 0x7fff
	s_mov_b64 s[0:1], 0
	s_mov_b64 s[6:7], -1
	v_bfe_u32 v6, v5, 16, 1
	v_add3_u32 v5, v5, v6, s2
	global_store_short_d16_hi v[3:4], v5, off
.LBB47_2793:
	s_mov_b64 s[10:11], 0
.LBB47_2794:
	s_mov_b64 s[2:3], 0
	s_and_b64 vcc, exec, s[10:11]
	s_cbranch_vccz .LBB47_2796
; %bb.2795:
	s_cmp_lg_u32 s21, 11
	s_mov_b64 s[2:3], -1
	s_cselect_b64 s[0:1], -1, 0
.LBB47_2796:
	s_and_b64 vcc, exec, s[0:1]
	s_cbranch_vccnz .LBB47_3090
; %bb.2797:
	s_andn2_b64 vcc, exec, s[2:3]
	s_cbranch_vccnz .LBB47_2799
.LBB47_2798:
	v_mov_b32_e32 v5, 0
	v_cmp_ne_u16_sdwa s[0:1], v1, v5 src0_sel:BYTE_0 src1_sel:DWORD
	v_cndmask_b32_e64 v5, 0, 1, s[0:1]
	s_mov_b64 s[6:7], -1
	global_store_byte v[3:4], v5, off
.LBB47_2799:
	s_mov_b64 s[0:1], 0
	s_branch .LBB47_2801
.LBB47_2800:
	s_mov_b64 s[0:1], -1
	s_mov_b64 s[6:7], 0
.LBB47_2801:
	s_and_b64 vcc, exec, s[0:1]
	s_cbranch_vccz .LBB47_2840
; %bb.2802:
	s_and_b32 s2, 0xffff, s18
	s_cmp_lt_i32 s2, 5
	s_mov_b64 s[0:1], -1
	s_cbranch_scc1 .LBB47_2823
; %bb.2803:
	s_cmp_lt_i32 s2, 8
	s_cbranch_scc1 .LBB47_2813
; %bb.2804:
	s_cmp_lt_i32 s2, 9
	s_cbranch_scc1 .LBB47_2810
; %bb.2805:
	s_cmp_gt_i32 s2, 9
	s_cbranch_scc0 .LBB47_2807
; %bb.2806:
	v_bfe_i32 v5, v1, 0, 8
	v_bfe_i32 v5, v5, 0, 16
	s_waitcnt vmcnt(0)
	v_cvt_f64_i32_e32 v[9:10], v5
	v_mov_b32_e32 v11, 0
	v_mov_b32_e32 v12, v11
	s_mov_b64 s[0:1], 0
	global_store_dwordx4 v[3:4], v[9:12], off
.LBB47_2807:
	s_andn2_b64 vcc, exec, s[0:1]
	s_cbranch_vccnz .LBB47_2809
; %bb.2808:
	v_bfe_i32 v5, v1, 0, 8
	v_cvt_f32_i32_sdwa v5, sext(v5) dst_sel:DWORD dst_unused:UNUSED_PAD src0_sel:WORD_0
	v_mov_b32_e32 v6, 0
	global_store_dwordx2 v[3:4], v[5:6], off
.LBB47_2809:
	s_mov_b64 s[0:1], 0
.LBB47_2810:
	s_andn2_b64 vcc, exec, s[0:1]
	s_cbranch_vccnz .LBB47_2812
; %bb.2811:
	v_cvt_f16_i16_sdwa v5, sext(v1) dst_sel:DWORD dst_unused:UNUSED_PAD src0_sel:BYTE_0
	global_store_dword v[3:4], v5, off
.LBB47_2812:
	s_mov_b64 s[0:1], 0
.LBB47_2813:
	s_andn2_b64 vcc, exec, s[0:1]
	s_cbranch_vccnz .LBB47_2822
; %bb.2814:
	s_cmp_lt_i32 s2, 6
	s_mov_b64 s[0:1], -1
	s_cbranch_scc1 .LBB47_2820
; %bb.2815:
	s_cmp_gt_i32 s2, 6
	s_cbranch_scc0 .LBB47_2817
; %bb.2816:
	v_bfe_i32 v5, v1, 0, 8
	v_bfe_i32 v5, v5, 0, 16
	v_cvt_f64_i32_e32 v[5:6], v5
	s_mov_b64 s[0:1], 0
	global_store_dwordx2 v[3:4], v[5:6], off
.LBB47_2817:
	s_andn2_b64 vcc, exec, s[0:1]
	s_cbranch_vccnz .LBB47_2819
; %bb.2818:
	v_bfe_i32 v5, v1, 0, 8
	v_cvt_f32_i32_sdwa v5, sext(v5) dst_sel:DWORD dst_unused:UNUSED_PAD src0_sel:WORD_0
	global_store_dword v[3:4], v5, off
.LBB47_2819:
	s_mov_b64 s[0:1], 0
.LBB47_2820:
	s_andn2_b64 vcc, exec, s[0:1]
	s_cbranch_vccnz .LBB47_2822
; %bb.2821:
	v_cvt_f16_i16_sdwa v5, sext(v1) dst_sel:DWORD dst_unused:UNUSED_PAD src0_sel:BYTE_0
	global_store_short v[3:4], v5, off
.LBB47_2822:
	s_mov_b64 s[0:1], 0
.LBB47_2823:
	s_andn2_b64 vcc, exec, s[0:1]
	s_cbranch_vccnz .LBB47_2839
; %bb.2824:
	s_cmp_lt_i32 s2, 2
	s_mov_b64 s[0:1], -1
	s_cbranch_scc1 .LBB47_2834
; %bb.2825:
	s_cmp_lt_i32 s2, 3
	s_cbranch_scc1 .LBB47_2831
; %bb.2826:
	s_cmp_gt_i32 s2, 3
	s_cbranch_scc0 .LBB47_2828
; %bb.2827:
	v_bfe_i32 v5, v1, 0, 8
	v_ashrrev_i32_e32 v6, 31, v5
	global_store_dwordx2 v[3:4], v[5:6], off
	s_mov_b64 s[0:1], 0
.LBB47_2828:
	s_andn2_b64 vcc, exec, s[0:1]
	s_cbranch_vccnz .LBB47_2830
; %bb.2829:
	v_bfe_i32 v5, v1, 0, 8
	global_store_dword v[3:4], v5, off
.LBB47_2830:
	s_mov_b64 s[0:1], 0
.LBB47_2831:
	s_andn2_b64 vcc, exec, s[0:1]
	s_cbranch_vccnz .LBB47_2833
; %bb.2832:
	v_bfe_i32 v5, v1, 0, 8
	global_store_short v[3:4], v5, off
.LBB47_2833:
	s_mov_b64 s[0:1], 0
.LBB47_2834:
	s_andn2_b64 vcc, exec, s[0:1]
	s_cbranch_vccnz .LBB47_2839
; %bb.2835:
	s_cmp_gt_i32 s2, 0
	s_mov_b64 s[0:1], -1
	s_cbranch_scc0 .LBB47_2837
; %bb.2836:
	global_store_byte v[3:4], v1, off
	s_mov_b64 s[0:1], 0
.LBB47_2837:
	s_andn2_b64 vcc, exec, s[0:1]
	s_cbranch_vccnz .LBB47_2839
; %bb.2838:
	global_store_byte v[3:4], v1, off
.LBB47_2839:
	s_mov_b64 s[6:7], -1
.LBB47_2840:
	s_andn2_b64 vcc, exec, s[6:7]
	s_cbranch_vccnz .LBB47_3036
; %bb.2841:
	v_mov_b32_e32 v1, s20
	v_cmp_gt_i16_sdwa vcc, sext(v15), s19 src0_sel:BYTE_0 src1_sel:DWORD
	v_cndmask_b32_e32 v3, v1, v18, vcc
	v_mov_b32_e32 v4, s9
	v_add_co_u32_e32 v1, vcc, s8, v2
	s_cmp_lt_i32 s18, 11
	v_addc_co_u32_e32 v2, vcc, 0, v4, vcc
	s_cbranch_scc1 .LBB47_2919
; %bb.2842:
	s_and_b32 s21, 0xffff, s18
	s_mov_b64 s[10:11], -1
	s_mov_b64 s[2:3], 0
	s_cmp_gt_i32 s21, 25
	s_mov_b64 s[6:7], 0
	s_mov_b64 s[0:1], 0
	s_cbranch_scc0 .LBB47_2875
; %bb.2843:
	s_cmp_gt_i32 s21, 28
	s_cbranch_scc0 .LBB47_2858
; %bb.2844:
	s_cmp_gt_i32 s21, 43
	;; [unrolled: 3-line block ×3, first 2 shown]
	s_cbranch_scc0 .LBB47_2848
; %bb.2846:
	s_mov_b64 s[0:1], -1
	s_mov_b64 s[10:11], 0
	s_cmp_eq_u32 s21, 46
	s_cbranch_scc0 .LBB47_2848
; %bb.2847:
	v_bfe_i32 v4, v3, 0, 8
	v_cvt_f32_i32_sdwa v4, sext(v4) dst_sel:DWORD dst_unused:UNUSED_PAD src0_sel:WORD_0
	s_movk_i32 s6, 0x7fff
	s_mov_b64 s[0:1], 0
	v_bfe_u32 v5, v4, 16, 1
	v_add3_u32 v4, v4, v5, s6
	v_lshrrev_b32_e32 v4, 16, v4
	global_store_dword v[1:2], v4, off
	s_mov_b64 s[6:7], -1
.LBB47_2848:
	s_and_b64 vcc, exec, s[10:11]
	s_cbranch_vccz .LBB47_2853
; %bb.2849:
	s_cmp_eq_u32 s21, 44
	s_mov_b64 s[0:1], -1
	s_cbranch_scc0 .LBB47_2853
; %bb.2850:
	v_bfe_i32 v4, v3, 0, 8
	v_cvt_f32_i32_sdwa v4, sext(v4) dst_sel:DWORD dst_unused:UNUSED_PAD src0_sel:WORD_0
	s_movk_i32 s0, 0xff
	v_mov_b32_e32 v6, 0xff
	v_bfe_u32 v5, v4, 23, 8
	v_cmp_ne_u32_e32 vcc, s0, v5
	s_and_saveexec_b64 s[6:7], vcc
; %bb.2851:
	s_mov_b32 s0, 0x3fffff
	v_lshrrev_b32_e32 v6, 23, v4
	v_and_b32_e32 v7, 0x400000, v4
	v_and_or_b32 v4, v4, s0, v5
	v_cmp_ne_u32_e32 vcc, 0, v7
	v_cmp_ne_u32_e64 s[0:1], 0, v4
	s_and_b64 s[0:1], vcc, s[0:1]
	v_cndmask_b32_e64 v4, 0, 1, s[0:1]
	v_add_u32_e32 v6, v6, v4
; %bb.2852:
	s_or_b64 exec, exec, s[6:7]
	s_mov_b64 s[0:1], 0
	s_mov_b64 s[6:7], -1
	global_store_byte v[1:2], v6, off
.LBB47_2853:
	s_mov_b64 s[10:11], 0
.LBB47_2854:
	s_and_b64 vcc, exec, s[10:11]
	s_cbranch_vccz .LBB47_2857
; %bb.2855:
	s_cmp_eq_u32 s21, 29
	s_mov_b64 s[0:1], -1
	s_cbranch_scc0 .LBB47_2857
; %bb.2856:
	v_bfe_i32 v4, v3, 0, 8
	v_ashrrev_i32_e32 v5, 31, v4
	global_store_dwordx2 v[1:2], v[4:5], off
	s_mov_b64 s[0:1], 0
	s_mov_b64 s[6:7], -1
.LBB47_2857:
	s_mov_b64 s[10:11], 0
.LBB47_2858:
	s_and_b64 vcc, exec, s[10:11]
	s_cbranch_vccz .LBB47_2874
; %bb.2859:
	s_cmp_lt_i32 s21, 27
	s_mov_b64 s[6:7], -1
	s_cbranch_scc1 .LBB47_2865
; %bb.2860:
	s_cmp_gt_i32 s21, 27
	s_cbranch_scc0 .LBB47_2862
; %bb.2861:
	v_bfe_i32 v4, v3, 0, 8
	s_mov_b64 s[6:7], 0
	global_store_dword v[1:2], v4, off
.LBB47_2862:
	s_andn2_b64 vcc, exec, s[6:7]
	s_cbranch_vccnz .LBB47_2864
; %bb.2863:
	v_bfe_i32 v4, v3, 0, 8
	global_store_short v[1:2], v4, off
.LBB47_2864:
	s_mov_b64 s[6:7], 0
.LBB47_2865:
	s_andn2_b64 vcc, exec, s[6:7]
	s_cbranch_vccnz .LBB47_2873
; %bb.2866:
	v_bfe_i32 v4, v3, 0, 8
	v_cvt_f32_i32_sdwa v4, sext(v4) dst_sel:DWORD dst_unused:UNUSED_PAD src0_sel:WORD_0
	s_mov_b32 s6, 0x43800000
	v_mov_b32_e32 v6, 0x80
	v_and_b32_e32 v5, 0x7fffffff, v4
	v_cmp_gt_u32_e32 vcc, s6, v5
	s_and_saveexec_b64 s[6:7], vcc
	s_cbranch_execz .LBB47_2872
; %bb.2867:
	s_mov_b32 s10, 0x3bffffff
	v_cmp_lt_u32_e32 vcc, s10, v5
	s_mov_b64 s[10:11], 0
                                        ; implicit-def: $vgpr5
	s_and_saveexec_b64 s[16:17], vcc
	s_xor_b64 s[16:17], exec, s[16:17]
	s_cbranch_execz .LBB47_3093
; %bb.2868:
	v_bfe_u32 v5, v4, 20, 1
	s_mov_b32 s22, 0x487ffff
	v_add3_u32 v5, v4, v5, s22
	s_mov_b64 s[10:11], exec
	v_lshrrev_b32_e32 v5, 20, v5
	s_andn2_saveexec_b64 s[16:17], s[16:17]
	s_cbranch_execnz .LBB47_3094
.LBB47_2869:
	s_or_b64 exec, exec, s[16:17]
	v_mov_b32_e32 v6, 0
	s_and_saveexec_b64 s[16:17], s[10:11]
.LBB47_2870:
	v_lshrrev_b32_e32 v4, 24, v4
	s_movk_i32 s10, 0x80
	v_and_or_b32 v6, v4, s10, v5
.LBB47_2871:
	s_or_b64 exec, exec, s[16:17]
.LBB47_2872:
	s_or_b64 exec, exec, s[6:7]
	global_store_byte v[1:2], v6, off
.LBB47_2873:
	s_mov_b64 s[6:7], -1
.LBB47_2874:
	s_mov_b64 s[10:11], 0
.LBB47_2875:
	s_and_b64 vcc, exec, s[10:11]
	s_cbranch_vccz .LBB47_2915
; %bb.2876:
	s_cmp_gt_i32 s21, 22
	s_mov_b64 s[2:3], -1
	s_cbranch_scc0 .LBB47_2908
; %bb.2877:
	s_cmp_lt_i32 s21, 24
	s_cbranch_scc1 .LBB47_2897
; %bb.2878:
	s_cmp_gt_i32 s21, 24
	s_cbranch_scc0 .LBB47_2886
; %bb.2879:
	v_bfe_i32 v4, v3, 0, 8
	v_cvt_f32_i32_sdwa v4, sext(v4) dst_sel:DWORD dst_unused:UNUSED_PAD src0_sel:WORD_0
	s_mov_b32 s2, 0x47800000
	v_mov_b32_e32 v6, 0x80
	v_and_b32_e32 v5, 0x7fffffff, v4
	v_cmp_gt_u32_e32 vcc, s2, v5
	s_and_saveexec_b64 s[2:3], vcc
	s_cbranch_execz .LBB47_2885
; %bb.2880:
	s_mov_b32 s6, 0x37ffffff
	v_cmp_lt_u32_e32 vcc, s6, v5
	s_mov_b64 s[6:7], 0
                                        ; implicit-def: $vgpr5
	s_and_saveexec_b64 s[10:11], vcc
	s_xor_b64 s[10:11], exec, s[10:11]
	s_cbranch_execz .LBB47_3096
; %bb.2881:
	v_bfe_u32 v5, v4, 21, 1
	s_mov_b32 s16, 0x88fffff
	v_add3_u32 v5, v4, v5, s16
	s_mov_b64 s[6:7], exec
	v_lshrrev_b32_e32 v5, 21, v5
	s_andn2_saveexec_b64 s[10:11], s[10:11]
	s_cbranch_execnz .LBB47_3097
.LBB47_2882:
	s_or_b64 exec, exec, s[10:11]
	v_mov_b32_e32 v6, 0
	s_and_saveexec_b64 s[10:11], s[6:7]
.LBB47_2883:
	v_lshrrev_b32_e32 v4, 24, v4
	s_movk_i32 s6, 0x80
	v_and_or_b32 v6, v4, s6, v5
.LBB47_2884:
	s_or_b64 exec, exec, s[10:11]
.LBB47_2885:
	s_or_b64 exec, exec, s[2:3]
	s_mov_b64 s[2:3], 0
	global_store_byte v[1:2], v6, off
.LBB47_2886:
	s_and_b64 vcc, exec, s[2:3]
	s_cbranch_vccz .LBB47_2896
; %bb.2887:
	v_bfe_i32 v4, v3, 0, 8
	v_cvt_f32_i32_sdwa v4, sext(v4) dst_sel:DWORD dst_unused:UNUSED_PAD src0_sel:WORD_0
	s_mov_b32 s2, 0x43f00000
                                        ; implicit-def: $vgpr5
	v_and_b32_e32 v6, 0x7fffffff, v4
	v_cmp_gt_u32_e32 vcc, s2, v6
	s_and_saveexec_b64 s[2:3], vcc
	s_xor_b64 s[2:3], exec, s[2:3]
	s_cbranch_execz .LBB47_2893
; %bb.2888:
	s_mov_b32 s6, 0x3c7fffff
	v_cmp_lt_u32_e32 vcc, s6, v6
                                        ; implicit-def: $vgpr5
	s_and_saveexec_b64 s[6:7], vcc
	s_xor_b64 s[6:7], exec, s[6:7]
; %bb.2889:
	v_bfe_u32 v5, v4, 20, 1
	s_mov_b32 s10, 0x407ffff
	v_add3_u32 v5, v4, v5, s10
	v_lshrrev_b32_e32 v6, 20, v5
	v_and_b32_e32 v5, 0xff00000, v5
	s_mov_b32 s10, 0x7f00000
	v_mov_b32_e32 v7, 0x7e
	v_cmp_ne_u32_e32 vcc, s10, v5
	v_cndmask_b32_e32 v5, v7, v6, vcc
; %bb.2890:
	s_andn2_saveexec_b64 s[6:7], s[6:7]
; %bb.2891:
	s_mov_b32 s10, 0x46800000
	v_add_f32_e64 v5, |v4|, s10
; %bb.2892:
	s_or_b64 exec, exec, s[6:7]
                                        ; implicit-def: $vgpr6
.LBB47_2893:
	s_andn2_saveexec_b64 s[2:3], s[2:3]
; %bb.2894:
	s_mov_b32 s6, 0x7f800000
	v_mov_b32_e32 v5, 0x7e
	v_mov_b32_e32 v7, 0x7f
	v_cmp_lt_u32_e32 vcc, s6, v6
	v_cndmask_b32_e32 v5, v5, v7, vcc
; %bb.2895:
	s_or_b64 exec, exec, s[2:3]
	v_lshrrev_b32_e32 v4, 24, v4
	s_movk_i32 s2, 0x80
	v_and_or_b32 v4, v4, s2, v5
	global_store_byte v[1:2], v4, off
.LBB47_2896:
	s_mov_b64 s[2:3], 0
.LBB47_2897:
	s_andn2_b64 vcc, exec, s[2:3]
	s_cbranch_vccnz .LBB47_2907
; %bb.2898:
	v_bfe_i32 v4, v3, 0, 8
	v_cvt_f32_i32_sdwa v4, sext(v4) dst_sel:DWORD dst_unused:UNUSED_PAD src0_sel:WORD_0
	s_mov_b32 s2, 0x47800000
                                        ; implicit-def: $vgpr5
	v_and_b32_e32 v6, 0x7fffffff, v4
	v_cmp_gt_u32_e32 vcc, s2, v6
	s_and_saveexec_b64 s[2:3], vcc
	s_xor_b64 s[2:3], exec, s[2:3]
	s_cbranch_execz .LBB47_2904
; %bb.2899:
	s_mov_b32 s6, 0x387fffff
	v_cmp_lt_u32_e32 vcc, s6, v6
                                        ; implicit-def: $vgpr5
	s_and_saveexec_b64 s[6:7], vcc
	s_xor_b64 s[6:7], exec, s[6:7]
; %bb.2900:
	v_bfe_u32 v5, v4, 21, 1
	s_mov_b32 s10, 0x80fffff
	v_add3_u32 v5, v4, v5, s10
	v_lshrrev_b32_e32 v5, 21, v5
; %bb.2901:
	s_andn2_saveexec_b64 s[6:7], s[6:7]
; %bb.2902:
	s_mov_b32 s10, 0x43000000
	v_add_f32_e64 v5, |v4|, s10
; %bb.2903:
	s_or_b64 exec, exec, s[6:7]
                                        ; implicit-def: $vgpr6
.LBB47_2904:
	s_andn2_saveexec_b64 s[2:3], s[2:3]
; %bb.2905:
	s_mov_b32 s6, 0x7f800000
	v_mov_b32_e32 v5, 0x7c
	v_mov_b32_e32 v7, 0x7f
	v_cmp_lt_u32_e32 vcc, s6, v6
	v_cndmask_b32_e32 v5, v5, v7, vcc
; %bb.2906:
	s_or_b64 exec, exec, s[2:3]
	v_lshrrev_b32_e32 v4, 24, v4
	s_movk_i32 s2, 0x80
	v_and_or_b32 v4, v4, s2, v5
	global_store_byte v[1:2], v4, off
.LBB47_2907:
	s_mov_b64 s[2:3], 0
	s_mov_b64 s[6:7], -1
.LBB47_2908:
	s_andn2_b64 vcc, exec, s[2:3]
	s_mov_b64 s[2:3], 0
	s_cbranch_vccnz .LBB47_2915
; %bb.2909:
	s_cmp_gt_i32 s21, 14
	s_mov_b64 s[10:11], -1
	s_cbranch_scc0 .LBB47_2913
; %bb.2910:
	s_cmp_eq_u32 s21, 15
	s_mov_b64 s[0:1], -1
	s_cbranch_scc0 .LBB47_2912
; %bb.2911:
	v_bfe_i32 v4, v3, 0, 8
	v_cvt_f32_i32_sdwa v4, sext(v4) dst_sel:DWORD dst_unused:UNUSED_PAD src0_sel:WORD_0
	s_movk_i32 s2, 0x7fff
	s_mov_b64 s[0:1], 0
	s_mov_b64 s[6:7], -1
	v_bfe_u32 v5, v4, 16, 1
	v_add3_u32 v4, v4, v5, s2
	global_store_short_d16_hi v[1:2], v4, off
.LBB47_2912:
	s_mov_b64 s[10:11], 0
.LBB47_2913:
	s_mov_b64 s[2:3], 0
	s_and_b64 vcc, exec, s[10:11]
	s_cbranch_vccz .LBB47_2915
; %bb.2914:
	s_cmp_lg_u32 s21, 11
	s_mov_b64 s[2:3], -1
	s_cselect_b64 s[0:1], -1, 0
.LBB47_2915:
	s_and_b64 vcc, exec, s[0:1]
	s_cbranch_vccnz .LBB47_3095
; %bb.2916:
	s_andn2_b64 vcc, exec, s[2:3]
	s_cbranch_vccnz .LBB47_2918
.LBB47_2917:
	v_mov_b32_e32 v4, 0
	v_cmp_ne_u16_sdwa s[0:1], v3, v4 src0_sel:BYTE_0 src1_sel:DWORD
	v_cndmask_b32_e64 v4, 0, 1, s[0:1]
	s_mov_b64 s[6:7], -1
	global_store_byte v[1:2], v4, off
.LBB47_2918:
	s_mov_b64 s[0:1], 0
	s_branch .LBB47_2920
.LBB47_2919:
	s_mov_b64 s[0:1], -1
	s_mov_b64 s[6:7], 0
.LBB47_2920:
	s_and_b64 vcc, exec, s[0:1]
	s_cbranch_vccz .LBB47_2959
; %bb.2921:
	s_and_b32 s2, 0xffff, s18
	s_cmp_lt_i32 s2, 5
	s_mov_b64 s[0:1], -1
	s_cbranch_scc1 .LBB47_2942
; %bb.2922:
	s_cmp_lt_i32 s2, 8
	s_cbranch_scc1 .LBB47_2932
; %bb.2923:
	s_cmp_lt_i32 s2, 9
	s_cbranch_scc1 .LBB47_2929
; %bb.2924:
	s_cmp_gt_i32 s2, 9
	s_cbranch_scc0 .LBB47_2926
; %bb.2925:
	v_bfe_i32 v4, v3, 0, 8
	v_bfe_i32 v4, v4, 0, 16
	v_cvt_f64_i32_e32 v[4:5], v4
	v_mov_b32_e32 v6, 0
	v_mov_b32_e32 v7, v6
	s_mov_b64 s[0:1], 0
	global_store_dwordx4 v[1:2], v[4:7], off
.LBB47_2926:
	s_andn2_b64 vcc, exec, s[0:1]
	s_cbranch_vccnz .LBB47_2928
; %bb.2927:
	v_bfe_i32 v4, v3, 0, 8
	v_cvt_f32_i32_sdwa v4, sext(v4) dst_sel:DWORD dst_unused:UNUSED_PAD src0_sel:WORD_0
	v_mov_b32_e32 v5, 0
	global_store_dwordx2 v[1:2], v[4:5], off
.LBB47_2928:
	s_mov_b64 s[0:1], 0
.LBB47_2929:
	s_andn2_b64 vcc, exec, s[0:1]
	s_cbranch_vccnz .LBB47_2931
; %bb.2930:
	v_cvt_f16_i16_sdwa v4, sext(v3) dst_sel:DWORD dst_unused:UNUSED_PAD src0_sel:BYTE_0
	global_store_dword v[1:2], v4, off
.LBB47_2931:
	s_mov_b64 s[0:1], 0
.LBB47_2932:
	s_andn2_b64 vcc, exec, s[0:1]
	s_cbranch_vccnz .LBB47_2941
; %bb.2933:
	s_cmp_lt_i32 s2, 6
	s_mov_b64 s[0:1], -1
	s_cbranch_scc1 .LBB47_2939
; %bb.2934:
	s_cmp_gt_i32 s2, 6
	s_cbranch_scc0 .LBB47_2936
; %bb.2935:
	v_bfe_i32 v4, v3, 0, 8
	v_bfe_i32 v4, v4, 0, 16
	v_cvt_f64_i32_e32 v[4:5], v4
	s_mov_b64 s[0:1], 0
	global_store_dwordx2 v[1:2], v[4:5], off
.LBB47_2936:
	s_andn2_b64 vcc, exec, s[0:1]
	s_cbranch_vccnz .LBB47_2938
; %bb.2937:
	v_bfe_i32 v4, v3, 0, 8
	v_cvt_f32_i32_sdwa v4, sext(v4) dst_sel:DWORD dst_unused:UNUSED_PAD src0_sel:WORD_0
	global_store_dword v[1:2], v4, off
.LBB47_2938:
	s_mov_b64 s[0:1], 0
.LBB47_2939:
	s_andn2_b64 vcc, exec, s[0:1]
	s_cbranch_vccnz .LBB47_2941
; %bb.2940:
	v_cvt_f16_i16_sdwa v4, sext(v3) dst_sel:DWORD dst_unused:UNUSED_PAD src0_sel:BYTE_0
	global_store_short v[1:2], v4, off
.LBB47_2941:
	s_mov_b64 s[0:1], 0
.LBB47_2942:
	s_andn2_b64 vcc, exec, s[0:1]
	s_cbranch_vccnz .LBB47_2958
; %bb.2943:
	s_cmp_lt_i32 s2, 2
	s_mov_b64 s[0:1], -1
	s_cbranch_scc1 .LBB47_2953
; %bb.2944:
	s_cmp_lt_i32 s2, 3
	s_cbranch_scc1 .LBB47_2950
; %bb.2945:
	s_cmp_gt_i32 s2, 3
	s_cbranch_scc0 .LBB47_2947
; %bb.2946:
	v_bfe_i32 v4, v3, 0, 8
	v_ashrrev_i32_e32 v5, 31, v4
	global_store_dwordx2 v[1:2], v[4:5], off
	s_mov_b64 s[0:1], 0
.LBB47_2947:
	s_andn2_b64 vcc, exec, s[0:1]
	s_cbranch_vccnz .LBB47_2949
; %bb.2948:
	v_bfe_i32 v4, v3, 0, 8
	global_store_dword v[1:2], v4, off
.LBB47_2949:
	s_mov_b64 s[0:1], 0
.LBB47_2950:
	s_andn2_b64 vcc, exec, s[0:1]
	s_cbranch_vccnz .LBB47_2952
; %bb.2951:
	v_bfe_i32 v4, v3, 0, 8
	global_store_short v[1:2], v4, off
.LBB47_2952:
	s_mov_b64 s[0:1], 0
.LBB47_2953:
	s_andn2_b64 vcc, exec, s[0:1]
	s_cbranch_vccnz .LBB47_2958
; %bb.2954:
	s_cmp_gt_i32 s2, 0
	s_mov_b64 s[0:1], -1
	s_cbranch_scc0 .LBB47_2956
; %bb.2955:
	global_store_byte v[1:2], v3, off
	s_mov_b64 s[0:1], 0
.LBB47_2956:
	s_andn2_b64 vcc, exec, s[0:1]
	s_cbranch_vccnz .LBB47_2958
; %bb.2957:
	global_store_byte v[1:2], v3, off
.LBB47_2958:
	s_mov_b64 s[6:7], -1
.LBB47_2959:
	s_andn2_b64 vcc, exec, s[6:7]
	s_cbranch_vccnz .LBB47_3036
; %bb.2960:
	v_mov_b32_e32 v1, s20
	s_waitcnt vmcnt(0)
	v_cmp_gt_i16_sdwa vcc, sext(v13), s19 src0_sel:BYTE_0 src1_sel:DWORD
	v_cndmask_b32_e32 v2, v1, v8, vcc
	v_mov_b32_e32 v1, s9
	v_add_co_u32_e32 v0, vcc, s8, v0
	s_cmp_lt_i32 s18, 11
	v_addc_co_u32_e32 v1, vcc, 0, v1, vcc
	s_cbranch_scc1 .LBB47_3081
; %bb.2961:
	s_and_b32 s16, 0xffff, s18
	s_mov_b64 s[6:7], -1
	s_mov_b64 s[2:3], 0
	s_cmp_gt_i32 s16, 25
	s_mov_b64 s[0:1], 0
	s_cbranch_scc0 .LBB47_2994
; %bb.2962:
	s_cmp_gt_i32 s16, 28
	s_cbranch_scc0 .LBB47_2978
; %bb.2963:
	s_cmp_gt_i32 s16, 43
	;; [unrolled: 3-line block ×3, first 2 shown]
	s_cbranch_scc0 .LBB47_2968
; %bb.2965:
	s_cmp_eq_u32 s16, 46
	s_mov_b64 s[0:1], -1
	s_cbranch_scc0 .LBB47_2967
; %bb.2966:
	v_bfe_i32 v3, v2, 0, 8
	v_cvt_f32_i32_sdwa v3, sext(v3) dst_sel:DWORD dst_unused:UNUSED_PAD src0_sel:WORD_0
	s_movk_i32 s0, 0x7fff
	v_bfe_u32 v4, v3, 16, 1
	v_add3_u32 v3, v3, v4, s0
	v_lshrrev_b32_e32 v3, 16, v3
	global_store_dword v[0:1], v3, off
	s_mov_b64 s[0:1], 0
.LBB47_2967:
	s_mov_b64 s[6:7], 0
.LBB47_2968:
	s_and_b64 vcc, exec, s[6:7]
	s_cbranch_vccz .LBB47_2973
; %bb.2969:
	s_cmp_eq_u32 s16, 44
	s_mov_b64 s[0:1], -1
	s_cbranch_scc0 .LBB47_2973
; %bb.2970:
	v_bfe_i32 v3, v2, 0, 8
	v_cvt_f32_i32_sdwa v3, sext(v3) dst_sel:DWORD dst_unused:UNUSED_PAD src0_sel:WORD_0
	s_movk_i32 s0, 0xff
	v_mov_b32_e32 v5, 0xff
	v_bfe_u32 v4, v3, 23, 8
	v_cmp_ne_u32_e32 vcc, s0, v4
	s_and_saveexec_b64 s[6:7], vcc
; %bb.2971:
	s_mov_b32 s0, 0x3fffff
	v_lshrrev_b32_e32 v5, 23, v3
	v_and_b32_e32 v6, 0x400000, v3
	v_and_or_b32 v3, v3, s0, v4
	v_cmp_ne_u32_e32 vcc, 0, v6
	v_cmp_ne_u32_e64 s[0:1], 0, v3
	s_and_b64 s[0:1], vcc, s[0:1]
	v_cndmask_b32_e64 v3, 0, 1, s[0:1]
	v_add_u32_e32 v5, v5, v3
; %bb.2972:
	s_or_b64 exec, exec, s[6:7]
	s_mov_b64 s[0:1], 0
	global_store_byte v[0:1], v5, off
.LBB47_2973:
	s_mov_b64 s[6:7], 0
.LBB47_2974:
	s_and_b64 vcc, exec, s[6:7]
	s_cbranch_vccz .LBB47_2977
; %bb.2975:
	s_cmp_eq_u32 s16, 29
	s_mov_b64 s[0:1], -1
	s_cbranch_scc0 .LBB47_2977
; %bb.2976:
	v_bfe_i32 v3, v2, 0, 8
	v_ashrrev_i32_e32 v4, 31, v3
	global_store_dwordx2 v[0:1], v[3:4], off
	s_mov_b64 s[0:1], 0
.LBB47_2977:
	s_mov_b64 s[6:7], 0
.LBB47_2978:
	s_and_b64 vcc, exec, s[6:7]
	s_cbranch_vccz .LBB47_2993
; %bb.2979:
	s_cmp_lt_i32 s16, 27
	s_mov_b64 s[6:7], -1
	s_cbranch_scc1 .LBB47_2985
; %bb.2980:
	s_cmp_gt_i32 s16, 27
	s_cbranch_scc0 .LBB47_2982
; %bb.2981:
	v_bfe_i32 v3, v2, 0, 8
	global_store_dword v[0:1], v3, off
	s_mov_b64 s[6:7], 0
.LBB47_2982:
	s_andn2_b64 vcc, exec, s[6:7]
	s_cbranch_vccnz .LBB47_2984
; %bb.2983:
	v_bfe_i32 v3, v2, 0, 8
	global_store_short v[0:1], v3, off
.LBB47_2984:
	s_mov_b64 s[6:7], 0
.LBB47_2985:
	s_andn2_b64 vcc, exec, s[6:7]
	s_cbranch_vccnz .LBB47_2993
; %bb.2986:
	v_bfe_i32 v3, v2, 0, 8
	v_cvt_f32_i32_sdwa v3, sext(v3) dst_sel:DWORD dst_unused:UNUSED_PAD src0_sel:WORD_0
	s_mov_b32 s6, 0x43800000
	v_mov_b32_e32 v5, 0x80
	v_and_b32_e32 v4, 0x7fffffff, v3
	v_cmp_gt_u32_e32 vcc, s6, v4
	s_and_saveexec_b64 s[6:7], vcc
	s_cbranch_execz .LBB47_2992
; %bb.2987:
	s_mov_b32 s8, 0x3bffffff
	v_cmp_lt_u32_e32 vcc, s8, v4
	s_mov_b64 s[8:9], 0
                                        ; implicit-def: $vgpr4
	s_and_saveexec_b64 s[10:11], vcc
	s_xor_b64 s[10:11], exec, s[10:11]
	s_cbranch_execz .LBB47_3098
; %bb.2988:
	v_bfe_u32 v4, v3, 20, 1
	s_mov_b32 s17, 0x487ffff
	v_add3_u32 v4, v3, v4, s17
	s_mov_b64 s[8:9], exec
	v_lshrrev_b32_e32 v4, 20, v4
	s_andn2_saveexec_b64 s[10:11], s[10:11]
	s_cbranch_execnz .LBB47_3099
.LBB47_2989:
	s_or_b64 exec, exec, s[10:11]
	v_mov_b32_e32 v5, 0
	s_and_saveexec_b64 s[10:11], s[8:9]
.LBB47_2990:
	v_lshrrev_b32_e32 v3, 24, v3
	s_movk_i32 s8, 0x80
	v_and_or_b32 v5, v3, s8, v4
.LBB47_2991:
	s_or_b64 exec, exec, s[10:11]
.LBB47_2992:
	s_or_b64 exec, exec, s[6:7]
	global_store_byte v[0:1], v5, off
.LBB47_2993:
	s_mov_b64 s[6:7], 0
.LBB47_2994:
	s_and_b64 vcc, exec, s[6:7]
	s_cbranch_vccz .LBB47_3034
; %bb.2995:
	s_cmp_gt_i32 s16, 22
	s_mov_b64 s[2:3], -1
	s_cbranch_scc0 .LBB47_3027
; %bb.2996:
	s_cmp_lt_i32 s16, 24
	s_cbranch_scc1 .LBB47_3016
; %bb.2997:
	s_cmp_gt_i32 s16, 24
	s_cbranch_scc0 .LBB47_3005
; %bb.2998:
	v_bfe_i32 v3, v2, 0, 8
	v_cvt_f32_i32_sdwa v3, sext(v3) dst_sel:DWORD dst_unused:UNUSED_PAD src0_sel:WORD_0
	s_mov_b32 s2, 0x47800000
	v_mov_b32_e32 v5, 0x80
	v_and_b32_e32 v4, 0x7fffffff, v3
	v_cmp_gt_u32_e32 vcc, s2, v4
	s_and_saveexec_b64 s[2:3], vcc
	s_cbranch_execz .LBB47_3004
; %bb.2999:
	s_mov_b32 s6, 0x37ffffff
	v_cmp_lt_u32_e32 vcc, s6, v4
	s_mov_b64 s[6:7], 0
                                        ; implicit-def: $vgpr4
	s_and_saveexec_b64 s[8:9], vcc
	s_xor_b64 s[8:9], exec, s[8:9]
	s_cbranch_execz .LBB47_3101
; %bb.3000:
	v_bfe_u32 v4, v3, 21, 1
	s_mov_b32 s10, 0x88fffff
	v_add3_u32 v4, v3, v4, s10
	s_mov_b64 s[6:7], exec
	v_lshrrev_b32_e32 v4, 21, v4
	s_andn2_saveexec_b64 s[8:9], s[8:9]
	s_cbranch_execnz .LBB47_3102
.LBB47_3001:
	s_or_b64 exec, exec, s[8:9]
	v_mov_b32_e32 v5, 0
	s_and_saveexec_b64 s[8:9], s[6:7]
.LBB47_3002:
	v_lshrrev_b32_e32 v3, 24, v3
	s_movk_i32 s6, 0x80
	v_and_or_b32 v5, v3, s6, v4
.LBB47_3003:
	s_or_b64 exec, exec, s[8:9]
.LBB47_3004:
	s_or_b64 exec, exec, s[2:3]
	s_mov_b64 s[2:3], 0
	global_store_byte v[0:1], v5, off
.LBB47_3005:
	s_and_b64 vcc, exec, s[2:3]
	s_cbranch_vccz .LBB47_3015
; %bb.3006:
	v_bfe_i32 v3, v2, 0, 8
	v_cvt_f32_i32_sdwa v3, sext(v3) dst_sel:DWORD dst_unused:UNUSED_PAD src0_sel:WORD_0
	s_mov_b32 s2, 0x43f00000
                                        ; implicit-def: $vgpr4
	v_and_b32_e32 v5, 0x7fffffff, v3
	v_cmp_gt_u32_e32 vcc, s2, v5
	s_and_saveexec_b64 s[2:3], vcc
	s_xor_b64 s[2:3], exec, s[2:3]
	s_cbranch_execz .LBB47_3012
; %bb.3007:
	s_mov_b32 s6, 0x3c7fffff
	v_cmp_lt_u32_e32 vcc, s6, v5
                                        ; implicit-def: $vgpr4
	s_and_saveexec_b64 s[6:7], vcc
	s_xor_b64 s[6:7], exec, s[6:7]
; %bb.3008:
	v_bfe_u32 v4, v3, 20, 1
	s_mov_b32 s8, 0x407ffff
	v_add3_u32 v4, v3, v4, s8
	v_lshrrev_b32_e32 v5, 20, v4
	v_and_b32_e32 v4, 0xff00000, v4
	s_mov_b32 s8, 0x7f00000
	v_mov_b32_e32 v6, 0x7e
	v_cmp_ne_u32_e32 vcc, s8, v4
	v_cndmask_b32_e32 v4, v6, v5, vcc
; %bb.3009:
	s_andn2_saveexec_b64 s[6:7], s[6:7]
; %bb.3010:
	s_mov_b32 s8, 0x46800000
	v_add_f32_e64 v4, |v3|, s8
; %bb.3011:
	s_or_b64 exec, exec, s[6:7]
                                        ; implicit-def: $vgpr5
.LBB47_3012:
	s_andn2_saveexec_b64 s[2:3], s[2:3]
; %bb.3013:
	s_mov_b32 s6, 0x7f800000
	v_mov_b32_e32 v4, 0x7e
	v_mov_b32_e32 v6, 0x7f
	v_cmp_lt_u32_e32 vcc, s6, v5
	v_cndmask_b32_e32 v4, v4, v6, vcc
; %bb.3014:
	s_or_b64 exec, exec, s[2:3]
	v_lshrrev_b32_e32 v3, 24, v3
	s_movk_i32 s2, 0x80
	v_and_or_b32 v3, v3, s2, v4
	global_store_byte v[0:1], v3, off
.LBB47_3015:
	s_mov_b64 s[2:3], 0
.LBB47_3016:
	s_andn2_b64 vcc, exec, s[2:3]
	s_cbranch_vccnz .LBB47_3026
; %bb.3017:
	v_bfe_i32 v3, v2, 0, 8
	v_cvt_f32_i32_sdwa v3, sext(v3) dst_sel:DWORD dst_unused:UNUSED_PAD src0_sel:WORD_0
	s_mov_b32 s2, 0x47800000
                                        ; implicit-def: $vgpr4
	v_and_b32_e32 v5, 0x7fffffff, v3
	v_cmp_gt_u32_e32 vcc, s2, v5
	s_and_saveexec_b64 s[2:3], vcc
	s_xor_b64 s[2:3], exec, s[2:3]
	s_cbranch_execz .LBB47_3023
; %bb.3018:
	s_mov_b32 s6, 0x387fffff
	v_cmp_lt_u32_e32 vcc, s6, v5
                                        ; implicit-def: $vgpr4
	s_and_saveexec_b64 s[6:7], vcc
	s_xor_b64 s[6:7], exec, s[6:7]
; %bb.3019:
	v_bfe_u32 v4, v3, 21, 1
	s_mov_b32 s8, 0x80fffff
	v_add3_u32 v4, v3, v4, s8
	v_lshrrev_b32_e32 v4, 21, v4
; %bb.3020:
	s_andn2_saveexec_b64 s[6:7], s[6:7]
; %bb.3021:
	s_mov_b32 s8, 0x43000000
	v_add_f32_e64 v4, |v3|, s8
; %bb.3022:
	s_or_b64 exec, exec, s[6:7]
                                        ; implicit-def: $vgpr5
.LBB47_3023:
	s_andn2_saveexec_b64 s[2:3], s[2:3]
; %bb.3024:
	s_mov_b32 s6, 0x7f800000
	v_mov_b32_e32 v4, 0x7c
	v_mov_b32_e32 v6, 0x7f
	v_cmp_lt_u32_e32 vcc, s6, v5
	v_cndmask_b32_e32 v4, v4, v6, vcc
; %bb.3025:
	s_or_b64 exec, exec, s[2:3]
	v_lshrrev_b32_e32 v3, 24, v3
	s_movk_i32 s2, 0x80
	v_and_or_b32 v3, v3, s2, v4
	global_store_byte v[0:1], v3, off
.LBB47_3026:
	s_mov_b64 s[2:3], 0
.LBB47_3027:
	s_andn2_b64 vcc, exec, s[2:3]
	s_mov_b64 s[2:3], 0
	s_cbranch_vccnz .LBB47_3034
; %bb.3028:
	s_cmp_gt_i32 s16, 14
	s_mov_b64 s[6:7], -1
	s_cbranch_scc0 .LBB47_3032
; %bb.3029:
	s_cmp_eq_u32 s16, 15
	s_mov_b64 s[0:1], -1
	s_cbranch_scc0 .LBB47_3031
; %bb.3030:
	v_bfe_i32 v3, v2, 0, 8
	v_cvt_f32_i32_sdwa v3, sext(v3) dst_sel:DWORD dst_unused:UNUSED_PAD src0_sel:WORD_0
	s_movk_i32 s0, 0x7fff
	v_bfe_u32 v4, v3, 16, 1
	v_add3_u32 v3, v3, v4, s0
	global_store_short_d16_hi v[0:1], v3, off
	s_mov_b64 s[0:1], 0
.LBB47_3031:
	s_mov_b64 s[6:7], 0
.LBB47_3032:
	s_and_b64 vcc, exec, s[6:7]
	s_cbranch_vccz .LBB47_3034
; %bb.3033:
	s_cmp_lg_u32 s16, 11
	s_mov_b64 s[2:3], -1
	s_cselect_b64 s[0:1], -1, 0
.LBB47_3034:
	s_and_b64 vcc, exec, s[0:1]
	s_cbranch_vccnz .LBB47_3100
.LBB47_3035:
	s_mov_b64 s[0:1], 0
	s_branch .LBB47_3037
.LBB47_3036:
	s_mov_b64 s[0:1], 0
	s_mov_b64 s[2:3], 0
                                        ; implicit-def: $vgpr0_vgpr1
                                        ; implicit-def: $sgpr18
                                        ; implicit-def: $vgpr2
.LBB47_3037:
	s_and_b64 s[6:7], s[2:3], exec
	s_andn2_b64 s[2:3], s[12:13], exec
	s_and_b64 s[4:5], s[4:5], exec
	s_and_b64 s[0:1], s[0:1], exec
	s_or_b64 s[12:13], s[2:3], s[4:5]
.LBB47_3038:
	s_or_b64 exec, exec, s[14:15]
	s_and_saveexec_b64 s[2:3], s[12:13]
	s_cbranch_execz .LBB47_3041
; %bb.3039:
	; divergent unreachable
	s_or_b64 exec, exec, s[2:3]
	s_and_saveexec_b64 s[2:3], s[6:7]
	s_xor_b64 s[2:3], exec, s[2:3]
	s_cbranch_execnz .LBB47_3042
.LBB47_3040:
	s_or_b64 exec, exec, s[2:3]
	s_and_saveexec_b64 s[2:3], s[0:1]
	s_cbranch_execnz .LBB47_3043
	s_branch .LBB47_3080
.LBB47_3041:
	s_or_b64 exec, exec, s[2:3]
	s_and_saveexec_b64 s[2:3], s[6:7]
	s_xor_b64 s[2:3], exec, s[2:3]
	s_cbranch_execz .LBB47_3040
.LBB47_3042:
	v_mov_b32_e32 v3, 0
	s_waitcnt vmcnt(0)
	v_cmp_ne_u16_sdwa s[4:5], v2, v3 src0_sel:BYTE_0 src1_sel:DWORD
	v_cndmask_b32_e64 v3, 0, 1, s[4:5]
	global_store_byte v[0:1], v3, off
	s_or_b64 exec, exec, s[2:3]
	s_and_saveexec_b64 s[2:3], s[0:1]
	s_cbranch_execz .LBB47_3080
.LBB47_3043:
	s_sext_i32_i16 s2, s18
	s_cmp_lt_i32 s2, 5
	s_mov_b64 s[0:1], -1
	s_cbranch_scc1 .LBB47_3064
; %bb.3044:
	s_cmp_lt_i32 s2, 8
	s_cbranch_scc1 .LBB47_3054
; %bb.3045:
	s_cmp_lt_i32 s2, 9
	s_cbranch_scc1 .LBB47_3051
; %bb.3046:
	s_cmp_gt_i32 s2, 9
	s_cbranch_scc0 .LBB47_3048
; %bb.3047:
	s_waitcnt vmcnt(0)
	v_bfe_i32 v3, v2, 0, 8
	v_bfe_i32 v3, v3, 0, 16
	v_cvt_f64_i32_e32 v[3:4], v3
	v_mov_b32_e32 v5, 0
	v_mov_b32_e32 v6, v5
	s_mov_b64 s[0:1], 0
	global_store_dwordx4 v[0:1], v[3:6], off
.LBB47_3048:
	s_andn2_b64 vcc, exec, s[0:1]
	s_cbranch_vccnz .LBB47_3050
; %bb.3049:
	s_waitcnt vmcnt(0)
	v_bfe_i32 v3, v2, 0, 8
	v_cvt_f32_i32_sdwa v3, sext(v3) dst_sel:DWORD dst_unused:UNUSED_PAD src0_sel:WORD_0
	v_mov_b32_e32 v4, 0
	global_store_dwordx2 v[0:1], v[3:4], off
.LBB47_3050:
	s_mov_b64 s[0:1], 0
.LBB47_3051:
	s_andn2_b64 vcc, exec, s[0:1]
	s_cbranch_vccnz .LBB47_3053
; %bb.3052:
	s_waitcnt vmcnt(0)
	v_cvt_f16_i16_sdwa v3, sext(v2) dst_sel:DWORD dst_unused:UNUSED_PAD src0_sel:BYTE_0
	global_store_dword v[0:1], v3, off
.LBB47_3053:
	s_mov_b64 s[0:1], 0
.LBB47_3054:
	s_andn2_b64 vcc, exec, s[0:1]
	s_cbranch_vccnz .LBB47_3063
; %bb.3055:
	s_sext_i32_i16 s2, s18
	s_cmp_lt_i32 s2, 6
	s_mov_b64 s[0:1], -1
	s_cbranch_scc1 .LBB47_3061
; %bb.3056:
	s_cmp_gt_i32 s2, 6
	s_cbranch_scc0 .LBB47_3058
; %bb.3057:
	s_waitcnt vmcnt(0)
	v_bfe_i32 v3, v2, 0, 8
	v_bfe_i32 v3, v3, 0, 16
	v_cvt_f64_i32_e32 v[3:4], v3
	s_mov_b64 s[0:1], 0
	global_store_dwordx2 v[0:1], v[3:4], off
.LBB47_3058:
	s_andn2_b64 vcc, exec, s[0:1]
	s_cbranch_vccnz .LBB47_3060
; %bb.3059:
	s_waitcnt vmcnt(0)
	v_bfe_i32 v3, v2, 0, 8
	v_cvt_f32_i32_sdwa v3, sext(v3) dst_sel:DWORD dst_unused:UNUSED_PAD src0_sel:WORD_0
	global_store_dword v[0:1], v3, off
.LBB47_3060:
	s_mov_b64 s[0:1], 0
.LBB47_3061:
	s_andn2_b64 vcc, exec, s[0:1]
	s_cbranch_vccnz .LBB47_3063
; %bb.3062:
	s_waitcnt vmcnt(0)
	v_cvt_f16_i16_sdwa v3, sext(v2) dst_sel:DWORD dst_unused:UNUSED_PAD src0_sel:BYTE_0
	global_store_short v[0:1], v3, off
.LBB47_3063:
	s_mov_b64 s[0:1], 0
.LBB47_3064:
	s_andn2_b64 vcc, exec, s[0:1]
	s_cbranch_vccnz .LBB47_3080
; %bb.3065:
	s_sext_i32_i16 s2, s18
	s_cmp_lt_i32 s2, 2
	s_mov_b64 s[0:1], -1
	s_cbranch_scc1 .LBB47_3075
; %bb.3066:
	s_cmp_lt_i32 s2, 3
	s_cbranch_scc1 .LBB47_3072
; %bb.3067:
	s_cmp_gt_i32 s2, 3
	s_cbranch_scc0 .LBB47_3069
; %bb.3068:
	s_waitcnt vmcnt(0)
	v_bfe_i32 v3, v2, 0, 8
	v_ashrrev_i32_e32 v4, 31, v3
	global_store_dwordx2 v[0:1], v[3:4], off
	s_mov_b64 s[0:1], 0
.LBB47_3069:
	s_andn2_b64 vcc, exec, s[0:1]
	s_cbranch_vccnz .LBB47_3071
; %bb.3070:
	s_waitcnt vmcnt(0)
	v_bfe_i32 v3, v2, 0, 8
	global_store_dword v[0:1], v3, off
.LBB47_3071:
	s_mov_b64 s[0:1], 0
.LBB47_3072:
	s_andn2_b64 vcc, exec, s[0:1]
	s_cbranch_vccnz .LBB47_3074
; %bb.3073:
	s_waitcnt vmcnt(0)
	v_bfe_i32 v3, v2, 0, 8
	global_store_short v[0:1], v3, off
.LBB47_3074:
	s_mov_b64 s[0:1], 0
.LBB47_3075:
	s_andn2_b64 vcc, exec, s[0:1]
	s_cbranch_vccnz .LBB47_3080
; %bb.3076:
	s_sext_i32_i16 s0, s18
	s_cmp_gt_i32 s0, 0
	s_mov_b64 s[0:1], -1
	s_cbranch_scc0 .LBB47_3078
; %bb.3077:
	s_waitcnt vmcnt(0)
	global_store_byte v[0:1], v2, off
	s_mov_b64 s[0:1], 0
.LBB47_3078:
	s_andn2_b64 vcc, exec, s[0:1]
	s_cbranch_vccnz .LBB47_3080
; %bb.3079:
	s_waitcnt vmcnt(0)
	global_store_byte v[0:1], v2, off
	s_endpgm
.LBB47_3080:
	s_endpgm
.LBB47_3081:
	s_mov_b64 s[2:3], 0
	s_mov_b64 s[0:1], -1
	s_branch .LBB47_3037
.LBB47_3082:
	s_trap 2
	s_or_b64 s[4:5], s[4:5], exec
	s_cbranch_execz .LBB47_2551
	s_branch .LBB47_2552
.LBB47_3083:
	s_andn2_saveexec_b64 s[16:17], s[16:17]
	s_cbranch_execz .LBB47_2631
.LBB47_3084:
	s_mov_b32 s23, 0x46000000
	v_add_f32_e64 v7, |v3|, s23
	v_and_b32_e32 v7, 0xff, v7
	v_cmp_ne_u32_e32 vcc, 0, v7
	s_andn2_b64 s[10:11], s[10:11], exec
	s_and_b64 s[24:25], vcc, exec
	s_or_b64 s[10:11], s[10:11], s[24:25]
	s_or_b64 exec, exec, s[16:17]
	v_mov_b32_e32 v9, 0
	s_and_saveexec_b64 s[16:17], s[10:11]
	s_cbranch_execnz .LBB47_2632
	s_branch .LBB47_2633
.LBB47_3085:
	s_trap 2
	s_or_b64 s[4:5], s[4:5], exec
	s_cbranch_execz .LBB47_2679
	s_branch .LBB47_2680
.LBB47_3086:
	s_andn2_saveexec_b64 s[10:11], s[10:11]
	s_cbranch_execz .LBB47_2644
.LBB47_3087:
	s_mov_b32 s16, 0x42800000
	v_add_f32_e64 v7, |v3|, s16
	v_and_b32_e32 v7, 0xff, v7
	v_cmp_ne_u32_e32 vcc, 0, v7
	s_andn2_b64 s[6:7], s[6:7], exec
	s_and_b64 s[16:17], vcc, exec
	s_or_b64 s[6:7], s[6:7], s[16:17]
	s_or_b64 exec, exec, s[10:11]
	v_mov_b32_e32 v9, 0
	s_and_saveexec_b64 s[10:11], s[6:7]
	s_cbranch_execnz .LBB47_2645
	s_branch .LBB47_2646
.LBB47_3088:
	s_andn2_saveexec_b64 s[16:17], s[16:17]
	s_cbranch_execz .LBB47_2750
.LBB47_3089:
	s_mov_b32 s22, 0x46000000
	v_add_f32_e64 v6, |v5|, s22
	v_and_b32_e32 v6, 0xff, v6
	v_cmp_ne_u32_e32 vcc, 0, v6
	s_andn2_b64 s[10:11], s[10:11], exec
	s_and_b64 s[22:23], vcc, exec
	s_or_b64 s[10:11], s[10:11], s[22:23]
	s_or_b64 exec, exec, s[16:17]
	v_mov_b32_e32 v7, 0
	s_and_saveexec_b64 s[16:17], s[10:11]
	s_cbranch_execnz .LBB47_2751
	s_branch .LBB47_2752
.LBB47_3090:
	s_trap 2
	s_or_b64 s[4:5], s[4:5], exec
	s_cbranch_execz .LBB47_2798
	s_branch .LBB47_2799
.LBB47_3091:
	s_andn2_saveexec_b64 s[10:11], s[10:11]
	s_cbranch_execz .LBB47_2763
.LBB47_3092:
	s_mov_b32 s16, 0x42800000
	v_add_f32_e64 v6, |v5|, s16
	v_and_b32_e32 v6, 0xff, v6
	v_cmp_ne_u32_e32 vcc, 0, v6
	s_andn2_b64 s[6:7], s[6:7], exec
	s_and_b64 s[16:17], vcc, exec
	s_or_b64 s[6:7], s[6:7], s[16:17]
	s_or_b64 exec, exec, s[10:11]
	v_mov_b32_e32 v7, 0
	s_and_saveexec_b64 s[10:11], s[6:7]
	s_cbranch_execnz .LBB47_2764
	s_branch .LBB47_2765
.LBB47_3093:
	s_andn2_saveexec_b64 s[16:17], s[16:17]
	s_cbranch_execz .LBB47_2869
.LBB47_3094:
	s_mov_b32 s22, 0x46000000
	v_add_f32_e64 v5, |v4|, s22
	v_and_b32_e32 v5, 0xff, v5
	v_cmp_ne_u32_e32 vcc, 0, v5
	s_andn2_b64 s[10:11], s[10:11], exec
	s_and_b64 s[22:23], vcc, exec
	s_or_b64 s[10:11], s[10:11], s[22:23]
	s_or_b64 exec, exec, s[16:17]
	v_mov_b32_e32 v6, 0
	s_and_saveexec_b64 s[16:17], s[10:11]
	s_cbranch_execnz .LBB47_2870
	s_branch .LBB47_2871
.LBB47_3095:
	s_trap 2
	s_or_b64 s[4:5], s[4:5], exec
	s_cbranch_execz .LBB47_2917
	s_branch .LBB47_2918
.LBB47_3096:
	s_andn2_saveexec_b64 s[10:11], s[10:11]
	s_cbranch_execz .LBB47_2882
.LBB47_3097:
	s_mov_b32 s16, 0x42800000
	v_add_f32_e64 v5, |v4|, s16
	v_and_b32_e32 v5, 0xff, v5
	v_cmp_ne_u32_e32 vcc, 0, v5
	s_andn2_b64 s[6:7], s[6:7], exec
	s_and_b64 s[16:17], vcc, exec
	s_or_b64 s[6:7], s[6:7], s[16:17]
	s_or_b64 exec, exec, s[10:11]
	v_mov_b32_e32 v6, 0
	s_and_saveexec_b64 s[10:11], s[6:7]
	s_cbranch_execnz .LBB47_2883
	s_branch .LBB47_2884
.LBB47_3098:
	s_andn2_saveexec_b64 s[10:11], s[10:11]
	s_cbranch_execz .LBB47_2989
.LBB47_3099:
	s_mov_b32 s17, 0x46000000
	v_add_f32_e64 v4, |v3|, s17
	v_and_b32_e32 v4, 0xff, v4
	v_cmp_ne_u32_e32 vcc, 0, v4
	s_andn2_b64 s[8:9], s[8:9], exec
	s_and_b64 s[20:21], vcc, exec
	s_or_b64 s[8:9], s[8:9], s[20:21]
	s_or_b64 exec, exec, s[10:11]
	v_mov_b32_e32 v5, 0
	s_and_saveexec_b64 s[10:11], s[8:9]
	s_cbranch_execnz .LBB47_2990
	s_branch .LBB47_2991
.LBB47_3100:
	s_mov_b64 s[2:3], 0
	s_or_b64 s[4:5], s[4:5], exec
	s_trap 2
	s_branch .LBB47_3035
.LBB47_3101:
	s_andn2_saveexec_b64 s[8:9], s[8:9]
	s_cbranch_execz .LBB47_3001
.LBB47_3102:
	s_mov_b32 s10, 0x42800000
	v_add_f32_e64 v4, |v3|, s10
	v_and_b32_e32 v4, 0xff, v4
	v_cmp_ne_u32_e32 vcc, 0, v4
	s_andn2_b64 s[6:7], s[6:7], exec
	s_and_b64 s[10:11], vcc, exec
	s_or_b64 s[6:7], s[6:7], s[10:11]
	s_or_b64 exec, exec, s[8:9]
	v_mov_b32_e32 v5, 0
	s_and_saveexec_b64 s[8:9], s[6:7]
	s_cbranch_execnz .LBB47_3002
	s_branch .LBB47_3003
	.section	.rodata,"a",@progbits
	.p2align	6, 0x0
	.amdhsa_kernel _ZN2at6native32elementwise_kernel_manual_unrollILi128ELi4EZNS0_15gpu_kernel_implINS0_13BinaryFunctorIaaaZNS0_12_GLOBAL__N_121threshold_kernel_implIaEEvRNS_18TensorIteratorBaseET_S8_EUlaaE_EEEEvS7_RKS8_EUlibE0_EEviT1_
		.amdhsa_group_segment_fixed_size 0
		.amdhsa_private_segment_fixed_size 0
		.amdhsa_kernarg_size 432
		.amdhsa_user_sgpr_count 6
		.amdhsa_user_sgpr_private_segment_buffer 1
		.amdhsa_user_sgpr_dispatch_ptr 0
		.amdhsa_user_sgpr_queue_ptr 0
		.amdhsa_user_sgpr_kernarg_segment_ptr 1
		.amdhsa_user_sgpr_dispatch_id 0
		.amdhsa_user_sgpr_flat_scratch_init 0
		.amdhsa_user_sgpr_private_segment_size 0
		.amdhsa_uses_dynamic_stack 0
		.amdhsa_system_sgpr_private_segment_wavefront_offset 0
		.amdhsa_system_sgpr_workgroup_id_x 1
		.amdhsa_system_sgpr_workgroup_id_y 0
		.amdhsa_system_sgpr_workgroup_id_z 0
		.amdhsa_system_sgpr_workgroup_info 0
		.amdhsa_system_vgpr_workitem_id 0
		.amdhsa_next_free_vgpr 23
		.amdhsa_next_free_sgpr 82
		.amdhsa_reserve_vcc 1
		.amdhsa_reserve_flat_scratch 0
		.amdhsa_float_round_mode_32 0
		.amdhsa_float_round_mode_16_64 0
		.amdhsa_float_denorm_mode_32 3
		.amdhsa_float_denorm_mode_16_64 3
		.amdhsa_dx10_clamp 1
		.amdhsa_ieee_mode 1
		.amdhsa_fp16_overflow 0
		.amdhsa_exception_fp_ieee_invalid_op 0
		.amdhsa_exception_fp_denorm_src 0
		.amdhsa_exception_fp_ieee_div_zero 0
		.amdhsa_exception_fp_ieee_overflow 0
		.amdhsa_exception_fp_ieee_underflow 0
		.amdhsa_exception_fp_ieee_inexact 0
		.amdhsa_exception_int_div_zero 0
	.end_amdhsa_kernel
	.section	.text._ZN2at6native32elementwise_kernel_manual_unrollILi128ELi4EZNS0_15gpu_kernel_implINS0_13BinaryFunctorIaaaZNS0_12_GLOBAL__N_121threshold_kernel_implIaEEvRNS_18TensorIteratorBaseET_S8_EUlaaE_EEEEvS7_RKS8_EUlibE0_EEviT1_,"axG",@progbits,_ZN2at6native32elementwise_kernel_manual_unrollILi128ELi4EZNS0_15gpu_kernel_implINS0_13BinaryFunctorIaaaZNS0_12_GLOBAL__N_121threshold_kernel_implIaEEvRNS_18TensorIteratorBaseET_S8_EUlaaE_EEEEvS7_RKS8_EUlibE0_EEviT1_,comdat
.Lfunc_end47:
	.size	_ZN2at6native32elementwise_kernel_manual_unrollILi128ELi4EZNS0_15gpu_kernel_implINS0_13BinaryFunctorIaaaZNS0_12_GLOBAL__N_121threshold_kernel_implIaEEvRNS_18TensorIteratorBaseET_S8_EUlaaE_EEEEvS7_RKS8_EUlibE0_EEviT1_, .Lfunc_end47-_ZN2at6native32elementwise_kernel_manual_unrollILi128ELi4EZNS0_15gpu_kernel_implINS0_13BinaryFunctorIaaaZNS0_12_GLOBAL__N_121threshold_kernel_implIaEEvRNS_18TensorIteratorBaseET_S8_EUlaaE_EEEEvS7_RKS8_EUlibE0_EEviT1_
                                        ; -- End function
	.set _ZN2at6native32elementwise_kernel_manual_unrollILi128ELi4EZNS0_15gpu_kernel_implINS0_13BinaryFunctorIaaaZNS0_12_GLOBAL__N_121threshold_kernel_implIaEEvRNS_18TensorIteratorBaseET_S8_EUlaaE_EEEEvS7_RKS8_EUlibE0_EEviT1_.num_vgpr, 23
	.set _ZN2at6native32elementwise_kernel_manual_unrollILi128ELi4EZNS0_15gpu_kernel_implINS0_13BinaryFunctorIaaaZNS0_12_GLOBAL__N_121threshold_kernel_implIaEEvRNS_18TensorIteratorBaseET_S8_EUlaaE_EEEEvS7_RKS8_EUlibE0_EEviT1_.num_agpr, 0
	.set _ZN2at6native32elementwise_kernel_manual_unrollILi128ELi4EZNS0_15gpu_kernel_implINS0_13BinaryFunctorIaaaZNS0_12_GLOBAL__N_121threshold_kernel_implIaEEvRNS_18TensorIteratorBaseET_S8_EUlaaE_EEEEvS7_RKS8_EUlibE0_EEviT1_.numbered_sgpr, 82
	.set _ZN2at6native32elementwise_kernel_manual_unrollILi128ELi4EZNS0_15gpu_kernel_implINS0_13BinaryFunctorIaaaZNS0_12_GLOBAL__N_121threshold_kernel_implIaEEvRNS_18TensorIteratorBaseET_S8_EUlaaE_EEEEvS7_RKS8_EUlibE0_EEviT1_.num_named_barrier, 0
	.set _ZN2at6native32elementwise_kernel_manual_unrollILi128ELi4EZNS0_15gpu_kernel_implINS0_13BinaryFunctorIaaaZNS0_12_GLOBAL__N_121threshold_kernel_implIaEEvRNS_18TensorIteratorBaseET_S8_EUlaaE_EEEEvS7_RKS8_EUlibE0_EEviT1_.private_seg_size, 0
	.set _ZN2at6native32elementwise_kernel_manual_unrollILi128ELi4EZNS0_15gpu_kernel_implINS0_13BinaryFunctorIaaaZNS0_12_GLOBAL__N_121threshold_kernel_implIaEEvRNS_18TensorIteratorBaseET_S8_EUlaaE_EEEEvS7_RKS8_EUlibE0_EEviT1_.uses_vcc, 1
	.set _ZN2at6native32elementwise_kernel_manual_unrollILi128ELi4EZNS0_15gpu_kernel_implINS0_13BinaryFunctorIaaaZNS0_12_GLOBAL__N_121threshold_kernel_implIaEEvRNS_18TensorIteratorBaseET_S8_EUlaaE_EEEEvS7_RKS8_EUlibE0_EEviT1_.uses_flat_scratch, 0
	.set _ZN2at6native32elementwise_kernel_manual_unrollILi128ELi4EZNS0_15gpu_kernel_implINS0_13BinaryFunctorIaaaZNS0_12_GLOBAL__N_121threshold_kernel_implIaEEvRNS_18TensorIteratorBaseET_S8_EUlaaE_EEEEvS7_RKS8_EUlibE0_EEviT1_.has_dyn_sized_stack, 0
	.set _ZN2at6native32elementwise_kernel_manual_unrollILi128ELi4EZNS0_15gpu_kernel_implINS0_13BinaryFunctorIaaaZNS0_12_GLOBAL__N_121threshold_kernel_implIaEEvRNS_18TensorIteratorBaseET_S8_EUlaaE_EEEEvS7_RKS8_EUlibE0_EEviT1_.has_recursion, 0
	.set _ZN2at6native32elementwise_kernel_manual_unrollILi128ELi4EZNS0_15gpu_kernel_implINS0_13BinaryFunctorIaaaZNS0_12_GLOBAL__N_121threshold_kernel_implIaEEvRNS_18TensorIteratorBaseET_S8_EUlaaE_EEEEvS7_RKS8_EUlibE0_EEviT1_.has_indirect_call, 0
	.section	.AMDGPU.csdata,"",@progbits
; Kernel info:
; codeLenInByte = 49308
; TotalNumSgprs: 86
; NumVgprs: 23
; ScratchSize: 0
; MemoryBound: 1
; FloatMode: 240
; IeeeMode: 1
; LDSByteSize: 0 bytes/workgroup (compile time only)
; SGPRBlocks: 10
; VGPRBlocks: 5
; NumSGPRsForWavesPerEU: 86
; NumVGPRsForWavesPerEU: 23
; Occupancy: 9
; WaveLimiterHint : 1
; COMPUTE_PGM_RSRC2:SCRATCH_EN: 0
; COMPUTE_PGM_RSRC2:USER_SGPR: 6
; COMPUTE_PGM_RSRC2:TRAP_HANDLER: 0
; COMPUTE_PGM_RSRC2:TGID_X_EN: 1
; COMPUTE_PGM_RSRC2:TGID_Y_EN: 0
; COMPUTE_PGM_RSRC2:TGID_Z_EN: 0
; COMPUTE_PGM_RSRC2:TIDIG_COMP_CNT: 0
	.section	.text._ZN2at6native29vectorized_elementwise_kernelILi16ENS0_13AUnaryFunctorIiiiZNS0_12_GLOBAL__N_121threshold_kernel_implIiEEvRNS_18TensorIteratorBaseET_S7_EUliiE_EESt5arrayIPcLm2EEEEviT0_T1_,"axG",@progbits,_ZN2at6native29vectorized_elementwise_kernelILi16ENS0_13AUnaryFunctorIiiiZNS0_12_GLOBAL__N_121threshold_kernel_implIiEEvRNS_18TensorIteratorBaseET_S7_EUliiE_EESt5arrayIPcLm2EEEEviT0_T1_,comdat
	.globl	_ZN2at6native29vectorized_elementwise_kernelILi16ENS0_13AUnaryFunctorIiiiZNS0_12_GLOBAL__N_121threshold_kernel_implIiEEvRNS_18TensorIteratorBaseET_S7_EUliiE_EESt5arrayIPcLm2EEEEviT0_T1_ ; -- Begin function _ZN2at6native29vectorized_elementwise_kernelILi16ENS0_13AUnaryFunctorIiiiZNS0_12_GLOBAL__N_121threshold_kernel_implIiEEvRNS_18TensorIteratorBaseET_S7_EUliiE_EESt5arrayIPcLm2EEEEviT0_T1_
	.p2align	8
	.type	_ZN2at6native29vectorized_elementwise_kernelILi16ENS0_13AUnaryFunctorIiiiZNS0_12_GLOBAL__N_121threshold_kernel_implIiEEvRNS_18TensorIteratorBaseET_S7_EUliiE_EESt5arrayIPcLm2EEEEviT0_T1_,@function
_ZN2at6native29vectorized_elementwise_kernelILi16ENS0_13AUnaryFunctorIiiiZNS0_12_GLOBAL__N_121threshold_kernel_implIiEEvRNS_18TensorIteratorBaseET_S7_EUliiE_EESt5arrayIPcLm2EEEEviT0_T1_: ; @_ZN2at6native29vectorized_elementwise_kernelILi16ENS0_13AUnaryFunctorIiiiZNS0_12_GLOBAL__N_121threshold_kernel_implIiEEvRNS_18TensorIteratorBaseET_S7_EUliiE_EESt5arrayIPcLm2EEEEviT0_T1_
; %bb.0:
	s_load_dwordx8 s[8:15], s[4:5], 0x0
	s_lshl_b32 s4, s6, 10
	s_mov_b64 s[0:1], -1
	s_waitcnt lgkmcnt(0)
	s_sub_i32 s8, s8, s4
	s_cmpk_gt_i32 s8, 0x3ff
	s_cbranch_scc0 .LBB48_2
; %bb.1:
	s_ashr_i32 s5, s4, 31
	s_lshl_b64 s[0:1], s[4:5], 2
	s_add_u32 s2, s14, s0
	s_addc_u32 s3, s15, s1
	v_lshlrev_b32_e32 v5, 4, v0
	global_load_dwordx4 v[1:4], v5, s[2:3]
	s_cmp_gt_i32 s11, s9
	v_mov_b32_e32 v6, s10
	s_cselect_b64 vcc, -1, 0
	s_add_u32 s0, s12, s0
	s_addc_u32 s1, s13, s1
	s_waitcnt vmcnt(0)
	v_cndmask_b32_e32 v1, v6, v1, vcc
	v_cndmask_b32_e32 v2, v6, v2, vcc
	;; [unrolled: 1-line block ×4, first 2 shown]
	global_store_dwordx4 v5, v[1:4], s[0:1]
	s_mov_b64 s[0:1], 0
.LBB48_2:
	s_andn2_b64 vcc, exec, s[0:1]
	s_cbranch_vccnz .LBB48_16
; %bb.3:
	v_cmp_gt_i32_e32 vcc, s8, v0
	v_or_b32_e32 v6, 0x100, v0
	v_mov_b32_e32 v8, 0
	v_or_b32_e32 v1, s4, v0
	v_mov_b32_e32 v3, 0
	v_mov_b32_e32 v2, 0
	;; [unrolled: 1-line block ×3, first 2 shown]
	s_and_saveexec_b64 s[2:3], vcc
	s_cbranch_execz .LBB48_11
; %bb.4:
	v_mov_b32_e32 v2, 0
	v_lshlrev_b64 v[3:4], 2, v[1:2]
	v_mov_b32_e32 v5, s15
	v_add_co_u32_e64 v3, s[0:1], s14, v3
	v_addc_co_u32_e64 v4, s[0:1], v5, v4, s[0:1]
	global_load_dword v7, v[3:4], off
	v_cmp_gt_u32_e64 s[0:1], s8, v6
	v_mov_b32_e32 v3, v2
	v_mov_b32_e32 v8, v2
	s_and_saveexec_b64 s[6:7], s[0:1]
	s_cbranch_execz .LBB48_10
; %bb.5:
	v_add_u32_e32 v2, s4, v0
	v_mov_b32_e32 v3, 0
	v_lshlrev_b64 v[4:5], 2, v[2:3]
	v_mov_b32_e32 v2, s15
	v_add_co_u32_e64 v4, s[0:1], s14, v4
	v_addc_co_u32_e64 v5, s[0:1], v2, v5, s[0:1]
	global_load_dword v2, v[4:5], off offset:1024
	v_or_b32_e32 v8, 0x200, v0
	v_cmp_gt_u32_e64 s[0:1], s8, v8
	v_mov_b32_e32 v8, v3
	s_and_saveexec_b64 s[14:15], s[0:1]
	s_cbranch_execz .LBB48_9
; %bb.6:
	global_load_dword v3, v[4:5], off offset:2048
	v_or_b32_e32 v8, 0x300, v0
	v_cmp_gt_u32_e64 s[0:1], s8, v8
	v_mov_b32_e32 v8, 0
	s_and_saveexec_b64 s[16:17], s[0:1]
	s_cbranch_execz .LBB48_8
; %bb.7:
	global_load_dword v8, v[4:5], off offset:3072
.LBB48_8:
	s_or_b64 exec, exec, s[16:17]
.LBB48_9:
	s_or_b64 exec, exec, s[14:15]
.LBB48_10:
	s_or_b64 exec, exec, s[6:7]
.LBB48_11:
	s_or_b64 exec, exec, s[2:3]
	s_cmp_gt_i32 s11, s9
	v_mov_b32_e32 v9, s10
	s_cselect_b64 s[0:1], -1, 0
	s_waitcnt vmcnt(0)
	v_cndmask_b32_e64 v2, v9, v2, s[0:1]
	v_cmp_gt_i32_e64 s[2:3], s8, v6
	v_cndmask_b32_e64 v5, 0, v2, s[2:3]
	v_or_b32_e32 v2, 0x200, v0
	v_cndmask_b32_e64 v4, v9, v7, s[0:1]
	v_cndmask_b32_e64 v3, v9, v3, s[0:1]
	v_cmp_gt_i32_e64 s[2:3], s8, v2
	v_or_b32_e32 v2, 0x300, v0
	v_cndmask_b32_e32 v7, 0, v4, vcc
	v_cndmask_b32_e64 v4, 0, v3, s[2:3]
	v_cndmask_b32_e64 v3, v9, v8, s[0:1]
	v_cmp_gt_i32_e64 s[0:1], s8, v2
	v_cndmask_b32_e64 v3, 0, v3, s[0:1]
	s_and_saveexec_b64 s[0:1], vcc
	s_cbranch_execnz .LBB48_17
; %bb.12:
	s_or_b64 exec, exec, s[0:1]
	v_cmp_gt_i32_e32 vcc, s8, v0
	s_and_saveexec_b64 s[0:1], vcc
	s_cbranch_execnz .LBB48_18
.LBB48_13:
	s_or_b64 exec, exec, s[0:1]
	v_cmp_gt_i32_e32 vcc, s8, v0
	s_and_saveexec_b64 s[0:1], vcc
	s_cbranch_execnz .LBB48_19
.LBB48_14:
	s_or_b64 exec, exec, s[0:1]
	v_cmp_gt_i32_e32 vcc, s8, v0
	s_and_saveexec_b64 s[0:1], vcc
	s_cbranch_execz .LBB48_16
.LBB48_15:
	v_add_u32_e32 v0, s4, v0
	v_mov_b32_e32 v1, 0
	v_lshlrev_b64 v[0:1], 2, v[0:1]
	v_mov_b32_e32 v2, s13
	v_add_co_u32_e32 v0, vcc, s12, v0
	v_addc_co_u32_e32 v1, vcc, v2, v1, vcc
	global_store_dword v[0:1], v3, off
.LBB48_16:
	s_endpgm
.LBB48_17:
	v_mov_b32_e32 v2, 0
	v_lshlrev_b64 v[0:1], 2, v[1:2]
	v_mov_b32_e32 v2, s13
	v_add_co_u32_e32 v0, vcc, s12, v0
	v_addc_co_u32_e32 v1, vcc, v2, v1, vcc
	global_store_dword v[0:1], v7, off
	v_mov_b32_e32 v0, v6
	s_or_b64 exec, exec, s[0:1]
	v_cmp_gt_i32_e32 vcc, s8, v0
	s_and_saveexec_b64 s[0:1], vcc
	s_cbranch_execz .LBB48_13
.LBB48_18:
	v_add_u32_e32 v1, s4, v0
	v_mov_b32_e32 v2, 0
	v_lshlrev_b64 v[1:2], 2, v[1:2]
	v_mov_b32_e32 v6, s13
	v_add_co_u32_e32 v1, vcc, s12, v1
	v_addc_co_u32_e32 v2, vcc, v6, v2, vcc
	v_add_u32_e32 v0, 0x100, v0
	global_store_dword v[1:2], v5, off
	s_or_b64 exec, exec, s[0:1]
	v_cmp_gt_i32_e32 vcc, s8, v0
	s_and_saveexec_b64 s[0:1], vcc
	s_cbranch_execz .LBB48_14
.LBB48_19:
	v_add_u32_e32 v1, s4, v0
	v_mov_b32_e32 v2, 0
	v_lshlrev_b64 v[1:2], 2, v[1:2]
	v_mov_b32_e32 v5, s13
	v_add_co_u32_e32 v1, vcc, s12, v1
	v_addc_co_u32_e32 v2, vcc, v5, v2, vcc
	v_add_u32_e32 v0, 0x100, v0
	global_store_dword v[1:2], v4, off
	s_or_b64 exec, exec, s[0:1]
	v_cmp_gt_i32_e32 vcc, s8, v0
	s_and_saveexec_b64 s[0:1], vcc
	s_cbranch_execnz .LBB48_15
	s_branch .LBB48_16
	.section	.rodata,"a",@progbits
	.p2align	6, 0x0
	.amdhsa_kernel _ZN2at6native29vectorized_elementwise_kernelILi16ENS0_13AUnaryFunctorIiiiZNS0_12_GLOBAL__N_121threshold_kernel_implIiEEvRNS_18TensorIteratorBaseET_S7_EUliiE_EESt5arrayIPcLm2EEEEviT0_T1_
		.amdhsa_group_segment_fixed_size 0
		.amdhsa_private_segment_fixed_size 0
		.amdhsa_kernarg_size 32
		.amdhsa_user_sgpr_count 6
		.amdhsa_user_sgpr_private_segment_buffer 1
		.amdhsa_user_sgpr_dispatch_ptr 0
		.amdhsa_user_sgpr_queue_ptr 0
		.amdhsa_user_sgpr_kernarg_segment_ptr 1
		.amdhsa_user_sgpr_dispatch_id 0
		.amdhsa_user_sgpr_flat_scratch_init 0
		.amdhsa_user_sgpr_private_segment_size 0
		.amdhsa_uses_dynamic_stack 0
		.amdhsa_system_sgpr_private_segment_wavefront_offset 0
		.amdhsa_system_sgpr_workgroup_id_x 1
		.amdhsa_system_sgpr_workgroup_id_y 0
		.amdhsa_system_sgpr_workgroup_id_z 0
		.amdhsa_system_sgpr_workgroup_info 0
		.amdhsa_system_vgpr_workitem_id 0
		.amdhsa_next_free_vgpr 10
		.amdhsa_next_free_sgpr 18
		.amdhsa_reserve_vcc 1
		.amdhsa_reserve_flat_scratch 0
		.amdhsa_float_round_mode_32 0
		.amdhsa_float_round_mode_16_64 0
		.amdhsa_float_denorm_mode_32 3
		.amdhsa_float_denorm_mode_16_64 3
		.amdhsa_dx10_clamp 1
		.amdhsa_ieee_mode 1
		.amdhsa_fp16_overflow 0
		.amdhsa_exception_fp_ieee_invalid_op 0
		.amdhsa_exception_fp_denorm_src 0
		.amdhsa_exception_fp_ieee_div_zero 0
		.amdhsa_exception_fp_ieee_overflow 0
		.amdhsa_exception_fp_ieee_underflow 0
		.amdhsa_exception_fp_ieee_inexact 0
		.amdhsa_exception_int_div_zero 0
	.end_amdhsa_kernel
	.section	.text._ZN2at6native29vectorized_elementwise_kernelILi16ENS0_13AUnaryFunctorIiiiZNS0_12_GLOBAL__N_121threshold_kernel_implIiEEvRNS_18TensorIteratorBaseET_S7_EUliiE_EESt5arrayIPcLm2EEEEviT0_T1_,"axG",@progbits,_ZN2at6native29vectorized_elementwise_kernelILi16ENS0_13AUnaryFunctorIiiiZNS0_12_GLOBAL__N_121threshold_kernel_implIiEEvRNS_18TensorIteratorBaseET_S7_EUliiE_EESt5arrayIPcLm2EEEEviT0_T1_,comdat
.Lfunc_end48:
	.size	_ZN2at6native29vectorized_elementwise_kernelILi16ENS0_13AUnaryFunctorIiiiZNS0_12_GLOBAL__N_121threshold_kernel_implIiEEvRNS_18TensorIteratorBaseET_S7_EUliiE_EESt5arrayIPcLm2EEEEviT0_T1_, .Lfunc_end48-_ZN2at6native29vectorized_elementwise_kernelILi16ENS0_13AUnaryFunctorIiiiZNS0_12_GLOBAL__N_121threshold_kernel_implIiEEvRNS_18TensorIteratorBaseET_S7_EUliiE_EESt5arrayIPcLm2EEEEviT0_T1_
                                        ; -- End function
	.set _ZN2at6native29vectorized_elementwise_kernelILi16ENS0_13AUnaryFunctorIiiiZNS0_12_GLOBAL__N_121threshold_kernel_implIiEEvRNS_18TensorIteratorBaseET_S7_EUliiE_EESt5arrayIPcLm2EEEEviT0_T1_.num_vgpr, 10
	.set _ZN2at6native29vectorized_elementwise_kernelILi16ENS0_13AUnaryFunctorIiiiZNS0_12_GLOBAL__N_121threshold_kernel_implIiEEvRNS_18TensorIteratorBaseET_S7_EUliiE_EESt5arrayIPcLm2EEEEviT0_T1_.num_agpr, 0
	.set _ZN2at6native29vectorized_elementwise_kernelILi16ENS0_13AUnaryFunctorIiiiZNS0_12_GLOBAL__N_121threshold_kernel_implIiEEvRNS_18TensorIteratorBaseET_S7_EUliiE_EESt5arrayIPcLm2EEEEviT0_T1_.numbered_sgpr, 18
	.set _ZN2at6native29vectorized_elementwise_kernelILi16ENS0_13AUnaryFunctorIiiiZNS0_12_GLOBAL__N_121threshold_kernel_implIiEEvRNS_18TensorIteratorBaseET_S7_EUliiE_EESt5arrayIPcLm2EEEEviT0_T1_.num_named_barrier, 0
	.set _ZN2at6native29vectorized_elementwise_kernelILi16ENS0_13AUnaryFunctorIiiiZNS0_12_GLOBAL__N_121threshold_kernel_implIiEEvRNS_18TensorIteratorBaseET_S7_EUliiE_EESt5arrayIPcLm2EEEEviT0_T1_.private_seg_size, 0
	.set _ZN2at6native29vectorized_elementwise_kernelILi16ENS0_13AUnaryFunctorIiiiZNS0_12_GLOBAL__N_121threshold_kernel_implIiEEvRNS_18TensorIteratorBaseET_S7_EUliiE_EESt5arrayIPcLm2EEEEviT0_T1_.uses_vcc, 1
	.set _ZN2at6native29vectorized_elementwise_kernelILi16ENS0_13AUnaryFunctorIiiiZNS0_12_GLOBAL__N_121threshold_kernel_implIiEEvRNS_18TensorIteratorBaseET_S7_EUliiE_EESt5arrayIPcLm2EEEEviT0_T1_.uses_flat_scratch, 0
	.set _ZN2at6native29vectorized_elementwise_kernelILi16ENS0_13AUnaryFunctorIiiiZNS0_12_GLOBAL__N_121threshold_kernel_implIiEEvRNS_18TensorIteratorBaseET_S7_EUliiE_EESt5arrayIPcLm2EEEEviT0_T1_.has_dyn_sized_stack, 0
	.set _ZN2at6native29vectorized_elementwise_kernelILi16ENS0_13AUnaryFunctorIiiiZNS0_12_GLOBAL__N_121threshold_kernel_implIiEEvRNS_18TensorIteratorBaseET_S7_EUliiE_EESt5arrayIPcLm2EEEEviT0_T1_.has_recursion, 0
	.set _ZN2at6native29vectorized_elementwise_kernelILi16ENS0_13AUnaryFunctorIiiiZNS0_12_GLOBAL__N_121threshold_kernel_implIiEEvRNS_18TensorIteratorBaseET_S7_EUliiE_EESt5arrayIPcLm2EEEEviT0_T1_.has_indirect_call, 0
	.section	.AMDGPU.csdata,"",@progbits
; Kernel info:
; codeLenInByte = 744
; TotalNumSgprs: 22
; NumVgprs: 10
; ScratchSize: 0
; MemoryBound: 0
; FloatMode: 240
; IeeeMode: 1
; LDSByteSize: 0 bytes/workgroup (compile time only)
; SGPRBlocks: 2
; VGPRBlocks: 2
; NumSGPRsForWavesPerEU: 22
; NumVGPRsForWavesPerEU: 10
; Occupancy: 10
; WaveLimiterHint : 0
; COMPUTE_PGM_RSRC2:SCRATCH_EN: 0
; COMPUTE_PGM_RSRC2:USER_SGPR: 6
; COMPUTE_PGM_RSRC2:TRAP_HANDLER: 0
; COMPUTE_PGM_RSRC2:TGID_X_EN: 1
; COMPUTE_PGM_RSRC2:TGID_Y_EN: 0
; COMPUTE_PGM_RSRC2:TGID_Z_EN: 0
; COMPUTE_PGM_RSRC2:TIDIG_COMP_CNT: 0
	.section	.text._ZN2at6native29vectorized_elementwise_kernelILi8ENS0_13AUnaryFunctorIiiiZNS0_12_GLOBAL__N_121threshold_kernel_implIiEEvRNS_18TensorIteratorBaseET_S7_EUliiE_EESt5arrayIPcLm2EEEEviT0_T1_,"axG",@progbits,_ZN2at6native29vectorized_elementwise_kernelILi8ENS0_13AUnaryFunctorIiiiZNS0_12_GLOBAL__N_121threshold_kernel_implIiEEvRNS_18TensorIteratorBaseET_S7_EUliiE_EESt5arrayIPcLm2EEEEviT0_T1_,comdat
	.globl	_ZN2at6native29vectorized_elementwise_kernelILi8ENS0_13AUnaryFunctorIiiiZNS0_12_GLOBAL__N_121threshold_kernel_implIiEEvRNS_18TensorIteratorBaseET_S7_EUliiE_EESt5arrayIPcLm2EEEEviT0_T1_ ; -- Begin function _ZN2at6native29vectorized_elementwise_kernelILi8ENS0_13AUnaryFunctorIiiiZNS0_12_GLOBAL__N_121threshold_kernel_implIiEEvRNS_18TensorIteratorBaseET_S7_EUliiE_EESt5arrayIPcLm2EEEEviT0_T1_
	.p2align	8
	.type	_ZN2at6native29vectorized_elementwise_kernelILi8ENS0_13AUnaryFunctorIiiiZNS0_12_GLOBAL__N_121threshold_kernel_implIiEEvRNS_18TensorIteratorBaseET_S7_EUliiE_EESt5arrayIPcLm2EEEEviT0_T1_,@function
_ZN2at6native29vectorized_elementwise_kernelILi8ENS0_13AUnaryFunctorIiiiZNS0_12_GLOBAL__N_121threshold_kernel_implIiEEvRNS_18TensorIteratorBaseET_S7_EUliiE_EESt5arrayIPcLm2EEEEviT0_T1_: ; @_ZN2at6native29vectorized_elementwise_kernelILi8ENS0_13AUnaryFunctorIiiiZNS0_12_GLOBAL__N_121threshold_kernel_implIiEEvRNS_18TensorIteratorBaseET_S7_EUliiE_EESt5arrayIPcLm2EEEEviT0_T1_
; %bb.0:
	s_load_dwordx8 s[8:15], s[4:5], 0x0
	s_lshl_b32 s4, s6, 10
	s_mov_b64 s[0:1], -1
	s_waitcnt lgkmcnt(0)
	s_sub_i32 s8, s8, s4
	s_cmpk_gt_i32 s8, 0x3ff
	s_cbranch_scc0 .LBB49_2
; %bb.1:
	s_ashr_i32 s5, s4, 31
	s_lshl_b64 s[0:1], s[4:5], 2
	s_add_u32 s2, s14, s0
	s_addc_u32 s3, s15, s1
	v_lshlrev_b32_e32 v5, 4, v0
	global_load_dwordx4 v[1:4], v5, s[2:3]
	s_cmp_gt_i32 s11, s9
	v_mov_b32_e32 v6, s10
	s_cselect_b64 vcc, -1, 0
	s_add_u32 s0, s12, s0
	s_addc_u32 s1, s13, s1
	s_waitcnt vmcnt(0)
	v_cndmask_b32_e32 v1, v6, v1, vcc
	v_cndmask_b32_e32 v2, v6, v2, vcc
	;; [unrolled: 1-line block ×4, first 2 shown]
	global_store_dwordx4 v5, v[1:4], s[0:1]
	s_mov_b64 s[0:1], 0
.LBB49_2:
	s_andn2_b64 vcc, exec, s[0:1]
	s_cbranch_vccnz .LBB49_16
; %bb.3:
	v_cmp_gt_i32_e32 vcc, s8, v0
	v_or_b32_e32 v6, 0x100, v0
	v_mov_b32_e32 v8, 0
	v_or_b32_e32 v1, s4, v0
	v_mov_b32_e32 v3, 0
	v_mov_b32_e32 v2, 0
	;; [unrolled: 1-line block ×3, first 2 shown]
	s_and_saveexec_b64 s[2:3], vcc
	s_cbranch_execz .LBB49_11
; %bb.4:
	v_mov_b32_e32 v2, 0
	v_lshlrev_b64 v[3:4], 2, v[1:2]
	v_mov_b32_e32 v5, s15
	v_add_co_u32_e64 v3, s[0:1], s14, v3
	v_addc_co_u32_e64 v4, s[0:1], v5, v4, s[0:1]
	global_load_dword v7, v[3:4], off
	v_cmp_gt_u32_e64 s[0:1], s8, v6
	v_mov_b32_e32 v3, v2
	v_mov_b32_e32 v8, v2
	s_and_saveexec_b64 s[6:7], s[0:1]
	s_cbranch_execz .LBB49_10
; %bb.5:
	v_add_u32_e32 v2, s4, v0
	v_mov_b32_e32 v3, 0
	v_lshlrev_b64 v[4:5], 2, v[2:3]
	v_mov_b32_e32 v2, s15
	v_add_co_u32_e64 v4, s[0:1], s14, v4
	v_addc_co_u32_e64 v5, s[0:1], v2, v5, s[0:1]
	global_load_dword v2, v[4:5], off offset:1024
	v_or_b32_e32 v8, 0x200, v0
	v_cmp_gt_u32_e64 s[0:1], s8, v8
	v_mov_b32_e32 v8, v3
	s_and_saveexec_b64 s[14:15], s[0:1]
	s_cbranch_execz .LBB49_9
; %bb.6:
	global_load_dword v3, v[4:5], off offset:2048
	v_or_b32_e32 v8, 0x300, v0
	v_cmp_gt_u32_e64 s[0:1], s8, v8
	v_mov_b32_e32 v8, 0
	s_and_saveexec_b64 s[16:17], s[0:1]
	s_cbranch_execz .LBB49_8
; %bb.7:
	global_load_dword v8, v[4:5], off offset:3072
.LBB49_8:
	s_or_b64 exec, exec, s[16:17]
.LBB49_9:
	s_or_b64 exec, exec, s[14:15]
.LBB49_10:
	s_or_b64 exec, exec, s[6:7]
.LBB49_11:
	s_or_b64 exec, exec, s[2:3]
	s_cmp_gt_i32 s11, s9
	v_mov_b32_e32 v9, s10
	s_cselect_b64 s[0:1], -1, 0
	s_waitcnt vmcnt(0)
	v_cndmask_b32_e64 v2, v9, v2, s[0:1]
	v_cmp_gt_i32_e64 s[2:3], s8, v6
	v_cndmask_b32_e64 v5, 0, v2, s[2:3]
	v_or_b32_e32 v2, 0x200, v0
	v_cndmask_b32_e64 v4, v9, v7, s[0:1]
	v_cndmask_b32_e64 v3, v9, v3, s[0:1]
	v_cmp_gt_i32_e64 s[2:3], s8, v2
	v_or_b32_e32 v2, 0x300, v0
	v_cndmask_b32_e32 v7, 0, v4, vcc
	v_cndmask_b32_e64 v4, 0, v3, s[2:3]
	v_cndmask_b32_e64 v3, v9, v8, s[0:1]
	v_cmp_gt_i32_e64 s[0:1], s8, v2
	v_cndmask_b32_e64 v3, 0, v3, s[0:1]
	s_and_saveexec_b64 s[0:1], vcc
	s_cbranch_execnz .LBB49_17
; %bb.12:
	s_or_b64 exec, exec, s[0:1]
	v_cmp_gt_i32_e32 vcc, s8, v0
	s_and_saveexec_b64 s[0:1], vcc
	s_cbranch_execnz .LBB49_18
.LBB49_13:
	s_or_b64 exec, exec, s[0:1]
	v_cmp_gt_i32_e32 vcc, s8, v0
	s_and_saveexec_b64 s[0:1], vcc
	s_cbranch_execnz .LBB49_19
.LBB49_14:
	s_or_b64 exec, exec, s[0:1]
	v_cmp_gt_i32_e32 vcc, s8, v0
	s_and_saveexec_b64 s[0:1], vcc
	s_cbranch_execz .LBB49_16
.LBB49_15:
	v_add_u32_e32 v0, s4, v0
	v_mov_b32_e32 v1, 0
	v_lshlrev_b64 v[0:1], 2, v[0:1]
	v_mov_b32_e32 v2, s13
	v_add_co_u32_e32 v0, vcc, s12, v0
	v_addc_co_u32_e32 v1, vcc, v2, v1, vcc
	global_store_dword v[0:1], v3, off
.LBB49_16:
	s_endpgm
.LBB49_17:
	v_mov_b32_e32 v2, 0
	v_lshlrev_b64 v[0:1], 2, v[1:2]
	v_mov_b32_e32 v2, s13
	v_add_co_u32_e32 v0, vcc, s12, v0
	v_addc_co_u32_e32 v1, vcc, v2, v1, vcc
	global_store_dword v[0:1], v7, off
	v_mov_b32_e32 v0, v6
	s_or_b64 exec, exec, s[0:1]
	v_cmp_gt_i32_e32 vcc, s8, v0
	s_and_saveexec_b64 s[0:1], vcc
	s_cbranch_execz .LBB49_13
.LBB49_18:
	v_add_u32_e32 v1, s4, v0
	v_mov_b32_e32 v2, 0
	v_lshlrev_b64 v[1:2], 2, v[1:2]
	v_mov_b32_e32 v6, s13
	v_add_co_u32_e32 v1, vcc, s12, v1
	v_addc_co_u32_e32 v2, vcc, v6, v2, vcc
	v_add_u32_e32 v0, 0x100, v0
	global_store_dword v[1:2], v5, off
	s_or_b64 exec, exec, s[0:1]
	v_cmp_gt_i32_e32 vcc, s8, v0
	s_and_saveexec_b64 s[0:1], vcc
	s_cbranch_execz .LBB49_14
.LBB49_19:
	v_add_u32_e32 v1, s4, v0
	v_mov_b32_e32 v2, 0
	v_lshlrev_b64 v[1:2], 2, v[1:2]
	v_mov_b32_e32 v5, s13
	v_add_co_u32_e32 v1, vcc, s12, v1
	v_addc_co_u32_e32 v2, vcc, v5, v2, vcc
	v_add_u32_e32 v0, 0x100, v0
	global_store_dword v[1:2], v4, off
	s_or_b64 exec, exec, s[0:1]
	v_cmp_gt_i32_e32 vcc, s8, v0
	s_and_saveexec_b64 s[0:1], vcc
	s_cbranch_execnz .LBB49_15
	s_branch .LBB49_16
	.section	.rodata,"a",@progbits
	.p2align	6, 0x0
	.amdhsa_kernel _ZN2at6native29vectorized_elementwise_kernelILi8ENS0_13AUnaryFunctorIiiiZNS0_12_GLOBAL__N_121threshold_kernel_implIiEEvRNS_18TensorIteratorBaseET_S7_EUliiE_EESt5arrayIPcLm2EEEEviT0_T1_
		.amdhsa_group_segment_fixed_size 0
		.amdhsa_private_segment_fixed_size 0
		.amdhsa_kernarg_size 32
		.amdhsa_user_sgpr_count 6
		.amdhsa_user_sgpr_private_segment_buffer 1
		.amdhsa_user_sgpr_dispatch_ptr 0
		.amdhsa_user_sgpr_queue_ptr 0
		.amdhsa_user_sgpr_kernarg_segment_ptr 1
		.amdhsa_user_sgpr_dispatch_id 0
		.amdhsa_user_sgpr_flat_scratch_init 0
		.amdhsa_user_sgpr_private_segment_size 0
		.amdhsa_uses_dynamic_stack 0
		.amdhsa_system_sgpr_private_segment_wavefront_offset 0
		.amdhsa_system_sgpr_workgroup_id_x 1
		.amdhsa_system_sgpr_workgroup_id_y 0
		.amdhsa_system_sgpr_workgroup_id_z 0
		.amdhsa_system_sgpr_workgroup_info 0
		.amdhsa_system_vgpr_workitem_id 0
		.amdhsa_next_free_vgpr 10
		.amdhsa_next_free_sgpr 18
		.amdhsa_reserve_vcc 1
		.amdhsa_reserve_flat_scratch 0
		.amdhsa_float_round_mode_32 0
		.amdhsa_float_round_mode_16_64 0
		.amdhsa_float_denorm_mode_32 3
		.amdhsa_float_denorm_mode_16_64 3
		.amdhsa_dx10_clamp 1
		.amdhsa_ieee_mode 1
		.amdhsa_fp16_overflow 0
		.amdhsa_exception_fp_ieee_invalid_op 0
		.amdhsa_exception_fp_denorm_src 0
		.amdhsa_exception_fp_ieee_div_zero 0
		.amdhsa_exception_fp_ieee_overflow 0
		.amdhsa_exception_fp_ieee_underflow 0
		.amdhsa_exception_fp_ieee_inexact 0
		.amdhsa_exception_int_div_zero 0
	.end_amdhsa_kernel
	.section	.text._ZN2at6native29vectorized_elementwise_kernelILi8ENS0_13AUnaryFunctorIiiiZNS0_12_GLOBAL__N_121threshold_kernel_implIiEEvRNS_18TensorIteratorBaseET_S7_EUliiE_EESt5arrayIPcLm2EEEEviT0_T1_,"axG",@progbits,_ZN2at6native29vectorized_elementwise_kernelILi8ENS0_13AUnaryFunctorIiiiZNS0_12_GLOBAL__N_121threshold_kernel_implIiEEvRNS_18TensorIteratorBaseET_S7_EUliiE_EESt5arrayIPcLm2EEEEviT0_T1_,comdat
.Lfunc_end49:
	.size	_ZN2at6native29vectorized_elementwise_kernelILi8ENS0_13AUnaryFunctorIiiiZNS0_12_GLOBAL__N_121threshold_kernel_implIiEEvRNS_18TensorIteratorBaseET_S7_EUliiE_EESt5arrayIPcLm2EEEEviT0_T1_, .Lfunc_end49-_ZN2at6native29vectorized_elementwise_kernelILi8ENS0_13AUnaryFunctorIiiiZNS0_12_GLOBAL__N_121threshold_kernel_implIiEEvRNS_18TensorIteratorBaseET_S7_EUliiE_EESt5arrayIPcLm2EEEEviT0_T1_
                                        ; -- End function
	.set _ZN2at6native29vectorized_elementwise_kernelILi8ENS0_13AUnaryFunctorIiiiZNS0_12_GLOBAL__N_121threshold_kernel_implIiEEvRNS_18TensorIteratorBaseET_S7_EUliiE_EESt5arrayIPcLm2EEEEviT0_T1_.num_vgpr, 10
	.set _ZN2at6native29vectorized_elementwise_kernelILi8ENS0_13AUnaryFunctorIiiiZNS0_12_GLOBAL__N_121threshold_kernel_implIiEEvRNS_18TensorIteratorBaseET_S7_EUliiE_EESt5arrayIPcLm2EEEEviT0_T1_.num_agpr, 0
	.set _ZN2at6native29vectorized_elementwise_kernelILi8ENS0_13AUnaryFunctorIiiiZNS0_12_GLOBAL__N_121threshold_kernel_implIiEEvRNS_18TensorIteratorBaseET_S7_EUliiE_EESt5arrayIPcLm2EEEEviT0_T1_.numbered_sgpr, 18
	.set _ZN2at6native29vectorized_elementwise_kernelILi8ENS0_13AUnaryFunctorIiiiZNS0_12_GLOBAL__N_121threshold_kernel_implIiEEvRNS_18TensorIteratorBaseET_S7_EUliiE_EESt5arrayIPcLm2EEEEviT0_T1_.num_named_barrier, 0
	.set _ZN2at6native29vectorized_elementwise_kernelILi8ENS0_13AUnaryFunctorIiiiZNS0_12_GLOBAL__N_121threshold_kernel_implIiEEvRNS_18TensorIteratorBaseET_S7_EUliiE_EESt5arrayIPcLm2EEEEviT0_T1_.private_seg_size, 0
	.set _ZN2at6native29vectorized_elementwise_kernelILi8ENS0_13AUnaryFunctorIiiiZNS0_12_GLOBAL__N_121threshold_kernel_implIiEEvRNS_18TensorIteratorBaseET_S7_EUliiE_EESt5arrayIPcLm2EEEEviT0_T1_.uses_vcc, 1
	.set _ZN2at6native29vectorized_elementwise_kernelILi8ENS0_13AUnaryFunctorIiiiZNS0_12_GLOBAL__N_121threshold_kernel_implIiEEvRNS_18TensorIteratorBaseET_S7_EUliiE_EESt5arrayIPcLm2EEEEviT0_T1_.uses_flat_scratch, 0
	.set _ZN2at6native29vectorized_elementwise_kernelILi8ENS0_13AUnaryFunctorIiiiZNS0_12_GLOBAL__N_121threshold_kernel_implIiEEvRNS_18TensorIteratorBaseET_S7_EUliiE_EESt5arrayIPcLm2EEEEviT0_T1_.has_dyn_sized_stack, 0
	.set _ZN2at6native29vectorized_elementwise_kernelILi8ENS0_13AUnaryFunctorIiiiZNS0_12_GLOBAL__N_121threshold_kernel_implIiEEvRNS_18TensorIteratorBaseET_S7_EUliiE_EESt5arrayIPcLm2EEEEviT0_T1_.has_recursion, 0
	.set _ZN2at6native29vectorized_elementwise_kernelILi8ENS0_13AUnaryFunctorIiiiZNS0_12_GLOBAL__N_121threshold_kernel_implIiEEvRNS_18TensorIteratorBaseET_S7_EUliiE_EESt5arrayIPcLm2EEEEviT0_T1_.has_indirect_call, 0
	.section	.AMDGPU.csdata,"",@progbits
; Kernel info:
; codeLenInByte = 744
; TotalNumSgprs: 22
; NumVgprs: 10
; ScratchSize: 0
; MemoryBound: 0
; FloatMode: 240
; IeeeMode: 1
; LDSByteSize: 0 bytes/workgroup (compile time only)
; SGPRBlocks: 2
; VGPRBlocks: 2
; NumSGPRsForWavesPerEU: 22
; NumVGPRsForWavesPerEU: 10
; Occupancy: 10
; WaveLimiterHint : 0
; COMPUTE_PGM_RSRC2:SCRATCH_EN: 0
; COMPUTE_PGM_RSRC2:USER_SGPR: 6
; COMPUTE_PGM_RSRC2:TRAP_HANDLER: 0
; COMPUTE_PGM_RSRC2:TGID_X_EN: 1
; COMPUTE_PGM_RSRC2:TGID_Y_EN: 0
; COMPUTE_PGM_RSRC2:TGID_Z_EN: 0
; COMPUTE_PGM_RSRC2:TIDIG_COMP_CNT: 0
	.section	.text._ZN2at6native29vectorized_elementwise_kernelILi4ENS0_13AUnaryFunctorIiiiZNS0_12_GLOBAL__N_121threshold_kernel_implIiEEvRNS_18TensorIteratorBaseET_S7_EUliiE_EESt5arrayIPcLm2EEEEviT0_T1_,"axG",@progbits,_ZN2at6native29vectorized_elementwise_kernelILi4ENS0_13AUnaryFunctorIiiiZNS0_12_GLOBAL__N_121threshold_kernel_implIiEEvRNS_18TensorIteratorBaseET_S7_EUliiE_EESt5arrayIPcLm2EEEEviT0_T1_,comdat
	.globl	_ZN2at6native29vectorized_elementwise_kernelILi4ENS0_13AUnaryFunctorIiiiZNS0_12_GLOBAL__N_121threshold_kernel_implIiEEvRNS_18TensorIteratorBaseET_S7_EUliiE_EESt5arrayIPcLm2EEEEviT0_T1_ ; -- Begin function _ZN2at6native29vectorized_elementwise_kernelILi4ENS0_13AUnaryFunctorIiiiZNS0_12_GLOBAL__N_121threshold_kernel_implIiEEvRNS_18TensorIteratorBaseET_S7_EUliiE_EESt5arrayIPcLm2EEEEviT0_T1_
	.p2align	8
	.type	_ZN2at6native29vectorized_elementwise_kernelILi4ENS0_13AUnaryFunctorIiiiZNS0_12_GLOBAL__N_121threshold_kernel_implIiEEvRNS_18TensorIteratorBaseET_S7_EUliiE_EESt5arrayIPcLm2EEEEviT0_T1_,@function
_ZN2at6native29vectorized_elementwise_kernelILi4ENS0_13AUnaryFunctorIiiiZNS0_12_GLOBAL__N_121threshold_kernel_implIiEEvRNS_18TensorIteratorBaseET_S7_EUliiE_EESt5arrayIPcLm2EEEEviT0_T1_: ; @_ZN2at6native29vectorized_elementwise_kernelILi4ENS0_13AUnaryFunctorIiiiZNS0_12_GLOBAL__N_121threshold_kernel_implIiEEvRNS_18TensorIteratorBaseET_S7_EUliiE_EESt5arrayIPcLm2EEEEviT0_T1_
; %bb.0:
	s_load_dwordx8 s[8:15], s[4:5], 0x0
	s_lshl_b32 s4, s6, 10
	s_mov_b64 s[0:1], -1
	s_waitcnt lgkmcnt(0)
	s_sub_i32 s8, s8, s4
	s_cmpk_gt_i32 s8, 0x3ff
	s_cbranch_scc0 .LBB50_2
; %bb.1:
	s_ashr_i32 s5, s4, 31
	s_lshl_b64 s[0:1], s[4:5], 2
	s_add_u32 s2, s14, s0
	s_addc_u32 s3, s15, s1
	v_lshlrev_b32_e32 v5, 4, v0
	global_load_dwordx4 v[1:4], v5, s[2:3]
	s_cmp_gt_i32 s11, s9
	v_mov_b32_e32 v6, s10
	s_cselect_b64 vcc, -1, 0
	s_add_u32 s0, s12, s0
	s_addc_u32 s1, s13, s1
	s_waitcnt vmcnt(0)
	v_cndmask_b32_e32 v1, v6, v1, vcc
	v_cndmask_b32_e32 v2, v6, v2, vcc
	;; [unrolled: 1-line block ×4, first 2 shown]
	global_store_dwordx4 v5, v[1:4], s[0:1]
	s_mov_b64 s[0:1], 0
.LBB50_2:
	s_andn2_b64 vcc, exec, s[0:1]
	s_cbranch_vccnz .LBB50_16
; %bb.3:
	v_cmp_gt_i32_e32 vcc, s8, v0
	v_or_b32_e32 v6, 0x100, v0
	v_mov_b32_e32 v8, 0
	v_or_b32_e32 v1, s4, v0
	v_mov_b32_e32 v3, 0
	v_mov_b32_e32 v2, 0
	;; [unrolled: 1-line block ×3, first 2 shown]
	s_and_saveexec_b64 s[2:3], vcc
	s_cbranch_execz .LBB50_11
; %bb.4:
	v_mov_b32_e32 v2, 0
	v_lshlrev_b64 v[3:4], 2, v[1:2]
	v_mov_b32_e32 v5, s15
	v_add_co_u32_e64 v3, s[0:1], s14, v3
	v_addc_co_u32_e64 v4, s[0:1], v5, v4, s[0:1]
	global_load_dword v7, v[3:4], off
	v_cmp_gt_u32_e64 s[0:1], s8, v6
	v_mov_b32_e32 v3, v2
	v_mov_b32_e32 v8, v2
	s_and_saveexec_b64 s[6:7], s[0:1]
	s_cbranch_execz .LBB50_10
; %bb.5:
	v_add_u32_e32 v2, s4, v0
	v_mov_b32_e32 v3, 0
	v_lshlrev_b64 v[4:5], 2, v[2:3]
	v_mov_b32_e32 v2, s15
	v_add_co_u32_e64 v4, s[0:1], s14, v4
	v_addc_co_u32_e64 v5, s[0:1], v2, v5, s[0:1]
	global_load_dword v2, v[4:5], off offset:1024
	v_or_b32_e32 v8, 0x200, v0
	v_cmp_gt_u32_e64 s[0:1], s8, v8
	v_mov_b32_e32 v8, v3
	s_and_saveexec_b64 s[14:15], s[0:1]
	s_cbranch_execz .LBB50_9
; %bb.6:
	global_load_dword v3, v[4:5], off offset:2048
	v_or_b32_e32 v8, 0x300, v0
	v_cmp_gt_u32_e64 s[0:1], s8, v8
	v_mov_b32_e32 v8, 0
	s_and_saveexec_b64 s[16:17], s[0:1]
	s_cbranch_execz .LBB50_8
; %bb.7:
	global_load_dword v8, v[4:5], off offset:3072
.LBB50_8:
	s_or_b64 exec, exec, s[16:17]
.LBB50_9:
	s_or_b64 exec, exec, s[14:15]
.LBB50_10:
	s_or_b64 exec, exec, s[6:7]
.LBB50_11:
	s_or_b64 exec, exec, s[2:3]
	s_cmp_gt_i32 s11, s9
	v_mov_b32_e32 v9, s10
	s_cselect_b64 s[0:1], -1, 0
	s_waitcnt vmcnt(0)
	v_cndmask_b32_e64 v2, v9, v2, s[0:1]
	v_cmp_gt_i32_e64 s[2:3], s8, v6
	v_cndmask_b32_e64 v5, 0, v2, s[2:3]
	v_or_b32_e32 v2, 0x200, v0
	v_cndmask_b32_e64 v4, v9, v7, s[0:1]
	v_cndmask_b32_e64 v3, v9, v3, s[0:1]
	v_cmp_gt_i32_e64 s[2:3], s8, v2
	v_or_b32_e32 v2, 0x300, v0
	v_cndmask_b32_e32 v7, 0, v4, vcc
	v_cndmask_b32_e64 v4, 0, v3, s[2:3]
	v_cndmask_b32_e64 v3, v9, v8, s[0:1]
	v_cmp_gt_i32_e64 s[0:1], s8, v2
	v_cndmask_b32_e64 v3, 0, v3, s[0:1]
	s_and_saveexec_b64 s[0:1], vcc
	s_cbranch_execnz .LBB50_17
; %bb.12:
	s_or_b64 exec, exec, s[0:1]
	v_cmp_gt_i32_e32 vcc, s8, v0
	s_and_saveexec_b64 s[0:1], vcc
	s_cbranch_execnz .LBB50_18
.LBB50_13:
	s_or_b64 exec, exec, s[0:1]
	v_cmp_gt_i32_e32 vcc, s8, v0
	s_and_saveexec_b64 s[0:1], vcc
	s_cbranch_execnz .LBB50_19
.LBB50_14:
	s_or_b64 exec, exec, s[0:1]
	v_cmp_gt_i32_e32 vcc, s8, v0
	s_and_saveexec_b64 s[0:1], vcc
	s_cbranch_execz .LBB50_16
.LBB50_15:
	v_add_u32_e32 v0, s4, v0
	v_mov_b32_e32 v1, 0
	v_lshlrev_b64 v[0:1], 2, v[0:1]
	v_mov_b32_e32 v2, s13
	v_add_co_u32_e32 v0, vcc, s12, v0
	v_addc_co_u32_e32 v1, vcc, v2, v1, vcc
	global_store_dword v[0:1], v3, off
.LBB50_16:
	s_endpgm
.LBB50_17:
	v_mov_b32_e32 v2, 0
	v_lshlrev_b64 v[0:1], 2, v[1:2]
	v_mov_b32_e32 v2, s13
	v_add_co_u32_e32 v0, vcc, s12, v0
	v_addc_co_u32_e32 v1, vcc, v2, v1, vcc
	global_store_dword v[0:1], v7, off
	v_mov_b32_e32 v0, v6
	s_or_b64 exec, exec, s[0:1]
	v_cmp_gt_i32_e32 vcc, s8, v0
	s_and_saveexec_b64 s[0:1], vcc
	s_cbranch_execz .LBB50_13
.LBB50_18:
	v_add_u32_e32 v1, s4, v0
	v_mov_b32_e32 v2, 0
	v_lshlrev_b64 v[1:2], 2, v[1:2]
	v_mov_b32_e32 v6, s13
	v_add_co_u32_e32 v1, vcc, s12, v1
	v_addc_co_u32_e32 v2, vcc, v6, v2, vcc
	v_add_u32_e32 v0, 0x100, v0
	global_store_dword v[1:2], v5, off
	s_or_b64 exec, exec, s[0:1]
	v_cmp_gt_i32_e32 vcc, s8, v0
	s_and_saveexec_b64 s[0:1], vcc
	s_cbranch_execz .LBB50_14
.LBB50_19:
	v_add_u32_e32 v1, s4, v0
	v_mov_b32_e32 v2, 0
	v_lshlrev_b64 v[1:2], 2, v[1:2]
	v_mov_b32_e32 v5, s13
	v_add_co_u32_e32 v1, vcc, s12, v1
	v_addc_co_u32_e32 v2, vcc, v5, v2, vcc
	v_add_u32_e32 v0, 0x100, v0
	global_store_dword v[1:2], v4, off
	s_or_b64 exec, exec, s[0:1]
	v_cmp_gt_i32_e32 vcc, s8, v0
	s_and_saveexec_b64 s[0:1], vcc
	s_cbranch_execnz .LBB50_15
	s_branch .LBB50_16
	.section	.rodata,"a",@progbits
	.p2align	6, 0x0
	.amdhsa_kernel _ZN2at6native29vectorized_elementwise_kernelILi4ENS0_13AUnaryFunctorIiiiZNS0_12_GLOBAL__N_121threshold_kernel_implIiEEvRNS_18TensorIteratorBaseET_S7_EUliiE_EESt5arrayIPcLm2EEEEviT0_T1_
		.amdhsa_group_segment_fixed_size 0
		.amdhsa_private_segment_fixed_size 0
		.amdhsa_kernarg_size 32
		.amdhsa_user_sgpr_count 6
		.amdhsa_user_sgpr_private_segment_buffer 1
		.amdhsa_user_sgpr_dispatch_ptr 0
		.amdhsa_user_sgpr_queue_ptr 0
		.amdhsa_user_sgpr_kernarg_segment_ptr 1
		.amdhsa_user_sgpr_dispatch_id 0
		.amdhsa_user_sgpr_flat_scratch_init 0
		.amdhsa_user_sgpr_private_segment_size 0
		.amdhsa_uses_dynamic_stack 0
		.amdhsa_system_sgpr_private_segment_wavefront_offset 0
		.amdhsa_system_sgpr_workgroup_id_x 1
		.amdhsa_system_sgpr_workgroup_id_y 0
		.amdhsa_system_sgpr_workgroup_id_z 0
		.amdhsa_system_sgpr_workgroup_info 0
		.amdhsa_system_vgpr_workitem_id 0
		.amdhsa_next_free_vgpr 10
		.amdhsa_next_free_sgpr 18
		.amdhsa_reserve_vcc 1
		.amdhsa_reserve_flat_scratch 0
		.amdhsa_float_round_mode_32 0
		.amdhsa_float_round_mode_16_64 0
		.amdhsa_float_denorm_mode_32 3
		.amdhsa_float_denorm_mode_16_64 3
		.amdhsa_dx10_clamp 1
		.amdhsa_ieee_mode 1
		.amdhsa_fp16_overflow 0
		.amdhsa_exception_fp_ieee_invalid_op 0
		.amdhsa_exception_fp_denorm_src 0
		.amdhsa_exception_fp_ieee_div_zero 0
		.amdhsa_exception_fp_ieee_overflow 0
		.amdhsa_exception_fp_ieee_underflow 0
		.amdhsa_exception_fp_ieee_inexact 0
		.amdhsa_exception_int_div_zero 0
	.end_amdhsa_kernel
	.section	.text._ZN2at6native29vectorized_elementwise_kernelILi4ENS0_13AUnaryFunctorIiiiZNS0_12_GLOBAL__N_121threshold_kernel_implIiEEvRNS_18TensorIteratorBaseET_S7_EUliiE_EESt5arrayIPcLm2EEEEviT0_T1_,"axG",@progbits,_ZN2at6native29vectorized_elementwise_kernelILi4ENS0_13AUnaryFunctorIiiiZNS0_12_GLOBAL__N_121threshold_kernel_implIiEEvRNS_18TensorIteratorBaseET_S7_EUliiE_EESt5arrayIPcLm2EEEEviT0_T1_,comdat
.Lfunc_end50:
	.size	_ZN2at6native29vectorized_elementwise_kernelILi4ENS0_13AUnaryFunctorIiiiZNS0_12_GLOBAL__N_121threshold_kernel_implIiEEvRNS_18TensorIteratorBaseET_S7_EUliiE_EESt5arrayIPcLm2EEEEviT0_T1_, .Lfunc_end50-_ZN2at6native29vectorized_elementwise_kernelILi4ENS0_13AUnaryFunctorIiiiZNS0_12_GLOBAL__N_121threshold_kernel_implIiEEvRNS_18TensorIteratorBaseET_S7_EUliiE_EESt5arrayIPcLm2EEEEviT0_T1_
                                        ; -- End function
	.set _ZN2at6native29vectorized_elementwise_kernelILi4ENS0_13AUnaryFunctorIiiiZNS0_12_GLOBAL__N_121threshold_kernel_implIiEEvRNS_18TensorIteratorBaseET_S7_EUliiE_EESt5arrayIPcLm2EEEEviT0_T1_.num_vgpr, 10
	.set _ZN2at6native29vectorized_elementwise_kernelILi4ENS0_13AUnaryFunctorIiiiZNS0_12_GLOBAL__N_121threshold_kernel_implIiEEvRNS_18TensorIteratorBaseET_S7_EUliiE_EESt5arrayIPcLm2EEEEviT0_T1_.num_agpr, 0
	.set _ZN2at6native29vectorized_elementwise_kernelILi4ENS0_13AUnaryFunctorIiiiZNS0_12_GLOBAL__N_121threshold_kernel_implIiEEvRNS_18TensorIteratorBaseET_S7_EUliiE_EESt5arrayIPcLm2EEEEviT0_T1_.numbered_sgpr, 18
	.set _ZN2at6native29vectorized_elementwise_kernelILi4ENS0_13AUnaryFunctorIiiiZNS0_12_GLOBAL__N_121threshold_kernel_implIiEEvRNS_18TensorIteratorBaseET_S7_EUliiE_EESt5arrayIPcLm2EEEEviT0_T1_.num_named_barrier, 0
	.set _ZN2at6native29vectorized_elementwise_kernelILi4ENS0_13AUnaryFunctorIiiiZNS0_12_GLOBAL__N_121threshold_kernel_implIiEEvRNS_18TensorIteratorBaseET_S7_EUliiE_EESt5arrayIPcLm2EEEEviT0_T1_.private_seg_size, 0
	.set _ZN2at6native29vectorized_elementwise_kernelILi4ENS0_13AUnaryFunctorIiiiZNS0_12_GLOBAL__N_121threshold_kernel_implIiEEvRNS_18TensorIteratorBaseET_S7_EUliiE_EESt5arrayIPcLm2EEEEviT0_T1_.uses_vcc, 1
	.set _ZN2at6native29vectorized_elementwise_kernelILi4ENS0_13AUnaryFunctorIiiiZNS0_12_GLOBAL__N_121threshold_kernel_implIiEEvRNS_18TensorIteratorBaseET_S7_EUliiE_EESt5arrayIPcLm2EEEEviT0_T1_.uses_flat_scratch, 0
	.set _ZN2at6native29vectorized_elementwise_kernelILi4ENS0_13AUnaryFunctorIiiiZNS0_12_GLOBAL__N_121threshold_kernel_implIiEEvRNS_18TensorIteratorBaseET_S7_EUliiE_EESt5arrayIPcLm2EEEEviT0_T1_.has_dyn_sized_stack, 0
	.set _ZN2at6native29vectorized_elementwise_kernelILi4ENS0_13AUnaryFunctorIiiiZNS0_12_GLOBAL__N_121threshold_kernel_implIiEEvRNS_18TensorIteratorBaseET_S7_EUliiE_EESt5arrayIPcLm2EEEEviT0_T1_.has_recursion, 0
	.set _ZN2at6native29vectorized_elementwise_kernelILi4ENS0_13AUnaryFunctorIiiiZNS0_12_GLOBAL__N_121threshold_kernel_implIiEEvRNS_18TensorIteratorBaseET_S7_EUliiE_EESt5arrayIPcLm2EEEEviT0_T1_.has_indirect_call, 0
	.section	.AMDGPU.csdata,"",@progbits
; Kernel info:
; codeLenInByte = 744
; TotalNumSgprs: 22
; NumVgprs: 10
; ScratchSize: 0
; MemoryBound: 0
; FloatMode: 240
; IeeeMode: 1
; LDSByteSize: 0 bytes/workgroup (compile time only)
; SGPRBlocks: 2
; VGPRBlocks: 2
; NumSGPRsForWavesPerEU: 22
; NumVGPRsForWavesPerEU: 10
; Occupancy: 10
; WaveLimiterHint : 0
; COMPUTE_PGM_RSRC2:SCRATCH_EN: 0
; COMPUTE_PGM_RSRC2:USER_SGPR: 6
; COMPUTE_PGM_RSRC2:TRAP_HANDLER: 0
; COMPUTE_PGM_RSRC2:TGID_X_EN: 1
; COMPUTE_PGM_RSRC2:TGID_Y_EN: 0
; COMPUTE_PGM_RSRC2:TGID_Z_EN: 0
; COMPUTE_PGM_RSRC2:TIDIG_COMP_CNT: 0
	.section	.text._ZN2at6native29vectorized_elementwise_kernelILi2ENS0_13AUnaryFunctorIiiiZNS0_12_GLOBAL__N_121threshold_kernel_implIiEEvRNS_18TensorIteratorBaseET_S7_EUliiE_EESt5arrayIPcLm2EEEEviT0_T1_,"axG",@progbits,_ZN2at6native29vectorized_elementwise_kernelILi2ENS0_13AUnaryFunctorIiiiZNS0_12_GLOBAL__N_121threshold_kernel_implIiEEvRNS_18TensorIteratorBaseET_S7_EUliiE_EESt5arrayIPcLm2EEEEviT0_T1_,comdat
	.globl	_ZN2at6native29vectorized_elementwise_kernelILi2ENS0_13AUnaryFunctorIiiiZNS0_12_GLOBAL__N_121threshold_kernel_implIiEEvRNS_18TensorIteratorBaseET_S7_EUliiE_EESt5arrayIPcLm2EEEEviT0_T1_ ; -- Begin function _ZN2at6native29vectorized_elementwise_kernelILi2ENS0_13AUnaryFunctorIiiiZNS0_12_GLOBAL__N_121threshold_kernel_implIiEEvRNS_18TensorIteratorBaseET_S7_EUliiE_EESt5arrayIPcLm2EEEEviT0_T1_
	.p2align	8
	.type	_ZN2at6native29vectorized_elementwise_kernelILi2ENS0_13AUnaryFunctorIiiiZNS0_12_GLOBAL__N_121threshold_kernel_implIiEEvRNS_18TensorIteratorBaseET_S7_EUliiE_EESt5arrayIPcLm2EEEEviT0_T1_,@function
_ZN2at6native29vectorized_elementwise_kernelILi2ENS0_13AUnaryFunctorIiiiZNS0_12_GLOBAL__N_121threshold_kernel_implIiEEvRNS_18TensorIteratorBaseET_S7_EUliiE_EESt5arrayIPcLm2EEEEviT0_T1_: ; @_ZN2at6native29vectorized_elementwise_kernelILi2ENS0_13AUnaryFunctorIiiiZNS0_12_GLOBAL__N_121threshold_kernel_implIiEEvRNS_18TensorIteratorBaseET_S7_EUliiE_EESt5arrayIPcLm2EEEEviT0_T1_
; %bb.0:
	s_load_dwordx8 s[8:15], s[4:5], 0x0
	s_lshl_b32 s4, s6, 10
	s_mov_b64 s[0:1], -1
	s_waitcnt lgkmcnt(0)
	s_sub_i32 s8, s8, s4
	s_cmpk_gt_i32 s8, 0x3ff
	s_cbranch_scc0 .LBB51_2
; %bb.1:
	s_ashr_i32 s5, s4, 31
	s_lshl_b64 s[0:1], s[4:5], 2
	s_add_u32 s2, s14, s0
	s_addc_u32 s3, s15, s1
	v_lshlrev_b32_e32 v5, 3, v0
	global_load_dwordx2 v[1:2], v5, s[2:3]
	global_load_dwordx2 v[3:4], v5, s[2:3] offset:2048
	s_cmp_gt_i32 s11, s9
	v_mov_b32_e32 v6, s10
	s_cselect_b64 vcc, -1, 0
	s_add_u32 s0, s12, s0
	s_addc_u32 s1, s13, s1
	s_waitcnt vmcnt(1)
	v_cndmask_b32_e32 v1, v6, v1, vcc
	v_cndmask_b32_e32 v2, v6, v2, vcc
	s_waitcnt vmcnt(0)
	v_cndmask_b32_e32 v3, v6, v3, vcc
	v_cndmask_b32_e32 v4, v6, v4, vcc
	global_store_dwordx2 v5, v[1:2], s[0:1]
	global_store_dwordx2 v5, v[3:4], s[0:1] offset:2048
	s_mov_b64 s[0:1], 0
.LBB51_2:
	s_andn2_b64 vcc, exec, s[0:1]
	s_cbranch_vccnz .LBB51_16
; %bb.3:
	v_cmp_gt_i32_e32 vcc, s8, v0
	v_or_b32_e32 v6, 0x100, v0
	v_mov_b32_e32 v8, 0
	v_or_b32_e32 v1, s4, v0
	v_mov_b32_e32 v3, 0
	v_mov_b32_e32 v2, 0
	;; [unrolled: 1-line block ×3, first 2 shown]
	s_and_saveexec_b64 s[2:3], vcc
	s_cbranch_execz .LBB51_11
; %bb.4:
	v_mov_b32_e32 v2, 0
	v_lshlrev_b64 v[3:4], 2, v[1:2]
	v_mov_b32_e32 v5, s15
	v_add_co_u32_e64 v3, s[0:1], s14, v3
	v_addc_co_u32_e64 v4, s[0:1], v5, v4, s[0:1]
	global_load_dword v7, v[3:4], off
	v_cmp_gt_u32_e64 s[0:1], s8, v6
	v_mov_b32_e32 v3, v2
	v_mov_b32_e32 v8, v2
	s_and_saveexec_b64 s[6:7], s[0:1]
	s_cbranch_execz .LBB51_10
; %bb.5:
	v_add_u32_e32 v2, s4, v0
	v_mov_b32_e32 v3, 0
	v_lshlrev_b64 v[4:5], 2, v[2:3]
	v_mov_b32_e32 v2, s15
	v_add_co_u32_e64 v4, s[0:1], s14, v4
	v_addc_co_u32_e64 v5, s[0:1], v2, v5, s[0:1]
	global_load_dword v2, v[4:5], off offset:1024
	v_or_b32_e32 v8, 0x200, v0
	v_cmp_gt_u32_e64 s[0:1], s8, v8
	v_mov_b32_e32 v8, v3
	s_and_saveexec_b64 s[14:15], s[0:1]
	s_cbranch_execz .LBB51_9
; %bb.6:
	global_load_dword v3, v[4:5], off offset:2048
	v_or_b32_e32 v8, 0x300, v0
	v_cmp_gt_u32_e64 s[0:1], s8, v8
	v_mov_b32_e32 v8, 0
	s_and_saveexec_b64 s[16:17], s[0:1]
	s_cbranch_execz .LBB51_8
; %bb.7:
	global_load_dword v8, v[4:5], off offset:3072
.LBB51_8:
	s_or_b64 exec, exec, s[16:17]
.LBB51_9:
	s_or_b64 exec, exec, s[14:15]
.LBB51_10:
	s_or_b64 exec, exec, s[6:7]
.LBB51_11:
	s_or_b64 exec, exec, s[2:3]
	s_cmp_gt_i32 s11, s9
	v_mov_b32_e32 v9, s10
	s_cselect_b64 s[0:1], -1, 0
	s_waitcnt vmcnt(0)
	v_cndmask_b32_e64 v2, v9, v2, s[0:1]
	v_cmp_gt_i32_e64 s[2:3], s8, v6
	v_cndmask_b32_e64 v5, 0, v2, s[2:3]
	v_or_b32_e32 v2, 0x200, v0
	v_cndmask_b32_e64 v4, v9, v7, s[0:1]
	v_cndmask_b32_e64 v3, v9, v3, s[0:1]
	v_cmp_gt_i32_e64 s[2:3], s8, v2
	v_or_b32_e32 v2, 0x300, v0
	v_cndmask_b32_e32 v7, 0, v4, vcc
	v_cndmask_b32_e64 v4, 0, v3, s[2:3]
	v_cndmask_b32_e64 v3, v9, v8, s[0:1]
	v_cmp_gt_i32_e64 s[0:1], s8, v2
	v_cndmask_b32_e64 v3, 0, v3, s[0:1]
	s_and_saveexec_b64 s[0:1], vcc
	s_cbranch_execnz .LBB51_17
; %bb.12:
	s_or_b64 exec, exec, s[0:1]
	v_cmp_gt_i32_e32 vcc, s8, v0
	s_and_saveexec_b64 s[0:1], vcc
	s_cbranch_execnz .LBB51_18
.LBB51_13:
	s_or_b64 exec, exec, s[0:1]
	v_cmp_gt_i32_e32 vcc, s8, v0
	s_and_saveexec_b64 s[0:1], vcc
	s_cbranch_execnz .LBB51_19
.LBB51_14:
	s_or_b64 exec, exec, s[0:1]
	v_cmp_gt_i32_e32 vcc, s8, v0
	s_and_saveexec_b64 s[0:1], vcc
	s_cbranch_execz .LBB51_16
.LBB51_15:
	v_add_u32_e32 v0, s4, v0
	v_mov_b32_e32 v1, 0
	v_lshlrev_b64 v[0:1], 2, v[0:1]
	v_mov_b32_e32 v2, s13
	v_add_co_u32_e32 v0, vcc, s12, v0
	v_addc_co_u32_e32 v1, vcc, v2, v1, vcc
	global_store_dword v[0:1], v3, off
.LBB51_16:
	s_endpgm
.LBB51_17:
	v_mov_b32_e32 v2, 0
	v_lshlrev_b64 v[0:1], 2, v[1:2]
	v_mov_b32_e32 v2, s13
	v_add_co_u32_e32 v0, vcc, s12, v0
	v_addc_co_u32_e32 v1, vcc, v2, v1, vcc
	global_store_dword v[0:1], v7, off
	v_mov_b32_e32 v0, v6
	s_or_b64 exec, exec, s[0:1]
	v_cmp_gt_i32_e32 vcc, s8, v0
	s_and_saveexec_b64 s[0:1], vcc
	s_cbranch_execz .LBB51_13
.LBB51_18:
	v_add_u32_e32 v1, s4, v0
	v_mov_b32_e32 v2, 0
	v_lshlrev_b64 v[1:2], 2, v[1:2]
	v_mov_b32_e32 v6, s13
	v_add_co_u32_e32 v1, vcc, s12, v1
	v_addc_co_u32_e32 v2, vcc, v6, v2, vcc
	v_add_u32_e32 v0, 0x100, v0
	global_store_dword v[1:2], v5, off
	s_or_b64 exec, exec, s[0:1]
	v_cmp_gt_i32_e32 vcc, s8, v0
	s_and_saveexec_b64 s[0:1], vcc
	s_cbranch_execz .LBB51_14
.LBB51_19:
	v_add_u32_e32 v1, s4, v0
	v_mov_b32_e32 v2, 0
	v_lshlrev_b64 v[1:2], 2, v[1:2]
	v_mov_b32_e32 v5, s13
	v_add_co_u32_e32 v1, vcc, s12, v1
	v_addc_co_u32_e32 v2, vcc, v5, v2, vcc
	v_add_u32_e32 v0, 0x100, v0
	global_store_dword v[1:2], v4, off
	s_or_b64 exec, exec, s[0:1]
	v_cmp_gt_i32_e32 vcc, s8, v0
	s_and_saveexec_b64 s[0:1], vcc
	s_cbranch_execnz .LBB51_15
	s_branch .LBB51_16
	.section	.rodata,"a",@progbits
	.p2align	6, 0x0
	.amdhsa_kernel _ZN2at6native29vectorized_elementwise_kernelILi2ENS0_13AUnaryFunctorIiiiZNS0_12_GLOBAL__N_121threshold_kernel_implIiEEvRNS_18TensorIteratorBaseET_S7_EUliiE_EESt5arrayIPcLm2EEEEviT0_T1_
		.amdhsa_group_segment_fixed_size 0
		.amdhsa_private_segment_fixed_size 0
		.amdhsa_kernarg_size 32
		.amdhsa_user_sgpr_count 6
		.amdhsa_user_sgpr_private_segment_buffer 1
		.amdhsa_user_sgpr_dispatch_ptr 0
		.amdhsa_user_sgpr_queue_ptr 0
		.amdhsa_user_sgpr_kernarg_segment_ptr 1
		.amdhsa_user_sgpr_dispatch_id 0
		.amdhsa_user_sgpr_flat_scratch_init 0
		.amdhsa_user_sgpr_private_segment_size 0
		.amdhsa_uses_dynamic_stack 0
		.amdhsa_system_sgpr_private_segment_wavefront_offset 0
		.amdhsa_system_sgpr_workgroup_id_x 1
		.amdhsa_system_sgpr_workgroup_id_y 0
		.amdhsa_system_sgpr_workgroup_id_z 0
		.amdhsa_system_sgpr_workgroup_info 0
		.amdhsa_system_vgpr_workitem_id 0
		.amdhsa_next_free_vgpr 10
		.amdhsa_next_free_sgpr 18
		.amdhsa_reserve_vcc 1
		.amdhsa_reserve_flat_scratch 0
		.amdhsa_float_round_mode_32 0
		.amdhsa_float_round_mode_16_64 0
		.amdhsa_float_denorm_mode_32 3
		.amdhsa_float_denorm_mode_16_64 3
		.amdhsa_dx10_clamp 1
		.amdhsa_ieee_mode 1
		.amdhsa_fp16_overflow 0
		.amdhsa_exception_fp_ieee_invalid_op 0
		.amdhsa_exception_fp_denorm_src 0
		.amdhsa_exception_fp_ieee_div_zero 0
		.amdhsa_exception_fp_ieee_overflow 0
		.amdhsa_exception_fp_ieee_underflow 0
		.amdhsa_exception_fp_ieee_inexact 0
		.amdhsa_exception_int_div_zero 0
	.end_amdhsa_kernel
	.section	.text._ZN2at6native29vectorized_elementwise_kernelILi2ENS0_13AUnaryFunctorIiiiZNS0_12_GLOBAL__N_121threshold_kernel_implIiEEvRNS_18TensorIteratorBaseET_S7_EUliiE_EESt5arrayIPcLm2EEEEviT0_T1_,"axG",@progbits,_ZN2at6native29vectorized_elementwise_kernelILi2ENS0_13AUnaryFunctorIiiiZNS0_12_GLOBAL__N_121threshold_kernel_implIiEEvRNS_18TensorIteratorBaseET_S7_EUliiE_EESt5arrayIPcLm2EEEEviT0_T1_,comdat
.Lfunc_end51:
	.size	_ZN2at6native29vectorized_elementwise_kernelILi2ENS0_13AUnaryFunctorIiiiZNS0_12_GLOBAL__N_121threshold_kernel_implIiEEvRNS_18TensorIteratorBaseET_S7_EUliiE_EESt5arrayIPcLm2EEEEviT0_T1_, .Lfunc_end51-_ZN2at6native29vectorized_elementwise_kernelILi2ENS0_13AUnaryFunctorIiiiZNS0_12_GLOBAL__N_121threshold_kernel_implIiEEvRNS_18TensorIteratorBaseET_S7_EUliiE_EESt5arrayIPcLm2EEEEviT0_T1_
                                        ; -- End function
	.set _ZN2at6native29vectorized_elementwise_kernelILi2ENS0_13AUnaryFunctorIiiiZNS0_12_GLOBAL__N_121threshold_kernel_implIiEEvRNS_18TensorIteratorBaseET_S7_EUliiE_EESt5arrayIPcLm2EEEEviT0_T1_.num_vgpr, 10
	.set _ZN2at6native29vectorized_elementwise_kernelILi2ENS0_13AUnaryFunctorIiiiZNS0_12_GLOBAL__N_121threshold_kernel_implIiEEvRNS_18TensorIteratorBaseET_S7_EUliiE_EESt5arrayIPcLm2EEEEviT0_T1_.num_agpr, 0
	.set _ZN2at6native29vectorized_elementwise_kernelILi2ENS0_13AUnaryFunctorIiiiZNS0_12_GLOBAL__N_121threshold_kernel_implIiEEvRNS_18TensorIteratorBaseET_S7_EUliiE_EESt5arrayIPcLm2EEEEviT0_T1_.numbered_sgpr, 18
	.set _ZN2at6native29vectorized_elementwise_kernelILi2ENS0_13AUnaryFunctorIiiiZNS0_12_GLOBAL__N_121threshold_kernel_implIiEEvRNS_18TensorIteratorBaseET_S7_EUliiE_EESt5arrayIPcLm2EEEEviT0_T1_.num_named_barrier, 0
	.set _ZN2at6native29vectorized_elementwise_kernelILi2ENS0_13AUnaryFunctorIiiiZNS0_12_GLOBAL__N_121threshold_kernel_implIiEEvRNS_18TensorIteratorBaseET_S7_EUliiE_EESt5arrayIPcLm2EEEEviT0_T1_.private_seg_size, 0
	.set _ZN2at6native29vectorized_elementwise_kernelILi2ENS0_13AUnaryFunctorIiiiZNS0_12_GLOBAL__N_121threshold_kernel_implIiEEvRNS_18TensorIteratorBaseET_S7_EUliiE_EESt5arrayIPcLm2EEEEviT0_T1_.uses_vcc, 1
	.set _ZN2at6native29vectorized_elementwise_kernelILi2ENS0_13AUnaryFunctorIiiiZNS0_12_GLOBAL__N_121threshold_kernel_implIiEEvRNS_18TensorIteratorBaseET_S7_EUliiE_EESt5arrayIPcLm2EEEEviT0_T1_.uses_flat_scratch, 0
	.set _ZN2at6native29vectorized_elementwise_kernelILi2ENS0_13AUnaryFunctorIiiiZNS0_12_GLOBAL__N_121threshold_kernel_implIiEEvRNS_18TensorIteratorBaseET_S7_EUliiE_EESt5arrayIPcLm2EEEEviT0_T1_.has_dyn_sized_stack, 0
	.set _ZN2at6native29vectorized_elementwise_kernelILi2ENS0_13AUnaryFunctorIiiiZNS0_12_GLOBAL__N_121threshold_kernel_implIiEEvRNS_18TensorIteratorBaseET_S7_EUliiE_EESt5arrayIPcLm2EEEEviT0_T1_.has_recursion, 0
	.set _ZN2at6native29vectorized_elementwise_kernelILi2ENS0_13AUnaryFunctorIiiiZNS0_12_GLOBAL__N_121threshold_kernel_implIiEEvRNS_18TensorIteratorBaseET_S7_EUliiE_EESt5arrayIPcLm2EEEEviT0_T1_.has_indirect_call, 0
	.section	.AMDGPU.csdata,"",@progbits
; Kernel info:
; codeLenInByte = 764
; TotalNumSgprs: 22
; NumVgprs: 10
; ScratchSize: 0
; MemoryBound: 0
; FloatMode: 240
; IeeeMode: 1
; LDSByteSize: 0 bytes/workgroup (compile time only)
; SGPRBlocks: 2
; VGPRBlocks: 2
; NumSGPRsForWavesPerEU: 22
; NumVGPRsForWavesPerEU: 10
; Occupancy: 10
; WaveLimiterHint : 1
; COMPUTE_PGM_RSRC2:SCRATCH_EN: 0
; COMPUTE_PGM_RSRC2:USER_SGPR: 6
; COMPUTE_PGM_RSRC2:TRAP_HANDLER: 0
; COMPUTE_PGM_RSRC2:TGID_X_EN: 1
; COMPUTE_PGM_RSRC2:TGID_Y_EN: 0
; COMPUTE_PGM_RSRC2:TGID_Z_EN: 0
; COMPUTE_PGM_RSRC2:TIDIG_COMP_CNT: 0
	.section	.text._ZN2at6native27unrolled_elementwise_kernelINS0_13AUnaryFunctorIiiiZNS0_12_GLOBAL__N_121threshold_kernel_implIiEEvRNS_18TensorIteratorBaseET_S7_EUliiE_EESt5arrayIPcLm2EELi4E23TrivialOffsetCalculatorILi1EjESE_NS0_6memory15LoadWithoutCastENSF_16StoreWithoutCastEEEviS7_T0_T2_T3_T4_T5_,"axG",@progbits,_ZN2at6native27unrolled_elementwise_kernelINS0_13AUnaryFunctorIiiiZNS0_12_GLOBAL__N_121threshold_kernel_implIiEEvRNS_18TensorIteratorBaseET_S7_EUliiE_EESt5arrayIPcLm2EELi4E23TrivialOffsetCalculatorILi1EjESE_NS0_6memory15LoadWithoutCastENSF_16StoreWithoutCastEEEviS7_T0_T2_T3_T4_T5_,comdat
	.globl	_ZN2at6native27unrolled_elementwise_kernelINS0_13AUnaryFunctorIiiiZNS0_12_GLOBAL__N_121threshold_kernel_implIiEEvRNS_18TensorIteratorBaseET_S7_EUliiE_EESt5arrayIPcLm2EELi4E23TrivialOffsetCalculatorILi1EjESE_NS0_6memory15LoadWithoutCastENSF_16StoreWithoutCastEEEviS7_T0_T2_T3_T4_T5_ ; -- Begin function _ZN2at6native27unrolled_elementwise_kernelINS0_13AUnaryFunctorIiiiZNS0_12_GLOBAL__N_121threshold_kernel_implIiEEvRNS_18TensorIteratorBaseET_S7_EUliiE_EESt5arrayIPcLm2EELi4E23TrivialOffsetCalculatorILi1EjESE_NS0_6memory15LoadWithoutCastENSF_16StoreWithoutCastEEEviS7_T0_T2_T3_T4_T5_
	.p2align	8
	.type	_ZN2at6native27unrolled_elementwise_kernelINS0_13AUnaryFunctorIiiiZNS0_12_GLOBAL__N_121threshold_kernel_implIiEEvRNS_18TensorIteratorBaseET_S7_EUliiE_EESt5arrayIPcLm2EELi4E23TrivialOffsetCalculatorILi1EjESE_NS0_6memory15LoadWithoutCastENSF_16StoreWithoutCastEEEviS7_T0_T2_T3_T4_T5_,@function
_ZN2at6native27unrolled_elementwise_kernelINS0_13AUnaryFunctorIiiiZNS0_12_GLOBAL__N_121threshold_kernel_implIiEEvRNS_18TensorIteratorBaseET_S7_EUliiE_EESt5arrayIPcLm2EELi4E23TrivialOffsetCalculatorILi1EjESE_NS0_6memory15LoadWithoutCastENSF_16StoreWithoutCastEEEviS7_T0_T2_T3_T4_T5_: ; @_ZN2at6native27unrolled_elementwise_kernelINS0_13AUnaryFunctorIiiiZNS0_12_GLOBAL__N_121threshold_kernel_implIiEEvRNS_18TensorIteratorBaseET_S7_EUliiE_EESt5arrayIPcLm2EELi4E23TrivialOffsetCalculatorILi1EjESE_NS0_6memory15LoadWithoutCastENSF_16StoreWithoutCastEEEviS7_T0_T2_T3_T4_T5_
; %bb.0:
	s_load_dwordx8 s[8:15], s[4:5], 0x0
	s_lshl_b32 s18, s6, 10
	v_mov_b32_e32 v4, 0
	v_or_b32_e32 v5, 0x100, v0
	v_or_b32_e32 v1, s18, v0
	s_waitcnt lgkmcnt(0)
	s_sub_i32 s8, s8, s18
	v_cmp_gt_i32_e32 vcc, s8, v0
	v_mov_b32_e32 v3, 0
	v_mov_b32_e32 v2, v4
	;; [unrolled: 1-line block ×3, first 2 shown]
	s_and_saveexec_b64 s[2:3], vcc
	s_cbranch_execz .LBB52_8
; %bb.1:
	v_mov_b32_e32 v2, 0
	v_lshlrev_b64 v[3:4], 2, v[1:2]
	v_mov_b32_e32 v6, s15
	v_add_co_u32_e64 v3, s[0:1], s14, v3
	v_addc_co_u32_e64 v4, s[0:1], v6, v4, s[0:1]
	global_load_dword v6, v[3:4], off
	v_cmp_gt_u32_e64 s[0:1], s8, v5
	v_mov_b32_e32 v3, v2
	v_mov_b32_e32 v4, v2
	s_and_saveexec_b64 s[4:5], s[0:1]
	s_cbranch_execz .LBB52_7
; %bb.2:
	v_add_u32_e32 v2, s18, v5
	v_mov_b32_e32 v3, 0
	v_lshlrev_b64 v[7:8], 2, v[2:3]
	v_mov_b32_e32 v2, s15
	v_add_co_u32_e64 v7, s[0:1], s14, v7
	v_addc_co_u32_e64 v8, s[0:1], v2, v8, s[0:1]
	global_load_dword v2, v[7:8], off
	v_or_b32_e32 v7, 0x200, v0
	v_cmp_gt_u32_e64 s[0:1], s8, v7
	v_mov_b32_e32 v4, v3
	s_and_saveexec_b64 s[6:7], s[0:1]
	s_cbranch_execz .LBB52_6
; %bb.3:
	v_add_u32_e32 v3, s18, v7
	v_mov_b32_e32 v4, 0
	v_lshlrev_b64 v[7:8], 2, v[3:4]
	v_mov_b32_e32 v3, s15
	v_add_co_u32_e64 v7, s[0:1], s14, v7
	v_addc_co_u32_e64 v8, s[0:1], v3, v8, s[0:1]
	global_load_dword v3, v[7:8], off
	v_or_b32_e32 v7, 0x300, v0
	v_cmp_gt_u32_e64 s[0:1], s8, v7
	s_and_saveexec_b64 s[16:17], s[0:1]
	s_cbranch_execz .LBB52_5
; %bb.4:
	v_add_u32_e32 v7, s18, v7
	v_mov_b32_e32 v8, 0
	v_lshlrev_b64 v[7:8], 2, v[7:8]
	v_mov_b32_e32 v4, s15
	v_add_co_u32_e64 v7, s[0:1], s14, v7
	v_addc_co_u32_e64 v8, s[0:1], v4, v8, s[0:1]
	global_load_dword v4, v[7:8], off
.LBB52_5:
	s_or_b64 exec, exec, s[16:17]
.LBB52_6:
	s_or_b64 exec, exec, s[6:7]
.LBB52_7:
	s_or_b64 exec, exec, s[4:5]
.LBB52_8:
	s_or_b64 exec, exec, s[2:3]
	s_cmp_gt_i32 s11, s9
	v_mov_b32_e32 v9, s10
	s_cselect_b64 s[0:1], -1, 0
	s_waitcnt vmcnt(0)
	v_cndmask_b32_e64 v2, v9, v2, s[0:1]
	v_cmp_gt_i32_e64 s[2:3], s8, v5
	v_cndmask_b32_e64 v7, 0, v2, s[2:3]
	v_or_b32_e32 v2, 0x200, v0
	v_cndmask_b32_e64 v6, v9, v6, s[0:1]
	v_cndmask_b32_e64 v3, v9, v3, s[0:1]
	v_cmp_gt_i32_e64 s[2:3], s8, v2
	v_or_b32_e32 v2, 0x300, v0
	v_cndmask_b32_e32 v8, 0, v6, vcc
	v_cndmask_b32_e64 v6, 0, v3, s[2:3]
	v_cndmask_b32_e64 v3, v9, v4, s[0:1]
	v_cmp_gt_i32_e64 s[0:1], s8, v2
	v_cndmask_b32_e64 v3, 0, v3, s[0:1]
	s_and_saveexec_b64 s[0:1], vcc
	s_cbranch_execnz .LBB52_13
; %bb.9:
	s_or_b64 exec, exec, s[0:1]
	v_cmp_gt_i32_e32 vcc, s8, v0
	s_and_saveexec_b64 s[0:1], vcc
	s_cbranch_execnz .LBB52_14
.LBB52_10:
	s_or_b64 exec, exec, s[0:1]
	v_cmp_gt_i32_e32 vcc, s8, v0
	s_and_saveexec_b64 s[0:1], vcc
	s_cbranch_execnz .LBB52_15
.LBB52_11:
	s_or_b64 exec, exec, s[0:1]
	v_cmp_gt_i32_e32 vcc, s8, v0
	s_and_saveexec_b64 s[0:1], vcc
	s_cbranch_execnz .LBB52_16
.LBB52_12:
	s_endpgm
.LBB52_13:
	v_mov_b32_e32 v2, 0
	v_lshlrev_b64 v[0:1], 2, v[1:2]
	v_mov_b32_e32 v2, s13
	v_add_co_u32_e32 v0, vcc, s12, v0
	v_addc_co_u32_e32 v1, vcc, v2, v1, vcc
	global_store_dword v[0:1], v8, off
	v_mov_b32_e32 v0, v5
	s_or_b64 exec, exec, s[0:1]
	v_cmp_gt_i32_e32 vcc, s8, v0
	s_and_saveexec_b64 s[0:1], vcc
	s_cbranch_execz .LBB52_10
.LBB52_14:
	v_add_u32_e32 v2, 0x100, v0
	v_add_u32_e32 v0, s18, v0
	v_mov_b32_e32 v1, 0
	v_lshlrev_b64 v[0:1], 2, v[0:1]
	v_mov_b32_e32 v4, s13
	v_add_co_u32_e32 v0, vcc, s12, v0
	v_addc_co_u32_e32 v1, vcc, v4, v1, vcc
	global_store_dword v[0:1], v7, off
	v_mov_b32_e32 v0, v2
	s_or_b64 exec, exec, s[0:1]
	v_cmp_gt_i32_e32 vcc, s8, v0
	s_and_saveexec_b64 s[0:1], vcc
	s_cbranch_execz .LBB52_11
.LBB52_15:
	v_add_u32_e32 v2, 0x100, v0
	v_add_u32_e32 v0, s18, v0
	v_mov_b32_e32 v1, 0
	v_lshlrev_b64 v[0:1], 2, v[0:1]
	v_mov_b32_e32 v4, s13
	v_add_co_u32_e32 v0, vcc, s12, v0
	v_addc_co_u32_e32 v1, vcc, v4, v1, vcc
	global_store_dword v[0:1], v6, off
	v_mov_b32_e32 v0, v2
	s_or_b64 exec, exec, s[0:1]
	v_cmp_gt_i32_e32 vcc, s8, v0
	s_and_saveexec_b64 s[0:1], vcc
	s_cbranch_execz .LBB52_12
.LBB52_16:
	v_add_u32_e32 v0, s18, v0
	v_mov_b32_e32 v1, 0
	v_lshlrev_b64 v[0:1], 2, v[0:1]
	v_mov_b32_e32 v2, s13
	v_add_co_u32_e32 v0, vcc, s12, v0
	v_addc_co_u32_e32 v1, vcc, v2, v1, vcc
	global_store_dword v[0:1], v3, off
	s_endpgm
	.section	.rodata,"a",@progbits
	.p2align	6, 0x0
	.amdhsa_kernel _ZN2at6native27unrolled_elementwise_kernelINS0_13AUnaryFunctorIiiiZNS0_12_GLOBAL__N_121threshold_kernel_implIiEEvRNS_18TensorIteratorBaseET_S7_EUliiE_EESt5arrayIPcLm2EELi4E23TrivialOffsetCalculatorILi1EjESE_NS0_6memory15LoadWithoutCastENSF_16StoreWithoutCastEEEviS7_T0_T2_T3_T4_T5_
		.amdhsa_group_segment_fixed_size 0
		.amdhsa_private_segment_fixed_size 0
		.amdhsa_kernarg_size 36
		.amdhsa_user_sgpr_count 6
		.amdhsa_user_sgpr_private_segment_buffer 1
		.amdhsa_user_sgpr_dispatch_ptr 0
		.amdhsa_user_sgpr_queue_ptr 0
		.amdhsa_user_sgpr_kernarg_segment_ptr 1
		.amdhsa_user_sgpr_dispatch_id 0
		.amdhsa_user_sgpr_flat_scratch_init 0
		.amdhsa_user_sgpr_private_segment_size 0
		.amdhsa_uses_dynamic_stack 0
		.amdhsa_system_sgpr_private_segment_wavefront_offset 0
		.amdhsa_system_sgpr_workgroup_id_x 1
		.amdhsa_system_sgpr_workgroup_id_y 0
		.amdhsa_system_sgpr_workgroup_id_z 0
		.amdhsa_system_sgpr_workgroup_info 0
		.amdhsa_system_vgpr_workitem_id 0
		.amdhsa_next_free_vgpr 10
		.amdhsa_next_free_sgpr 19
		.amdhsa_reserve_vcc 1
		.amdhsa_reserve_flat_scratch 0
		.amdhsa_float_round_mode_32 0
		.amdhsa_float_round_mode_16_64 0
		.amdhsa_float_denorm_mode_32 3
		.amdhsa_float_denorm_mode_16_64 3
		.amdhsa_dx10_clamp 1
		.amdhsa_ieee_mode 1
		.amdhsa_fp16_overflow 0
		.amdhsa_exception_fp_ieee_invalid_op 0
		.amdhsa_exception_fp_denorm_src 0
		.amdhsa_exception_fp_ieee_div_zero 0
		.amdhsa_exception_fp_ieee_overflow 0
		.amdhsa_exception_fp_ieee_underflow 0
		.amdhsa_exception_fp_ieee_inexact 0
		.amdhsa_exception_int_div_zero 0
	.end_amdhsa_kernel
	.section	.text._ZN2at6native27unrolled_elementwise_kernelINS0_13AUnaryFunctorIiiiZNS0_12_GLOBAL__N_121threshold_kernel_implIiEEvRNS_18TensorIteratorBaseET_S7_EUliiE_EESt5arrayIPcLm2EELi4E23TrivialOffsetCalculatorILi1EjESE_NS0_6memory15LoadWithoutCastENSF_16StoreWithoutCastEEEviS7_T0_T2_T3_T4_T5_,"axG",@progbits,_ZN2at6native27unrolled_elementwise_kernelINS0_13AUnaryFunctorIiiiZNS0_12_GLOBAL__N_121threshold_kernel_implIiEEvRNS_18TensorIteratorBaseET_S7_EUliiE_EESt5arrayIPcLm2EELi4E23TrivialOffsetCalculatorILi1EjESE_NS0_6memory15LoadWithoutCastENSF_16StoreWithoutCastEEEviS7_T0_T2_T3_T4_T5_,comdat
.Lfunc_end52:
	.size	_ZN2at6native27unrolled_elementwise_kernelINS0_13AUnaryFunctorIiiiZNS0_12_GLOBAL__N_121threshold_kernel_implIiEEvRNS_18TensorIteratorBaseET_S7_EUliiE_EESt5arrayIPcLm2EELi4E23TrivialOffsetCalculatorILi1EjESE_NS0_6memory15LoadWithoutCastENSF_16StoreWithoutCastEEEviS7_T0_T2_T3_T4_T5_, .Lfunc_end52-_ZN2at6native27unrolled_elementwise_kernelINS0_13AUnaryFunctorIiiiZNS0_12_GLOBAL__N_121threshold_kernel_implIiEEvRNS_18TensorIteratorBaseET_S7_EUliiE_EESt5arrayIPcLm2EELi4E23TrivialOffsetCalculatorILi1EjESE_NS0_6memory15LoadWithoutCastENSF_16StoreWithoutCastEEEviS7_T0_T2_T3_T4_T5_
                                        ; -- End function
	.set _ZN2at6native27unrolled_elementwise_kernelINS0_13AUnaryFunctorIiiiZNS0_12_GLOBAL__N_121threshold_kernel_implIiEEvRNS_18TensorIteratorBaseET_S7_EUliiE_EESt5arrayIPcLm2EELi4E23TrivialOffsetCalculatorILi1EjESE_NS0_6memory15LoadWithoutCastENSF_16StoreWithoutCastEEEviS7_T0_T2_T3_T4_T5_.num_vgpr, 10
	.set _ZN2at6native27unrolled_elementwise_kernelINS0_13AUnaryFunctorIiiiZNS0_12_GLOBAL__N_121threshold_kernel_implIiEEvRNS_18TensorIteratorBaseET_S7_EUliiE_EESt5arrayIPcLm2EELi4E23TrivialOffsetCalculatorILi1EjESE_NS0_6memory15LoadWithoutCastENSF_16StoreWithoutCastEEEviS7_T0_T2_T3_T4_T5_.num_agpr, 0
	.set _ZN2at6native27unrolled_elementwise_kernelINS0_13AUnaryFunctorIiiiZNS0_12_GLOBAL__N_121threshold_kernel_implIiEEvRNS_18TensorIteratorBaseET_S7_EUliiE_EESt5arrayIPcLm2EELi4E23TrivialOffsetCalculatorILi1EjESE_NS0_6memory15LoadWithoutCastENSF_16StoreWithoutCastEEEviS7_T0_T2_T3_T4_T5_.numbered_sgpr, 19
	.set _ZN2at6native27unrolled_elementwise_kernelINS0_13AUnaryFunctorIiiiZNS0_12_GLOBAL__N_121threshold_kernel_implIiEEvRNS_18TensorIteratorBaseET_S7_EUliiE_EESt5arrayIPcLm2EELi4E23TrivialOffsetCalculatorILi1EjESE_NS0_6memory15LoadWithoutCastENSF_16StoreWithoutCastEEEviS7_T0_T2_T3_T4_T5_.num_named_barrier, 0
	.set _ZN2at6native27unrolled_elementwise_kernelINS0_13AUnaryFunctorIiiiZNS0_12_GLOBAL__N_121threshold_kernel_implIiEEvRNS_18TensorIteratorBaseET_S7_EUliiE_EESt5arrayIPcLm2EELi4E23TrivialOffsetCalculatorILi1EjESE_NS0_6memory15LoadWithoutCastENSF_16StoreWithoutCastEEEviS7_T0_T2_T3_T4_T5_.private_seg_size, 0
	.set _ZN2at6native27unrolled_elementwise_kernelINS0_13AUnaryFunctorIiiiZNS0_12_GLOBAL__N_121threshold_kernel_implIiEEvRNS_18TensorIteratorBaseET_S7_EUliiE_EESt5arrayIPcLm2EELi4E23TrivialOffsetCalculatorILi1EjESE_NS0_6memory15LoadWithoutCastENSF_16StoreWithoutCastEEEviS7_T0_T2_T3_T4_T5_.uses_vcc, 1
	.set _ZN2at6native27unrolled_elementwise_kernelINS0_13AUnaryFunctorIiiiZNS0_12_GLOBAL__N_121threshold_kernel_implIiEEvRNS_18TensorIteratorBaseET_S7_EUliiE_EESt5arrayIPcLm2EELi4E23TrivialOffsetCalculatorILi1EjESE_NS0_6memory15LoadWithoutCastENSF_16StoreWithoutCastEEEviS7_T0_T2_T3_T4_T5_.uses_flat_scratch, 0
	.set _ZN2at6native27unrolled_elementwise_kernelINS0_13AUnaryFunctorIiiiZNS0_12_GLOBAL__N_121threshold_kernel_implIiEEvRNS_18TensorIteratorBaseET_S7_EUliiE_EESt5arrayIPcLm2EELi4E23TrivialOffsetCalculatorILi1EjESE_NS0_6memory15LoadWithoutCastENSF_16StoreWithoutCastEEEviS7_T0_T2_T3_T4_T5_.has_dyn_sized_stack, 0
	.set _ZN2at6native27unrolled_elementwise_kernelINS0_13AUnaryFunctorIiiiZNS0_12_GLOBAL__N_121threshold_kernel_implIiEEvRNS_18TensorIteratorBaseET_S7_EUliiE_EESt5arrayIPcLm2EELi4E23TrivialOffsetCalculatorILi1EjESE_NS0_6memory15LoadWithoutCastENSF_16StoreWithoutCastEEEviS7_T0_T2_T3_T4_T5_.has_recursion, 0
	.set _ZN2at6native27unrolled_elementwise_kernelINS0_13AUnaryFunctorIiiiZNS0_12_GLOBAL__N_121threshold_kernel_implIiEEvRNS_18TensorIteratorBaseET_S7_EUliiE_EESt5arrayIPcLm2EELi4E23TrivialOffsetCalculatorILi1EjESE_NS0_6memory15LoadWithoutCastENSF_16StoreWithoutCastEEEviS7_T0_T2_T3_T4_T5_.has_indirect_call, 0
	.section	.AMDGPU.csdata,"",@progbits
; Kernel info:
; codeLenInByte = 720
; TotalNumSgprs: 23
; NumVgprs: 10
; ScratchSize: 0
; MemoryBound: 0
; FloatMode: 240
; IeeeMode: 1
; LDSByteSize: 0 bytes/workgroup (compile time only)
; SGPRBlocks: 2
; VGPRBlocks: 2
; NumSGPRsForWavesPerEU: 23
; NumVGPRsForWavesPerEU: 10
; Occupancy: 10
; WaveLimiterHint : 0
; COMPUTE_PGM_RSRC2:SCRATCH_EN: 0
; COMPUTE_PGM_RSRC2:USER_SGPR: 6
; COMPUTE_PGM_RSRC2:TRAP_HANDLER: 0
; COMPUTE_PGM_RSRC2:TGID_X_EN: 1
; COMPUTE_PGM_RSRC2:TGID_Y_EN: 0
; COMPUTE_PGM_RSRC2:TGID_Z_EN: 0
; COMPUTE_PGM_RSRC2:TIDIG_COMP_CNT: 0
	.section	.text._ZN2at6native32elementwise_kernel_manual_unrollILi128ELi4EZNS0_22gpu_kernel_impl_nocastINS0_13AUnaryFunctorIiiiZNS0_12_GLOBAL__N_121threshold_kernel_implIiEEvRNS_18TensorIteratorBaseET_S8_EUliiE_EEEEvS7_RKS8_EUlibE_EEviT1_,"axG",@progbits,_ZN2at6native32elementwise_kernel_manual_unrollILi128ELi4EZNS0_22gpu_kernel_impl_nocastINS0_13AUnaryFunctorIiiiZNS0_12_GLOBAL__N_121threshold_kernel_implIiEEvRNS_18TensorIteratorBaseET_S8_EUliiE_EEEEvS7_RKS8_EUlibE_EEviT1_,comdat
	.globl	_ZN2at6native32elementwise_kernel_manual_unrollILi128ELi4EZNS0_22gpu_kernel_impl_nocastINS0_13AUnaryFunctorIiiiZNS0_12_GLOBAL__N_121threshold_kernel_implIiEEvRNS_18TensorIteratorBaseET_S8_EUliiE_EEEEvS7_RKS8_EUlibE_EEviT1_ ; -- Begin function _ZN2at6native32elementwise_kernel_manual_unrollILi128ELi4EZNS0_22gpu_kernel_impl_nocastINS0_13AUnaryFunctorIiiiZNS0_12_GLOBAL__N_121threshold_kernel_implIiEEvRNS_18TensorIteratorBaseET_S8_EUliiE_EEEEvS7_RKS8_EUlibE_EEviT1_
	.p2align	8
	.type	_ZN2at6native32elementwise_kernel_manual_unrollILi128ELi4EZNS0_22gpu_kernel_impl_nocastINS0_13AUnaryFunctorIiiiZNS0_12_GLOBAL__N_121threshold_kernel_implIiEEvRNS_18TensorIteratorBaseET_S8_EUliiE_EEEEvS7_RKS8_EUlibE_EEviT1_,@function
_ZN2at6native32elementwise_kernel_manual_unrollILi128ELi4EZNS0_22gpu_kernel_impl_nocastINS0_13AUnaryFunctorIiiiZNS0_12_GLOBAL__N_121threshold_kernel_implIiEEvRNS_18TensorIteratorBaseET_S8_EUliiE_EEEEvS7_RKS8_EUlibE_EEviT1_: ; @_ZN2at6native32elementwise_kernel_manual_unrollILi128ELi4EZNS0_22gpu_kernel_impl_nocastINS0_13AUnaryFunctorIiiiZNS0_12_GLOBAL__N_121threshold_kernel_implIiEEvRNS_18TensorIteratorBaseET_S8_EUliiE_EEEEvS7_RKS8_EUlibE_EEviT1_
; %bb.0:
	s_load_dword s59, s[4:5], 0x0
	s_load_dword s33, s[4:5], 0x8
	s_add_u32 s34, s4, 8
	s_addc_u32 s35, s5, 0
	v_lshl_or_b32 v7, s6, 9, v0
	v_or_b32_e32 v13, 0x180, v7
	s_waitcnt lgkmcnt(0)
	s_add_i32 s58, s33, -1
	s_cmp_gt_u32 s58, 1
	v_cmp_le_i32_e32 vcc, s59, v13
	s_cselect_b64 s[2:3], -1, 0
	s_and_saveexec_b64 s[0:1], vcc
	s_xor_b64 s[44:45], exec, s[0:1]
	s_cbranch_execz .LBB53_7
; %bb.1:
	s_cmp_lg_u32 s33, 0
	s_cselect_b64 s[52:53], -1, 0
	s_add_u32 s50, s34, 0xc4
	s_addc_u32 s51, s35, 0
	s_min_u32 s60, s58, 15
	s_load_dwordx8 s[4:11], s[34:35], 0x148
	s_load_dwordx4 s[36:39], s[34:35], 0x4
	s_load_dwordx2 s[46:47], s[34:35], 0x14
	s_load_dwordx4 s[28:31], s[34:35], 0xc4
	s_cmp_gt_u32 s33, 1
	s_cselect_b64 s[48:49], -1, 0
	s_waitcnt lgkmcnt(0)
	s_cmp_gt_i32 s10, s8
	s_cselect_b64 s[0:1], -1, 0
	v_cmp_gt_i32_e32 vcc, s59, v7
	s_and_saveexec_b64 s[10:11], vcc
	s_cbranch_execz .LBB53_14
; %bb.2:
	s_andn2_b64 vcc, exec, s[2:3]
	s_cbranch_vccnz .LBB53_21
; %bb.3:
	s_andn2_b64 vcc, exec, s[52:53]
	s_cbranch_vccnz .LBB53_73
; %bb.4:
	s_add_i32 s61, s60, 1
	s_cmp_eq_u32 s58, 2
	s_cbranch_scc1 .LBB53_75
; %bb.5:
	s_and_b32 s8, s61, 28
	v_mov_b32_e32 v2, 0
	s_mov_b32 s62, 0
	s_mov_b64 s[54:55], s[34:35]
	s_mov_b64 s[56:57], s[50:51]
	v_mov_b32_e32 v0, 0
	v_mov_b32_e32 v1, v7
.LBB53_6:                               ; =>This Inner Loop Header: Depth=1
	s_load_dwordx8 s[20:27], s[54:55], 0x4
	s_load_dwordx4 s[40:43], s[54:55], 0x24
	s_load_dwordx8 s[12:19], s[56:57], 0x0
	s_add_u32 s54, s54, 48
	s_addc_u32 s55, s55, 0
	s_waitcnt lgkmcnt(0)
	v_mul_hi_u32 v3, s21, v1
	s_add_i32 s62, s62, 4
	s_add_u32 s56, s56, 32
	s_addc_u32 s57, s57, 0
	v_add_u32_e32 v3, v1, v3
	v_lshrrev_b32_e32 v3, s22, v3
	v_mul_lo_u32 v4, v3, s20
	v_mul_hi_u32 v5, s24, v3
	s_cmp_lg_u32 s8, s62
	v_sub_u32_e32 v1, v1, v4
	v_add_u32_e32 v4, v3, v5
	v_mul_lo_u32 v5, v1, s12
	v_mul_lo_u32 v6, v1, s13
	v_lshrrev_b32_e32 v1, s25, v4
	v_mul_lo_u32 v4, v1, s23
	v_mul_hi_u32 v8, s27, v1
	v_sub_u32_e32 v3, v3, v4
	v_add_u32_e32 v4, v1, v8
	v_lshrrev_b32_e32 v4, s40, v4
	v_mul_hi_u32 v9, s42, v4
	v_mul_lo_u32 v10, v4, s26
	v_mul_lo_u32 v8, v3, s14
	;; [unrolled: 1-line block ×3, first 2 shown]
	v_sub_u32_e32 v10, v1, v10
	v_add_u32_e32 v1, v4, v9
	v_lshrrev_b32_e32 v1, s43, v1
	v_mul_lo_u32 v9, v1, s41
	v_mul_lo_u32 v11, v10, s16
	;; [unrolled: 1-line block ×3, first 2 shown]
	v_add3_u32 v0, v5, v0, v8
	v_sub_u32_e32 v4, v4, v9
	v_mul_lo_u32 v9, v4, s18
	v_mul_lo_u32 v4, v4, s19
	v_add3_u32 v2, v6, v2, v3
	v_add3_u32 v0, v11, v0, v9
	;; [unrolled: 1-line block ×3, first 2 shown]
	s_cbranch_scc1 .LBB53_6
	s_branch .LBB53_76
.LBB53_7:
	s_andn2_saveexec_b64 s[0:1], s[44:45]
	s_cbranch_execz .LBB53_101
.LBB53_8:
	v_cndmask_b32_e64 v0, 0, 1, s[2:3]
	v_cmp_ne_u32_e64 s[0:1], 1, v0
	s_andn2_b64 vcc, exec, s[2:3]
	s_cbranch_vccnz .LBB53_20
; %bb.9:
	s_cmp_lg_u32 s33, 0
	s_mov_b32 s26, 0
	s_cbranch_scc0 .LBB53_23
; %bb.10:
	s_min_u32 s27, s58, 15
	s_add_i32 s27, s27, 1
	s_cmp_eq_u32 s58, 2
	s_cbranch_scc1 .LBB53_24
; %bb.11:
	s_and_b32 s26, s27, 28
	s_add_u32 s2, s34, 0xc4
	s_addc_u32 s3, s35, 0
	v_mov_b32_e32 v2, 0
	s_mov_b32 s28, 0
	s_mov_b64 s[24:25], s[34:35]
	v_mov_b32_e32 v0, 0
	v_mov_b32_e32 v1, v7
.LBB53_12:                              ; =>This Inner Loop Header: Depth=1
	s_load_dwordx8 s[12:19], s[24:25], 0x4
	s_load_dwordx4 s[20:23], s[24:25], 0x24
	s_load_dwordx8 s[4:11], s[2:3], 0x0
	s_add_u32 s24, s24, 48
	s_addc_u32 s25, s25, 0
	s_waitcnt lgkmcnt(0)
	v_mul_hi_u32 v3, s13, v1
	s_add_i32 s28, s28, 4
	s_add_u32 s2, s2, 32
	s_addc_u32 s3, s3, 0
	v_add_u32_e32 v3, v1, v3
	v_lshrrev_b32_e32 v3, s14, v3
	v_mul_lo_u32 v4, v3, s12
	v_mul_hi_u32 v5, s16, v3
	s_cmp_lg_u32 s26, s28
	v_sub_u32_e32 v1, v1, v4
	v_add_u32_e32 v4, v3, v5
	v_mul_lo_u32 v5, v1, s4
	v_mul_lo_u32 v6, v1, s5
	v_lshrrev_b32_e32 v1, s17, v4
	v_mul_lo_u32 v4, v1, s15
	v_mul_hi_u32 v8, s19, v1
	v_sub_u32_e32 v3, v3, v4
	v_add_u32_e32 v4, v1, v8
	v_lshrrev_b32_e32 v4, s20, v4
	v_mul_hi_u32 v9, s22, v4
	v_mul_lo_u32 v10, v4, s18
	v_mul_lo_u32 v8, v3, s6
	;; [unrolled: 1-line block ×3, first 2 shown]
	v_sub_u32_e32 v10, v1, v10
	v_add_u32_e32 v1, v4, v9
	v_lshrrev_b32_e32 v1, s23, v1
	v_mul_lo_u32 v9, v1, s21
	v_mul_lo_u32 v11, v10, s8
	;; [unrolled: 1-line block ×3, first 2 shown]
	v_add3_u32 v0, v5, v0, v8
	v_sub_u32_e32 v4, v4, v9
	v_mul_lo_u32 v9, v4, s10
	v_mul_lo_u32 v4, v4, s11
	v_add3_u32 v2, v6, v2, v3
	v_add3_u32 v0, v11, v0, v9
	;; [unrolled: 1-line block ×3, first 2 shown]
	s_cbranch_scc1 .LBB53_12
; %bb.13:
	s_and_b32 s6, s27, 3
	s_cmp_eq_u32 s6, 0
	s_cbranch_scc0 .LBB53_25
	s_branch .LBB53_27
.LBB53_14:
	s_or_b64 exec, exec, s[10:11]
	v_cmp_gt_i32_e32 vcc, s59, v7
	s_and_saveexec_b64 s[10:11], vcc
	s_cbranch_execz .LBB53_83
.LBB53_15:
	s_andn2_b64 vcc, exec, s[2:3]
	s_cbranch_vccnz .LBB53_22
; %bb.16:
	s_andn2_b64 vcc, exec, s[52:53]
	s_cbranch_vccnz .LBB53_74
; %bb.17:
	s_add_i32 s61, s60, 1
	s_cmp_eq_u32 s58, 2
	s_cbranch_scc1 .LBB53_91
; %bb.18:
	s_and_b32 s8, s61, 28
	v_mov_b32_e32 v2, 0
	s_mov_b32 s62, 0
	s_mov_b64 s[54:55], s[34:35]
	s_mov_b64 s[56:57], s[50:51]
	v_mov_b32_e32 v0, 0
	v_mov_b32_e32 v1, v7
.LBB53_19:                              ; =>This Inner Loop Header: Depth=1
	s_load_dwordx8 s[20:27], s[54:55], 0x4
	s_load_dwordx4 s[40:43], s[54:55], 0x24
	s_load_dwordx8 s[12:19], s[56:57], 0x0
	s_add_u32 s54, s54, 48
	s_addc_u32 s55, s55, 0
	s_waitcnt lgkmcnt(0)
	v_mul_hi_u32 v3, s21, v1
	s_add_i32 s62, s62, 4
	s_add_u32 s56, s56, 32
	s_addc_u32 s57, s57, 0
	v_add_u32_e32 v3, v1, v3
	v_lshrrev_b32_e32 v3, s22, v3
	v_mul_lo_u32 v4, v3, s20
	v_mul_hi_u32 v5, s24, v3
	s_cmp_eq_u32 s8, s62
	v_sub_u32_e32 v1, v1, v4
	v_add_u32_e32 v4, v3, v5
	v_mul_lo_u32 v5, v1, s12
	v_mul_lo_u32 v6, v1, s13
	v_lshrrev_b32_e32 v1, s25, v4
	v_mul_lo_u32 v4, v1, s23
	v_mul_hi_u32 v8, s27, v1
	v_sub_u32_e32 v3, v3, v4
	v_add_u32_e32 v4, v1, v8
	v_lshrrev_b32_e32 v4, s40, v4
	v_mul_hi_u32 v9, s42, v4
	v_mul_lo_u32 v10, v4, s26
	v_mul_lo_u32 v8, v3, s14
	;; [unrolled: 1-line block ×3, first 2 shown]
	v_sub_u32_e32 v10, v1, v10
	v_add_u32_e32 v1, v4, v9
	v_lshrrev_b32_e32 v1, s43, v1
	v_mul_lo_u32 v9, v1, s41
	v_mul_lo_u32 v11, v10, s16
	;; [unrolled: 1-line block ×3, first 2 shown]
	v_add3_u32 v0, v5, v0, v8
	v_sub_u32_e32 v4, v4, v9
	v_mul_lo_u32 v9, v4, s18
	v_mul_lo_u32 v4, v4, s19
	v_add3_u32 v2, v6, v2, v3
	v_add3_u32 v0, v11, v0, v9
	;; [unrolled: 1-line block ×3, first 2 shown]
	s_cbranch_scc0 .LBB53_19
	s_branch .LBB53_92
.LBB53_20:
                                        ; implicit-def: $vgpr0
                                        ; implicit-def: $vgpr2
	s_branch .LBB53_28
.LBB53_21:
                                        ; implicit-def: $vgpr0
                                        ; implicit-def: $vgpr2
	s_branch .LBB53_80
.LBB53_22:
                                        ; implicit-def: $vgpr0
                                        ; implicit-def: $vgpr2
	s_branch .LBB53_96
.LBB53_23:
	v_mov_b32_e32 v0, 0
	v_mov_b32_e32 v2, 0
	s_branch .LBB53_27
.LBB53_24:
	v_mov_b32_e32 v0, 0
	v_mov_b32_e32 v2, 0
	;; [unrolled: 1-line block ×3, first 2 shown]
	s_and_b32 s6, s27, 3
	s_cmp_eq_u32 s6, 0
	s_cbranch_scc1 .LBB53_27
.LBB53_25:
	s_lshl_b32 s2, s26, 3
	s_add_u32 s2, s34, s2
	s_addc_u32 s3, s35, 0
	s_add_u32 s2, s2, 0xc4
	s_addc_u32 s3, s3, 0
	s_mul_i32 s4, s26, 12
	s_add_u32 s4, s34, s4
	s_addc_u32 s5, s35, 0
.LBB53_26:                              ; =>This Inner Loop Header: Depth=1
	s_load_dwordx2 s[8:9], s[4:5], 0x4
	s_load_dword s7, s[4:5], 0xc
	s_load_dwordx2 s[10:11], s[2:3], 0x0
	s_add_u32 s4, s4, 12
	s_addc_u32 s5, s5, 0
	s_waitcnt lgkmcnt(0)
	v_mul_hi_u32 v4, s9, v1
	s_add_u32 s2, s2, 8
	s_addc_u32 s3, s3, 0
	s_add_i32 s6, s6, -1
	v_add_u32_e32 v4, v1, v4
	v_lshrrev_b32_e32 v4, s7, v4
	v_mul_lo_u32 v5, v4, s8
	s_cmp_lg_u32 s6, 0
	v_sub_u32_e32 v5, v1, v5
	v_mad_u64_u32 v[0:1], s[8:9], v5, s10, v[0:1]
	v_mad_u64_u32 v[2:3], s[8:9], v5, s11, v[2:3]
	v_mov_b32_e32 v1, v4
	s_cbranch_scc1 .LBB53_26
.LBB53_27:
	s_cbranch_execnz .LBB53_30
.LBB53_28:
	s_load_dwordx4 s[4:7], s[34:35], 0x4
	s_load_dwordx2 s[2:3], s[34:35], 0xc4
	s_cmp_lt_u32 s33, 2
	s_waitcnt lgkmcnt(0)
	v_mul_hi_u32 v0, s5, v7
	v_add_u32_e32 v0, v7, v0
	v_lshrrev_b32_e32 v1, s6, v0
	v_mul_lo_u32 v0, v1, s4
	v_sub_u32_e32 v2, v7, v0
	v_mul_lo_u32 v0, v2, s2
	v_mul_lo_u32 v2, v2, s3
	s_cbranch_scc1 .LBB53_30
; %bb.29:
	s_load_dwordx4 s[4:7], s[34:35], 0x10
	s_load_dwordx2 s[2:3], s[34:35], 0xcc
	s_waitcnt lgkmcnt(0)
	v_mul_hi_u32 v3, s5, v1
	v_add_u32_e32 v3, v1, v3
	v_lshrrev_b32_e32 v3, s6, v3
	v_mul_lo_u32 v3, v3, s4
	v_sub_u32_e32 v3, v1, v3
	v_mad_u64_u32 v[0:1], s[4:5], v3, s2, v[0:1]
	v_mad_u64_u32 v[2:3], s[2:3], v3, s3, v[2:3]
.LBB53_30:
	s_and_b64 vcc, exec, s[0:1]
	v_add_u32_e32 v1, 0x80, v7
	s_cbranch_vccnz .LBB53_36
; %bb.31:
	s_cmp_lg_u32 s33, 0
	s_mov_b32 s26, 0
	s_cbranch_scc0 .LBB53_37
; %bb.32:
	s_min_u32 s27, s58, 15
	s_add_i32 s27, s27, 1
	s_cmp_eq_u32 s58, 2
	s_cbranch_scc1 .LBB53_38
; %bb.33:
	s_and_b32 s26, s27, 28
	s_add_u32 s2, s34, 0xc4
	s_addc_u32 s3, s35, 0
	v_mov_b32_e32 v5, 0
	s_mov_b32 s28, 0
	s_mov_b64 s[24:25], s[34:35]
	v_mov_b32_e32 v3, 0
	v_mov_b32_e32 v4, v1
.LBB53_34:                              ; =>This Inner Loop Header: Depth=1
	s_load_dwordx8 s[12:19], s[24:25], 0x4
	s_load_dwordx4 s[20:23], s[24:25], 0x24
	s_load_dwordx8 s[4:11], s[2:3], 0x0
	s_add_u32 s24, s24, 48
	s_addc_u32 s25, s25, 0
	s_waitcnt lgkmcnt(0)
	v_mul_hi_u32 v6, s13, v4
	s_add_i32 s28, s28, 4
	s_add_u32 s2, s2, 32
	s_addc_u32 s3, s3, 0
	v_add_u32_e32 v6, v4, v6
	v_lshrrev_b32_e32 v6, s14, v6
	v_mul_lo_u32 v8, v6, s12
	v_mul_hi_u32 v9, s16, v6
	s_cmp_lg_u32 s26, s28
	v_sub_u32_e32 v4, v4, v8
	v_add_u32_e32 v8, v6, v9
	v_mul_lo_u32 v9, v4, s4
	v_mul_lo_u32 v10, v4, s5
	v_lshrrev_b32_e32 v4, s17, v8
	v_mul_lo_u32 v8, v4, s15
	v_mul_hi_u32 v11, s19, v4
	v_sub_u32_e32 v6, v6, v8
	v_add_u32_e32 v8, v4, v11
	v_lshrrev_b32_e32 v8, s20, v8
	v_mul_hi_u32 v12, s22, v8
	v_mul_lo_u32 v14, v8, s18
	v_mul_lo_u32 v11, v6, s6
	;; [unrolled: 1-line block ×3, first 2 shown]
	v_sub_u32_e32 v14, v4, v14
	v_add_u32_e32 v4, v8, v12
	v_lshrrev_b32_e32 v4, s23, v4
	v_mul_lo_u32 v12, v4, s21
	v_mul_lo_u32 v15, v14, s8
	;; [unrolled: 1-line block ×3, first 2 shown]
	v_add3_u32 v3, v9, v3, v11
	v_sub_u32_e32 v8, v8, v12
	v_mul_lo_u32 v12, v8, s10
	v_mul_lo_u32 v8, v8, s11
	v_add3_u32 v5, v10, v5, v6
	v_add3_u32 v3, v15, v3, v12
	;; [unrolled: 1-line block ×3, first 2 shown]
	s_cbranch_scc1 .LBB53_34
; %bb.35:
	s_and_b32 s6, s27, 3
	s_cmp_eq_u32 s6, 0
	s_cbranch_scc0 .LBB53_39
	s_branch .LBB53_41
.LBB53_36:
                                        ; implicit-def: $vgpr3
                                        ; implicit-def: $vgpr5
	s_branch .LBB53_42
.LBB53_37:
	v_mov_b32_e32 v3, 0
	v_mov_b32_e32 v5, 0
	s_branch .LBB53_41
.LBB53_38:
	v_mov_b32_e32 v3, 0
	v_mov_b32_e32 v5, 0
	;; [unrolled: 1-line block ×3, first 2 shown]
	s_and_b32 s6, s27, 3
	s_cmp_eq_u32 s6, 0
	s_cbranch_scc1 .LBB53_41
.LBB53_39:
	s_lshl_b32 s2, s26, 3
	s_add_u32 s2, s34, s2
	s_addc_u32 s3, s35, 0
	s_add_u32 s2, s2, 0xc4
	s_addc_u32 s3, s3, 0
	s_mul_i32 s4, s26, 12
	s_add_u32 s4, s34, s4
	s_addc_u32 s5, s35, 0
.LBB53_40:                              ; =>This Inner Loop Header: Depth=1
	s_load_dwordx2 s[8:9], s[4:5], 0x4
	s_load_dword s7, s[4:5], 0xc
	s_load_dwordx2 s[10:11], s[2:3], 0x0
	s_add_u32 s4, s4, 12
	s_addc_u32 s5, s5, 0
	s_waitcnt lgkmcnt(0)
	v_mul_hi_u32 v8, s9, v4
	s_add_u32 s2, s2, 8
	s_addc_u32 s3, s3, 0
	s_add_i32 s6, s6, -1
	v_add_u32_e32 v8, v4, v8
	v_lshrrev_b32_e32 v8, s7, v8
	v_mul_lo_u32 v9, v8, s8
	s_cmp_lg_u32 s6, 0
	v_sub_u32_e32 v9, v4, v9
	v_mad_u64_u32 v[3:4], s[8:9], v9, s10, v[3:4]
	v_mad_u64_u32 v[5:6], s[8:9], v9, s11, v[5:6]
	v_mov_b32_e32 v4, v8
	s_cbranch_scc1 .LBB53_40
.LBB53_41:
	s_cbranch_execnz .LBB53_44
.LBB53_42:
	s_load_dwordx4 s[4:7], s[34:35], 0x4
	s_load_dwordx2 s[2:3], s[34:35], 0xc4
	s_cmp_lt_u32 s33, 2
	s_waitcnt lgkmcnt(0)
	v_mul_hi_u32 v3, s5, v1
	v_add_u32_e32 v3, v1, v3
	v_lshrrev_b32_e32 v4, s6, v3
	v_mul_lo_u32 v3, v4, s4
	v_sub_u32_e32 v1, v1, v3
	v_mul_lo_u32 v3, v1, s2
	v_mul_lo_u32 v5, v1, s3
	s_cbranch_scc1 .LBB53_44
; %bb.43:
	s_load_dwordx4 s[4:7], s[34:35], 0x10
	s_load_dwordx2 s[2:3], s[34:35], 0xcc
	s_waitcnt lgkmcnt(0)
	v_mul_hi_u32 v1, s5, v4
	v_add_u32_e32 v1, v4, v1
	v_lshrrev_b32_e32 v1, s6, v1
	v_mul_lo_u32 v1, v1, s4
	v_sub_u32_e32 v1, v4, v1
	v_mad_u64_u32 v[3:4], s[4:5], v1, s2, v[3:4]
	v_mad_u64_u32 v[5:6], s[2:3], v1, s3, v[5:6]
.LBB53_44:
	s_and_b64 vcc, exec, s[0:1]
	v_add_u32_e32 v1, 0x100, v7
	s_cbranch_vccnz .LBB53_50
; %bb.45:
	s_cmp_lg_u32 s33, 0
	s_mov_b32 s26, 0
	s_cbranch_scc0 .LBB53_51
; %bb.46:
	s_min_u32 s27, s58, 15
	s_add_i32 s27, s27, 1
	s_cmp_eq_u32 s58, 2
	s_cbranch_scc1 .LBB53_52
; %bb.47:
	s_and_b32 s26, s27, 28
	s_add_u32 s2, s34, 0xc4
	s_addc_u32 s3, s35, 0
	v_mov_b32_e32 v8, 0
	s_mov_b32 s28, 0
	s_mov_b64 s[24:25], s[34:35]
	v_mov_b32_e32 v6, 0
	v_mov_b32_e32 v4, v1
.LBB53_48:                              ; =>This Inner Loop Header: Depth=1
	s_load_dwordx8 s[12:19], s[24:25], 0x4
	s_load_dwordx4 s[20:23], s[24:25], 0x24
	s_load_dwordx8 s[4:11], s[2:3], 0x0
	s_add_u32 s24, s24, 48
	s_addc_u32 s25, s25, 0
	s_waitcnt lgkmcnt(0)
	v_mul_hi_u32 v7, s13, v4
	s_add_i32 s28, s28, 4
	s_add_u32 s2, s2, 32
	s_addc_u32 s3, s3, 0
	v_add_u32_e32 v7, v4, v7
	v_lshrrev_b32_e32 v7, s14, v7
	v_mul_lo_u32 v9, v7, s12
	v_mul_hi_u32 v10, s16, v7
	s_cmp_lg_u32 s26, s28
	v_sub_u32_e32 v4, v4, v9
	v_add_u32_e32 v9, v7, v10
	v_mul_lo_u32 v10, v4, s4
	v_mul_lo_u32 v11, v4, s5
	v_lshrrev_b32_e32 v4, s17, v9
	v_mul_lo_u32 v9, v4, s15
	v_mul_hi_u32 v12, s19, v4
	v_sub_u32_e32 v7, v7, v9
	v_add_u32_e32 v9, v4, v12
	v_lshrrev_b32_e32 v9, s20, v9
	v_mul_hi_u32 v14, s22, v9
	v_mul_lo_u32 v15, v9, s18
	v_mul_lo_u32 v12, v7, s6
	;; [unrolled: 1-line block ×3, first 2 shown]
	v_sub_u32_e32 v15, v4, v15
	v_add_u32_e32 v4, v9, v14
	v_lshrrev_b32_e32 v4, s23, v4
	v_mul_lo_u32 v14, v4, s21
	v_mul_lo_u32 v16, v15, s8
	;; [unrolled: 1-line block ×3, first 2 shown]
	v_add3_u32 v6, v10, v6, v12
	v_sub_u32_e32 v9, v9, v14
	v_mul_lo_u32 v14, v9, s10
	v_mul_lo_u32 v9, v9, s11
	v_add3_u32 v7, v11, v8, v7
	v_add3_u32 v6, v16, v6, v14
	;; [unrolled: 1-line block ×3, first 2 shown]
	s_cbranch_scc1 .LBB53_48
; %bb.49:
	s_and_b32 s6, s27, 3
	s_cmp_eq_u32 s6, 0
	s_cbranch_scc0 .LBB53_53
	s_branch .LBB53_55
.LBB53_50:
                                        ; implicit-def: $vgpr6
                                        ; implicit-def: $vgpr8
	s_branch .LBB53_56
.LBB53_51:
	v_mov_b32_e32 v6, 0
	v_mov_b32_e32 v8, 0
	s_branch .LBB53_55
.LBB53_52:
	v_mov_b32_e32 v6, 0
	v_mov_b32_e32 v8, 0
	;; [unrolled: 1-line block ×3, first 2 shown]
	s_and_b32 s6, s27, 3
	s_cmp_eq_u32 s6, 0
	s_cbranch_scc1 .LBB53_55
.LBB53_53:
	s_lshl_b32 s2, s26, 3
	s_add_u32 s2, s34, s2
	s_addc_u32 s3, s35, 0
	s_add_u32 s2, s2, 0xc4
	s_addc_u32 s3, s3, 0
	s_mul_i32 s4, s26, 12
	s_add_u32 s4, s34, s4
	s_addc_u32 s5, s35, 0
.LBB53_54:                              ; =>This Inner Loop Header: Depth=1
	s_load_dwordx2 s[8:9], s[4:5], 0x4
	s_load_dword s7, s[4:5], 0xc
	s_load_dwordx2 s[10:11], s[2:3], 0x0
	s_add_u32 s4, s4, 12
	s_addc_u32 s5, s5, 0
	s_waitcnt lgkmcnt(0)
	v_mul_hi_u32 v7, s9, v4
	s_add_u32 s2, s2, 8
	s_addc_u32 s3, s3, 0
	s_add_i32 s6, s6, -1
	v_add_u32_e32 v7, v4, v7
	v_lshrrev_b32_e32 v10, s7, v7
	v_mul_lo_u32 v7, v10, s8
	s_cmp_lg_u32 s6, 0
	v_sub_u32_e32 v4, v4, v7
	v_mad_u64_u32 v[6:7], s[8:9], v4, s10, v[6:7]
	v_mad_u64_u32 v[8:9], s[8:9], v4, s11, v[8:9]
	v_mov_b32_e32 v4, v10
	s_cbranch_scc1 .LBB53_54
.LBB53_55:
	s_cbranch_execnz .LBB53_58
.LBB53_56:
	s_load_dwordx4 s[4:7], s[34:35], 0x4
	s_load_dwordx2 s[2:3], s[34:35], 0xc4
	s_cmp_lt_u32 s33, 2
	s_waitcnt lgkmcnt(0)
	v_mul_hi_u32 v4, s5, v1
	v_add_u32_e32 v4, v1, v4
	v_lshrrev_b32_e32 v4, s6, v4
	v_mul_lo_u32 v6, v4, s4
	v_sub_u32_e32 v1, v1, v6
	v_mul_lo_u32 v6, v1, s2
	v_mul_lo_u32 v8, v1, s3
	s_cbranch_scc1 .LBB53_58
; %bb.57:
	s_load_dwordx4 s[4:7], s[34:35], 0x10
	s_load_dwordx2 s[2:3], s[34:35], 0xcc
	s_waitcnt lgkmcnt(0)
	v_mul_hi_u32 v1, s5, v4
	v_add_u32_e32 v1, v4, v1
	v_lshrrev_b32_e32 v1, s6, v1
	v_mul_lo_u32 v1, v1, s4
	v_sub_u32_e32 v1, v4, v1
	v_mad_u64_u32 v[6:7], s[4:5], v1, s2, v[6:7]
	v_mad_u64_u32 v[8:9], s[2:3], v1, s3, v[8:9]
.LBB53_58:
	s_and_b64 vcc, exec, s[0:1]
	s_cbranch_vccnz .LBB53_64
; %bb.59:
	s_cmp_lg_u32 s33, 0
	s_mov_b32 s24, 0
	s_cbranch_scc0 .LBB53_65
; %bb.60:
	s_min_u32 s25, s58, 15
	s_add_i32 s25, s25, 1
	s_cmp_eq_u32 s58, 2
	s_cbranch_scc1 .LBB53_66
; %bb.61:
	s_and_b32 s24, s25, 28
	s_add_u32 s20, s34, 0xc4
	s_addc_u32 s21, s35, 0
	v_mov_b32_e32 v11, 0
	s_mov_b32 s26, 0
	s_mov_b64 s[22:23], s[34:35]
	v_mov_b32_e32 v9, 0
	v_mov_b32_e32 v1, v13
.LBB53_62:                              ; =>This Inner Loop Header: Depth=1
	s_load_dwordx8 s[8:15], s[22:23], 0x4
	s_load_dwordx4 s[16:19], s[22:23], 0x24
	s_load_dwordx8 s[0:7], s[20:21], 0x0
	s_add_u32 s22, s22, 48
	s_addc_u32 s23, s23, 0
	s_waitcnt lgkmcnt(0)
	v_mul_hi_u32 v4, s9, v1
	s_add_i32 s26, s26, 4
	s_add_u32 s20, s20, 32
	s_addc_u32 s21, s21, 0
	v_add_u32_e32 v4, v1, v4
	v_lshrrev_b32_e32 v4, s10, v4
	v_mul_lo_u32 v7, v4, s8
	v_mul_hi_u32 v10, s12, v4
	s_cmp_lg_u32 s24, s26
	v_sub_u32_e32 v1, v1, v7
	v_add_u32_e32 v7, v4, v10
	v_mul_lo_u32 v10, v1, s0
	v_mul_lo_u32 v12, v1, s1
	v_lshrrev_b32_e32 v1, s13, v7
	v_mul_lo_u32 v7, v1, s11
	v_mul_hi_u32 v14, s15, v1
	v_sub_u32_e32 v4, v4, v7
	v_add_u32_e32 v7, v1, v14
	v_lshrrev_b32_e32 v7, s16, v7
	v_mul_hi_u32 v15, s18, v7
	v_mul_lo_u32 v16, v7, s14
	v_mul_lo_u32 v14, v4, s2
	;; [unrolled: 1-line block ×3, first 2 shown]
	v_sub_u32_e32 v16, v1, v16
	v_add_u32_e32 v1, v7, v15
	v_lshrrev_b32_e32 v1, s19, v1
	v_mul_lo_u32 v15, v1, s17
	v_mul_lo_u32 v17, v16, s4
	v_mul_lo_u32 v16, v16, s5
	v_add3_u32 v9, v10, v9, v14
	v_sub_u32_e32 v7, v7, v15
	v_mul_lo_u32 v15, v7, s6
	v_mul_lo_u32 v7, v7, s7
	v_add3_u32 v4, v12, v11, v4
	v_add3_u32 v9, v17, v9, v15
	;; [unrolled: 1-line block ×3, first 2 shown]
	s_cbranch_scc1 .LBB53_62
; %bb.63:
	s_and_b32 s4, s25, 3
	s_cmp_eq_u32 s4, 0
	s_cbranch_scc0 .LBB53_67
	s_branch .LBB53_69
.LBB53_64:
                                        ; implicit-def: $vgpr9
                                        ; implicit-def: $vgpr11
	s_branch .LBB53_70
.LBB53_65:
	v_mov_b32_e32 v9, 0
	v_mov_b32_e32 v11, 0
	s_branch .LBB53_69
.LBB53_66:
	v_mov_b32_e32 v9, 0
	v_mov_b32_e32 v11, 0
	v_mov_b32_e32 v1, v13
	s_and_b32 s4, s25, 3
	s_cmp_eq_u32 s4, 0
	s_cbranch_scc1 .LBB53_69
.LBB53_67:
	s_lshl_b32 s0, s24, 3
	s_add_u32 s0, s34, s0
	s_addc_u32 s1, s35, 0
	s_add_u32 s0, s0, 0xc4
	s_addc_u32 s1, s1, 0
	s_mul_i32 s2, s24, 12
	s_add_u32 s2, s34, s2
	s_addc_u32 s3, s35, 0
.LBB53_68:                              ; =>This Inner Loop Header: Depth=1
	s_load_dwordx2 s[6:7], s[2:3], 0x4
	s_load_dword s5, s[2:3], 0xc
	s_load_dwordx2 s[8:9], s[0:1], 0x0
	s_add_u32 s2, s2, 12
	s_addc_u32 s3, s3, 0
	s_waitcnt lgkmcnt(0)
	v_mul_hi_u32 v4, s7, v1
	s_add_u32 s0, s0, 8
	s_addc_u32 s1, s1, 0
	s_add_i32 s4, s4, -1
	v_add_u32_e32 v4, v1, v4
	v_lshrrev_b32_e32 v4, s5, v4
	v_mul_lo_u32 v7, v4, s6
	s_cmp_lg_u32 s4, 0
	v_sub_u32_e32 v1, v1, v7
	v_mad_u64_u32 v[9:10], s[6:7], v1, s8, v[9:10]
	v_mad_u64_u32 v[11:12], s[6:7], v1, s9, v[11:12]
	v_mov_b32_e32 v1, v4
	s_cbranch_scc1 .LBB53_68
.LBB53_69:
	s_cbranch_execnz .LBB53_72
.LBB53_70:
	s_load_dwordx4 s[0:3], s[34:35], 0x4
	s_load_dwordx2 s[4:5], s[34:35], 0xc4
	s_cmp_lt_u32 s33, 2
	s_waitcnt lgkmcnt(0)
	v_mul_hi_u32 v1, s1, v13
	v_add_u32_e32 v1, v13, v1
	v_lshrrev_b32_e32 v1, s2, v1
	v_mul_lo_u32 v4, v1, s0
	v_sub_u32_e32 v4, v13, v4
	v_mul_lo_u32 v9, v4, s4
	v_mul_lo_u32 v11, v4, s5
	s_cbranch_scc1 .LBB53_72
; %bb.71:
	s_load_dwordx4 s[0:3], s[34:35], 0x10
	s_load_dwordx2 s[4:5], s[34:35], 0xcc
	s_waitcnt lgkmcnt(0)
	v_mul_hi_u32 v4, s1, v1
	v_add_u32_e32 v4, v1, v4
	v_lshrrev_b32_e32 v4, s2, v4
	v_mul_lo_u32 v4, v4, s0
	v_sub_u32_e32 v1, v1, v4
	v_mad_u64_u32 v[9:10], s[0:1], v1, s4, v[9:10]
	v_mad_u64_u32 v[11:12], s[0:1], v1, s5, v[11:12]
.LBB53_72:
	s_load_dwordx8 s[0:7], s[34:35], 0x148
	s_waitcnt lgkmcnt(0)
	global_load_dword v1, v2, s[2:3]
	global_load_dword v4, v5, s[2:3]
	;; [unrolled: 1-line block ×4, first 2 shown]
	s_cmp_gt_i32 s6, s4
	v_mov_b32_e32 v2, s5
	s_cselect_b64 vcc, -1, 0
	s_waitcnt vmcnt(3)
	v_cndmask_b32_e32 v1, v2, v1, vcc
	s_waitcnt vmcnt(2)
	v_cndmask_b32_e32 v4, v2, v4, vcc
	;; [unrolled: 2-line block ×4, first 2 shown]
	global_store_dword v0, v1, s[0:1]
	global_store_dword v3, v4, s[0:1]
	;; [unrolled: 1-line block ×4, first 2 shown]
	s_endpgm
.LBB53_73:
	v_mov_b32_e32 v0, 0
	v_mov_b32_e32 v2, 0
	s_branch .LBB53_79
.LBB53_74:
	v_mov_b32_e32 v0, 0
	v_mov_b32_e32 v2, 0
	s_branch .LBB53_95
.LBB53_75:
	s_mov_b32 s8, 0
	v_mov_b32_e32 v0, 0
	v_mov_b32_e32 v2, 0
	;; [unrolled: 1-line block ×3, first 2 shown]
.LBB53_76:
	s_and_b32 s16, s61, 3
	s_cmp_eq_u32 s16, 0
	s_cbranch_scc1 .LBB53_79
; %bb.77:
	s_lshl_b32 s12, s8, 3
	s_add_u32 s12, s34, s12
	s_addc_u32 s13, s35, 0
	s_add_u32 s12, s12, 0xc4
	s_addc_u32 s13, s13, 0
	s_mul_i32 s8, s8, 12
	s_add_u32 s14, s34, s8
	s_addc_u32 s15, s35, 0
.LBB53_78:                              ; =>This Inner Loop Header: Depth=1
	s_load_dwordx2 s[18:19], s[14:15], 0x4
	s_load_dword s8, s[14:15], 0xc
	s_load_dwordx2 s[20:21], s[12:13], 0x0
	s_add_u32 s14, s14, 12
	s_addc_u32 s15, s15, 0
	s_waitcnt lgkmcnt(0)
	v_mul_hi_u32 v3, s19, v1
	s_add_u32 s12, s12, 8
	s_addc_u32 s13, s13, 0
	s_add_i32 s16, s16, -1
	v_add_u32_e32 v3, v1, v3
	v_lshrrev_b32_e32 v4, s8, v3
	v_mul_lo_u32 v3, v4, s18
	s_cmp_lg_u32 s16, 0
	v_sub_u32_e32 v3, v1, v3
	v_mad_u64_u32 v[0:1], s[18:19], v3, s20, v[0:1]
	v_mad_u64_u32 v[2:3], s[18:19], v3, s21, v[2:3]
	v_mov_b32_e32 v1, v4
	s_cbranch_scc1 .LBB53_78
.LBB53_79:
	s_cbranch_execnz .LBB53_82
.LBB53_80:
	v_mul_hi_u32 v0, s37, v7
	s_andn2_b64 vcc, exec, s[48:49]
	v_add_u32_e32 v0, v7, v0
	v_lshrrev_b32_e32 v1, s38, v0
	v_mul_lo_u32 v0, v1, s36
	v_sub_u32_e32 v2, v7, v0
	v_mul_lo_u32 v0, v2, s28
	v_mul_lo_u32 v2, v2, s29
	s_cbranch_vccnz .LBB53_82
; %bb.81:
	v_mul_hi_u32 v3, s46, v1
	v_add_u32_e32 v3, v1, v3
	v_lshrrev_b32_e32 v3, s47, v3
	v_mul_lo_u32 v3, v3, s39
	v_sub_u32_e32 v3, v1, v3
	v_mad_u64_u32 v[0:1], s[12:13], v3, s30, v[0:1]
	v_mad_u64_u32 v[2:3], s[12:13], v3, s31, v[2:3]
.LBB53_82:
	global_load_dword v1, v2, s[6:7]
	v_mov_b32_e32 v2, s9
	v_add_u32_e32 v7, 0x80, v7
	s_waitcnt vmcnt(0)
	v_cndmask_b32_e64 v1, v2, v1, s[0:1]
	global_store_dword v0, v1, s[4:5]
	s_or_b64 exec, exec, s[10:11]
	v_cmp_gt_i32_e32 vcc, s59, v7
	s_and_saveexec_b64 s[10:11], vcc
	s_cbranch_execnz .LBB53_15
.LBB53_83:
	s_or_b64 exec, exec, s[10:11]
	v_cmp_gt_i32_e32 vcc, s59, v7
	s_and_saveexec_b64 s[10:11], vcc
	s_cbranch_execz .LBB53_99
.LBB53_84:
	s_andn2_b64 vcc, exec, s[2:3]
	s_cbranch_vccnz .LBB53_89
; %bb.85:
	s_andn2_b64 vcc, exec, s[52:53]
	s_cbranch_vccnz .LBB53_90
; %bb.86:
	s_add_i32 s61, s60, 1
	s_cmp_eq_u32 s58, 2
	s_cbranch_scc1 .LBB53_102
; %bb.87:
	s_and_b32 s8, s61, 28
	v_mov_b32_e32 v2, 0
	s_mov_b32 s62, 0
	s_mov_b64 s[54:55], s[34:35]
	s_mov_b64 s[56:57], s[50:51]
	v_mov_b32_e32 v0, 0
	v_mov_b32_e32 v1, v7
.LBB53_88:                              ; =>This Inner Loop Header: Depth=1
	s_load_dwordx8 s[20:27], s[54:55], 0x4
	s_load_dwordx4 s[40:43], s[54:55], 0x24
	s_load_dwordx8 s[12:19], s[56:57], 0x0
	s_add_u32 s54, s54, 48
	s_addc_u32 s55, s55, 0
	s_waitcnt lgkmcnt(0)
	v_mul_hi_u32 v3, s21, v1
	s_add_i32 s62, s62, 4
	s_add_u32 s56, s56, 32
	s_addc_u32 s57, s57, 0
	v_add_u32_e32 v3, v1, v3
	v_lshrrev_b32_e32 v3, s22, v3
	v_mul_lo_u32 v4, v3, s20
	v_mul_hi_u32 v5, s24, v3
	s_cmp_eq_u32 s8, s62
	v_sub_u32_e32 v1, v1, v4
	v_add_u32_e32 v4, v3, v5
	v_mul_lo_u32 v5, v1, s12
	v_mul_lo_u32 v6, v1, s13
	v_lshrrev_b32_e32 v1, s25, v4
	v_mul_lo_u32 v4, v1, s23
	v_mul_hi_u32 v8, s27, v1
	v_sub_u32_e32 v3, v3, v4
	v_add_u32_e32 v4, v1, v8
	v_lshrrev_b32_e32 v4, s40, v4
	v_mul_hi_u32 v9, s42, v4
	v_mul_lo_u32 v10, v4, s26
	v_mul_lo_u32 v8, v3, s14
	;; [unrolled: 1-line block ×3, first 2 shown]
	v_sub_u32_e32 v10, v1, v10
	v_add_u32_e32 v1, v4, v9
	v_lshrrev_b32_e32 v1, s43, v1
	v_mul_lo_u32 v9, v1, s41
	v_mul_lo_u32 v11, v10, s16
	;; [unrolled: 1-line block ×3, first 2 shown]
	v_add3_u32 v0, v5, v0, v8
	v_sub_u32_e32 v4, v4, v9
	v_mul_lo_u32 v9, v4, s18
	v_mul_lo_u32 v4, v4, s19
	v_add3_u32 v2, v6, v2, v3
	v_add3_u32 v0, v11, v0, v9
	;; [unrolled: 1-line block ×3, first 2 shown]
	s_cbranch_scc0 .LBB53_88
	s_branch .LBB53_103
.LBB53_89:
                                        ; implicit-def: $vgpr0
                                        ; implicit-def: $vgpr2
	s_branch .LBB53_107
.LBB53_90:
	v_mov_b32_e32 v0, 0
	v_mov_b32_e32 v2, 0
	s_branch .LBB53_106
.LBB53_91:
	s_mov_b32 s8, 0
	v_mov_b32_e32 v0, 0
	v_mov_b32_e32 v2, 0
	;; [unrolled: 1-line block ×3, first 2 shown]
.LBB53_92:
	s_and_b32 s16, s61, 3
	s_cmp_eq_u32 s16, 0
	s_cbranch_scc1 .LBB53_95
; %bb.93:
	s_lshl_b32 s12, s8, 3
	s_add_u32 s12, s34, s12
	s_addc_u32 s13, s35, 0
	s_add_u32 s12, s12, 0xc4
	s_addc_u32 s13, s13, 0
	s_mul_i32 s8, s8, 12
	s_add_u32 s14, s34, s8
	s_addc_u32 s15, s35, 0
.LBB53_94:                              ; =>This Inner Loop Header: Depth=1
	s_load_dwordx2 s[18:19], s[14:15], 0x4
	s_load_dword s8, s[14:15], 0xc
	s_load_dwordx2 s[20:21], s[12:13], 0x0
	s_add_u32 s14, s14, 12
	s_addc_u32 s15, s15, 0
	s_waitcnt lgkmcnt(0)
	v_mul_hi_u32 v3, s19, v1
	s_add_u32 s12, s12, 8
	s_addc_u32 s13, s13, 0
	s_add_i32 s16, s16, -1
	v_add_u32_e32 v3, v1, v3
	v_lshrrev_b32_e32 v4, s8, v3
	v_mul_lo_u32 v3, v4, s18
	s_cmp_lg_u32 s16, 0
	v_sub_u32_e32 v3, v1, v3
	v_mad_u64_u32 v[0:1], s[18:19], v3, s20, v[0:1]
	v_mad_u64_u32 v[2:3], s[18:19], v3, s21, v[2:3]
	v_mov_b32_e32 v1, v4
	s_cbranch_scc1 .LBB53_94
.LBB53_95:
	s_cbranch_execnz .LBB53_98
.LBB53_96:
	v_mul_hi_u32 v0, s37, v7
	s_andn2_b64 vcc, exec, s[48:49]
	v_add_u32_e32 v0, v7, v0
	v_lshrrev_b32_e32 v1, s38, v0
	v_mul_lo_u32 v0, v1, s36
	v_sub_u32_e32 v2, v7, v0
	v_mul_lo_u32 v0, v2, s28
	v_mul_lo_u32 v2, v2, s29
	s_cbranch_vccnz .LBB53_98
; %bb.97:
	v_mul_hi_u32 v3, s46, v1
	v_add_u32_e32 v3, v1, v3
	v_lshrrev_b32_e32 v3, s47, v3
	v_mul_lo_u32 v3, v3, s39
	v_sub_u32_e32 v3, v1, v3
	v_mad_u64_u32 v[0:1], s[12:13], v3, s30, v[0:1]
	v_mad_u64_u32 v[2:3], s[12:13], v3, s31, v[2:3]
.LBB53_98:
	global_load_dword v1, v2, s[6:7]
	v_mov_b32_e32 v2, s9
	v_add_u32_e32 v7, 0x80, v7
	s_waitcnt vmcnt(0)
	v_cndmask_b32_e64 v1, v2, v1, s[0:1]
	global_store_dword v0, v1, s[4:5]
	s_or_b64 exec, exec, s[10:11]
	v_cmp_gt_i32_e32 vcc, s59, v7
	s_and_saveexec_b64 s[10:11], vcc
	s_cbranch_execnz .LBB53_84
.LBB53_99:
	s_or_b64 exec, exec, s[10:11]
	v_cmp_gt_i32_e32 vcc, s59, v7
	s_and_saveexec_b64 s[10:11], vcc
	s_cbranch_execnz .LBB53_110
.LBB53_100:
	s_or_b64 exec, exec, s[10:11]
                                        ; implicit-def: $vgpr13
                                        ; implicit-def: $vgpr7
	s_andn2_saveexec_b64 s[0:1], s[44:45]
	s_cbranch_execnz .LBB53_8
.LBB53_101:
	s_endpgm
.LBB53_102:
	s_mov_b32 s8, 0
	v_mov_b32_e32 v0, 0
	v_mov_b32_e32 v2, 0
	;; [unrolled: 1-line block ×3, first 2 shown]
.LBB53_103:
	s_and_b32 s16, s61, 3
	s_cmp_eq_u32 s16, 0
	s_cbranch_scc1 .LBB53_106
; %bb.104:
	s_lshl_b32 s12, s8, 3
	s_add_u32 s12, s34, s12
	s_addc_u32 s13, s35, 0
	s_add_u32 s12, s12, 0xc4
	s_addc_u32 s13, s13, 0
	s_mul_i32 s8, s8, 12
	s_add_u32 s14, s34, s8
	s_addc_u32 s15, s35, 0
.LBB53_105:                             ; =>This Inner Loop Header: Depth=1
	s_load_dwordx2 s[18:19], s[14:15], 0x4
	s_load_dword s8, s[14:15], 0xc
	s_load_dwordx2 s[20:21], s[12:13], 0x0
	s_add_u32 s14, s14, 12
	s_addc_u32 s15, s15, 0
	s_waitcnt lgkmcnt(0)
	v_mul_hi_u32 v3, s19, v1
	s_add_u32 s12, s12, 8
	s_addc_u32 s13, s13, 0
	s_add_i32 s16, s16, -1
	v_add_u32_e32 v3, v1, v3
	v_lshrrev_b32_e32 v4, s8, v3
	v_mul_lo_u32 v3, v4, s18
	s_cmp_lg_u32 s16, 0
	v_sub_u32_e32 v3, v1, v3
	v_mad_u64_u32 v[0:1], s[18:19], v3, s20, v[0:1]
	v_mad_u64_u32 v[2:3], s[18:19], v3, s21, v[2:3]
	v_mov_b32_e32 v1, v4
	s_cbranch_scc1 .LBB53_105
.LBB53_106:
	s_cbranch_execnz .LBB53_109
.LBB53_107:
	v_mul_hi_u32 v0, s37, v7
	s_andn2_b64 vcc, exec, s[48:49]
	v_add_u32_e32 v0, v7, v0
	v_lshrrev_b32_e32 v1, s38, v0
	v_mul_lo_u32 v0, v1, s36
	v_sub_u32_e32 v2, v7, v0
	v_mul_lo_u32 v0, v2, s28
	v_mul_lo_u32 v2, v2, s29
	s_cbranch_vccnz .LBB53_109
; %bb.108:
	v_mul_hi_u32 v3, s46, v1
	v_add_u32_e32 v3, v1, v3
	v_lshrrev_b32_e32 v3, s47, v3
	v_mul_lo_u32 v3, v3, s39
	v_sub_u32_e32 v3, v1, v3
	v_mad_u64_u32 v[0:1], s[12:13], v3, s30, v[0:1]
	v_mad_u64_u32 v[2:3], s[12:13], v3, s31, v[2:3]
.LBB53_109:
	global_load_dword v1, v2, s[6:7]
	v_mov_b32_e32 v2, s9
	v_add_u32_e32 v7, 0x80, v7
	s_waitcnt vmcnt(0)
	v_cndmask_b32_e64 v1, v2, v1, s[0:1]
	global_store_dword v0, v1, s[4:5]
	s_or_b64 exec, exec, s[10:11]
	v_cmp_gt_i32_e32 vcc, s59, v7
	s_and_saveexec_b64 s[10:11], vcc
	s_cbranch_execz .LBB53_100
.LBB53_110:
	s_andn2_b64 vcc, exec, s[2:3]
	s_cbranch_vccnz .LBB53_115
; %bb.111:
	s_andn2_b64 vcc, exec, s[52:53]
	s_cbranch_vccnz .LBB53_116
; %bb.112:
	s_add_i32 s60, s60, 1
	s_cmp_eq_u32 s58, 2
	s_cbranch_scc1 .LBB53_117
; %bb.113:
	s_and_b32 s8, s60, 28
	v_mov_b32_e32 v2, 0
	s_mov_b32 s54, 0
	s_mov_b64 s[52:53], s[34:35]
	v_mov_b32_e32 v0, 0
	v_mov_b32_e32 v1, v7
.LBB53_114:                             ; =>This Inner Loop Header: Depth=1
	s_load_dwordx8 s[20:27], s[52:53], 0x4
	s_load_dwordx4 s[40:43], s[52:53], 0x24
	s_load_dwordx8 s[12:19], s[50:51], 0x0
	s_add_u32 s52, s52, 48
	s_addc_u32 s53, s53, 0
	s_waitcnt lgkmcnt(0)
	v_mul_hi_u32 v3, s21, v1
	s_add_i32 s54, s54, 4
	s_add_u32 s50, s50, 32
	s_addc_u32 s51, s51, 0
	v_add_u32_e32 v3, v1, v3
	v_lshrrev_b32_e32 v3, s22, v3
	v_mul_lo_u32 v4, v3, s20
	v_mul_hi_u32 v5, s24, v3
	s_cmp_eq_u32 s8, s54
	v_sub_u32_e32 v1, v1, v4
	v_add_u32_e32 v4, v3, v5
	v_mul_lo_u32 v5, v1, s12
	v_mul_lo_u32 v6, v1, s13
	v_lshrrev_b32_e32 v1, s25, v4
	v_mul_lo_u32 v4, v1, s23
	v_mul_hi_u32 v8, s27, v1
	v_sub_u32_e32 v3, v3, v4
	v_add_u32_e32 v4, v1, v8
	v_lshrrev_b32_e32 v4, s40, v4
	v_mul_hi_u32 v9, s42, v4
	v_mul_lo_u32 v10, v4, s26
	v_mul_lo_u32 v8, v3, s14
	;; [unrolled: 1-line block ×3, first 2 shown]
	v_sub_u32_e32 v10, v1, v10
	v_add_u32_e32 v1, v4, v9
	v_lshrrev_b32_e32 v1, s43, v1
	v_mul_lo_u32 v9, v1, s41
	v_mul_lo_u32 v11, v10, s16
	;; [unrolled: 1-line block ×3, first 2 shown]
	v_add3_u32 v0, v5, v0, v8
	v_sub_u32_e32 v4, v4, v9
	v_mul_lo_u32 v9, v4, s18
	v_mul_lo_u32 v4, v4, s19
	v_add3_u32 v2, v6, v2, v3
	v_add3_u32 v0, v11, v0, v9
	;; [unrolled: 1-line block ×3, first 2 shown]
	s_cbranch_scc0 .LBB53_114
	s_branch .LBB53_118
.LBB53_115:
                                        ; implicit-def: $vgpr0
                                        ; implicit-def: $vgpr2
	s_branch .LBB53_122
.LBB53_116:
	v_mov_b32_e32 v0, 0
	v_mov_b32_e32 v2, 0
	s_branch .LBB53_121
.LBB53_117:
	s_mov_b32 s8, 0
	v_mov_b32_e32 v0, 0
	v_mov_b32_e32 v2, 0
	;; [unrolled: 1-line block ×3, first 2 shown]
.LBB53_118:
	s_and_b32 s16, s60, 3
	s_cmp_eq_u32 s16, 0
	s_cbranch_scc1 .LBB53_121
; %bb.119:
	s_lshl_b32 s12, s8, 3
	s_add_u32 s12, s34, s12
	s_addc_u32 s13, s35, 0
	s_add_u32 s12, s12, 0xc4
	s_addc_u32 s13, s13, 0
	s_mul_i32 s8, s8, 12
	s_add_u32 s14, s34, s8
	s_addc_u32 s15, s35, 0
.LBB53_120:                             ; =>This Inner Loop Header: Depth=1
	s_load_dwordx2 s[18:19], s[14:15], 0x4
	s_load_dword s8, s[14:15], 0xc
	s_load_dwordx2 s[20:21], s[12:13], 0x0
	s_add_u32 s14, s14, 12
	s_addc_u32 s15, s15, 0
	s_waitcnt lgkmcnt(0)
	v_mul_hi_u32 v3, s19, v1
	s_add_u32 s12, s12, 8
	s_addc_u32 s13, s13, 0
	s_add_i32 s16, s16, -1
	v_add_u32_e32 v3, v1, v3
	v_lshrrev_b32_e32 v4, s8, v3
	v_mul_lo_u32 v3, v4, s18
	s_cmp_lg_u32 s16, 0
	v_sub_u32_e32 v3, v1, v3
	v_mad_u64_u32 v[0:1], s[18:19], v3, s20, v[0:1]
	v_mad_u64_u32 v[2:3], s[18:19], v3, s21, v[2:3]
	v_mov_b32_e32 v1, v4
	s_cbranch_scc1 .LBB53_120
.LBB53_121:
	s_cbranch_execnz .LBB53_124
.LBB53_122:
	v_mul_hi_u32 v0, s37, v7
	s_andn2_b64 vcc, exec, s[48:49]
	v_add_u32_e32 v0, v7, v0
	v_lshrrev_b32_e32 v1, s38, v0
	v_mul_lo_u32 v0, v1, s36
	v_sub_u32_e32 v2, v7, v0
	v_mul_lo_u32 v0, v2, s28
	v_mul_lo_u32 v2, v2, s29
	s_cbranch_vccnz .LBB53_124
; %bb.123:
	v_mul_hi_u32 v3, s46, v1
	v_add_u32_e32 v3, v1, v3
	v_lshrrev_b32_e32 v3, s47, v3
	v_mul_lo_u32 v3, v3, s39
	v_sub_u32_e32 v3, v1, v3
	v_mad_u64_u32 v[0:1], s[12:13], v3, s30, v[0:1]
	v_mad_u64_u32 v[2:3], s[12:13], v3, s31, v[2:3]
.LBB53_124:
	global_load_dword v1, v2, s[6:7]
	v_mov_b32_e32 v2, s9
	s_waitcnt vmcnt(0)
	v_cndmask_b32_e64 v1, v2, v1, s[0:1]
	global_store_dword v0, v1, s[4:5]
	s_or_b64 exec, exec, s[10:11]
                                        ; implicit-def: $vgpr13
                                        ; implicit-def: $vgpr7
	s_andn2_saveexec_b64 s[0:1], s[44:45]
	s_cbranch_execz .LBB53_101
	s_branch .LBB53_8
	.section	.rodata,"a",@progbits
	.p2align	6, 0x0
	.amdhsa_kernel _ZN2at6native32elementwise_kernel_manual_unrollILi128ELi4EZNS0_22gpu_kernel_impl_nocastINS0_13AUnaryFunctorIiiiZNS0_12_GLOBAL__N_121threshold_kernel_implIiEEvRNS_18TensorIteratorBaseET_S8_EUliiE_EEEEvS7_RKS8_EUlibE_EEviT1_
		.amdhsa_group_segment_fixed_size 0
		.amdhsa_private_segment_fixed_size 0
		.amdhsa_kernarg_size 368
		.amdhsa_user_sgpr_count 6
		.amdhsa_user_sgpr_private_segment_buffer 1
		.amdhsa_user_sgpr_dispatch_ptr 0
		.amdhsa_user_sgpr_queue_ptr 0
		.amdhsa_user_sgpr_kernarg_segment_ptr 1
		.amdhsa_user_sgpr_dispatch_id 0
		.amdhsa_user_sgpr_flat_scratch_init 0
		.amdhsa_user_sgpr_private_segment_size 0
		.amdhsa_uses_dynamic_stack 0
		.amdhsa_system_sgpr_private_segment_wavefront_offset 0
		.amdhsa_system_sgpr_workgroup_id_x 1
		.amdhsa_system_sgpr_workgroup_id_y 0
		.amdhsa_system_sgpr_workgroup_id_z 0
		.amdhsa_system_sgpr_workgroup_info 0
		.amdhsa_system_vgpr_workitem_id 0
		.amdhsa_next_free_vgpr 18
		.amdhsa_next_free_sgpr 63
		.amdhsa_reserve_vcc 1
		.amdhsa_reserve_flat_scratch 0
		.amdhsa_float_round_mode_32 0
		.amdhsa_float_round_mode_16_64 0
		.amdhsa_float_denorm_mode_32 3
		.amdhsa_float_denorm_mode_16_64 3
		.amdhsa_dx10_clamp 1
		.amdhsa_ieee_mode 1
		.amdhsa_fp16_overflow 0
		.amdhsa_exception_fp_ieee_invalid_op 0
		.amdhsa_exception_fp_denorm_src 0
		.amdhsa_exception_fp_ieee_div_zero 0
		.amdhsa_exception_fp_ieee_overflow 0
		.amdhsa_exception_fp_ieee_underflow 0
		.amdhsa_exception_fp_ieee_inexact 0
		.amdhsa_exception_int_div_zero 0
	.end_amdhsa_kernel
	.section	.text._ZN2at6native32elementwise_kernel_manual_unrollILi128ELi4EZNS0_22gpu_kernel_impl_nocastINS0_13AUnaryFunctorIiiiZNS0_12_GLOBAL__N_121threshold_kernel_implIiEEvRNS_18TensorIteratorBaseET_S8_EUliiE_EEEEvS7_RKS8_EUlibE_EEviT1_,"axG",@progbits,_ZN2at6native32elementwise_kernel_manual_unrollILi128ELi4EZNS0_22gpu_kernel_impl_nocastINS0_13AUnaryFunctorIiiiZNS0_12_GLOBAL__N_121threshold_kernel_implIiEEvRNS_18TensorIteratorBaseET_S8_EUliiE_EEEEvS7_RKS8_EUlibE_EEviT1_,comdat
.Lfunc_end53:
	.size	_ZN2at6native32elementwise_kernel_manual_unrollILi128ELi4EZNS0_22gpu_kernel_impl_nocastINS0_13AUnaryFunctorIiiiZNS0_12_GLOBAL__N_121threshold_kernel_implIiEEvRNS_18TensorIteratorBaseET_S8_EUliiE_EEEEvS7_RKS8_EUlibE_EEviT1_, .Lfunc_end53-_ZN2at6native32elementwise_kernel_manual_unrollILi128ELi4EZNS0_22gpu_kernel_impl_nocastINS0_13AUnaryFunctorIiiiZNS0_12_GLOBAL__N_121threshold_kernel_implIiEEvRNS_18TensorIteratorBaseET_S8_EUliiE_EEEEvS7_RKS8_EUlibE_EEviT1_
                                        ; -- End function
	.set _ZN2at6native32elementwise_kernel_manual_unrollILi128ELi4EZNS0_22gpu_kernel_impl_nocastINS0_13AUnaryFunctorIiiiZNS0_12_GLOBAL__N_121threshold_kernel_implIiEEvRNS_18TensorIteratorBaseET_S8_EUliiE_EEEEvS7_RKS8_EUlibE_EEviT1_.num_vgpr, 18
	.set _ZN2at6native32elementwise_kernel_manual_unrollILi128ELi4EZNS0_22gpu_kernel_impl_nocastINS0_13AUnaryFunctorIiiiZNS0_12_GLOBAL__N_121threshold_kernel_implIiEEvRNS_18TensorIteratorBaseET_S8_EUliiE_EEEEvS7_RKS8_EUlibE_EEviT1_.num_agpr, 0
	.set _ZN2at6native32elementwise_kernel_manual_unrollILi128ELi4EZNS0_22gpu_kernel_impl_nocastINS0_13AUnaryFunctorIiiiZNS0_12_GLOBAL__N_121threshold_kernel_implIiEEvRNS_18TensorIteratorBaseET_S8_EUliiE_EEEEvS7_RKS8_EUlibE_EEviT1_.numbered_sgpr, 63
	.set _ZN2at6native32elementwise_kernel_manual_unrollILi128ELi4EZNS0_22gpu_kernel_impl_nocastINS0_13AUnaryFunctorIiiiZNS0_12_GLOBAL__N_121threshold_kernel_implIiEEvRNS_18TensorIteratorBaseET_S8_EUliiE_EEEEvS7_RKS8_EUlibE_EEviT1_.num_named_barrier, 0
	.set _ZN2at6native32elementwise_kernel_manual_unrollILi128ELi4EZNS0_22gpu_kernel_impl_nocastINS0_13AUnaryFunctorIiiiZNS0_12_GLOBAL__N_121threshold_kernel_implIiEEvRNS_18TensorIteratorBaseET_S8_EUliiE_EEEEvS7_RKS8_EUlibE_EEviT1_.private_seg_size, 0
	.set _ZN2at6native32elementwise_kernel_manual_unrollILi128ELi4EZNS0_22gpu_kernel_impl_nocastINS0_13AUnaryFunctorIiiiZNS0_12_GLOBAL__N_121threshold_kernel_implIiEEvRNS_18TensorIteratorBaseET_S8_EUliiE_EEEEvS7_RKS8_EUlibE_EEviT1_.uses_vcc, 1
	.set _ZN2at6native32elementwise_kernel_manual_unrollILi128ELi4EZNS0_22gpu_kernel_impl_nocastINS0_13AUnaryFunctorIiiiZNS0_12_GLOBAL__N_121threshold_kernel_implIiEEvRNS_18TensorIteratorBaseET_S8_EUliiE_EEEEvS7_RKS8_EUlibE_EEviT1_.uses_flat_scratch, 0
	.set _ZN2at6native32elementwise_kernel_manual_unrollILi128ELi4EZNS0_22gpu_kernel_impl_nocastINS0_13AUnaryFunctorIiiiZNS0_12_GLOBAL__N_121threshold_kernel_implIiEEvRNS_18TensorIteratorBaseET_S8_EUliiE_EEEEvS7_RKS8_EUlibE_EEviT1_.has_dyn_sized_stack, 0
	.set _ZN2at6native32elementwise_kernel_manual_unrollILi128ELi4EZNS0_22gpu_kernel_impl_nocastINS0_13AUnaryFunctorIiiiZNS0_12_GLOBAL__N_121threshold_kernel_implIiEEvRNS_18TensorIteratorBaseET_S8_EUliiE_EEEEvS7_RKS8_EUlibE_EEviT1_.has_recursion, 0
	.set _ZN2at6native32elementwise_kernel_manual_unrollILi128ELi4EZNS0_22gpu_kernel_impl_nocastINS0_13AUnaryFunctorIiiiZNS0_12_GLOBAL__N_121threshold_kernel_implIiEEvRNS_18TensorIteratorBaseET_S8_EUliiE_EEEEvS7_RKS8_EUlibE_EEviT1_.has_indirect_call, 0
	.section	.AMDGPU.csdata,"",@progbits
; Kernel info:
; codeLenInByte = 5720
; TotalNumSgprs: 67
; NumVgprs: 18
; ScratchSize: 0
; MemoryBound: 0
; FloatMode: 240
; IeeeMode: 1
; LDSByteSize: 0 bytes/workgroup (compile time only)
; SGPRBlocks: 8
; VGPRBlocks: 4
; NumSGPRsForWavesPerEU: 67
; NumVGPRsForWavesPerEU: 18
; Occupancy: 10
; WaveLimiterHint : 1
; COMPUTE_PGM_RSRC2:SCRATCH_EN: 0
; COMPUTE_PGM_RSRC2:USER_SGPR: 6
; COMPUTE_PGM_RSRC2:TRAP_HANDLER: 0
; COMPUTE_PGM_RSRC2:TGID_X_EN: 1
; COMPUTE_PGM_RSRC2:TGID_Y_EN: 0
; COMPUTE_PGM_RSRC2:TGID_Z_EN: 0
; COMPUTE_PGM_RSRC2:TIDIG_COMP_CNT: 0
	.section	.text._ZN2at6native32elementwise_kernel_manual_unrollILi128ELi4EZNS0_15gpu_kernel_implINS0_13AUnaryFunctorIiiiZNS0_12_GLOBAL__N_121threshold_kernel_implIiEEvRNS_18TensorIteratorBaseET_S8_EUliiE_EEEEvS7_RKS8_EUlibE_EEviT1_,"axG",@progbits,_ZN2at6native32elementwise_kernel_manual_unrollILi128ELi4EZNS0_15gpu_kernel_implINS0_13AUnaryFunctorIiiiZNS0_12_GLOBAL__N_121threshold_kernel_implIiEEvRNS_18TensorIteratorBaseET_S8_EUliiE_EEEEvS7_RKS8_EUlibE_EEviT1_,comdat
	.globl	_ZN2at6native32elementwise_kernel_manual_unrollILi128ELi4EZNS0_15gpu_kernel_implINS0_13AUnaryFunctorIiiiZNS0_12_GLOBAL__N_121threshold_kernel_implIiEEvRNS_18TensorIteratorBaseET_S8_EUliiE_EEEEvS7_RKS8_EUlibE_EEviT1_ ; -- Begin function _ZN2at6native32elementwise_kernel_manual_unrollILi128ELi4EZNS0_15gpu_kernel_implINS0_13AUnaryFunctorIiiiZNS0_12_GLOBAL__N_121threshold_kernel_implIiEEvRNS_18TensorIteratorBaseET_S8_EUliiE_EEEEvS7_RKS8_EUlibE_EEviT1_
	.p2align	8
	.type	_ZN2at6native32elementwise_kernel_manual_unrollILi128ELi4EZNS0_15gpu_kernel_implINS0_13AUnaryFunctorIiiiZNS0_12_GLOBAL__N_121threshold_kernel_implIiEEvRNS_18TensorIteratorBaseET_S8_EUliiE_EEEEvS7_RKS8_EUlibE_EEviT1_,@function
_ZN2at6native32elementwise_kernel_manual_unrollILi128ELi4EZNS0_15gpu_kernel_implINS0_13AUnaryFunctorIiiiZNS0_12_GLOBAL__N_121threshold_kernel_implIiEEvRNS_18TensorIteratorBaseET_S8_EUliiE_EEEEvS7_RKS8_EUlibE_EEviT1_: ; @_ZN2at6native32elementwise_kernel_manual_unrollILi128ELi4EZNS0_15gpu_kernel_implINS0_13AUnaryFunctorIiiiZNS0_12_GLOBAL__N_121threshold_kernel_implIiEEvRNS_18TensorIteratorBaseET_S8_EUliiE_EEEEvS7_RKS8_EUlibE_EEviT1_
; %bb.0:
	s_load_dwordx2 s[16:17], s[4:5], 0x28
	s_load_dword s44, s[4:5], 0x0
	s_load_dwordx8 s[8:15], s[4:5], 0x8
	v_lshl_or_b32 v4, s6, 9, v0
	v_or_b32_e32 v0, 0x180, v4
	s_waitcnt lgkmcnt(0)
	s_bfe_u32 s33, s17, 0x80008
	v_cmp_le_i32_e32 vcc, s44, v0
	s_mov_b64 s[4:5], 0
	s_mov_b64 s[18:19], 0
	s_and_saveexec_b64 s[0:1], vcc
	s_xor_b64 s[6:7], exec, s[0:1]
	s_cbranch_execz .LBB54_1011
; %bb.1:
	s_cmp_gt_i32 s16, s14
	s_cselect_b64 s[0:1], -1, 0
	v_cmp_gt_i32_e32 vcc, s44, v4
	s_mov_b64 s[2:3], -1
	s_mov_b64 s[26:27], 0
	s_mov_b64 s[20:21], 0
	s_and_saveexec_b64 s[22:23], vcc
	s_cbranch_execz .LBB54_248
; %bb.2:
	v_mul_lo_u32 v0, v4, s13
	v_mov_b32_e32 v1, s11
	s_and_b32 s24, 0xffff, s33
	s_cmp_lt_i32 s24, 11
	v_ashrrev_i32_e32 v2, 31, v0
	v_add_co_u32_e32 v0, vcc, s10, v0
	v_addc_co_u32_e32 v1, vcc, v1, v2, vcc
	s_cbranch_scc1 .LBB54_9
; %bb.3:
	s_cmp_gt_i32 s24, 25
	s_cbranch_scc0 .LBB54_18
; %bb.4:
	s_cmp_gt_i32 s24, 28
	s_cbranch_scc0 .LBB54_22
	;; [unrolled: 3-line block ×4, first 2 shown]
; %bb.7:
	s_cmp_eq_u32 s24, 46
	s_cbranch_scc0 .LBB54_28
; %bb.8:
	global_load_dword v2, v[0:1], off
	s_waitcnt vmcnt(0)
	v_lshlrev_b32_e32 v2, 16, v2
	v_cvt_i32_f32_e32 v2, v2
	s_branch .LBB54_30
.LBB54_9:
                                        ; implicit-def: $vgpr2
	s_mov_b64 s[2:3], 0
	s_cbranch_execnz .LBB54_199
.LBB54_10:
	s_andn2_b64 vcc, exec, s[2:3]
	s_cbranch_vccnz .LBB54_246
.LBB54_11:
	v_mul_lo_u32 v1, v4, s12
	v_mov_b32_e32 v0, s15
	v_mov_b32_e32 v3, s9
	s_waitcnt vmcnt(0)
	v_cndmask_b32_e64 v0, v0, v2, s[0:1]
	v_ashrrev_i32_e32 v5, 31, v1
	s_and_b32 s30, s17, 0xff
	v_add_co_u32_e32 v2, vcc, s8, v1
	s_cmp_lt_i32 s30, 11
	v_addc_co_u32_e32 v3, vcc, v3, v5, vcc
	s_cbranch_scc1 .LBB54_19
; %bb.12:
	s_and_b32 s31, 0xffff, s30
	s_cmp_gt_i32 s31, 25
	s_cbranch_scc0 .LBB54_23
; %bb.13:
	s_cmp_gt_i32 s31, 28
	s_cbranch_scc0 .LBB54_25
; %bb.14:
	;; [unrolled: 3-line block ×4, first 2 shown]
	s_mov_b64 s[24:25], 0
	s_mov_b64 s[2:3], -1
	s_cmp_eq_u32 s31, 46
	s_mov_b64 s[18:19], 0
	s_cbranch_scc0 .LBB54_34
; %bb.17:
	v_cvt_f32_i32_e32 v1, v0
	s_movk_i32 s2, 0x7fff
	s_mov_b64 s[18:19], -1
	v_bfe_u32 v5, v1, 16, 1
	v_add3_u32 v1, v1, v5, s2
	v_lshrrev_b32_e32 v1, 16, v1
	global_store_dword v[2:3], v1, off
	s_mov_b64 s[2:3], 0
	s_branch .LBB54_34
.LBB54_18:
	s_mov_b64 s[2:3], 0
                                        ; implicit-def: $vgpr2
	s_cbranch_execnz .LBB54_166
	s_branch .LBB54_198
.LBB54_19:
	s_mov_b64 s[2:3], 0
	s_mov_b64 s[18:19], 0
	s_cbranch_execnz .LBB54_103
.LBB54_20:
	s_andn2_b64 vcc, exec, s[18:19]
	s_cbranch_vccnz .LBB54_141
.LBB54_21:
	v_add_u32_e32 v4, 0x80, v4
	s_mov_b64 s[24:25], -1
	s_branch .LBB54_247
.LBB54_22:
	s_mov_b64 s[18:19], -1
	s_mov_b64 s[2:3], 0
                                        ; implicit-def: $vgpr2
	s_branch .LBB54_149
.LBB54_23:
	s_mov_b64 s[24:25], -1
	s_mov_b64 s[2:3], 0
	s_mov_b64 s[18:19], 0
	s_branch .LBB54_61
.LBB54_24:
	s_mov_b64 s[18:19], -1
	s_mov_b64 s[2:3], 0
                                        ; implicit-def: $vgpr2
	s_branch .LBB54_144
.LBB54_25:
	s_mov_b64 s[24:25], -1
	s_mov_b64 s[2:3], 0
	s_mov_b64 s[18:19], 0
	s_branch .LBB54_44
.LBB54_26:
	s_mov_b64 s[18:19], -1
	s_branch .LBB54_29
.LBB54_27:
	s_mov_b64 s[24:25], -1
	s_mov_b64 s[2:3], 0
	s_mov_b64 s[18:19], 0
	s_branch .LBB54_40
.LBB54_28:
	s_mov_b64 s[20:21], -1
.LBB54_29:
	s_mov_b64 s[2:3], 0
                                        ; implicit-def: $vgpr2
.LBB54_30:
	s_and_b64 vcc, exec, s[18:19]
	s_cbranch_vccz .LBB54_143
; %bb.31:
	s_cmp_eq_u32 s24, 44
	s_cbranch_scc0 .LBB54_142
; %bb.32:
	global_load_ubyte v2, v[0:1], off
	s_mov_b64 s[2:3], -1
	s_mov_b64 s[20:21], 0
	s_waitcnt vmcnt(0)
	v_lshlrev_b32_e32 v3, 23, v2
	v_cvt_i32_f32_e32 v3, v3
	v_cmp_ne_u32_e32 vcc, 0, v2
	v_cndmask_b32_e32 v2, 0, v3, vcc
	s_branch .LBB54_143
.LBB54_33:
	s_mov_b64 s[24:25], -1
	s_mov_b64 s[2:3], 0
	s_mov_b64 s[18:19], 0
.LBB54_34:
	s_and_b64 vcc, exec, s[24:25]
	s_cbranch_vccz .LBB54_39
; %bb.35:
	s_cmp_eq_u32 s31, 44
	s_mov_b64 s[2:3], -1
	s_cbranch_scc0 .LBB54_39
; %bb.36:
	v_cvt_f32_i32_e32 v1, v0
	s_movk_i32 s2, 0xff
	v_mov_b32_e32 v6, 0xff
	v_bfe_u32 v5, v1, 23, 8
	v_cmp_ne_u32_e32 vcc, s2, v5
	s_and_saveexec_b64 s[18:19], vcc
; %bb.37:
	s_mov_b32 s2, 0x3fffff
	v_lshrrev_b32_e32 v6, 23, v1
	v_and_b32_e32 v7, 0x400000, v1
	v_and_or_b32 v1, v1, s2, v5
	v_cmp_ne_u32_e32 vcc, 0, v7
	v_cmp_ne_u32_e64 s[2:3], 0, v1
	s_and_b64 s[2:3], vcc, s[2:3]
	v_cndmask_b32_e64 v1, 0, 1, s[2:3]
	v_add_u32_e32 v6, v6, v1
; %bb.38:
	s_or_b64 exec, exec, s[18:19]
	s_mov_b64 s[18:19], -1
	s_mov_b64 s[2:3], 0
	global_store_byte v[2:3], v6, off
.LBB54_39:
	s_mov_b64 s[24:25], 0
.LBB54_40:
	s_and_b64 vcc, exec, s[24:25]
	s_cbranch_vccz .LBB54_43
; %bb.41:
	s_cmp_eq_u32 s31, 29
	s_mov_b64 s[2:3], -1
	s_cbranch_scc0 .LBB54_43
; %bb.42:
	v_ashrrev_i32_e32 v1, 31, v0
	global_store_dwordx2 v[2:3], v[0:1], off
	s_mov_b64 s[18:19], -1
	s_mov_b64 s[2:3], 0
.LBB54_43:
	s_mov_b64 s[24:25], 0
.LBB54_44:
	s_and_b64 vcc, exec, s[24:25]
	s_cbranch_vccz .LBB54_60
; %bb.45:
	s_cmp_lt_i32 s31, 27
	s_mov_b64 s[18:19], -1
	s_cbranch_scc1 .LBB54_51
; %bb.46:
	s_cmp_gt_i32 s31, 27
	s_cbranch_scc0 .LBB54_48
; %bb.47:
	s_mov_b64 s[18:19], 0
	global_store_dword v[2:3], v0, off
.LBB54_48:
	s_andn2_b64 vcc, exec, s[18:19]
	s_cbranch_vccnz .LBB54_50
; %bb.49:
	global_store_short v[2:3], v0, off
.LBB54_50:
	s_mov_b64 s[18:19], 0
.LBB54_51:
	s_andn2_b64 vcc, exec, s[18:19]
	s_cbranch_vccnz .LBB54_59
; %bb.52:
	v_cvt_f32_i32_e32 v1, v0
	s_mov_b32 s18, 0x43800000
	v_mov_b32_e32 v6, 0x80
	v_and_b32_e32 v5, 0x7fffffff, v1
	v_cmp_gt_u32_e32 vcc, s18, v5
	s_and_saveexec_b64 s[18:19], vcc
	s_cbranch_execz .LBB54_58
; %bb.53:
	s_mov_b32 s24, 0x3bffffff
	v_cmp_lt_u32_e32 vcc, s24, v5
	s_mov_b64 s[24:25], 0
                                        ; implicit-def: $vgpr5
	s_and_saveexec_b64 s[28:29], vcc
	s_xor_b64 s[28:29], exec, s[28:29]
	s_cbranch_execz .LBB54_275
; %bb.54:
	v_bfe_u32 v5, v1, 20, 1
	s_mov_b32 s34, 0x487ffff
	v_add3_u32 v5, v1, v5, s34
	s_mov_b64 s[24:25], exec
	v_lshrrev_b32_e32 v5, 20, v5
	s_andn2_saveexec_b64 s[28:29], s[28:29]
	s_cbranch_execnz .LBB54_276
.LBB54_55:
	s_or_b64 exec, exec, s[28:29]
	v_mov_b32_e32 v6, 0
	s_and_saveexec_b64 s[28:29], s[24:25]
.LBB54_56:
	v_lshrrev_b32_e32 v1, 24, v1
	s_movk_i32 s24, 0x80
	v_and_or_b32 v6, v1, s24, v5
.LBB54_57:
	s_or_b64 exec, exec, s[28:29]
.LBB54_58:
	s_or_b64 exec, exec, s[18:19]
	global_store_byte v[2:3], v6, off
.LBB54_59:
	s_mov_b64 s[18:19], -1
.LBB54_60:
	s_mov_b64 s[24:25], 0
.LBB54_61:
	s_and_b64 vcc, exec, s[24:25]
	s_cbranch_vccz .LBB54_102
; %bb.62:
	s_cmp_gt_i32 s31, 22
	s_mov_b64 s[24:25], -1
	s_cbranch_scc0 .LBB54_94
; %bb.63:
	s_cmp_lt_i32 s31, 24
	s_mov_b64 s[18:19], -1
	s_cbranch_scc1 .LBB54_83
; %bb.64:
	s_cmp_gt_i32 s31, 24
	s_cbranch_scc0 .LBB54_72
; %bb.65:
	v_cvt_f32_i32_e32 v1, v0
	s_mov_b32 s18, 0x47800000
	v_mov_b32_e32 v6, 0x80
	v_and_b32_e32 v5, 0x7fffffff, v1
	v_cmp_gt_u32_e32 vcc, s18, v5
	s_and_saveexec_b64 s[18:19], vcc
	s_cbranch_execz .LBB54_71
; %bb.66:
	s_mov_b32 s24, 0x37ffffff
	v_cmp_lt_u32_e32 vcc, s24, v5
	s_mov_b64 s[24:25], 0
                                        ; implicit-def: $vgpr5
	s_and_saveexec_b64 s[28:29], vcc
	s_xor_b64 s[28:29], exec, s[28:29]
	s_cbranch_execz .LBB54_279
; %bb.67:
	v_bfe_u32 v5, v1, 21, 1
	s_mov_b32 s34, 0x88fffff
	v_add3_u32 v5, v1, v5, s34
	s_mov_b64 s[24:25], exec
	v_lshrrev_b32_e32 v5, 21, v5
	s_andn2_saveexec_b64 s[28:29], s[28:29]
	s_cbranch_execnz .LBB54_280
.LBB54_68:
	s_or_b64 exec, exec, s[28:29]
	v_mov_b32_e32 v6, 0
	s_and_saveexec_b64 s[28:29], s[24:25]
.LBB54_69:
	v_lshrrev_b32_e32 v1, 24, v1
	s_movk_i32 s24, 0x80
	v_and_or_b32 v6, v1, s24, v5
.LBB54_70:
	s_or_b64 exec, exec, s[28:29]
.LBB54_71:
	s_or_b64 exec, exec, s[18:19]
	s_mov_b64 s[18:19], 0
	global_store_byte v[2:3], v6, off
.LBB54_72:
	s_and_b64 vcc, exec, s[18:19]
	s_cbranch_vccz .LBB54_82
; %bb.73:
	v_cvt_f32_i32_e32 v1, v0
	s_mov_b32 s18, 0x43f00000
                                        ; implicit-def: $vgpr5
	v_and_b32_e32 v6, 0x7fffffff, v1
	v_cmp_gt_u32_e32 vcc, s18, v6
	s_and_saveexec_b64 s[18:19], vcc
	s_xor_b64 s[18:19], exec, s[18:19]
	s_cbranch_execz .LBB54_79
; %bb.74:
	s_mov_b32 s24, 0x3c7fffff
	v_cmp_lt_u32_e32 vcc, s24, v6
                                        ; implicit-def: $vgpr5
	s_and_saveexec_b64 s[24:25], vcc
	s_xor_b64 s[24:25], exec, s[24:25]
; %bb.75:
	v_bfe_u32 v5, v1, 20, 1
	s_mov_b32 s28, 0x407ffff
	v_add3_u32 v5, v1, v5, s28
	v_lshrrev_b32_e32 v6, 20, v5
	v_and_b32_e32 v5, 0xff00000, v5
	s_mov_b32 s28, 0x7f00000
	v_mov_b32_e32 v7, 0x7e
	v_cmp_ne_u32_e32 vcc, s28, v5
	v_cndmask_b32_e32 v5, v7, v6, vcc
; %bb.76:
	s_andn2_saveexec_b64 s[24:25], s[24:25]
; %bb.77:
	s_mov_b32 s28, 0x46800000
	v_add_f32_e64 v5, |v1|, s28
; %bb.78:
	s_or_b64 exec, exec, s[24:25]
                                        ; implicit-def: $vgpr6
.LBB54_79:
	s_andn2_saveexec_b64 s[18:19], s[18:19]
; %bb.80:
	s_mov_b32 s24, 0x7f800000
	v_mov_b32_e32 v5, 0x7e
	v_mov_b32_e32 v7, 0x7f
	v_cmp_lt_u32_e32 vcc, s24, v6
	v_cndmask_b32_e32 v5, v5, v7, vcc
; %bb.81:
	s_or_b64 exec, exec, s[18:19]
	v_lshrrev_b32_e32 v1, 24, v1
	s_movk_i32 s18, 0x80
	v_and_or_b32 v1, v1, s18, v5
	global_store_byte v[2:3], v1, off
.LBB54_82:
	s_mov_b64 s[18:19], 0
.LBB54_83:
	s_andn2_b64 vcc, exec, s[18:19]
	s_cbranch_vccnz .LBB54_93
; %bb.84:
	v_cvt_f32_i32_e32 v1, v0
	s_mov_b32 s18, 0x47800000
                                        ; implicit-def: $vgpr5
	v_and_b32_e32 v6, 0x7fffffff, v1
	v_cmp_gt_u32_e32 vcc, s18, v6
	s_and_saveexec_b64 s[18:19], vcc
	s_xor_b64 s[18:19], exec, s[18:19]
	s_cbranch_execz .LBB54_90
; %bb.85:
	s_mov_b32 s24, 0x387fffff
	v_cmp_lt_u32_e32 vcc, s24, v6
                                        ; implicit-def: $vgpr5
	s_and_saveexec_b64 s[24:25], vcc
	s_xor_b64 s[24:25], exec, s[24:25]
; %bb.86:
	v_bfe_u32 v5, v1, 21, 1
	s_mov_b32 s28, 0x80fffff
	v_add3_u32 v5, v1, v5, s28
	v_lshrrev_b32_e32 v5, 21, v5
; %bb.87:
	s_andn2_saveexec_b64 s[24:25], s[24:25]
; %bb.88:
	s_mov_b32 s28, 0x43000000
	v_add_f32_e64 v5, |v1|, s28
; %bb.89:
	s_or_b64 exec, exec, s[24:25]
                                        ; implicit-def: $vgpr6
.LBB54_90:
	s_andn2_saveexec_b64 s[18:19], s[18:19]
; %bb.91:
	s_mov_b32 s24, 0x7f800000
	v_mov_b32_e32 v5, 0x7c
	v_mov_b32_e32 v7, 0x7f
	v_cmp_lt_u32_e32 vcc, s24, v6
	v_cndmask_b32_e32 v5, v5, v7, vcc
; %bb.92:
	s_or_b64 exec, exec, s[18:19]
	v_lshrrev_b32_e32 v1, 24, v1
	s_movk_i32 s18, 0x80
	v_and_or_b32 v1, v1, s18, v5
	global_store_byte v[2:3], v1, off
.LBB54_93:
	s_mov_b64 s[24:25], 0
	s_mov_b64 s[18:19], -1
.LBB54_94:
	s_andn2_b64 vcc, exec, s[24:25]
	s_cbranch_vccnz .LBB54_102
; %bb.95:
	s_cmp_gt_i32 s31, 14
	s_mov_b64 s[24:25], -1
	s_cbranch_scc0 .LBB54_99
; %bb.96:
	s_cmp_eq_u32 s31, 15
	s_mov_b64 s[2:3], -1
	s_cbranch_scc0 .LBB54_98
; %bb.97:
	v_cvt_f32_i32_e32 v1, v0
	s_movk_i32 s2, 0x7fff
	s_mov_b64 s[18:19], -1
	v_bfe_u32 v5, v1, 16, 1
	v_add3_u32 v1, v1, v5, s2
	global_store_short_d16_hi v[2:3], v1, off
	s_mov_b64 s[2:3], 0
.LBB54_98:
	s_mov_b64 s[24:25], 0
.LBB54_99:
	s_and_b64 vcc, exec, s[24:25]
	s_cbranch_vccz .LBB54_102
; %bb.100:
	s_cmp_eq_u32 s31, 11
	s_mov_b64 s[2:3], -1
	s_cbranch_scc0 .LBB54_102
; %bb.101:
	v_cmp_ne_u32_e32 vcc, 0, v0
	v_cndmask_b32_e64 v1, 0, 1, vcc
	s_mov_b64 s[18:19], -1
	s_mov_b64 s[2:3], 0
	global_store_byte v[2:3], v1, off
.LBB54_102:
	s_branch .LBB54_20
.LBB54_103:
	s_and_b32 s24, 0xffff, s30
	s_cmp_lt_i32 s24, 5
	s_mov_b64 s[18:19], -1
	s_cbranch_scc1 .LBB54_124
; %bb.104:
	s_cmp_lt_i32 s24, 8
	s_cbranch_scc1 .LBB54_114
; %bb.105:
	s_cmp_lt_i32 s24, 9
	s_cbranch_scc1 .LBB54_111
; %bb.106:
	s_cmp_gt_i32 s24, 9
	s_cbranch_scc0 .LBB54_108
; %bb.107:
	v_cvt_f64_i32_e32 v[5:6], v0
	v_mov_b32_e32 v7, 0
	v_mov_b32_e32 v8, v7
	s_mov_b64 s[18:19], 0
	global_store_dwordx4 v[2:3], v[5:8], off
.LBB54_108:
	s_andn2_b64 vcc, exec, s[18:19]
	s_cbranch_vccnz .LBB54_110
; %bb.109:
	v_cvt_f32_i32_e32 v5, v0
	v_mov_b32_e32 v6, 0
	global_store_dwordx2 v[2:3], v[5:6], off
.LBB54_110:
	s_mov_b64 s[18:19], 0
.LBB54_111:
	s_andn2_b64 vcc, exec, s[18:19]
	s_cbranch_vccnz .LBB54_113
; %bb.112:
	v_cvt_f32_i32_e32 v1, v0
	v_cvt_f16_f32_e32 v1, v1
	global_store_dword v[2:3], v1, off
.LBB54_113:
	s_mov_b64 s[18:19], 0
.LBB54_114:
	s_andn2_b64 vcc, exec, s[18:19]
	s_cbranch_vccnz .LBB54_123
; %bb.115:
	s_cmp_lt_i32 s24, 6
	s_mov_b64 s[18:19], -1
	s_cbranch_scc1 .LBB54_121
; %bb.116:
	s_cmp_gt_i32 s24, 6
	s_cbranch_scc0 .LBB54_118
; %bb.117:
	v_cvt_f64_i32_e32 v[5:6], v0
	s_mov_b64 s[18:19], 0
	global_store_dwordx2 v[2:3], v[5:6], off
.LBB54_118:
	s_andn2_b64 vcc, exec, s[18:19]
	s_cbranch_vccnz .LBB54_120
; %bb.119:
	v_cvt_f32_i32_e32 v1, v0
	global_store_dword v[2:3], v1, off
.LBB54_120:
	s_mov_b64 s[18:19], 0
.LBB54_121:
	s_andn2_b64 vcc, exec, s[18:19]
	s_cbranch_vccnz .LBB54_123
; %bb.122:
	v_cvt_f32_i32_e32 v1, v0
	v_cvt_f16_f32_e32 v1, v1
	global_store_short v[2:3], v1, off
.LBB54_123:
	s_mov_b64 s[18:19], 0
.LBB54_124:
	s_andn2_b64 vcc, exec, s[18:19]
	s_cbranch_vccnz .LBB54_140
; %bb.125:
	s_cmp_lt_i32 s24, 2
	s_mov_b64 s[18:19], -1
	s_cbranch_scc1 .LBB54_135
; %bb.126:
	s_cmp_lt_i32 s24, 3
	s_cbranch_scc1 .LBB54_132
; %bb.127:
	s_cmp_gt_i32 s24, 3
	s_cbranch_scc0 .LBB54_129
; %bb.128:
	v_ashrrev_i32_e32 v1, 31, v0
	global_store_dwordx2 v[2:3], v[0:1], off
	s_mov_b64 s[18:19], 0
.LBB54_129:
	s_andn2_b64 vcc, exec, s[18:19]
	s_cbranch_vccnz .LBB54_131
; %bb.130:
	global_store_dword v[2:3], v0, off
.LBB54_131:
	s_mov_b64 s[18:19], 0
.LBB54_132:
	s_andn2_b64 vcc, exec, s[18:19]
	s_cbranch_vccnz .LBB54_134
; %bb.133:
	global_store_short v[2:3], v0, off
.LBB54_134:
	s_mov_b64 s[18:19], 0
.LBB54_135:
	s_andn2_b64 vcc, exec, s[18:19]
	s_cbranch_vccnz .LBB54_140
; %bb.136:
	s_cmp_gt_i32 s24, 0
	s_mov_b64 s[18:19], -1
	s_cbranch_scc0 .LBB54_138
; %bb.137:
	global_store_byte v[2:3], v0, off
	s_mov_b64 s[18:19], 0
.LBB54_138:
	s_andn2_b64 vcc, exec, s[18:19]
	s_cbranch_vccnz .LBB54_140
; %bb.139:
	global_store_byte v[2:3], v0, off
.LBB54_140:
	s_branch .LBB54_21
.LBB54_141:
	s_mov_b64 s[24:25], 0
                                        ; implicit-def: $vgpr4
	s_branch .LBB54_247
.LBB54_142:
	s_mov_b64 s[20:21], -1
                                        ; implicit-def: $vgpr2
.LBB54_143:
	s_mov_b64 s[18:19], 0
.LBB54_144:
	s_and_b64 vcc, exec, s[18:19]
	s_cbranch_vccz .LBB54_148
; %bb.145:
	s_cmp_eq_u32 s24, 29
	s_cbranch_scc0 .LBB54_147
; %bb.146:
	global_load_dword v2, v[0:1], off
	s_mov_b64 s[2:3], -1
	s_mov_b64 s[20:21], 0
	s_branch .LBB54_148
.LBB54_147:
	s_mov_b64 s[20:21], -1
                                        ; implicit-def: $vgpr2
.LBB54_148:
	s_mov_b64 s[18:19], 0
.LBB54_149:
	s_and_b64 vcc, exec, s[18:19]
	s_cbranch_vccz .LBB54_165
; %bb.150:
	s_cmp_lt_i32 s24, 27
	s_cbranch_scc1 .LBB54_153
; %bb.151:
	s_cmp_gt_i32 s24, 27
	s_cbranch_scc0 .LBB54_154
; %bb.152:
	global_load_dword v2, v[0:1], off
	s_mov_b64 s[2:3], 0
	s_branch .LBB54_155
.LBB54_153:
	s_mov_b64 s[2:3], -1
                                        ; implicit-def: $vgpr2
	s_branch .LBB54_158
.LBB54_154:
	s_mov_b64 s[2:3], -1
                                        ; implicit-def: $vgpr2
.LBB54_155:
	s_andn2_b64 vcc, exec, s[2:3]
	s_cbranch_vccnz .LBB54_157
; %bb.156:
	global_load_ushort v2, v[0:1], off
.LBB54_157:
	s_mov_b64 s[2:3], 0
.LBB54_158:
	s_andn2_b64 vcc, exec, s[2:3]
	s_cbranch_vccnz .LBB54_164
; %bb.159:
	global_load_ubyte v3, v[0:1], off
	s_movk_i32 s2, 0x7f
	s_mov_b64 s[18:19], 0
	s_waitcnt vmcnt(0)
	v_cmp_lt_i16_e32 vcc, s2, v3
	s_and_saveexec_b64 s[2:3], vcc
	s_xor_b64 s[2:3], exec, s[2:3]
	s_cbranch_execz .LBB54_175
; %bb.160:
	s_movk_i32 s18, 0x80
	v_cmp_ne_u16_e32 vcc, s18, v3
	s_and_b64 s[18:19], vcc, exec
	s_andn2_saveexec_b64 s[2:3], s[2:3]
	s_cbranch_execnz .LBB54_176
.LBB54_161:
	s_or_b64 exec, exec, s[2:3]
	v_mov_b32_e32 v2, 0
	s_and_saveexec_b64 s[2:3], s[18:19]
	s_cbranch_execz .LBB54_163
.LBB54_162:
	v_lshlrev_b32_e32 v2, 24, v3
	v_and_b32_e32 v3, 0xffff, v3
	v_and_b32_e32 v5, 7, v3
	v_ffbh_u32_e32 v7, v5
	v_min_u32_e32 v7, 32, v7
	v_subrev_u32_e32 v8, 28, v7
	v_bfe_u32 v6, v3, 3, 4
	v_lshlrev_b32_e32 v3, v8, v3
	v_sub_u32_e32 v7, 29, v7
	v_and_b32_e32 v3, 7, v3
	v_cmp_eq_u32_e32 vcc, 0, v6
	v_cndmask_b32_e32 v6, v6, v7, vcc
	v_cndmask_b32_e32 v3, v5, v3, vcc
	v_mov_b32_e32 v5, 0x3b800000
	v_lshlrev_b32_e32 v3, 20, v3
	v_and_b32_e32 v2, 0x80000000, v2
	v_lshl_add_u32 v5, v6, 23, v5
	v_or3_b32 v2, v2, v5, v3
	v_cvt_i32_f32_e32 v2, v2
.LBB54_163:
	s_or_b64 exec, exec, s[2:3]
.LBB54_164:
	s_mov_b64 s[2:3], -1
.LBB54_165:
	s_branch .LBB54_198
.LBB54_166:
	s_cmp_gt_i32 s24, 22
	s_cbranch_scc0 .LBB54_174
; %bb.167:
	s_cmp_lt_i32 s24, 24
	s_cbranch_scc1 .LBB54_177
; %bb.168:
	s_cmp_gt_i32 s24, 24
	s_cbranch_scc0 .LBB54_178
; %bb.169:
	global_load_ubyte v3, v[0:1], off
	s_movk_i32 s2, 0x7f
	s_mov_b64 s[18:19], 0
	s_waitcnt vmcnt(0)
	v_cmp_lt_i16_e32 vcc, s2, v3
	s_and_saveexec_b64 s[2:3], vcc
	s_xor_b64 s[2:3], exec, s[2:3]
	s_cbranch_execz .LBB54_190
; %bb.170:
	s_movk_i32 s18, 0x80
	v_cmp_ne_u16_e32 vcc, s18, v3
	s_and_b64 s[18:19], vcc, exec
	s_andn2_saveexec_b64 s[2:3], s[2:3]
	s_cbranch_execnz .LBB54_191
.LBB54_171:
	s_or_b64 exec, exec, s[2:3]
	v_mov_b32_e32 v2, 0
	s_and_saveexec_b64 s[2:3], s[18:19]
	s_cbranch_execz .LBB54_173
.LBB54_172:
	v_lshlrev_b32_e32 v2, 24, v3
	v_and_b32_e32 v3, 0xffff, v3
	v_and_b32_e32 v5, 3, v3
	v_ffbh_u32_e32 v7, v5
	v_min_u32_e32 v7, 32, v7
	v_subrev_u32_e32 v8, 29, v7
	v_bfe_u32 v6, v3, 2, 5
	v_lshlrev_b32_e32 v3, v8, v3
	v_sub_u32_e32 v7, 30, v7
	v_and_b32_e32 v3, 3, v3
	v_cmp_eq_u32_e32 vcc, 0, v6
	v_cndmask_b32_e32 v6, v6, v7, vcc
	v_cndmask_b32_e32 v3, v5, v3, vcc
	v_mov_b32_e32 v5, 0x37800000
	v_lshlrev_b32_e32 v3, 21, v3
	v_and_b32_e32 v2, 0x80000000, v2
	v_lshl_add_u32 v5, v6, 23, v5
	v_or3_b32 v2, v2, v5, v3
	v_cvt_i32_f32_e32 v2, v2
.LBB54_173:
	s_or_b64 exec, exec, s[2:3]
	s_mov_b64 s[2:3], 0
	s_branch .LBB54_179
.LBB54_174:
	s_mov_b64 s[18:19], -1
                                        ; implicit-def: $vgpr2
	s_branch .LBB54_185
.LBB54_175:
	s_andn2_saveexec_b64 s[2:3], s[2:3]
	s_cbranch_execz .LBB54_161
.LBB54_176:
	v_cmp_ne_u16_e32 vcc, 0, v3
	s_andn2_b64 s[18:19], s[18:19], exec
	s_and_b64 s[28:29], vcc, exec
	s_or_b64 s[18:19], s[18:19], s[28:29]
	s_or_b64 exec, exec, s[2:3]
	v_mov_b32_e32 v2, 0
	s_and_saveexec_b64 s[2:3], s[18:19]
	s_cbranch_execnz .LBB54_162
	s_branch .LBB54_163
.LBB54_177:
	s_mov_b64 s[2:3], -1
                                        ; implicit-def: $vgpr2
	s_branch .LBB54_182
.LBB54_178:
	s_mov_b64 s[2:3], -1
                                        ; implicit-def: $vgpr2
.LBB54_179:
	s_and_b64 vcc, exec, s[2:3]
	s_cbranch_vccz .LBB54_181
; %bb.180:
	global_load_ubyte v2, v[0:1], off
	s_mov_b32 s2, 0x7f800000
	s_waitcnt vmcnt(0)
	v_lshlrev_b32_e32 v2, 24, v2
	v_and_b32_e32 v3, 0x7f000000, v2
	v_ffbh_u32_e32 v5, v3
	v_min_u32_e32 v5, 32, v5
	v_sub_u32_e64 v5, v5, 4 clamp
	v_lshlrev_b32_e32 v7, v5, v3
	v_lshlrev_b32_e32 v5, 23, v5
	v_lshrrev_b32_e32 v7, 4, v7
	v_add_u32_e32 v6, 0x1000000, v3
	v_sub_u32_e32 v5, v7, v5
	v_ashrrev_i32_e32 v6, 8, v6
	v_add_u32_e32 v5, 0x3c000000, v5
	v_and_or_b32 v5, v6, s2, v5
	v_cmp_ne_u32_e32 vcc, 0, v3
	v_cndmask_b32_e32 v3, 0, v5, vcc
	s_brev_b32 s2, 1
	v_and_or_b32 v2, v2, s2, v3
	v_cvt_i32_f32_e32 v2, v2
.LBB54_181:
	s_mov_b64 s[2:3], 0
.LBB54_182:
	s_andn2_b64 vcc, exec, s[2:3]
	s_cbranch_vccnz .LBB54_184
; %bb.183:
	global_load_ubyte v2, v[0:1], off
	s_movk_i32 s2, 0x7f00
	s_brev_b32 s3, 16
	s_waitcnt vmcnt(0)
	v_lshlrev_b16_e32 v3, 8, v2
	v_lshlrev_b32_e32 v2, 25, v2
	v_lshrrev_b32_e32 v5, 4, v2
	v_and_or_b32 v6, v3, s2, 0.5
	v_or_b32_e32 v5, 0x70000000, v5
	v_add_f32_e32 v6, -0.5, v6
	v_mul_f32_e32 v5, 0x7800000, v5
	v_cmp_gt_u32_e32 vcc, s3, v2
	v_bfe_i32 v3, v3, 0, 16
	v_cndmask_b32_e32 v2, v5, v6, vcc
	s_brev_b32 s2, 1
	v_and_or_b32 v2, v3, s2, v2
	v_cvt_i32_f32_e32 v2, v2
.LBB54_184:
	s_mov_b64 s[18:19], 0
	s_mov_b64 s[2:3], -1
.LBB54_185:
	s_andn2_b64 vcc, exec, s[18:19]
	s_cbranch_vccnz .LBB54_198
; %bb.186:
	s_cmp_gt_i32 s24, 14
	s_cbranch_scc0 .LBB54_189
; %bb.187:
	s_cmp_eq_u32 s24, 15
	s_cbranch_scc0 .LBB54_192
; %bb.188:
	global_load_ushort v2, v[0:1], off
	s_mov_b64 s[2:3], -1
	s_mov_b64 s[20:21], 0
	s_waitcnt vmcnt(0)
	v_lshlrev_b32_e32 v2, 16, v2
	v_cvt_i32_f32_e32 v2, v2
	s_branch .LBB54_193
.LBB54_189:
	s_mov_b64 s[18:19], -1
                                        ; implicit-def: $vgpr2
	s_branch .LBB54_194
.LBB54_190:
	s_andn2_saveexec_b64 s[2:3], s[2:3]
	s_cbranch_execz .LBB54_171
.LBB54_191:
	v_cmp_ne_u16_e32 vcc, 0, v3
	s_andn2_b64 s[18:19], s[18:19], exec
	s_and_b64 s[28:29], vcc, exec
	s_or_b64 s[18:19], s[18:19], s[28:29]
	s_or_b64 exec, exec, s[2:3]
	v_mov_b32_e32 v2, 0
	s_and_saveexec_b64 s[2:3], s[18:19]
	s_cbranch_execnz .LBB54_172
	s_branch .LBB54_173
.LBB54_192:
	s_mov_b64 s[20:21], -1
                                        ; implicit-def: $vgpr2
.LBB54_193:
	s_mov_b64 s[18:19], 0
.LBB54_194:
	s_and_b64 vcc, exec, s[18:19]
	s_cbranch_vccz .LBB54_198
; %bb.195:
	s_cmp_eq_u32 s24, 11
	s_cbranch_scc0 .LBB54_197
; %bb.196:
	global_load_ubyte v2, v[0:1], off
	s_mov_b64 s[2:3], -1
	s_mov_b64 s[20:21], 0
	s_waitcnt vmcnt(0)
	v_cmp_ne_u16_e32 vcc, 0, v2
	v_cndmask_b32_e64 v2, 0, 1, vcc
	s_branch .LBB54_198
.LBB54_197:
	s_mov_b64 s[20:21], -1
                                        ; implicit-def: $vgpr2
.LBB54_198:
	s_branch .LBB54_10
.LBB54_199:
	s_cmp_lt_i32 s24, 5
	s_cbranch_scc1 .LBB54_204
; %bb.200:
	s_cmp_lt_i32 s24, 8
	s_cbranch_scc1 .LBB54_205
; %bb.201:
	;; [unrolled: 3-line block ×3, first 2 shown]
	s_cmp_gt_i32 s24, 9
	s_cbranch_scc0 .LBB54_207
; %bb.203:
	global_load_dwordx2 v[2:3], v[0:1], off
	s_mov_b64 s[2:3], 0
	s_waitcnt vmcnt(0)
	v_cvt_i32_f64_e32 v2, v[2:3]
	s_branch .LBB54_208
.LBB54_204:
                                        ; implicit-def: $vgpr2
	s_branch .LBB54_226
.LBB54_205:
	s_mov_b64 s[2:3], -1
                                        ; implicit-def: $vgpr2
	s_branch .LBB54_214
.LBB54_206:
	s_mov_b64 s[2:3], -1
                                        ; implicit-def: $vgpr2
	s_branch .LBB54_211
.LBB54_207:
	s_mov_b64 s[2:3], -1
                                        ; implicit-def: $vgpr2
.LBB54_208:
	s_andn2_b64 vcc, exec, s[2:3]
	s_cbranch_vccnz .LBB54_210
; %bb.209:
	global_load_dword v2, v[0:1], off
	s_waitcnt vmcnt(0)
	v_cvt_i32_f32_e32 v2, v2
.LBB54_210:
	s_mov_b64 s[2:3], 0
.LBB54_211:
	s_andn2_b64 vcc, exec, s[2:3]
	s_cbranch_vccnz .LBB54_213
; %bb.212:
	global_load_dword v2, v[0:1], off
	s_waitcnt vmcnt(0)
	v_cvt_f32_f16_e32 v2, v2
	v_cvt_i32_f32_e32 v2, v2
.LBB54_213:
	s_mov_b64 s[2:3], 0
.LBB54_214:
	s_andn2_b64 vcc, exec, s[2:3]
	s_cbranch_vccnz .LBB54_225
; %bb.215:
	s_cmp_lt_i32 s24, 6
	s_cbranch_scc1 .LBB54_218
; %bb.216:
	s_cmp_gt_i32 s24, 6
	s_cbranch_scc0 .LBB54_219
; %bb.217:
	global_load_dwordx2 v[2:3], v[0:1], off
	s_mov_b64 s[2:3], 0
	s_waitcnt vmcnt(0)
	v_cvt_i32_f64_e32 v2, v[2:3]
	s_branch .LBB54_220
.LBB54_218:
	s_mov_b64 s[2:3], -1
                                        ; implicit-def: $vgpr2
	s_branch .LBB54_223
.LBB54_219:
	s_mov_b64 s[2:3], -1
                                        ; implicit-def: $vgpr2
.LBB54_220:
	s_andn2_b64 vcc, exec, s[2:3]
	s_cbranch_vccnz .LBB54_222
; %bb.221:
	global_load_dword v2, v[0:1], off
	s_waitcnt vmcnt(0)
	v_cvt_i32_f32_e32 v2, v2
.LBB54_222:
	s_mov_b64 s[2:3], 0
.LBB54_223:
	s_andn2_b64 vcc, exec, s[2:3]
	s_cbranch_vccnz .LBB54_225
; %bb.224:
	global_load_ushort v2, v[0:1], off
	s_waitcnt vmcnt(0)
	v_cvt_f32_f16_e32 v2, v2
	v_cvt_i32_f32_e32 v2, v2
.LBB54_225:
	s_cbranch_execnz .LBB54_245
.LBB54_226:
	s_cmp_lt_i32 s24, 2
	s_cbranch_scc1 .LBB54_230
; %bb.227:
	s_cmp_lt_i32 s24, 3
	s_cbranch_scc1 .LBB54_231
; %bb.228:
	s_cmp_gt_i32 s24, 3
	s_cbranch_scc0 .LBB54_232
; %bb.229:
	global_load_dword v2, v[0:1], off
	s_mov_b64 s[2:3], 0
	s_branch .LBB54_233
.LBB54_230:
	s_mov_b64 s[2:3], -1
                                        ; implicit-def: $vgpr2
	s_branch .LBB54_239
.LBB54_231:
	s_mov_b64 s[2:3], -1
                                        ; implicit-def: $vgpr2
	s_branch .LBB54_236
.LBB54_232:
	s_mov_b64 s[2:3], -1
                                        ; implicit-def: $vgpr2
.LBB54_233:
	s_andn2_b64 vcc, exec, s[2:3]
	s_cbranch_vccnz .LBB54_235
; %bb.234:
	global_load_dword v2, v[0:1], off
.LBB54_235:
	s_mov_b64 s[2:3], 0
.LBB54_236:
	s_andn2_b64 vcc, exec, s[2:3]
	s_cbranch_vccnz .LBB54_238
; %bb.237:
	global_load_sshort v2, v[0:1], off
.LBB54_238:
	s_mov_b64 s[2:3], 0
.LBB54_239:
	s_andn2_b64 vcc, exec, s[2:3]
	s_cbranch_vccnz .LBB54_245
; %bb.240:
	s_cmp_gt_i32 s24, 0
	s_cbranch_scc0 .LBB54_242
; %bb.241:
	global_load_sbyte v2, v[0:1], off
	s_mov_b64 s[2:3], 0
	s_branch .LBB54_243
.LBB54_242:
	s_mov_b64 s[2:3], -1
                                        ; implicit-def: $vgpr2
.LBB54_243:
	s_andn2_b64 vcc, exec, s[2:3]
	s_cbranch_vccnz .LBB54_245
; %bb.244:
	global_load_ubyte v2, v[0:1], off
.LBB54_245:
	s_branch .LBB54_11
.LBB54_246:
	s_mov_b64 s[2:3], 0
                                        ; implicit-def: $vgpr4
	s_mov_b64 s[24:25], 0
.LBB54_247:
	s_and_b64 s[18:19], s[2:3], exec
	s_and_b64 s[20:21], s[20:21], exec
	s_orn2_b64 s[2:3], s[24:25], exec
.LBB54_248:
	s_or_b64 exec, exec, s[22:23]
	s_mov_b64 s[30:31], 0
	s_mov_b64 s[28:29], 0
                                        ; implicit-def: $vgpr0_vgpr1
                                        ; implicit-def: $vgpr5
	s_and_saveexec_b64 s[22:23], s[2:3]
	s_cbranch_execz .LBB54_257
; %bb.249:
	v_cmp_gt_i32_e32 vcc, s44, v4
	s_mov_b64 s[2:3], -1
	s_mov_b64 s[24:25], s[20:21]
	s_mov_b64 s[26:27], s[18:19]
	s_and_saveexec_b64 s[28:29], vcc
	s_cbranch_execz .LBB54_505
; %bb.250:
	v_mul_lo_u32 v0, v4, s13
	v_mov_b32_e32 v1, s11
	s_and_b32 s30, 0xffff, s33
	s_cmp_lt_i32 s30, 11
	s_waitcnt vmcnt(0)
	v_ashrrev_i32_e32 v2, 31, v0
	v_add_co_u32_e32 v0, vcc, s10, v0
	v_addc_co_u32_e32 v1, vcc, v1, v2, vcc
	s_cbranch_scc1 .LBB54_260
; %bb.251:
	s_cmp_gt_i32 s30, 25
	s_cbranch_scc0 .LBB54_269
; %bb.252:
	s_cmp_gt_i32 s30, 28
	s_cbranch_scc0 .LBB54_271
	;; [unrolled: 3-line block ×4, first 2 shown]
; %bb.255:
	s_cmp_eq_u32 s30, 46
	s_mov_b64 s[26:27], 0
	s_cbranch_scc0 .LBB54_281
; %bb.256:
	global_load_dword v2, v[0:1], off
	s_mov_b64 s[24:25], 0
	s_waitcnt vmcnt(0)
	v_lshlrev_b32_e32 v2, 16, v2
	v_cvt_i32_f32_e32 v2, v2
	s_branch .LBB54_282
.LBB54_257:
	s_or_b64 exec, exec, s[22:23]
	s_mov_b64 s[2:3], 0
	s_and_saveexec_b64 s[22:23], s[20:21]
	s_cbranch_execnz .LBB54_843
.LBB54_258:
	s_or_b64 exec, exec, s[22:23]
	s_and_saveexec_b64 s[20:21], s[26:27]
	s_xor_b64 s[20:21], exec, s[20:21]
	s_cbranch_execz .LBB54_844
.LBB54_259:
	global_load_ubyte v2, v[0:1], off
	s_or_b64 s[28:29], s[28:29], exec
	s_waitcnt vmcnt(0)
	v_cmp_ne_u16_e32 vcc, 0, v2
	v_cndmask_b32_e64 v5, 0, 1, vcc
	s_or_b64 exec, exec, s[20:21]
	s_and_saveexec_b64 s[20:21], s[30:31]
	s_cbranch_execz .LBB54_890
	s_branch .LBB54_845
.LBB54_260:
	s_mov_b64 s[2:3], 0
                                        ; implicit-def: $vgpr2
	s_mov_b64 s[24:25], s[20:21]
	s_cbranch_execnz .LBB54_455
.LBB54_261:
	s_andn2_b64 vcc, exec, s[2:3]
	s_cbranch_vccnz .LBB54_503
.LBB54_262:
	v_mul_lo_u32 v1, v4, s12
	v_mov_b32_e32 v0, s15
	v_mov_b32_e32 v3, s9
	s_waitcnt vmcnt(0)
	v_cndmask_b32_e64 v0, v0, v2, s[0:1]
	v_ashrrev_i32_e32 v5, 31, v1
	s_and_b32 s36, s17, 0xff
	v_add_co_u32_e32 v2, vcc, s8, v1
	s_cmp_lt_i32 s36, 11
	v_addc_co_u32_e32 v3, vcc, v3, v5, vcc
	s_cbranch_scc1 .LBB54_270
; %bb.263:
	s_and_b32 s37, 0xffff, s36
	s_cmp_gt_i32 s37, 25
	s_cbranch_scc0 .LBB54_272
; %bb.264:
	s_cmp_gt_i32 s37, 28
	s_cbranch_scc0 .LBB54_274
; %bb.265:
	;; [unrolled: 3-line block ×4, first 2 shown]
	s_mov_b64 s[30:31], 0
	s_mov_b64 s[2:3], -1
	s_cmp_eq_u32 s37, 46
	s_mov_b64 s[26:27], 0
	s_cbranch_scc0 .LBB54_286
; %bb.268:
	v_cvt_f32_i32_e32 v1, v0
	s_movk_i32 s2, 0x7fff
	s_mov_b64 s[26:27], -1
	v_bfe_u32 v5, v1, 16, 1
	v_add3_u32 v1, v1, v5, s2
	v_lshrrev_b32_e32 v1, 16, v1
	global_store_dword v[2:3], v1, off
	s_mov_b64 s[2:3], 0
	s_branch .LBB54_286
.LBB54_269:
	s_mov_b64 s[26:27], -1
	s_mov_b64 s[2:3], 0
	s_mov_b64 s[24:25], s[20:21]
                                        ; implicit-def: $vgpr2
	s_branch .LBB54_421
.LBB54_270:
	s_mov_b64 s[30:31], -1
	s_mov_b64 s[26:27], 0
	s_mov_b64 s[2:3], s[18:19]
	s_branch .LBB54_355
.LBB54_271:
	s_mov_b64 s[26:27], -1
	s_mov_b64 s[2:3], 0
	s_mov_b64 s[24:25], s[20:21]
                                        ; implicit-def: $vgpr2
	s_branch .LBB54_404
.LBB54_272:
	s_mov_b64 s[30:31], -1
	s_mov_b64 s[26:27], 0
	s_mov_b64 s[2:3], s[18:19]
	s_branch .LBB54_313
.LBB54_273:
	s_mov_b64 s[26:27], -1
	s_mov_b64 s[2:3], 0
	s_mov_b64 s[24:25], s[20:21]
                                        ; implicit-def: $vgpr2
	s_branch .LBB54_399
.LBB54_274:
	s_mov_b64 s[30:31], -1
	s_mov_b64 s[26:27], 0
	s_mov_b64 s[2:3], s[18:19]
	s_branch .LBB54_296
.LBB54_275:
	s_andn2_saveexec_b64 s[28:29], s[28:29]
	s_cbranch_execz .LBB54_55
.LBB54_276:
	s_mov_b32 s34, 0x46000000
	v_add_f32_e64 v5, |v1|, s34
	v_and_b32_e32 v5, 0xff, v5
	v_cmp_ne_u32_e32 vcc, 0, v5
	s_andn2_b64 s[24:25], s[24:25], exec
	s_and_b64 s[34:35], vcc, exec
	s_or_b64 s[24:25], s[24:25], s[34:35]
	s_or_b64 exec, exec, s[28:29]
	v_mov_b32_e32 v6, 0
	s_and_saveexec_b64 s[28:29], s[24:25]
	s_cbranch_execnz .LBB54_56
	s_branch .LBB54_57
.LBB54_277:
	s_mov_b64 s[26:27], -1
	s_mov_b64 s[2:3], 0
	s_mov_b64 s[24:25], s[20:21]
                                        ; implicit-def: $vgpr2
	s_branch .LBB54_282
.LBB54_278:
	s_mov_b64 s[30:31], -1
	s_mov_b64 s[26:27], 0
	s_mov_b64 s[2:3], s[18:19]
	s_branch .LBB54_292
.LBB54_279:
	s_andn2_saveexec_b64 s[28:29], s[28:29]
	s_cbranch_execz .LBB54_68
.LBB54_280:
	s_mov_b32 s34, 0x42800000
	v_add_f32_e64 v5, |v1|, s34
	v_and_b32_e32 v5, 0xff, v5
	v_cmp_ne_u32_e32 vcc, 0, v5
	s_andn2_b64 s[24:25], s[24:25], exec
	s_and_b64 s[34:35], vcc, exec
	s_or_b64 s[24:25], s[24:25], s[34:35]
	s_or_b64 exec, exec, s[28:29]
	v_mov_b32_e32 v6, 0
	s_and_saveexec_b64 s[28:29], s[24:25]
	s_cbranch_execnz .LBB54_69
	s_branch .LBB54_70
.LBB54_281:
	s_mov_b64 s[24:25], -1
                                        ; implicit-def: $vgpr2
	s_mov_b64 s[2:3], 0
.LBB54_282:
	s_and_b64 vcc, exec, s[26:27]
	s_cbranch_vccz .LBB54_398
; %bb.283:
	s_cmp_eq_u32 s30, 44
	s_cbranch_scc0 .LBB54_397
; %bb.284:
	global_load_ubyte v2, v[0:1], off
	s_mov_b64 s[2:3], -1
	s_mov_b64 s[24:25], 0
	s_waitcnt vmcnt(0)
	v_lshlrev_b32_e32 v3, 23, v2
	v_cvt_i32_f32_e32 v3, v3
	v_cmp_ne_u32_e32 vcc, 0, v2
	v_cndmask_b32_e32 v2, 0, v3, vcc
	s_branch .LBB54_398
.LBB54_285:
	s_mov_b64 s[30:31], -1
	s_mov_b64 s[26:27], 0
	s_mov_b64 s[2:3], s[18:19]
.LBB54_286:
	s_and_b64 vcc, exec, s[30:31]
	s_cbranch_vccz .LBB54_291
; %bb.287:
	s_cmp_eq_u32 s37, 44
	s_mov_b64 s[2:3], -1
	s_cbranch_scc0 .LBB54_291
; %bb.288:
	v_cvt_f32_i32_e32 v1, v0
	s_movk_i32 s2, 0xff
	v_mov_b32_e32 v6, 0xff
	v_bfe_u32 v5, v1, 23, 8
	v_cmp_ne_u32_e32 vcc, s2, v5
	s_and_saveexec_b64 s[26:27], vcc
; %bb.289:
	s_mov_b32 s2, 0x3fffff
	v_lshrrev_b32_e32 v6, 23, v1
	v_and_b32_e32 v7, 0x400000, v1
	v_and_or_b32 v1, v1, s2, v5
	v_cmp_ne_u32_e32 vcc, 0, v7
	v_cmp_ne_u32_e64 s[2:3], 0, v1
	s_and_b64 s[2:3], vcc, s[2:3]
	v_cndmask_b32_e64 v1, 0, 1, s[2:3]
	v_add_u32_e32 v6, v6, v1
; %bb.290:
	s_or_b64 exec, exec, s[26:27]
	s_mov_b64 s[26:27], -1
	s_mov_b64 s[2:3], 0
	global_store_byte v[2:3], v6, off
.LBB54_291:
	s_mov_b64 s[30:31], 0
.LBB54_292:
	s_and_b64 vcc, exec, s[30:31]
	s_cbranch_vccz .LBB54_295
; %bb.293:
	s_cmp_eq_u32 s37, 29
	s_mov_b64 s[2:3], -1
	s_cbranch_scc0 .LBB54_295
; %bb.294:
	v_ashrrev_i32_e32 v1, 31, v0
	global_store_dwordx2 v[2:3], v[0:1], off
	s_mov_b64 s[26:27], -1
	s_mov_b64 s[2:3], 0
.LBB54_295:
	s_mov_b64 s[30:31], 0
.LBB54_296:
	s_and_b64 vcc, exec, s[30:31]
	s_cbranch_vccz .LBB54_312
; %bb.297:
	s_cmp_lt_i32 s37, 27
	s_mov_b64 s[26:27], -1
	s_cbranch_scc1 .LBB54_303
; %bb.298:
	s_cmp_gt_i32 s37, 27
	s_cbranch_scc0 .LBB54_300
; %bb.299:
	s_mov_b64 s[26:27], 0
	global_store_dword v[2:3], v0, off
.LBB54_300:
	s_andn2_b64 vcc, exec, s[26:27]
	s_cbranch_vccnz .LBB54_302
; %bb.301:
	global_store_short v[2:3], v0, off
.LBB54_302:
	s_mov_b64 s[26:27], 0
.LBB54_303:
	s_andn2_b64 vcc, exec, s[26:27]
	s_cbranch_vccnz .LBB54_311
; %bb.304:
	v_cvt_f32_i32_e32 v1, v0
	s_mov_b32 s26, 0x43800000
	v_mov_b32_e32 v6, 0x80
	v_and_b32_e32 v5, 0x7fffffff, v1
	v_cmp_gt_u32_e32 vcc, s26, v5
	s_and_saveexec_b64 s[26:27], vcc
	s_cbranch_execz .LBB54_310
; %bb.305:
	s_mov_b32 s30, 0x3bffffff
	v_cmp_lt_u32_e32 vcc, s30, v5
	s_mov_b64 s[30:31], 0
                                        ; implicit-def: $vgpr5
	s_and_saveexec_b64 s[34:35], vcc
	s_xor_b64 s[34:35], exec, s[34:35]
	s_cbranch_execz .LBB54_518
; %bb.306:
	v_bfe_u32 v5, v1, 20, 1
	s_mov_b32 s38, 0x487ffff
	v_add3_u32 v5, v1, v5, s38
	s_mov_b64 s[30:31], exec
	v_lshrrev_b32_e32 v5, 20, v5
	s_andn2_saveexec_b64 s[34:35], s[34:35]
	s_cbranch_execnz .LBB54_519
.LBB54_307:
	s_or_b64 exec, exec, s[34:35]
	v_mov_b32_e32 v6, 0
	s_and_saveexec_b64 s[34:35], s[30:31]
.LBB54_308:
	v_lshrrev_b32_e32 v1, 24, v1
	s_movk_i32 s30, 0x80
	v_and_or_b32 v6, v1, s30, v5
.LBB54_309:
	s_or_b64 exec, exec, s[34:35]
.LBB54_310:
	s_or_b64 exec, exec, s[26:27]
	global_store_byte v[2:3], v6, off
.LBB54_311:
	s_mov_b64 s[26:27], -1
.LBB54_312:
	s_mov_b64 s[30:31], 0
.LBB54_313:
	s_and_b64 vcc, exec, s[30:31]
	s_cbranch_vccz .LBB54_354
; %bb.314:
	s_cmp_gt_i32 s37, 22
	s_mov_b64 s[30:31], -1
	s_cbranch_scc0 .LBB54_346
; %bb.315:
	s_cmp_lt_i32 s37, 24
	s_mov_b64 s[26:27], -1
	s_cbranch_scc1 .LBB54_335
; %bb.316:
	s_cmp_gt_i32 s37, 24
	s_cbranch_scc0 .LBB54_324
; %bb.317:
	v_cvt_f32_i32_e32 v1, v0
	s_mov_b32 s26, 0x47800000
	v_mov_b32_e32 v6, 0x80
	v_and_b32_e32 v5, 0x7fffffff, v1
	v_cmp_gt_u32_e32 vcc, s26, v5
	s_and_saveexec_b64 s[26:27], vcc
	s_cbranch_execz .LBB54_323
; %bb.318:
	s_mov_b32 s30, 0x37ffffff
	v_cmp_lt_u32_e32 vcc, s30, v5
	s_mov_b64 s[30:31], 0
                                        ; implicit-def: $vgpr5
	s_and_saveexec_b64 s[34:35], vcc
	s_xor_b64 s[34:35], exec, s[34:35]
	s_cbranch_execz .LBB54_521
; %bb.319:
	v_bfe_u32 v5, v1, 21, 1
	s_mov_b32 s38, 0x88fffff
	v_add3_u32 v5, v1, v5, s38
	s_mov_b64 s[30:31], exec
	v_lshrrev_b32_e32 v5, 21, v5
	s_andn2_saveexec_b64 s[34:35], s[34:35]
	s_cbranch_execnz .LBB54_522
.LBB54_320:
	s_or_b64 exec, exec, s[34:35]
	v_mov_b32_e32 v6, 0
	s_and_saveexec_b64 s[34:35], s[30:31]
.LBB54_321:
	v_lshrrev_b32_e32 v1, 24, v1
	s_movk_i32 s30, 0x80
	v_and_or_b32 v6, v1, s30, v5
.LBB54_322:
	s_or_b64 exec, exec, s[34:35]
.LBB54_323:
	s_or_b64 exec, exec, s[26:27]
	s_mov_b64 s[26:27], 0
	global_store_byte v[2:3], v6, off
.LBB54_324:
	s_and_b64 vcc, exec, s[26:27]
	s_cbranch_vccz .LBB54_334
; %bb.325:
	v_cvt_f32_i32_e32 v1, v0
	s_mov_b32 s26, 0x43f00000
                                        ; implicit-def: $vgpr5
	v_and_b32_e32 v6, 0x7fffffff, v1
	v_cmp_gt_u32_e32 vcc, s26, v6
	s_and_saveexec_b64 s[26:27], vcc
	s_xor_b64 s[26:27], exec, s[26:27]
	s_cbranch_execz .LBB54_331
; %bb.326:
	s_mov_b32 s30, 0x3c7fffff
	v_cmp_lt_u32_e32 vcc, s30, v6
                                        ; implicit-def: $vgpr5
	s_and_saveexec_b64 s[30:31], vcc
	s_xor_b64 s[30:31], exec, s[30:31]
; %bb.327:
	v_bfe_u32 v5, v1, 20, 1
	s_mov_b32 s34, 0x407ffff
	v_add3_u32 v5, v1, v5, s34
	v_lshrrev_b32_e32 v6, 20, v5
	v_and_b32_e32 v5, 0xff00000, v5
	s_mov_b32 s34, 0x7f00000
	v_mov_b32_e32 v7, 0x7e
	v_cmp_ne_u32_e32 vcc, s34, v5
	v_cndmask_b32_e32 v5, v7, v6, vcc
; %bb.328:
	s_andn2_saveexec_b64 s[30:31], s[30:31]
; %bb.329:
	s_mov_b32 s34, 0x46800000
	v_add_f32_e64 v5, |v1|, s34
; %bb.330:
	s_or_b64 exec, exec, s[30:31]
                                        ; implicit-def: $vgpr6
.LBB54_331:
	s_andn2_saveexec_b64 s[26:27], s[26:27]
; %bb.332:
	s_mov_b32 s30, 0x7f800000
	v_mov_b32_e32 v5, 0x7e
	v_mov_b32_e32 v7, 0x7f
	v_cmp_lt_u32_e32 vcc, s30, v6
	v_cndmask_b32_e32 v5, v5, v7, vcc
; %bb.333:
	s_or_b64 exec, exec, s[26:27]
	v_lshrrev_b32_e32 v1, 24, v1
	s_movk_i32 s26, 0x80
	v_and_or_b32 v1, v1, s26, v5
	global_store_byte v[2:3], v1, off
.LBB54_334:
	s_mov_b64 s[26:27], 0
.LBB54_335:
	s_andn2_b64 vcc, exec, s[26:27]
	s_cbranch_vccnz .LBB54_345
; %bb.336:
	v_cvt_f32_i32_e32 v1, v0
	s_mov_b32 s26, 0x47800000
                                        ; implicit-def: $vgpr5
	v_and_b32_e32 v6, 0x7fffffff, v1
	v_cmp_gt_u32_e32 vcc, s26, v6
	s_and_saveexec_b64 s[26:27], vcc
	s_xor_b64 s[26:27], exec, s[26:27]
	s_cbranch_execz .LBB54_342
; %bb.337:
	s_mov_b32 s30, 0x387fffff
	v_cmp_lt_u32_e32 vcc, s30, v6
                                        ; implicit-def: $vgpr5
	s_and_saveexec_b64 s[30:31], vcc
	s_xor_b64 s[30:31], exec, s[30:31]
; %bb.338:
	v_bfe_u32 v5, v1, 21, 1
	s_mov_b32 s34, 0x80fffff
	v_add3_u32 v5, v1, v5, s34
	v_lshrrev_b32_e32 v5, 21, v5
; %bb.339:
	s_andn2_saveexec_b64 s[30:31], s[30:31]
; %bb.340:
	s_mov_b32 s34, 0x43000000
	v_add_f32_e64 v5, |v1|, s34
; %bb.341:
	s_or_b64 exec, exec, s[30:31]
                                        ; implicit-def: $vgpr6
.LBB54_342:
	s_andn2_saveexec_b64 s[26:27], s[26:27]
; %bb.343:
	s_mov_b32 s30, 0x7f800000
	v_mov_b32_e32 v5, 0x7c
	v_mov_b32_e32 v7, 0x7f
	v_cmp_lt_u32_e32 vcc, s30, v6
	v_cndmask_b32_e32 v5, v5, v7, vcc
; %bb.344:
	s_or_b64 exec, exec, s[26:27]
	v_lshrrev_b32_e32 v1, 24, v1
	s_movk_i32 s26, 0x80
	v_and_or_b32 v1, v1, s26, v5
	global_store_byte v[2:3], v1, off
.LBB54_345:
	s_mov_b64 s[30:31], 0
	s_mov_b64 s[26:27], -1
.LBB54_346:
	s_andn2_b64 vcc, exec, s[30:31]
	s_cbranch_vccnz .LBB54_354
; %bb.347:
	s_cmp_gt_i32 s37, 14
	s_mov_b64 s[30:31], -1
	s_cbranch_scc0 .LBB54_351
; %bb.348:
	s_cmp_eq_u32 s37, 15
	s_mov_b64 s[2:3], -1
	s_cbranch_scc0 .LBB54_350
; %bb.349:
	v_cvt_f32_i32_e32 v1, v0
	s_movk_i32 s2, 0x7fff
	s_mov_b64 s[26:27], -1
	v_bfe_u32 v5, v1, 16, 1
	v_add3_u32 v1, v1, v5, s2
	global_store_short_d16_hi v[2:3], v1, off
	s_mov_b64 s[2:3], 0
.LBB54_350:
	s_mov_b64 s[30:31], 0
.LBB54_351:
	s_and_b64 vcc, exec, s[30:31]
	s_cbranch_vccz .LBB54_354
; %bb.352:
	s_cmp_eq_u32 s37, 11
	s_mov_b64 s[2:3], -1
	s_cbranch_scc0 .LBB54_354
; %bb.353:
	v_cmp_ne_u32_e32 vcc, 0, v0
	v_cndmask_b32_e64 v1, 0, 1, vcc
	s_mov_b64 s[26:27], -1
	s_mov_b64 s[2:3], 0
	global_store_byte v[2:3], v1, off
.LBB54_354:
	s_mov_b64 s[30:31], 0
.LBB54_355:
	s_and_b64 vcc, exec, s[30:31]
	s_cbranch_vccz .LBB54_394
; %bb.356:
	s_and_b32 s30, 0xffff, s36
	s_cmp_lt_i32 s30, 5
	s_mov_b64 s[26:27], -1
	s_cbranch_scc1 .LBB54_377
; %bb.357:
	s_cmp_lt_i32 s30, 8
	s_cbranch_scc1 .LBB54_367
; %bb.358:
	s_cmp_lt_i32 s30, 9
	s_cbranch_scc1 .LBB54_364
; %bb.359:
	s_cmp_gt_i32 s30, 9
	s_cbranch_scc0 .LBB54_361
; %bb.360:
	v_cvt_f64_i32_e32 v[5:6], v0
	v_mov_b32_e32 v7, 0
	v_mov_b32_e32 v8, v7
	s_mov_b64 s[26:27], 0
	global_store_dwordx4 v[2:3], v[5:8], off
.LBB54_361:
	s_andn2_b64 vcc, exec, s[26:27]
	s_cbranch_vccnz .LBB54_363
; %bb.362:
	v_cvt_f32_i32_e32 v5, v0
	v_mov_b32_e32 v6, 0
	global_store_dwordx2 v[2:3], v[5:6], off
.LBB54_363:
	s_mov_b64 s[26:27], 0
.LBB54_364:
	s_andn2_b64 vcc, exec, s[26:27]
	s_cbranch_vccnz .LBB54_366
; %bb.365:
	v_cvt_f32_i32_e32 v1, v0
	v_cvt_f16_f32_e32 v1, v1
	global_store_dword v[2:3], v1, off
.LBB54_366:
	s_mov_b64 s[26:27], 0
.LBB54_367:
	s_andn2_b64 vcc, exec, s[26:27]
	s_cbranch_vccnz .LBB54_376
; %bb.368:
	s_cmp_lt_i32 s30, 6
	s_mov_b64 s[26:27], -1
	s_cbranch_scc1 .LBB54_374
; %bb.369:
	s_cmp_gt_i32 s30, 6
	s_cbranch_scc0 .LBB54_371
; %bb.370:
	v_cvt_f64_i32_e32 v[5:6], v0
	s_mov_b64 s[26:27], 0
	global_store_dwordx2 v[2:3], v[5:6], off
.LBB54_371:
	s_andn2_b64 vcc, exec, s[26:27]
	s_cbranch_vccnz .LBB54_373
; %bb.372:
	v_cvt_f32_i32_e32 v1, v0
	global_store_dword v[2:3], v1, off
.LBB54_373:
	s_mov_b64 s[26:27], 0
.LBB54_374:
	s_andn2_b64 vcc, exec, s[26:27]
	s_cbranch_vccnz .LBB54_376
; %bb.375:
	v_cvt_f32_i32_e32 v1, v0
	v_cvt_f16_f32_e32 v1, v1
	global_store_short v[2:3], v1, off
.LBB54_376:
	s_mov_b64 s[26:27], 0
.LBB54_377:
	s_andn2_b64 vcc, exec, s[26:27]
	s_cbranch_vccnz .LBB54_393
; %bb.378:
	s_cmp_lt_i32 s30, 2
	s_mov_b64 s[26:27], -1
	s_cbranch_scc1 .LBB54_388
; %bb.379:
	s_cmp_lt_i32 s30, 3
	s_cbranch_scc1 .LBB54_385
; %bb.380:
	s_cmp_gt_i32 s30, 3
	s_cbranch_scc0 .LBB54_382
; %bb.381:
	v_ashrrev_i32_e32 v1, 31, v0
	s_mov_b64 s[26:27], 0
	global_store_dwordx2 v[2:3], v[0:1], off
.LBB54_382:
	s_andn2_b64 vcc, exec, s[26:27]
	s_cbranch_vccnz .LBB54_384
; %bb.383:
	global_store_dword v[2:3], v0, off
.LBB54_384:
	s_mov_b64 s[26:27], 0
.LBB54_385:
	s_andn2_b64 vcc, exec, s[26:27]
	s_cbranch_vccnz .LBB54_387
; %bb.386:
	global_store_short v[2:3], v0, off
.LBB54_387:
	s_mov_b64 s[26:27], 0
.LBB54_388:
	s_andn2_b64 vcc, exec, s[26:27]
	s_cbranch_vccnz .LBB54_393
; %bb.389:
	s_cmp_gt_i32 s30, 0
	s_mov_b64 s[26:27], -1
	s_cbranch_scc0 .LBB54_391
; %bb.390:
	s_mov_b64 s[26:27], 0
	global_store_byte v[2:3], v0, off
.LBB54_391:
	s_andn2_b64 vcc, exec, s[26:27]
	s_cbranch_vccnz .LBB54_393
; %bb.392:
	global_store_byte v[2:3], v0, off
.LBB54_393:
	s_mov_b64 s[26:27], -1
.LBB54_394:
	s_andn2_b64 vcc, exec, s[26:27]
	s_cbranch_vccnz .LBB54_396
; %bb.395:
	v_add_u32_e32 v4, 0x80, v4
	s_mov_b64 s[30:31], -1
	s_branch .LBB54_504
.LBB54_396:
	s_mov_b64 s[30:31], 0
                                        ; implicit-def: $vgpr4
	s_branch .LBB54_504
.LBB54_397:
	s_mov_b64 s[24:25], -1
                                        ; implicit-def: $vgpr2
.LBB54_398:
	s_mov_b64 s[26:27], 0
.LBB54_399:
	s_and_b64 vcc, exec, s[26:27]
	s_cbranch_vccz .LBB54_403
; %bb.400:
	s_cmp_eq_u32 s30, 29
	s_cbranch_scc0 .LBB54_402
; %bb.401:
	global_load_dword v2, v[0:1], off
	s_mov_b64 s[2:3], -1
	s_mov_b64 s[24:25], 0
	s_branch .LBB54_403
.LBB54_402:
	s_mov_b64 s[24:25], -1
                                        ; implicit-def: $vgpr2
.LBB54_403:
	s_mov_b64 s[26:27], 0
.LBB54_404:
	s_and_b64 vcc, exec, s[26:27]
	s_cbranch_vccz .LBB54_420
; %bb.405:
	s_cmp_lt_i32 s30, 27
	s_cbranch_scc1 .LBB54_408
; %bb.406:
	s_cmp_gt_i32 s30, 27
	s_cbranch_scc0 .LBB54_409
; %bb.407:
	global_load_dword v2, v[0:1], off
	s_mov_b64 s[2:3], 0
	s_branch .LBB54_410
.LBB54_408:
	s_mov_b64 s[2:3], -1
                                        ; implicit-def: $vgpr2
	s_branch .LBB54_413
.LBB54_409:
	s_mov_b64 s[2:3], -1
                                        ; implicit-def: $vgpr2
.LBB54_410:
	s_andn2_b64 vcc, exec, s[2:3]
	s_cbranch_vccnz .LBB54_412
; %bb.411:
	global_load_ushort v2, v[0:1], off
.LBB54_412:
	s_mov_b64 s[2:3], 0
.LBB54_413:
	s_andn2_b64 vcc, exec, s[2:3]
	s_cbranch_vccnz .LBB54_419
; %bb.414:
	global_load_ubyte v3, v[0:1], off
	s_movk_i32 s2, 0x7f
	s_mov_b64 s[26:27], 0
	s_waitcnt vmcnt(0)
	v_cmp_lt_i16_e32 vcc, s2, v3
	s_and_saveexec_b64 s[2:3], vcc
	s_xor_b64 s[2:3], exec, s[2:3]
	s_cbranch_execz .LBB54_431
; %bb.415:
	s_movk_i32 s26, 0x80
	v_cmp_ne_u16_e32 vcc, s26, v3
	s_and_b64 s[26:27], vcc, exec
	s_andn2_saveexec_b64 s[2:3], s[2:3]
	s_cbranch_execnz .LBB54_432
.LBB54_416:
	s_or_b64 exec, exec, s[2:3]
	v_mov_b32_e32 v2, 0
	s_and_saveexec_b64 s[2:3], s[26:27]
	s_cbranch_execz .LBB54_418
.LBB54_417:
	v_lshlrev_b32_e32 v2, 24, v3
	v_and_b32_e32 v3, 0xffff, v3
	v_and_b32_e32 v5, 7, v3
	v_ffbh_u32_e32 v7, v5
	v_min_u32_e32 v7, 32, v7
	v_subrev_u32_e32 v8, 28, v7
	v_bfe_u32 v6, v3, 3, 4
	v_lshlrev_b32_e32 v3, v8, v3
	v_sub_u32_e32 v7, 29, v7
	v_and_b32_e32 v3, 7, v3
	v_cmp_eq_u32_e32 vcc, 0, v6
	v_cndmask_b32_e32 v6, v6, v7, vcc
	v_cndmask_b32_e32 v3, v5, v3, vcc
	v_mov_b32_e32 v5, 0x3b800000
	v_lshlrev_b32_e32 v3, 20, v3
	v_and_b32_e32 v2, 0x80000000, v2
	v_lshl_add_u32 v5, v6, 23, v5
	v_or3_b32 v2, v2, v5, v3
	v_cvt_i32_f32_e32 v2, v2
.LBB54_418:
	s_or_b64 exec, exec, s[2:3]
.LBB54_419:
	s_mov_b64 s[2:3], -1
.LBB54_420:
	s_mov_b64 s[26:27], 0
.LBB54_421:
	s_and_b64 vcc, exec, s[26:27]
	s_cbranch_vccz .LBB54_454
; %bb.422:
	s_cmp_gt_i32 s30, 22
	s_cbranch_scc0 .LBB54_430
; %bb.423:
	s_cmp_lt_i32 s30, 24
	s_cbranch_scc1 .LBB54_433
; %bb.424:
	s_cmp_gt_i32 s30, 24
	s_cbranch_scc0 .LBB54_434
; %bb.425:
	global_load_ubyte v3, v[0:1], off
	s_movk_i32 s2, 0x7f
	s_mov_b64 s[26:27], 0
	s_waitcnt vmcnt(0)
	v_cmp_lt_i16_e32 vcc, s2, v3
	s_and_saveexec_b64 s[2:3], vcc
	s_xor_b64 s[2:3], exec, s[2:3]
	s_cbranch_execz .LBB54_446
; %bb.426:
	s_movk_i32 s26, 0x80
	v_cmp_ne_u16_e32 vcc, s26, v3
	s_and_b64 s[26:27], vcc, exec
	s_andn2_saveexec_b64 s[2:3], s[2:3]
	s_cbranch_execnz .LBB54_447
.LBB54_427:
	s_or_b64 exec, exec, s[2:3]
	v_mov_b32_e32 v2, 0
	s_and_saveexec_b64 s[2:3], s[26:27]
	s_cbranch_execz .LBB54_429
.LBB54_428:
	v_lshlrev_b32_e32 v2, 24, v3
	v_and_b32_e32 v3, 0xffff, v3
	v_and_b32_e32 v5, 3, v3
	v_ffbh_u32_e32 v7, v5
	v_min_u32_e32 v7, 32, v7
	v_subrev_u32_e32 v8, 29, v7
	v_bfe_u32 v6, v3, 2, 5
	v_lshlrev_b32_e32 v3, v8, v3
	v_sub_u32_e32 v7, 30, v7
	v_and_b32_e32 v3, 3, v3
	v_cmp_eq_u32_e32 vcc, 0, v6
	v_cndmask_b32_e32 v6, v6, v7, vcc
	v_cndmask_b32_e32 v3, v5, v3, vcc
	v_mov_b32_e32 v5, 0x37800000
	v_lshlrev_b32_e32 v3, 21, v3
	v_and_b32_e32 v2, 0x80000000, v2
	v_lshl_add_u32 v5, v6, 23, v5
	v_or3_b32 v2, v2, v5, v3
	v_cvt_i32_f32_e32 v2, v2
.LBB54_429:
	s_or_b64 exec, exec, s[2:3]
	s_mov_b64 s[2:3], 0
	s_branch .LBB54_435
.LBB54_430:
	s_mov_b64 s[26:27], -1
                                        ; implicit-def: $vgpr2
	s_branch .LBB54_441
.LBB54_431:
	s_andn2_saveexec_b64 s[2:3], s[2:3]
	s_cbranch_execz .LBB54_416
.LBB54_432:
	v_cmp_ne_u16_e32 vcc, 0, v3
	s_andn2_b64 s[26:27], s[26:27], exec
	s_and_b64 s[34:35], vcc, exec
	s_or_b64 s[26:27], s[26:27], s[34:35]
	s_or_b64 exec, exec, s[2:3]
	v_mov_b32_e32 v2, 0
	s_and_saveexec_b64 s[2:3], s[26:27]
	s_cbranch_execnz .LBB54_417
	s_branch .LBB54_418
.LBB54_433:
	s_mov_b64 s[2:3], -1
                                        ; implicit-def: $vgpr2
	s_branch .LBB54_438
.LBB54_434:
	s_mov_b64 s[2:3], -1
                                        ; implicit-def: $vgpr2
.LBB54_435:
	s_and_b64 vcc, exec, s[2:3]
	s_cbranch_vccz .LBB54_437
; %bb.436:
	global_load_ubyte v2, v[0:1], off
	s_mov_b32 s2, 0x7f800000
	s_waitcnt vmcnt(0)
	v_lshlrev_b32_e32 v2, 24, v2
	v_and_b32_e32 v3, 0x7f000000, v2
	v_ffbh_u32_e32 v5, v3
	v_min_u32_e32 v5, 32, v5
	v_sub_u32_e64 v5, v5, 4 clamp
	v_lshlrev_b32_e32 v7, v5, v3
	v_lshlrev_b32_e32 v5, 23, v5
	v_lshrrev_b32_e32 v7, 4, v7
	v_add_u32_e32 v6, 0x1000000, v3
	v_sub_u32_e32 v5, v7, v5
	v_ashrrev_i32_e32 v6, 8, v6
	v_add_u32_e32 v5, 0x3c000000, v5
	v_and_or_b32 v5, v6, s2, v5
	v_cmp_ne_u32_e32 vcc, 0, v3
	v_cndmask_b32_e32 v3, 0, v5, vcc
	s_brev_b32 s2, 1
	v_and_or_b32 v2, v2, s2, v3
	v_cvt_i32_f32_e32 v2, v2
.LBB54_437:
	s_mov_b64 s[2:3], 0
.LBB54_438:
	s_andn2_b64 vcc, exec, s[2:3]
	s_cbranch_vccnz .LBB54_440
; %bb.439:
	global_load_ubyte v2, v[0:1], off
	s_movk_i32 s2, 0x7f00
	s_brev_b32 s3, 16
	s_waitcnt vmcnt(0)
	v_lshlrev_b16_e32 v3, 8, v2
	v_lshlrev_b32_e32 v2, 25, v2
	v_lshrrev_b32_e32 v5, 4, v2
	v_and_or_b32 v6, v3, s2, 0.5
	v_or_b32_e32 v5, 0x70000000, v5
	v_add_f32_e32 v6, -0.5, v6
	v_mul_f32_e32 v5, 0x7800000, v5
	v_cmp_gt_u32_e32 vcc, s3, v2
	v_bfe_i32 v3, v3, 0, 16
	v_cndmask_b32_e32 v2, v5, v6, vcc
	s_brev_b32 s2, 1
	v_and_or_b32 v2, v3, s2, v2
	v_cvt_i32_f32_e32 v2, v2
.LBB54_440:
	s_mov_b64 s[26:27], 0
	s_mov_b64 s[2:3], -1
.LBB54_441:
	s_andn2_b64 vcc, exec, s[26:27]
	s_cbranch_vccnz .LBB54_454
; %bb.442:
	s_cmp_gt_i32 s30, 14
	s_cbranch_scc0 .LBB54_445
; %bb.443:
	s_cmp_eq_u32 s30, 15
	s_cbranch_scc0 .LBB54_448
; %bb.444:
	global_load_ushort v2, v[0:1], off
	s_mov_b64 s[2:3], -1
	s_mov_b64 s[24:25], 0
	s_waitcnt vmcnt(0)
	v_lshlrev_b32_e32 v2, 16, v2
	v_cvt_i32_f32_e32 v2, v2
	s_branch .LBB54_449
.LBB54_445:
	s_mov_b64 s[26:27], -1
                                        ; implicit-def: $vgpr2
	s_branch .LBB54_450
.LBB54_446:
	s_andn2_saveexec_b64 s[2:3], s[2:3]
	s_cbranch_execz .LBB54_427
.LBB54_447:
	v_cmp_ne_u16_e32 vcc, 0, v3
	s_andn2_b64 s[26:27], s[26:27], exec
	s_and_b64 s[34:35], vcc, exec
	s_or_b64 s[26:27], s[26:27], s[34:35]
	s_or_b64 exec, exec, s[2:3]
	v_mov_b32_e32 v2, 0
	s_and_saveexec_b64 s[2:3], s[26:27]
	s_cbranch_execnz .LBB54_428
	s_branch .LBB54_429
.LBB54_448:
	s_mov_b64 s[24:25], -1
                                        ; implicit-def: $vgpr2
.LBB54_449:
	s_mov_b64 s[26:27], 0
.LBB54_450:
	s_and_b64 vcc, exec, s[26:27]
	s_cbranch_vccz .LBB54_454
; %bb.451:
	s_cmp_eq_u32 s30, 11
	s_cbranch_scc0 .LBB54_453
; %bb.452:
	global_load_ubyte v2, v[0:1], off
	s_mov_b64 s[2:3], -1
	s_mov_b64 s[24:25], 0
	s_waitcnt vmcnt(0)
	v_cmp_ne_u16_e32 vcc, 0, v2
	v_cndmask_b32_e64 v2, 0, 1, vcc
	s_branch .LBB54_454
.LBB54_453:
	s_mov_b64 s[24:25], -1
                                        ; implicit-def: $vgpr2
.LBB54_454:
	s_branch .LBB54_261
.LBB54_455:
	s_cmp_lt_i32 s30, 5
	s_cbranch_scc1 .LBB54_460
; %bb.456:
	s_cmp_lt_i32 s30, 8
	s_cbranch_scc1 .LBB54_461
; %bb.457:
	;; [unrolled: 3-line block ×3, first 2 shown]
	s_cmp_gt_i32 s30, 9
	s_cbranch_scc0 .LBB54_463
; %bb.459:
	global_load_dwordx2 v[2:3], v[0:1], off
	s_mov_b64 s[2:3], 0
	s_waitcnt vmcnt(0)
	v_cvt_i32_f64_e32 v2, v[2:3]
	s_branch .LBB54_464
.LBB54_460:
	s_mov_b64 s[2:3], -1
                                        ; implicit-def: $vgpr2
	s_branch .LBB54_482
.LBB54_461:
	s_mov_b64 s[2:3], -1
                                        ; implicit-def: $vgpr2
	s_branch .LBB54_470
.LBB54_462:
	s_mov_b64 s[2:3], -1
                                        ; implicit-def: $vgpr2
	s_branch .LBB54_467
.LBB54_463:
	s_mov_b64 s[2:3], -1
                                        ; implicit-def: $vgpr2
.LBB54_464:
	s_andn2_b64 vcc, exec, s[2:3]
	s_cbranch_vccnz .LBB54_466
; %bb.465:
	global_load_dword v2, v[0:1], off
	s_waitcnt vmcnt(0)
	v_cvt_i32_f32_e32 v2, v2
.LBB54_466:
	s_mov_b64 s[2:3], 0
.LBB54_467:
	s_andn2_b64 vcc, exec, s[2:3]
	s_cbranch_vccnz .LBB54_469
; %bb.468:
	global_load_dword v2, v[0:1], off
	s_waitcnt vmcnt(0)
	v_cvt_f32_f16_e32 v2, v2
	v_cvt_i32_f32_e32 v2, v2
.LBB54_469:
	s_mov_b64 s[2:3], 0
.LBB54_470:
	s_andn2_b64 vcc, exec, s[2:3]
	s_cbranch_vccnz .LBB54_481
; %bb.471:
	s_cmp_lt_i32 s30, 6
	s_cbranch_scc1 .LBB54_474
; %bb.472:
	s_cmp_gt_i32 s30, 6
	s_cbranch_scc0 .LBB54_475
; %bb.473:
	global_load_dwordx2 v[2:3], v[0:1], off
	s_mov_b64 s[2:3], 0
	s_waitcnt vmcnt(0)
	v_cvt_i32_f64_e32 v2, v[2:3]
	s_branch .LBB54_476
.LBB54_474:
	s_mov_b64 s[2:3], -1
                                        ; implicit-def: $vgpr2
	s_branch .LBB54_479
.LBB54_475:
	s_mov_b64 s[2:3], -1
                                        ; implicit-def: $vgpr2
.LBB54_476:
	s_andn2_b64 vcc, exec, s[2:3]
	s_cbranch_vccnz .LBB54_478
; %bb.477:
	global_load_dword v2, v[0:1], off
	s_waitcnt vmcnt(0)
	v_cvt_i32_f32_e32 v2, v2
.LBB54_478:
	s_mov_b64 s[2:3], 0
.LBB54_479:
	s_andn2_b64 vcc, exec, s[2:3]
	s_cbranch_vccnz .LBB54_481
; %bb.480:
	global_load_ushort v2, v[0:1], off
	s_waitcnt vmcnt(0)
	v_cvt_f32_f16_e32 v2, v2
	v_cvt_i32_f32_e32 v2, v2
.LBB54_481:
	s_mov_b64 s[2:3], 0
.LBB54_482:
	s_andn2_b64 vcc, exec, s[2:3]
	s_cbranch_vccnz .LBB54_502
; %bb.483:
	s_cmp_lt_i32 s30, 2
	s_cbranch_scc1 .LBB54_487
; %bb.484:
	s_cmp_lt_i32 s30, 3
	s_cbranch_scc1 .LBB54_488
; %bb.485:
	s_cmp_gt_i32 s30, 3
	s_cbranch_scc0 .LBB54_489
; %bb.486:
	global_load_dword v2, v[0:1], off
	s_mov_b64 s[2:3], 0
	s_branch .LBB54_490
.LBB54_487:
	s_mov_b64 s[2:3], -1
                                        ; implicit-def: $vgpr2
	s_branch .LBB54_496
.LBB54_488:
	s_mov_b64 s[2:3], -1
                                        ; implicit-def: $vgpr2
	s_branch .LBB54_493
.LBB54_489:
	s_mov_b64 s[2:3], -1
                                        ; implicit-def: $vgpr2
.LBB54_490:
	s_andn2_b64 vcc, exec, s[2:3]
	s_cbranch_vccnz .LBB54_492
; %bb.491:
	global_load_dword v2, v[0:1], off
.LBB54_492:
	s_mov_b64 s[2:3], 0
.LBB54_493:
	s_andn2_b64 vcc, exec, s[2:3]
	s_cbranch_vccnz .LBB54_495
; %bb.494:
	global_load_sshort v2, v[0:1], off
.LBB54_495:
	s_mov_b64 s[2:3], 0
.LBB54_496:
	s_andn2_b64 vcc, exec, s[2:3]
	s_cbranch_vccnz .LBB54_502
; %bb.497:
	s_cmp_gt_i32 s30, 0
	s_cbranch_scc0 .LBB54_499
; %bb.498:
	global_load_sbyte v2, v[0:1], off
	s_mov_b64 s[2:3], 0
	s_branch .LBB54_500
.LBB54_499:
	s_mov_b64 s[2:3], -1
                                        ; implicit-def: $vgpr2
.LBB54_500:
	s_andn2_b64 vcc, exec, s[2:3]
	s_cbranch_vccnz .LBB54_502
; %bb.501:
	global_load_ubyte v2, v[0:1], off
.LBB54_502:
	s_branch .LBB54_262
.LBB54_503:
	s_mov_b64 s[30:31], 0
                                        ; implicit-def: $vgpr4
	s_mov_b64 s[2:3], s[18:19]
.LBB54_504:
	s_andn2_b64 s[26:27], s[18:19], exec
	s_and_b64 s[2:3], s[2:3], exec
	s_or_b64 s[26:27], s[26:27], s[2:3]
	s_andn2_b64 s[2:3], s[20:21], exec
	s_and_b64 s[24:25], s[24:25], exec
	s_or_b64 s[24:25], s[2:3], s[24:25]
	s_orn2_b64 s[2:3], s[30:31], exec
.LBB54_505:
	s_or_b64 exec, exec, s[28:29]
	s_mov_b64 s[34:35], 0
	s_mov_b64 s[30:31], 0
	;; [unrolled: 1-line block ×3, first 2 shown]
                                        ; implicit-def: $vgpr0_vgpr1
                                        ; implicit-def: $vgpr5
	s_and_saveexec_b64 s[28:29], s[2:3]
	s_cbranch_execz .LBB54_842
; %bb.506:
	v_cmp_gt_i32_e32 vcc, s44, v4
	s_mov_b64 s[40:41], -1
	s_mov_b64 s[2:3], s[24:25]
	s_mov_b64 s[36:37], s[26:27]
	s_and_saveexec_b64 s[30:31], vcc
	s_cbranch_execz .LBB54_760
; %bb.507:
	v_mul_lo_u32 v0, v4, s13
	v_mov_b32_e32 v1, s11
	s_and_b32 s38, 0xffff, s33
	s_cmp_lt_i32 s38, 11
	s_waitcnt vmcnt(0)
	v_ashrrev_i32_e32 v2, 31, v0
	v_add_co_u32_e32 v0, vcc, s10, v0
	v_addc_co_u32_e32 v1, vcc, v1, v2, vcc
	s_cbranch_scc1 .LBB54_514
; %bb.508:
	s_cmp_gt_i32 s38, 25
	s_cbranch_scc0 .LBB54_515
; %bb.509:
	s_cmp_gt_i32 s38, 28
	s_cbranch_scc0 .LBB54_516
	;; [unrolled: 3-line block ×4, first 2 shown]
; %bb.512:
	s_cmp_eq_u32 s38, 46
	s_mov_b64 s[36:37], 0
	s_cbranch_scc0 .LBB54_523
; %bb.513:
	global_load_dword v2, v[0:1], off
	s_mov_b64 s[2:3], -1
	s_waitcnt vmcnt(0)
	v_lshlrev_b32_e32 v2, 16, v2
	v_cvt_i32_f32_e32 v2, v2
	s_branch .LBB54_524
.LBB54_514:
	s_mov_b64 s[36:37], -1
	s_mov_b64 s[2:3], 0
                                        ; implicit-def: $vgpr2
	s_mov_b64 s[34:35], s[24:25]
	s_branch .LBB54_585
.LBB54_515:
	s_mov_b64 s[36:37], -1
	s_mov_b64 s[2:3], 0
	s_mov_b64 s[34:35], s[24:25]
                                        ; implicit-def: $vgpr2
	s_branch .LBB54_551
.LBB54_516:
	s_mov_b64 s[36:37], -1
	s_mov_b64 s[2:3], 0
	s_mov_b64 s[34:35], s[24:25]
                                        ; implicit-def: $vgpr2
	s_branch .LBB54_534
.LBB54_517:
	s_mov_b64 s[36:37], -1
	s_mov_b64 s[2:3], 0
	s_mov_b64 s[34:35], s[24:25]
                                        ; implicit-def: $vgpr2
	s_branch .LBB54_529
.LBB54_518:
	s_andn2_saveexec_b64 s[34:35], s[34:35]
	s_cbranch_execz .LBB54_307
.LBB54_519:
	s_mov_b32 s38, 0x46000000
	v_add_f32_e64 v5, |v1|, s38
	v_and_b32_e32 v5, 0xff, v5
	v_cmp_ne_u32_e32 vcc, 0, v5
	s_andn2_b64 s[30:31], s[30:31], exec
	s_and_b64 s[38:39], vcc, exec
	s_or_b64 s[30:31], s[30:31], s[38:39]
	s_or_b64 exec, exec, s[34:35]
	v_mov_b32_e32 v6, 0
	s_and_saveexec_b64 s[34:35], s[30:31]
	s_cbranch_execnz .LBB54_308
	s_branch .LBB54_309
.LBB54_520:
	s_mov_b64 s[36:37], -1
	s_mov_b64 s[2:3], 0
	s_mov_b64 s[34:35], s[24:25]
                                        ; implicit-def: $vgpr2
	s_branch .LBB54_524
.LBB54_521:
	s_andn2_saveexec_b64 s[34:35], s[34:35]
	s_cbranch_execz .LBB54_320
.LBB54_522:
	s_mov_b32 s38, 0x42800000
	v_add_f32_e64 v5, |v1|, s38
	v_and_b32_e32 v5, 0xff, v5
	v_cmp_ne_u32_e32 vcc, 0, v5
	s_andn2_b64 s[30:31], s[30:31], exec
	s_and_b64 s[38:39], vcc, exec
	s_or_b64 s[30:31], s[30:31], s[38:39]
	s_or_b64 exec, exec, s[34:35]
	v_mov_b32_e32 v6, 0
	s_and_saveexec_b64 s[34:35], s[30:31]
	s_cbranch_execnz .LBB54_321
	s_branch .LBB54_322
.LBB54_523:
	s_mov_b64 s[34:35], -1
                                        ; implicit-def: $vgpr2
	s_mov_b64 s[2:3], 0
.LBB54_524:
	s_and_b64 vcc, exec, s[36:37]
	s_cbranch_vccz .LBB54_528
; %bb.525:
	s_cmp_eq_u32 s38, 44
	s_cbranch_scc0 .LBB54_527
; %bb.526:
	global_load_ubyte v2, v[0:1], off
	s_mov_b64 s[2:3], -1
	s_mov_b64 s[34:35], 0
	s_waitcnt vmcnt(0)
	v_lshlrev_b32_e32 v3, 23, v2
	v_cvt_i32_f32_e32 v3, v3
	v_cmp_ne_u32_e32 vcc, 0, v2
	v_cndmask_b32_e32 v2, 0, v3, vcc
	s_branch .LBB54_528
.LBB54_527:
	s_mov_b64 s[34:35], -1
                                        ; implicit-def: $vgpr2
.LBB54_528:
	s_mov_b64 s[36:37], 0
.LBB54_529:
	s_and_b64 vcc, exec, s[36:37]
	s_cbranch_vccz .LBB54_533
; %bb.530:
	s_cmp_eq_u32 s38, 29
	s_cbranch_scc0 .LBB54_532
; %bb.531:
	global_load_dword v2, v[0:1], off
	s_mov_b64 s[2:3], -1
	s_mov_b64 s[34:35], 0
	s_branch .LBB54_533
.LBB54_532:
	s_mov_b64 s[34:35], -1
                                        ; implicit-def: $vgpr2
.LBB54_533:
	s_mov_b64 s[36:37], 0
.LBB54_534:
	s_and_b64 vcc, exec, s[36:37]
	s_cbranch_vccz .LBB54_550
; %bb.535:
	s_cmp_lt_i32 s38, 27
	s_cbranch_scc1 .LBB54_538
; %bb.536:
	s_cmp_gt_i32 s38, 27
	s_cbranch_scc0 .LBB54_539
; %bb.537:
	global_load_dword v2, v[0:1], off
	s_mov_b64 s[2:3], 0
	s_branch .LBB54_540
.LBB54_538:
	s_mov_b64 s[2:3], -1
                                        ; implicit-def: $vgpr2
	s_branch .LBB54_543
.LBB54_539:
	s_mov_b64 s[2:3], -1
                                        ; implicit-def: $vgpr2
.LBB54_540:
	s_andn2_b64 vcc, exec, s[2:3]
	s_cbranch_vccnz .LBB54_542
; %bb.541:
	global_load_ushort v2, v[0:1], off
.LBB54_542:
	s_mov_b64 s[2:3], 0
.LBB54_543:
	s_andn2_b64 vcc, exec, s[2:3]
	s_cbranch_vccnz .LBB54_549
; %bb.544:
	global_load_ubyte v3, v[0:1], off
	s_movk_i32 s2, 0x7f
	s_mov_b64 s[36:37], 0
	s_waitcnt vmcnt(0)
	v_cmp_lt_i16_e32 vcc, s2, v3
	s_and_saveexec_b64 s[2:3], vcc
	s_xor_b64 s[2:3], exec, s[2:3]
	s_cbranch_execz .LBB54_561
; %bb.545:
	s_movk_i32 s36, 0x80
	v_cmp_ne_u16_e32 vcc, s36, v3
	s_and_b64 s[36:37], vcc, exec
	s_andn2_saveexec_b64 s[2:3], s[2:3]
	s_cbranch_execnz .LBB54_562
.LBB54_546:
	s_or_b64 exec, exec, s[2:3]
	v_mov_b32_e32 v2, 0
	s_and_saveexec_b64 s[2:3], s[36:37]
	s_cbranch_execz .LBB54_548
.LBB54_547:
	v_lshlrev_b32_e32 v2, 24, v3
	v_and_b32_e32 v3, 0xffff, v3
	v_and_b32_e32 v5, 7, v3
	v_ffbh_u32_e32 v7, v5
	v_min_u32_e32 v7, 32, v7
	v_subrev_u32_e32 v8, 28, v7
	v_bfe_u32 v6, v3, 3, 4
	v_lshlrev_b32_e32 v3, v8, v3
	v_sub_u32_e32 v7, 29, v7
	v_and_b32_e32 v3, 7, v3
	v_cmp_eq_u32_e32 vcc, 0, v6
	v_cndmask_b32_e32 v6, v6, v7, vcc
	v_cndmask_b32_e32 v3, v5, v3, vcc
	v_mov_b32_e32 v5, 0x3b800000
	v_lshlrev_b32_e32 v3, 20, v3
	v_and_b32_e32 v2, 0x80000000, v2
	v_lshl_add_u32 v5, v6, 23, v5
	v_or3_b32 v2, v2, v5, v3
	v_cvt_i32_f32_e32 v2, v2
.LBB54_548:
	s_or_b64 exec, exec, s[2:3]
.LBB54_549:
	s_mov_b64 s[2:3], -1
.LBB54_550:
	s_mov_b64 s[36:37], 0
.LBB54_551:
	s_and_b64 vcc, exec, s[36:37]
	s_cbranch_vccz .LBB54_584
; %bb.552:
	s_cmp_gt_i32 s38, 22
	s_cbranch_scc0 .LBB54_560
; %bb.553:
	s_cmp_lt_i32 s38, 24
	s_cbranch_scc1 .LBB54_563
; %bb.554:
	s_cmp_gt_i32 s38, 24
	s_cbranch_scc0 .LBB54_564
; %bb.555:
	global_load_ubyte v3, v[0:1], off
	s_movk_i32 s2, 0x7f
	s_mov_b64 s[36:37], 0
	s_waitcnt vmcnt(0)
	v_cmp_lt_i16_e32 vcc, s2, v3
	s_and_saveexec_b64 s[2:3], vcc
	s_xor_b64 s[2:3], exec, s[2:3]
	s_cbranch_execz .LBB54_576
; %bb.556:
	s_movk_i32 s36, 0x80
	v_cmp_ne_u16_e32 vcc, s36, v3
	s_and_b64 s[36:37], vcc, exec
	s_andn2_saveexec_b64 s[2:3], s[2:3]
	s_cbranch_execnz .LBB54_577
.LBB54_557:
	s_or_b64 exec, exec, s[2:3]
	v_mov_b32_e32 v2, 0
	s_and_saveexec_b64 s[2:3], s[36:37]
	s_cbranch_execz .LBB54_559
.LBB54_558:
	v_lshlrev_b32_e32 v2, 24, v3
	v_and_b32_e32 v3, 0xffff, v3
	v_and_b32_e32 v5, 3, v3
	v_ffbh_u32_e32 v7, v5
	v_min_u32_e32 v7, 32, v7
	v_subrev_u32_e32 v8, 29, v7
	v_bfe_u32 v6, v3, 2, 5
	v_lshlrev_b32_e32 v3, v8, v3
	v_sub_u32_e32 v7, 30, v7
	v_and_b32_e32 v3, 3, v3
	v_cmp_eq_u32_e32 vcc, 0, v6
	v_cndmask_b32_e32 v6, v6, v7, vcc
	v_cndmask_b32_e32 v3, v5, v3, vcc
	v_mov_b32_e32 v5, 0x37800000
	v_lshlrev_b32_e32 v3, 21, v3
	v_and_b32_e32 v2, 0x80000000, v2
	v_lshl_add_u32 v5, v6, 23, v5
	v_or3_b32 v2, v2, v5, v3
	v_cvt_i32_f32_e32 v2, v2
.LBB54_559:
	s_or_b64 exec, exec, s[2:3]
	s_mov_b64 s[2:3], 0
	s_branch .LBB54_565
.LBB54_560:
	s_mov_b64 s[36:37], -1
                                        ; implicit-def: $vgpr2
	s_branch .LBB54_571
.LBB54_561:
	s_andn2_saveexec_b64 s[2:3], s[2:3]
	s_cbranch_execz .LBB54_546
.LBB54_562:
	v_cmp_ne_u16_e32 vcc, 0, v3
	s_andn2_b64 s[36:37], s[36:37], exec
	s_and_b64 s[40:41], vcc, exec
	s_or_b64 s[36:37], s[36:37], s[40:41]
	s_or_b64 exec, exec, s[2:3]
	v_mov_b32_e32 v2, 0
	s_and_saveexec_b64 s[2:3], s[36:37]
	s_cbranch_execnz .LBB54_547
	s_branch .LBB54_548
.LBB54_563:
	s_mov_b64 s[2:3], -1
                                        ; implicit-def: $vgpr2
	s_branch .LBB54_568
.LBB54_564:
	s_mov_b64 s[2:3], -1
                                        ; implicit-def: $vgpr2
.LBB54_565:
	s_and_b64 vcc, exec, s[2:3]
	s_cbranch_vccz .LBB54_567
; %bb.566:
	global_load_ubyte v2, v[0:1], off
	s_mov_b32 s2, 0x7f800000
	s_waitcnt vmcnt(0)
	v_lshlrev_b32_e32 v2, 24, v2
	v_and_b32_e32 v3, 0x7f000000, v2
	v_ffbh_u32_e32 v5, v3
	v_min_u32_e32 v5, 32, v5
	v_sub_u32_e64 v5, v5, 4 clamp
	v_lshlrev_b32_e32 v7, v5, v3
	v_lshlrev_b32_e32 v5, 23, v5
	v_lshrrev_b32_e32 v7, 4, v7
	v_add_u32_e32 v6, 0x1000000, v3
	v_sub_u32_e32 v5, v7, v5
	v_ashrrev_i32_e32 v6, 8, v6
	v_add_u32_e32 v5, 0x3c000000, v5
	v_and_or_b32 v5, v6, s2, v5
	v_cmp_ne_u32_e32 vcc, 0, v3
	v_cndmask_b32_e32 v3, 0, v5, vcc
	s_brev_b32 s2, 1
	v_and_or_b32 v2, v2, s2, v3
	v_cvt_i32_f32_e32 v2, v2
.LBB54_567:
	s_mov_b64 s[2:3], 0
.LBB54_568:
	s_andn2_b64 vcc, exec, s[2:3]
	s_cbranch_vccnz .LBB54_570
; %bb.569:
	global_load_ubyte v2, v[0:1], off
	s_movk_i32 s2, 0x7f00
	s_brev_b32 s3, 16
	s_waitcnt vmcnt(0)
	v_lshlrev_b16_e32 v3, 8, v2
	v_lshlrev_b32_e32 v2, 25, v2
	v_lshrrev_b32_e32 v5, 4, v2
	v_and_or_b32 v6, v3, s2, 0.5
	v_or_b32_e32 v5, 0x70000000, v5
	v_add_f32_e32 v6, -0.5, v6
	v_mul_f32_e32 v5, 0x7800000, v5
	v_cmp_gt_u32_e32 vcc, s3, v2
	v_bfe_i32 v3, v3, 0, 16
	v_cndmask_b32_e32 v2, v5, v6, vcc
	s_brev_b32 s2, 1
	v_and_or_b32 v2, v3, s2, v2
	v_cvt_i32_f32_e32 v2, v2
.LBB54_570:
	s_mov_b64 s[36:37], 0
	s_mov_b64 s[2:3], -1
.LBB54_571:
	s_andn2_b64 vcc, exec, s[36:37]
	s_cbranch_vccnz .LBB54_584
; %bb.572:
	s_cmp_gt_i32 s38, 14
	s_cbranch_scc0 .LBB54_575
; %bb.573:
	s_cmp_eq_u32 s38, 15
	s_cbranch_scc0 .LBB54_578
; %bb.574:
	global_load_ushort v2, v[0:1], off
	s_mov_b64 s[2:3], -1
	s_mov_b64 s[34:35], 0
	s_waitcnt vmcnt(0)
	v_lshlrev_b32_e32 v2, 16, v2
	v_cvt_i32_f32_e32 v2, v2
	s_branch .LBB54_579
.LBB54_575:
	s_mov_b64 s[36:37], -1
                                        ; implicit-def: $vgpr2
	s_branch .LBB54_580
.LBB54_576:
	s_andn2_saveexec_b64 s[2:3], s[2:3]
	s_cbranch_execz .LBB54_557
.LBB54_577:
	v_cmp_ne_u16_e32 vcc, 0, v3
	s_andn2_b64 s[36:37], s[36:37], exec
	s_and_b64 s[40:41], vcc, exec
	s_or_b64 s[36:37], s[36:37], s[40:41]
	s_or_b64 exec, exec, s[2:3]
	v_mov_b32_e32 v2, 0
	s_and_saveexec_b64 s[2:3], s[36:37]
	s_cbranch_execnz .LBB54_558
	s_branch .LBB54_559
.LBB54_578:
	s_mov_b64 s[34:35], -1
                                        ; implicit-def: $vgpr2
.LBB54_579:
	s_mov_b64 s[36:37], 0
.LBB54_580:
	s_and_b64 vcc, exec, s[36:37]
	s_cbranch_vccz .LBB54_584
; %bb.581:
	s_cmp_eq_u32 s38, 11
	s_cbranch_scc0 .LBB54_583
; %bb.582:
	global_load_ubyte v2, v[0:1], off
	s_mov_b64 s[2:3], -1
	s_mov_b64 s[34:35], 0
	s_waitcnt vmcnt(0)
	v_cmp_ne_u16_e32 vcc, 0, v2
	v_cndmask_b32_e64 v2, 0, 1, vcc
	s_branch .LBB54_584
.LBB54_583:
	s_mov_b64 s[34:35], -1
                                        ; implicit-def: $vgpr2
.LBB54_584:
	s_mov_b64 s[36:37], 0
.LBB54_585:
	s_and_b64 vcc, exec, s[36:37]
	s_cbranch_vccz .LBB54_634
; %bb.586:
	s_cmp_lt_i32 s38, 5
	s_cbranch_scc1 .LBB54_591
; %bb.587:
	s_cmp_lt_i32 s38, 8
	s_cbranch_scc1 .LBB54_592
	;; [unrolled: 3-line block ×3, first 2 shown]
; %bb.589:
	s_cmp_gt_i32 s38, 9
	s_cbranch_scc0 .LBB54_594
; %bb.590:
	global_load_dwordx2 v[2:3], v[0:1], off
	s_mov_b64 s[2:3], 0
	s_waitcnt vmcnt(0)
	v_cvt_i32_f64_e32 v2, v[2:3]
	s_branch .LBB54_595
.LBB54_591:
	s_mov_b64 s[2:3], -1
                                        ; implicit-def: $vgpr2
	s_branch .LBB54_613
.LBB54_592:
	s_mov_b64 s[2:3], -1
                                        ; implicit-def: $vgpr2
	s_branch .LBB54_601
.LBB54_593:
	s_mov_b64 s[2:3], -1
                                        ; implicit-def: $vgpr2
	s_branch .LBB54_598
.LBB54_594:
	s_mov_b64 s[2:3], -1
                                        ; implicit-def: $vgpr2
.LBB54_595:
	s_andn2_b64 vcc, exec, s[2:3]
	s_cbranch_vccnz .LBB54_597
; %bb.596:
	global_load_dword v2, v[0:1], off
	s_waitcnt vmcnt(0)
	v_cvt_i32_f32_e32 v2, v2
.LBB54_597:
	s_mov_b64 s[2:3], 0
.LBB54_598:
	s_andn2_b64 vcc, exec, s[2:3]
	s_cbranch_vccnz .LBB54_600
; %bb.599:
	global_load_dword v2, v[0:1], off
	s_waitcnt vmcnt(0)
	v_cvt_f32_f16_e32 v2, v2
	v_cvt_i32_f32_e32 v2, v2
.LBB54_600:
	s_mov_b64 s[2:3], 0
.LBB54_601:
	s_andn2_b64 vcc, exec, s[2:3]
	s_cbranch_vccnz .LBB54_612
; %bb.602:
	s_cmp_lt_i32 s38, 6
	s_cbranch_scc1 .LBB54_605
; %bb.603:
	s_cmp_gt_i32 s38, 6
	s_cbranch_scc0 .LBB54_606
; %bb.604:
	global_load_dwordx2 v[2:3], v[0:1], off
	s_mov_b64 s[2:3], 0
	s_waitcnt vmcnt(0)
	v_cvt_i32_f64_e32 v2, v[2:3]
	s_branch .LBB54_607
.LBB54_605:
	s_mov_b64 s[2:3], -1
                                        ; implicit-def: $vgpr2
	s_branch .LBB54_610
.LBB54_606:
	s_mov_b64 s[2:3], -1
                                        ; implicit-def: $vgpr2
.LBB54_607:
	s_andn2_b64 vcc, exec, s[2:3]
	s_cbranch_vccnz .LBB54_609
; %bb.608:
	global_load_dword v2, v[0:1], off
	s_waitcnt vmcnt(0)
	v_cvt_i32_f32_e32 v2, v2
.LBB54_609:
	s_mov_b64 s[2:3], 0
.LBB54_610:
	s_andn2_b64 vcc, exec, s[2:3]
	s_cbranch_vccnz .LBB54_612
; %bb.611:
	global_load_ushort v2, v[0:1], off
	s_waitcnt vmcnt(0)
	v_cvt_f32_f16_e32 v2, v2
	v_cvt_i32_f32_e32 v2, v2
.LBB54_612:
	s_mov_b64 s[2:3], 0
.LBB54_613:
	s_andn2_b64 vcc, exec, s[2:3]
	s_cbranch_vccnz .LBB54_633
; %bb.614:
	s_cmp_lt_i32 s38, 2
	s_cbranch_scc1 .LBB54_618
; %bb.615:
	s_cmp_lt_i32 s38, 3
	s_cbranch_scc1 .LBB54_619
; %bb.616:
	s_cmp_gt_i32 s38, 3
	s_cbranch_scc0 .LBB54_620
; %bb.617:
	global_load_dword v2, v[0:1], off
	s_mov_b64 s[2:3], 0
	s_branch .LBB54_621
.LBB54_618:
	s_mov_b64 s[2:3], -1
                                        ; implicit-def: $vgpr2
	s_branch .LBB54_627
.LBB54_619:
	s_mov_b64 s[2:3], -1
                                        ; implicit-def: $vgpr2
	s_branch .LBB54_624
.LBB54_620:
	s_mov_b64 s[2:3], -1
                                        ; implicit-def: $vgpr2
.LBB54_621:
	s_andn2_b64 vcc, exec, s[2:3]
	s_cbranch_vccnz .LBB54_623
; %bb.622:
	global_load_dword v2, v[0:1], off
.LBB54_623:
	s_mov_b64 s[2:3], 0
.LBB54_624:
	s_andn2_b64 vcc, exec, s[2:3]
	s_cbranch_vccnz .LBB54_626
; %bb.625:
	global_load_sshort v2, v[0:1], off
.LBB54_626:
	s_mov_b64 s[2:3], 0
.LBB54_627:
	s_andn2_b64 vcc, exec, s[2:3]
	s_cbranch_vccnz .LBB54_633
; %bb.628:
	s_cmp_gt_i32 s38, 0
	s_cbranch_scc0 .LBB54_630
; %bb.629:
	global_load_sbyte v2, v[0:1], off
	s_mov_b64 s[2:3], 0
	s_branch .LBB54_631
.LBB54_630:
	s_mov_b64 s[2:3], -1
                                        ; implicit-def: $vgpr2
.LBB54_631:
	s_andn2_b64 vcc, exec, s[2:3]
	s_cbranch_vccnz .LBB54_633
; %bb.632:
	global_load_ubyte v2, v[0:1], off
.LBB54_633:
	s_mov_b64 s[2:3], -1
.LBB54_634:
	s_andn2_b64 vcc, exec, s[2:3]
	s_cbranch_vccnz .LBB54_642
; %bb.635:
	v_mul_lo_u32 v1, v4, s12
	v_mov_b32_e32 v0, s15
	v_mov_b32_e32 v3, s9
	s_waitcnt vmcnt(0)
	v_cndmask_b32_e64 v0, v0, v2, s[0:1]
	v_ashrrev_i32_e32 v5, 31, v1
	s_and_b32 s42, s17, 0xff
	v_add_co_u32_e32 v2, vcc, s8, v1
	s_cmp_lt_i32 s42, 11
	v_addc_co_u32_e32 v3, vcc, v3, v5, vcc
	s_cbranch_scc1 .LBB54_643
; %bb.636:
	s_and_b32 s43, 0xffff, s42
	s_cmp_gt_i32 s43, 25
	s_cbranch_scc0 .LBB54_644
; %bb.637:
	s_cmp_gt_i32 s43, 28
	s_cbranch_scc0 .LBB54_645
; %bb.638:
	;; [unrolled: 3-line block ×4, first 2 shown]
	s_mov_b64 s[38:39], 0
	s_mov_b64 s[2:3], -1
	s_cmp_eq_u32 s43, 46
	s_mov_b64 s[36:37], 0
	s_cbranch_scc0 .LBB54_648
; %bb.641:
	v_cvt_f32_i32_e32 v1, v0
	s_movk_i32 s2, 0x7fff
	s_mov_b64 s[36:37], -1
	v_bfe_u32 v5, v1, 16, 1
	v_add3_u32 v1, v1, v5, s2
	v_lshrrev_b32_e32 v1, 16, v1
	global_store_dword v[2:3], v1, off
	s_mov_b64 s[2:3], 0
	s_branch .LBB54_648
.LBB54_642:
	s_mov_b64 s[38:39], 0
                                        ; implicit-def: $vgpr4
	s_mov_b64 s[2:3], s[26:27]
	s_branch .LBB54_759
.LBB54_643:
	s_mov_b64 s[38:39], -1
	s_mov_b64 s[36:37], 0
	s_mov_b64 s[2:3], s[26:27]
	s_branch .LBB54_717
.LBB54_644:
	s_mov_b64 s[38:39], -1
	s_mov_b64 s[36:37], 0
	s_mov_b64 s[2:3], s[26:27]
	s_branch .LBB54_675
.LBB54_645:
	s_mov_b64 s[38:39], -1
	s_mov_b64 s[36:37], 0
	s_mov_b64 s[2:3], s[26:27]
	s_branch .LBB54_658
.LBB54_646:
	s_mov_b64 s[38:39], -1
	s_mov_b64 s[36:37], 0
	s_mov_b64 s[2:3], s[26:27]
	s_branch .LBB54_654
.LBB54_647:
	s_mov_b64 s[38:39], -1
	s_mov_b64 s[36:37], 0
	s_mov_b64 s[2:3], s[26:27]
.LBB54_648:
	s_and_b64 vcc, exec, s[38:39]
	s_cbranch_vccz .LBB54_653
; %bb.649:
	s_cmp_eq_u32 s43, 44
	s_mov_b64 s[2:3], -1
	s_cbranch_scc0 .LBB54_653
; %bb.650:
	v_cvt_f32_i32_e32 v1, v0
	s_movk_i32 s2, 0xff
	v_mov_b32_e32 v6, 0xff
	v_bfe_u32 v5, v1, 23, 8
	v_cmp_ne_u32_e32 vcc, s2, v5
	s_and_saveexec_b64 s[36:37], vcc
; %bb.651:
	s_mov_b32 s2, 0x3fffff
	v_lshrrev_b32_e32 v6, 23, v1
	v_and_b32_e32 v7, 0x400000, v1
	v_and_or_b32 v1, v1, s2, v5
	v_cmp_ne_u32_e32 vcc, 0, v7
	v_cmp_ne_u32_e64 s[2:3], 0, v1
	s_and_b64 s[2:3], vcc, s[2:3]
	v_cndmask_b32_e64 v1, 0, 1, s[2:3]
	v_add_u32_e32 v6, v6, v1
; %bb.652:
	s_or_b64 exec, exec, s[36:37]
	s_mov_b64 s[36:37], -1
	s_mov_b64 s[2:3], 0
	global_store_byte v[2:3], v6, off
.LBB54_653:
	s_mov_b64 s[38:39], 0
.LBB54_654:
	s_and_b64 vcc, exec, s[38:39]
	s_cbranch_vccz .LBB54_657
; %bb.655:
	s_cmp_eq_u32 s43, 29
	s_mov_b64 s[2:3], -1
	s_cbranch_scc0 .LBB54_657
; %bb.656:
	v_ashrrev_i32_e32 v1, 31, v0
	global_store_dwordx2 v[2:3], v[0:1], off
	s_mov_b64 s[36:37], -1
	s_mov_b64 s[2:3], 0
.LBB54_657:
	s_mov_b64 s[38:39], 0
.LBB54_658:
	s_and_b64 vcc, exec, s[38:39]
	s_cbranch_vccz .LBB54_674
; %bb.659:
	s_cmp_lt_i32 s43, 27
	s_mov_b64 s[36:37], -1
	s_cbranch_scc1 .LBB54_665
; %bb.660:
	s_cmp_gt_i32 s43, 27
	s_cbranch_scc0 .LBB54_662
; %bb.661:
	s_mov_b64 s[36:37], 0
	global_store_dword v[2:3], v0, off
.LBB54_662:
	s_andn2_b64 vcc, exec, s[36:37]
	s_cbranch_vccnz .LBB54_664
; %bb.663:
	global_store_short v[2:3], v0, off
.LBB54_664:
	s_mov_b64 s[36:37], 0
.LBB54_665:
	s_andn2_b64 vcc, exec, s[36:37]
	s_cbranch_vccnz .LBB54_673
; %bb.666:
	v_cvt_f32_i32_e32 v1, v0
	s_mov_b32 s36, 0x43800000
	v_mov_b32_e32 v6, 0x80
	v_and_b32_e32 v5, 0x7fffffff, v1
	v_cmp_gt_u32_e32 vcc, s36, v5
	s_and_saveexec_b64 s[36:37], vcc
	s_cbranch_execz .LBB54_672
; %bb.667:
	s_mov_b32 s38, 0x3bffffff
	v_cmp_lt_u32_e32 vcc, s38, v5
	s_mov_b64 s[38:39], 0
                                        ; implicit-def: $vgpr5
	s_and_saveexec_b64 s[40:41], vcc
	s_xor_b64 s[40:41], exec, s[40:41]
	s_cbranch_execz .LBB54_773
; %bb.668:
	v_bfe_u32 v5, v1, 20, 1
	s_mov_b32 s45, 0x487ffff
	v_add3_u32 v5, v1, v5, s45
	s_mov_b64 s[38:39], exec
	v_lshrrev_b32_e32 v5, 20, v5
	s_andn2_saveexec_b64 s[40:41], s[40:41]
	s_cbranch_execnz .LBB54_774
.LBB54_669:
	s_or_b64 exec, exec, s[40:41]
	v_mov_b32_e32 v6, 0
	s_and_saveexec_b64 s[40:41], s[38:39]
.LBB54_670:
	v_lshrrev_b32_e32 v1, 24, v1
	s_movk_i32 s38, 0x80
	v_and_or_b32 v6, v1, s38, v5
.LBB54_671:
	s_or_b64 exec, exec, s[40:41]
.LBB54_672:
	s_or_b64 exec, exec, s[36:37]
	global_store_byte v[2:3], v6, off
.LBB54_673:
	s_mov_b64 s[36:37], -1
.LBB54_674:
	s_mov_b64 s[38:39], 0
.LBB54_675:
	s_and_b64 vcc, exec, s[38:39]
	s_cbranch_vccz .LBB54_716
; %bb.676:
	s_cmp_gt_i32 s43, 22
	s_mov_b64 s[38:39], -1
	s_cbranch_scc0 .LBB54_708
; %bb.677:
	s_cmp_lt_i32 s43, 24
	s_mov_b64 s[36:37], -1
	s_cbranch_scc1 .LBB54_697
; %bb.678:
	s_cmp_gt_i32 s43, 24
	s_cbranch_scc0 .LBB54_686
; %bb.679:
	v_cvt_f32_i32_e32 v1, v0
	s_mov_b32 s36, 0x47800000
	v_mov_b32_e32 v6, 0x80
	v_and_b32_e32 v5, 0x7fffffff, v1
	v_cmp_gt_u32_e32 vcc, s36, v5
	s_and_saveexec_b64 s[36:37], vcc
	s_cbranch_execz .LBB54_685
; %bb.680:
	s_mov_b32 s38, 0x37ffffff
	v_cmp_lt_u32_e32 vcc, s38, v5
	s_mov_b64 s[38:39], 0
                                        ; implicit-def: $vgpr5
	s_and_saveexec_b64 s[40:41], vcc
	s_xor_b64 s[40:41], exec, s[40:41]
	s_cbranch_execz .LBB54_776
; %bb.681:
	v_bfe_u32 v5, v1, 21, 1
	s_mov_b32 s45, 0x88fffff
	v_add3_u32 v5, v1, v5, s45
	s_mov_b64 s[38:39], exec
	v_lshrrev_b32_e32 v5, 21, v5
	s_andn2_saveexec_b64 s[40:41], s[40:41]
	s_cbranch_execnz .LBB54_777
.LBB54_682:
	s_or_b64 exec, exec, s[40:41]
	v_mov_b32_e32 v6, 0
	s_and_saveexec_b64 s[40:41], s[38:39]
.LBB54_683:
	v_lshrrev_b32_e32 v1, 24, v1
	s_movk_i32 s38, 0x80
	v_and_or_b32 v6, v1, s38, v5
.LBB54_684:
	s_or_b64 exec, exec, s[40:41]
.LBB54_685:
	s_or_b64 exec, exec, s[36:37]
	s_mov_b64 s[36:37], 0
	global_store_byte v[2:3], v6, off
.LBB54_686:
	s_and_b64 vcc, exec, s[36:37]
	s_cbranch_vccz .LBB54_696
; %bb.687:
	v_cvt_f32_i32_e32 v1, v0
	s_mov_b32 s36, 0x43f00000
                                        ; implicit-def: $vgpr5
	v_and_b32_e32 v6, 0x7fffffff, v1
	v_cmp_gt_u32_e32 vcc, s36, v6
	s_and_saveexec_b64 s[36:37], vcc
	s_xor_b64 s[36:37], exec, s[36:37]
	s_cbranch_execz .LBB54_693
; %bb.688:
	s_mov_b32 s38, 0x3c7fffff
	v_cmp_lt_u32_e32 vcc, s38, v6
                                        ; implicit-def: $vgpr5
	s_and_saveexec_b64 s[38:39], vcc
	s_xor_b64 s[38:39], exec, s[38:39]
; %bb.689:
	v_bfe_u32 v5, v1, 20, 1
	s_mov_b32 s40, 0x407ffff
	v_add3_u32 v5, v1, v5, s40
	v_lshrrev_b32_e32 v6, 20, v5
	v_and_b32_e32 v5, 0xff00000, v5
	s_mov_b32 s40, 0x7f00000
	v_mov_b32_e32 v7, 0x7e
	v_cmp_ne_u32_e32 vcc, s40, v5
	v_cndmask_b32_e32 v5, v7, v6, vcc
; %bb.690:
	s_andn2_saveexec_b64 s[38:39], s[38:39]
; %bb.691:
	s_mov_b32 s40, 0x46800000
	v_add_f32_e64 v5, |v1|, s40
; %bb.692:
	s_or_b64 exec, exec, s[38:39]
                                        ; implicit-def: $vgpr6
.LBB54_693:
	s_andn2_saveexec_b64 s[36:37], s[36:37]
; %bb.694:
	s_mov_b32 s38, 0x7f800000
	v_mov_b32_e32 v5, 0x7e
	v_mov_b32_e32 v7, 0x7f
	v_cmp_lt_u32_e32 vcc, s38, v6
	v_cndmask_b32_e32 v5, v5, v7, vcc
; %bb.695:
	s_or_b64 exec, exec, s[36:37]
	v_lshrrev_b32_e32 v1, 24, v1
	s_movk_i32 s36, 0x80
	v_and_or_b32 v1, v1, s36, v5
	global_store_byte v[2:3], v1, off
.LBB54_696:
	s_mov_b64 s[36:37], 0
.LBB54_697:
	s_andn2_b64 vcc, exec, s[36:37]
	s_cbranch_vccnz .LBB54_707
; %bb.698:
	v_cvt_f32_i32_e32 v1, v0
	s_mov_b32 s36, 0x47800000
                                        ; implicit-def: $vgpr5
	v_and_b32_e32 v6, 0x7fffffff, v1
	v_cmp_gt_u32_e32 vcc, s36, v6
	s_and_saveexec_b64 s[36:37], vcc
	s_xor_b64 s[36:37], exec, s[36:37]
	s_cbranch_execz .LBB54_704
; %bb.699:
	s_mov_b32 s38, 0x387fffff
	v_cmp_lt_u32_e32 vcc, s38, v6
                                        ; implicit-def: $vgpr5
	s_and_saveexec_b64 s[38:39], vcc
	s_xor_b64 s[38:39], exec, s[38:39]
; %bb.700:
	v_bfe_u32 v5, v1, 21, 1
	s_mov_b32 s40, 0x80fffff
	v_add3_u32 v5, v1, v5, s40
	v_lshrrev_b32_e32 v5, 21, v5
; %bb.701:
	s_andn2_saveexec_b64 s[38:39], s[38:39]
; %bb.702:
	s_mov_b32 s40, 0x43000000
	v_add_f32_e64 v5, |v1|, s40
; %bb.703:
	s_or_b64 exec, exec, s[38:39]
                                        ; implicit-def: $vgpr6
.LBB54_704:
	s_andn2_saveexec_b64 s[36:37], s[36:37]
; %bb.705:
	s_mov_b32 s38, 0x7f800000
	v_mov_b32_e32 v5, 0x7c
	v_mov_b32_e32 v7, 0x7f
	v_cmp_lt_u32_e32 vcc, s38, v6
	v_cndmask_b32_e32 v5, v5, v7, vcc
; %bb.706:
	s_or_b64 exec, exec, s[36:37]
	v_lshrrev_b32_e32 v1, 24, v1
	s_movk_i32 s36, 0x80
	v_and_or_b32 v1, v1, s36, v5
	global_store_byte v[2:3], v1, off
.LBB54_707:
	s_mov_b64 s[38:39], 0
	s_mov_b64 s[36:37], -1
.LBB54_708:
	s_andn2_b64 vcc, exec, s[38:39]
	s_cbranch_vccnz .LBB54_716
; %bb.709:
	s_cmp_gt_i32 s43, 14
	s_mov_b64 s[38:39], -1
	s_cbranch_scc0 .LBB54_713
; %bb.710:
	s_cmp_eq_u32 s43, 15
	s_mov_b64 s[2:3], -1
	s_cbranch_scc0 .LBB54_712
; %bb.711:
	v_cvt_f32_i32_e32 v1, v0
	s_movk_i32 s2, 0x7fff
	s_mov_b64 s[36:37], -1
	v_bfe_u32 v5, v1, 16, 1
	v_add3_u32 v1, v1, v5, s2
	global_store_short_d16_hi v[2:3], v1, off
	s_mov_b64 s[2:3], 0
.LBB54_712:
	s_mov_b64 s[38:39], 0
.LBB54_713:
	s_and_b64 vcc, exec, s[38:39]
	s_cbranch_vccz .LBB54_716
; %bb.714:
	s_cmp_eq_u32 s43, 11
	s_mov_b64 s[2:3], -1
	s_cbranch_scc0 .LBB54_716
; %bb.715:
	v_cmp_ne_u32_e32 vcc, 0, v0
	v_cndmask_b32_e64 v1, 0, 1, vcc
	s_mov_b64 s[36:37], -1
	s_mov_b64 s[2:3], 0
	global_store_byte v[2:3], v1, off
.LBB54_716:
	s_mov_b64 s[38:39], 0
.LBB54_717:
	s_and_b64 vcc, exec, s[38:39]
	s_cbranch_vccz .LBB54_756
; %bb.718:
	s_and_b32 s38, 0xffff, s42
	s_cmp_lt_i32 s38, 5
	s_mov_b64 s[36:37], -1
	s_cbranch_scc1 .LBB54_739
; %bb.719:
	s_cmp_lt_i32 s38, 8
	s_cbranch_scc1 .LBB54_729
; %bb.720:
	s_cmp_lt_i32 s38, 9
	s_cbranch_scc1 .LBB54_726
; %bb.721:
	s_cmp_gt_i32 s38, 9
	s_cbranch_scc0 .LBB54_723
; %bb.722:
	v_cvt_f64_i32_e32 v[5:6], v0
	v_mov_b32_e32 v7, 0
	v_mov_b32_e32 v8, v7
	s_mov_b64 s[36:37], 0
	global_store_dwordx4 v[2:3], v[5:8], off
.LBB54_723:
	s_andn2_b64 vcc, exec, s[36:37]
	s_cbranch_vccnz .LBB54_725
; %bb.724:
	v_cvt_f32_i32_e32 v5, v0
	v_mov_b32_e32 v6, 0
	global_store_dwordx2 v[2:3], v[5:6], off
.LBB54_725:
	s_mov_b64 s[36:37], 0
.LBB54_726:
	s_andn2_b64 vcc, exec, s[36:37]
	s_cbranch_vccnz .LBB54_728
; %bb.727:
	v_cvt_f32_i32_e32 v1, v0
	v_cvt_f16_f32_e32 v1, v1
	global_store_dword v[2:3], v1, off
.LBB54_728:
	s_mov_b64 s[36:37], 0
.LBB54_729:
	s_andn2_b64 vcc, exec, s[36:37]
	s_cbranch_vccnz .LBB54_738
; %bb.730:
	s_cmp_lt_i32 s38, 6
	s_mov_b64 s[36:37], -1
	s_cbranch_scc1 .LBB54_736
; %bb.731:
	s_cmp_gt_i32 s38, 6
	s_cbranch_scc0 .LBB54_733
; %bb.732:
	v_cvt_f64_i32_e32 v[5:6], v0
	s_mov_b64 s[36:37], 0
	global_store_dwordx2 v[2:3], v[5:6], off
.LBB54_733:
	s_andn2_b64 vcc, exec, s[36:37]
	s_cbranch_vccnz .LBB54_735
; %bb.734:
	v_cvt_f32_i32_e32 v1, v0
	global_store_dword v[2:3], v1, off
.LBB54_735:
	s_mov_b64 s[36:37], 0
.LBB54_736:
	s_andn2_b64 vcc, exec, s[36:37]
	s_cbranch_vccnz .LBB54_738
; %bb.737:
	v_cvt_f32_i32_e32 v1, v0
	v_cvt_f16_f32_e32 v1, v1
	global_store_short v[2:3], v1, off
.LBB54_738:
	s_mov_b64 s[36:37], 0
.LBB54_739:
	s_andn2_b64 vcc, exec, s[36:37]
	s_cbranch_vccnz .LBB54_755
; %bb.740:
	s_cmp_lt_i32 s38, 2
	s_mov_b64 s[36:37], -1
	s_cbranch_scc1 .LBB54_750
; %bb.741:
	s_cmp_lt_i32 s38, 3
	s_cbranch_scc1 .LBB54_747
; %bb.742:
	s_cmp_gt_i32 s38, 3
	s_cbranch_scc0 .LBB54_744
; %bb.743:
	v_ashrrev_i32_e32 v1, 31, v0
	s_mov_b64 s[36:37], 0
	global_store_dwordx2 v[2:3], v[0:1], off
.LBB54_744:
	s_andn2_b64 vcc, exec, s[36:37]
	s_cbranch_vccnz .LBB54_746
; %bb.745:
	global_store_dword v[2:3], v0, off
.LBB54_746:
	s_mov_b64 s[36:37], 0
.LBB54_747:
	s_andn2_b64 vcc, exec, s[36:37]
	s_cbranch_vccnz .LBB54_749
; %bb.748:
	global_store_short v[2:3], v0, off
.LBB54_749:
	s_mov_b64 s[36:37], 0
.LBB54_750:
	s_andn2_b64 vcc, exec, s[36:37]
	s_cbranch_vccnz .LBB54_755
; %bb.751:
	s_cmp_gt_i32 s38, 0
	s_mov_b64 s[36:37], -1
	s_cbranch_scc0 .LBB54_753
; %bb.752:
	s_mov_b64 s[36:37], 0
	global_store_byte v[2:3], v0, off
.LBB54_753:
	s_andn2_b64 vcc, exec, s[36:37]
	s_cbranch_vccnz .LBB54_755
; %bb.754:
	global_store_byte v[2:3], v0, off
.LBB54_755:
	s_mov_b64 s[36:37], -1
.LBB54_756:
	s_andn2_b64 vcc, exec, s[36:37]
	s_cbranch_vccnz .LBB54_758
; %bb.757:
	v_add_u32_e32 v4, 0x80, v4
	s_mov_b64 s[38:39], -1
	s_branch .LBB54_759
.LBB54_758:
	s_mov_b64 s[38:39], 0
                                        ; implicit-def: $vgpr4
.LBB54_759:
	s_andn2_b64 s[36:37], s[26:27], exec
	s_and_b64 s[2:3], s[2:3], exec
	s_or_b64 s[36:37], s[36:37], s[2:3]
	s_andn2_b64 s[2:3], s[24:25], exec
	s_and_b64 s[34:35], s[34:35], exec
	s_or_b64 s[2:3], s[2:3], s[34:35]
	s_orn2_b64 s[40:41], s[38:39], exec
.LBB54_760:
	s_or_b64 exec, exec, s[30:31]
	s_mov_b64 s[34:35], 0
	s_mov_b64 s[38:39], 0
	;; [unrolled: 1-line block ×3, first 2 shown]
                                        ; implicit-def: $vgpr0_vgpr1
                                        ; implicit-def: $vgpr5
	s_and_saveexec_b64 s[30:31], s[40:41]
	s_cbranch_execz .LBB54_841
; %bb.761:
	v_cmp_gt_i32_e32 vcc, s44, v4
	s_mov_b64 s[40:41], 0
	s_mov_b64 s[44:45], s[2:3]
	;; [unrolled: 1-line block ×3, first 2 shown]
                                        ; implicit-def: $vgpr0_vgpr1
                                        ; implicit-def: $vgpr5
	s_and_saveexec_b64 s[34:35], vcc
	s_cbranch_execz .LBB54_840
; %bb.762:
	v_mul_lo_u32 v0, v4, s13
	v_mov_b32_e32 v1, s11
	s_and_b32 s46, 0xffff, s33
	s_cmp_lt_i32 s46, 11
	s_waitcnt vmcnt(0)
	v_ashrrev_i32_e32 v2, 31, v0
	v_add_co_u32_e32 v0, vcc, s10, v0
	v_addc_co_u32_e32 v1, vcc, v1, v2, vcc
	s_cbranch_scc1 .LBB54_769
; %bb.763:
	s_cmp_gt_i32 s46, 25
	s_cbranch_scc0 .LBB54_770
; %bb.764:
	s_cmp_gt_i32 s46, 28
	s_cbranch_scc0 .LBB54_771
	;; [unrolled: 3-line block ×4, first 2 shown]
; %bb.767:
	s_cmp_eq_u32 s46, 46
	s_mov_b64 s[44:45], 0
	s_cbranch_scc0 .LBB54_778
; %bb.768:
	global_load_dword v2, v[0:1], off
	s_mov_b64 s[42:43], -1
	s_waitcnt vmcnt(0)
	v_lshlrev_b32_e32 v2, 16, v2
	v_cvt_i32_f32_e32 v5, v2
	s_branch .LBB54_780
.LBB54_769:
	s_mov_b64 s[44:45], -1
                                        ; implicit-def: $vgpr5
	s_mov_b64 s[38:39], s[2:3]
	s_branch .LBB54_839
.LBB54_770:
	s_mov_b64 s[44:45], -1
	s_mov_b64 s[38:39], s[2:3]
                                        ; implicit-def: $vgpr5
	s_branch .LBB54_807
.LBB54_771:
	s_mov_b64 s[44:45], -1
	s_mov_b64 s[38:39], s[2:3]
                                        ; implicit-def: $vgpr5
	s_branch .LBB54_790
.LBB54_772:
	s_mov_b64 s[44:45], -1
	s_mov_b64 s[38:39], s[2:3]
                                        ; implicit-def: $vgpr5
	s_branch .LBB54_785
.LBB54_773:
	s_andn2_saveexec_b64 s[40:41], s[40:41]
	s_cbranch_execz .LBB54_669
.LBB54_774:
	s_mov_b32 s45, 0x46000000
	v_add_f32_e64 v5, |v1|, s45
	v_and_b32_e32 v5, 0xff, v5
	v_cmp_ne_u32_e32 vcc, 0, v5
	s_andn2_b64 s[38:39], s[38:39], exec
	s_and_b64 s[46:47], vcc, exec
	s_or_b64 s[38:39], s[38:39], s[46:47]
	s_or_b64 exec, exec, s[40:41]
	v_mov_b32_e32 v6, 0
	s_and_saveexec_b64 s[40:41], s[38:39]
	s_cbranch_execnz .LBB54_670
	s_branch .LBB54_671
.LBB54_775:
	s_mov_b64 s[44:45], -1
	s_mov_b64 s[38:39], s[2:3]
	s_branch .LBB54_779
.LBB54_776:
	s_andn2_saveexec_b64 s[40:41], s[40:41]
	s_cbranch_execz .LBB54_682
.LBB54_777:
	s_mov_b32 s45, 0x42800000
	v_add_f32_e64 v5, |v1|, s45
	v_and_b32_e32 v5, 0xff, v5
	v_cmp_ne_u32_e32 vcc, 0, v5
	s_andn2_b64 s[38:39], s[38:39], exec
	s_and_b64 s[46:47], vcc, exec
	s_or_b64 s[38:39], s[38:39], s[46:47]
	s_or_b64 exec, exec, s[40:41]
	v_mov_b32_e32 v6, 0
	s_and_saveexec_b64 s[40:41], s[38:39]
	s_cbranch_execnz .LBB54_683
	s_branch .LBB54_684
.LBB54_778:
	s_mov_b64 s[38:39], -1
.LBB54_779:
                                        ; implicit-def: $vgpr5
.LBB54_780:
	s_and_b64 vcc, exec, s[44:45]
	s_cbranch_vccz .LBB54_784
; %bb.781:
	s_cmp_eq_u32 s46, 44
	s_cbranch_scc0 .LBB54_783
; %bb.782:
	global_load_ubyte v2, v[0:1], off
	s_mov_b64 s[38:39], 0
	s_mov_b64 s[42:43], -1
	s_waitcnt vmcnt(0)
	v_lshlrev_b32_e32 v3, 23, v2
	v_cvt_i32_f32_e32 v3, v3
	v_cmp_ne_u32_e32 vcc, 0, v2
	v_cndmask_b32_e32 v5, 0, v3, vcc
	s_branch .LBB54_784
.LBB54_783:
	s_mov_b64 s[38:39], -1
                                        ; implicit-def: $vgpr5
.LBB54_784:
	s_mov_b64 s[44:45], 0
.LBB54_785:
	s_and_b64 vcc, exec, s[44:45]
	s_cbranch_vccz .LBB54_789
; %bb.786:
	s_cmp_eq_u32 s46, 29
	s_cbranch_scc0 .LBB54_788
; %bb.787:
	global_load_dword v5, v[0:1], off
	s_mov_b64 s[38:39], 0
	s_mov_b64 s[42:43], -1
	s_branch .LBB54_789
.LBB54_788:
	s_mov_b64 s[38:39], -1
                                        ; implicit-def: $vgpr5
.LBB54_789:
	s_mov_b64 s[44:45], 0
.LBB54_790:
	s_and_b64 vcc, exec, s[44:45]
	s_cbranch_vccz .LBB54_806
; %bb.791:
	s_cmp_lt_i32 s46, 27
	s_cbranch_scc1 .LBB54_794
; %bb.792:
	s_cmp_gt_i32 s46, 27
	s_cbranch_scc0 .LBB54_795
; %bb.793:
	global_load_dword v5, v[0:1], off
	s_mov_b64 s[42:43], 0
	s_branch .LBB54_796
.LBB54_794:
	s_mov_b64 s[42:43], -1
                                        ; implicit-def: $vgpr5
	s_branch .LBB54_799
.LBB54_795:
	s_mov_b64 s[42:43], -1
                                        ; implicit-def: $vgpr5
.LBB54_796:
	s_andn2_b64 vcc, exec, s[42:43]
	s_cbranch_vccnz .LBB54_798
; %bb.797:
	global_load_ushort v5, v[0:1], off
.LBB54_798:
	s_mov_b64 s[42:43], 0
.LBB54_799:
	s_andn2_b64 vcc, exec, s[42:43]
	s_cbranch_vccnz .LBB54_805
; %bb.800:
	global_load_ubyte v2, v[0:1], off
	s_movk_i32 s42, 0x7f
	s_mov_b64 s[44:45], 0
	s_waitcnt vmcnt(0)
	v_cmp_lt_i16_e32 vcc, s42, v2
	s_and_saveexec_b64 s[42:43], vcc
	s_xor_b64 s[42:43], exec, s[42:43]
	s_cbranch_execz .LBB54_817
; %bb.801:
	s_movk_i32 s44, 0x80
	v_cmp_ne_u16_e32 vcc, s44, v2
	s_and_b64 s[44:45], vcc, exec
	s_andn2_saveexec_b64 s[42:43], s[42:43]
	s_cbranch_execnz .LBB54_818
.LBB54_802:
	s_or_b64 exec, exec, s[42:43]
	v_mov_b32_e32 v5, 0
	s_and_saveexec_b64 s[42:43], s[44:45]
	s_cbranch_execz .LBB54_804
.LBB54_803:
	v_lshlrev_b32_e32 v3, 24, v2
	v_and_b32_e32 v2, 0xffff, v2
	v_and_b32_e32 v5, 7, v2
	v_ffbh_u32_e32 v7, v5
	v_min_u32_e32 v7, 32, v7
	v_subrev_u32_e32 v8, 28, v7
	v_bfe_u32 v6, v2, 3, 4
	v_lshlrev_b32_e32 v2, v8, v2
	v_sub_u32_e32 v7, 29, v7
	v_and_b32_e32 v2, 7, v2
	v_cmp_eq_u32_e32 vcc, 0, v6
	v_cndmask_b32_e32 v6, v6, v7, vcc
	v_cndmask_b32_e32 v2, v5, v2, vcc
	v_mov_b32_e32 v5, 0x3b800000
	v_lshlrev_b32_e32 v2, 20, v2
	v_and_b32_e32 v3, 0x80000000, v3
	v_lshl_add_u32 v5, v6, 23, v5
	v_or3_b32 v2, v3, v5, v2
	v_cvt_i32_f32_e32 v5, v2
.LBB54_804:
	s_or_b64 exec, exec, s[42:43]
.LBB54_805:
	s_mov_b64 s[42:43], -1
.LBB54_806:
	s_mov_b64 s[44:45], 0
.LBB54_807:
	s_and_b64 vcc, exec, s[44:45]
	s_cbranch_vccz .LBB54_838
; %bb.808:
	s_cmp_gt_i32 s46, 22
	s_cbranch_scc0 .LBB54_816
; %bb.809:
	s_cmp_lt_i32 s46, 24
	s_cbranch_scc1 .LBB54_819
; %bb.810:
	s_cmp_gt_i32 s46, 24
	s_cbranch_scc0 .LBB54_820
; %bb.811:
	global_load_ubyte v2, v[0:1], off
	s_movk_i32 s40, 0x7f
	s_mov_b64 s[42:43], 0
	s_waitcnt vmcnt(0)
	v_cmp_lt_i16_e32 vcc, s40, v2
	s_and_saveexec_b64 s[40:41], vcc
	s_xor_b64 s[40:41], exec, s[40:41]
	s_cbranch_execz .LBB54_832
; %bb.812:
	s_movk_i32 s42, 0x80
	v_cmp_ne_u16_e32 vcc, s42, v2
	s_and_b64 s[42:43], vcc, exec
	s_andn2_saveexec_b64 s[40:41], s[40:41]
	s_cbranch_execnz .LBB54_833
.LBB54_813:
	s_or_b64 exec, exec, s[40:41]
	v_mov_b32_e32 v5, 0
	s_and_saveexec_b64 s[40:41], s[42:43]
	s_cbranch_execz .LBB54_815
.LBB54_814:
	v_lshlrev_b32_e32 v3, 24, v2
	v_and_b32_e32 v2, 0xffff, v2
	v_and_b32_e32 v5, 3, v2
	v_ffbh_u32_e32 v7, v5
	v_min_u32_e32 v7, 32, v7
	v_subrev_u32_e32 v8, 29, v7
	v_bfe_u32 v6, v2, 2, 5
	v_lshlrev_b32_e32 v2, v8, v2
	v_sub_u32_e32 v7, 30, v7
	v_and_b32_e32 v2, 3, v2
	v_cmp_eq_u32_e32 vcc, 0, v6
	v_cndmask_b32_e32 v6, v6, v7, vcc
	v_cndmask_b32_e32 v2, v5, v2, vcc
	v_mov_b32_e32 v5, 0x37800000
	v_lshlrev_b32_e32 v2, 21, v2
	v_and_b32_e32 v3, 0x80000000, v3
	v_lshl_add_u32 v5, v6, 23, v5
	v_or3_b32 v2, v3, v5, v2
	v_cvt_i32_f32_e32 v5, v2
.LBB54_815:
	s_or_b64 exec, exec, s[40:41]
	s_mov_b64 s[40:41], 0
	s_branch .LBB54_821
.LBB54_816:
	s_mov_b64 s[40:41], -1
                                        ; implicit-def: $vgpr5
	s_branch .LBB54_827
.LBB54_817:
	s_andn2_saveexec_b64 s[42:43], s[42:43]
	s_cbranch_execz .LBB54_802
.LBB54_818:
	v_cmp_ne_u16_e32 vcc, 0, v2
	s_andn2_b64 s[44:45], s[44:45], exec
	s_and_b64 s[48:49], vcc, exec
	s_or_b64 s[44:45], s[44:45], s[48:49]
	s_or_b64 exec, exec, s[42:43]
	v_mov_b32_e32 v5, 0
	s_and_saveexec_b64 s[42:43], s[44:45]
	s_cbranch_execnz .LBB54_803
	s_branch .LBB54_804
.LBB54_819:
	s_mov_b64 s[40:41], -1
                                        ; implicit-def: $vgpr5
	s_branch .LBB54_824
.LBB54_820:
	s_mov_b64 s[40:41], -1
                                        ; implicit-def: $vgpr5
.LBB54_821:
	s_and_b64 vcc, exec, s[40:41]
	s_cbranch_vccz .LBB54_823
; %bb.822:
	global_load_ubyte v2, v[0:1], off
	s_mov_b32 s40, 0x7f800000
	s_waitcnt vmcnt(0)
	v_lshlrev_b32_e32 v2, 24, v2
	v_and_b32_e32 v3, 0x7f000000, v2
	v_ffbh_u32_e32 v5, v3
	v_min_u32_e32 v5, 32, v5
	v_sub_u32_e64 v5, v5, 4 clamp
	v_lshlrev_b32_e32 v7, v5, v3
	v_lshlrev_b32_e32 v5, 23, v5
	v_lshrrev_b32_e32 v7, 4, v7
	v_add_u32_e32 v6, 0x1000000, v3
	v_sub_u32_e32 v5, v7, v5
	v_ashrrev_i32_e32 v6, 8, v6
	v_add_u32_e32 v5, 0x3c000000, v5
	v_and_or_b32 v5, v6, s40, v5
	v_cmp_ne_u32_e32 vcc, 0, v3
	v_cndmask_b32_e32 v3, 0, v5, vcc
	s_brev_b32 s40, 1
	v_and_or_b32 v2, v2, s40, v3
	v_cvt_i32_f32_e32 v5, v2
.LBB54_823:
	s_mov_b64 s[40:41], 0
.LBB54_824:
	s_andn2_b64 vcc, exec, s[40:41]
	s_cbranch_vccnz .LBB54_826
; %bb.825:
	global_load_ubyte v2, v[0:1], off
	s_movk_i32 s40, 0x7f00
	s_brev_b32 s41, 16
	s_waitcnt vmcnt(0)
	v_lshlrev_b16_e32 v3, 8, v2
	v_lshlrev_b32_e32 v2, 25, v2
	v_lshrrev_b32_e32 v5, 4, v2
	v_and_or_b32 v6, v3, s40, 0.5
	v_or_b32_e32 v5, 0x70000000, v5
	v_add_f32_e32 v6, -0.5, v6
	v_mul_f32_e32 v5, 0x7800000, v5
	v_cmp_gt_u32_e32 vcc, s41, v2
	v_bfe_i32 v3, v3, 0, 16
	v_cndmask_b32_e32 v2, v5, v6, vcc
	s_brev_b32 s40, 1
	v_and_or_b32 v2, v3, s40, v2
	v_cvt_i32_f32_e32 v5, v2
.LBB54_826:
	s_mov_b64 s[40:41], 0
	s_mov_b64 s[42:43], -1
.LBB54_827:
	s_andn2_b64 vcc, exec, s[40:41]
	s_mov_b64 s[40:41], 0
	s_cbranch_vccnz .LBB54_838
; %bb.828:
	s_cmp_gt_i32 s46, 14
	s_cbranch_scc0 .LBB54_831
; %bb.829:
	s_cmp_eq_u32 s46, 15
	s_cbranch_scc0 .LBB54_834
; %bb.830:
	global_load_ushort v2, v[0:1], off
	s_mov_b64 s[38:39], 0
	s_mov_b64 s[42:43], -1
	s_waitcnt vmcnt(0)
	v_lshlrev_b32_e32 v2, 16, v2
	v_cvt_i32_f32_e32 v5, v2
	s_branch .LBB54_835
.LBB54_831:
	s_mov_b64 s[44:45], -1
                                        ; implicit-def: $vgpr5
	s_branch .LBB54_836
.LBB54_832:
	s_andn2_saveexec_b64 s[40:41], s[40:41]
	s_cbranch_execz .LBB54_813
.LBB54_833:
	v_cmp_ne_u16_e32 vcc, 0, v2
	s_andn2_b64 s[42:43], s[42:43], exec
	s_and_b64 s[44:45], vcc, exec
	s_or_b64 s[42:43], s[42:43], s[44:45]
	s_or_b64 exec, exec, s[40:41]
	v_mov_b32_e32 v5, 0
	s_and_saveexec_b64 s[40:41], s[42:43]
	s_cbranch_execnz .LBB54_814
	s_branch .LBB54_815
.LBB54_834:
	s_mov_b64 s[38:39], -1
                                        ; implicit-def: $vgpr5
.LBB54_835:
	s_mov_b64 s[44:45], 0
.LBB54_836:
	s_and_b64 vcc, exec, s[44:45]
	s_cbranch_vccz .LBB54_838
; %bb.837:
	s_cmp_lg_u32 s46, 11
	s_cselect_b64 s[44:45], -1, 0
	s_andn2_b64 s[38:39], s[38:39], exec
	s_and_b64 s[44:45], s[44:45], exec
	s_mov_b64 s[40:41], -1
	s_or_b64 s[38:39], s[38:39], s[44:45]
.LBB54_838:
	s_mov_b64 s[44:45], 0
.LBB54_839:
	s_and_b64 s[46:47], s[44:45], exec
	s_andn2_b64 s[44:45], s[2:3], exec
	s_and_b64 s[38:39], s[38:39], exec
	s_and_b64 s[42:43], s[42:43], exec
	;; [unrolled: 1-line block ×3, first 2 shown]
	s_or_b64 s[44:45], s[44:45], s[38:39]
.LBB54_840:
	s_or_b64 exec, exec, s[34:35]
	s_and_b64 s[34:35], s[40:41], exec
	s_andn2_b64 s[2:3], s[2:3], exec
	s_and_b64 s[40:41], s[44:45], exec
	s_and_b64 s[42:43], s[42:43], exec
	;; [unrolled: 1-line block ×3, first 2 shown]
	s_or_b64 s[2:3], s[2:3], s[40:41]
.LBB54_841:
	s_or_b64 exec, exec, s[30:31]
	s_andn2_b64 s[26:27], s[26:27], exec
	s_and_b64 s[30:31], s[36:37], exec
	s_andn2_b64 s[24:25], s[24:25], exec
	s_and_b64 s[2:3], s[2:3], exec
	s_or_b64 s[26:27], s[26:27], s[30:31]
	s_and_b64 s[36:37], s[42:43], exec
	s_and_b64 s[30:31], s[38:39], exec
	s_and_b64 s[34:35], s[34:35], exec
	s_or_b64 s[24:25], s[24:25], s[2:3]
.LBB54_842:
	s_or_b64 exec, exec, s[28:29]
	s_andn2_b64 s[2:3], s[18:19], exec
	s_and_b64 s[18:19], s[26:27], exec
	s_or_b64 s[18:19], s[2:3], s[18:19]
	s_andn2_b64 s[2:3], s[20:21], exec
	s_and_b64 s[20:21], s[24:25], exec
	s_and_b64 s[28:29], s[36:37], exec
	;; [unrolled: 1-line block ×4, first 2 shown]
	s_or_b64 s[20:21], s[2:3], s[20:21]
	s_or_b64 exec, exec, s[22:23]
	s_mov_b64 s[2:3], 0
	s_and_saveexec_b64 s[22:23], s[20:21]
	s_cbranch_execz .LBB54_258
.LBB54_843:
	s_mov_b64 s[2:3], exec
	s_andn2_b64 s[26:27], s[26:27], exec
	s_trap 2
	s_or_b64 exec, exec, s[22:23]
	s_and_saveexec_b64 s[20:21], s[26:27]
	s_xor_b64 s[20:21], exec, s[20:21]
	s_cbranch_execnz .LBB54_259
.LBB54_844:
	s_or_b64 exec, exec, s[20:21]
	s_and_saveexec_b64 s[20:21], s[30:31]
	s_cbranch_execz .LBB54_890
.LBB54_845:
	s_sext_i32_i16 s22, s33
	s_cmp_lt_i32 s22, 5
	s_cbranch_scc1 .LBB54_850
; %bb.846:
	s_cmp_lt_i32 s22, 8
	s_cbranch_scc1 .LBB54_851
; %bb.847:
	;; [unrolled: 3-line block ×3, first 2 shown]
	s_cmp_gt_i32 s22, 9
	s_cbranch_scc0 .LBB54_853
; %bb.849:
	global_load_dwordx2 v[2:3], v[0:1], off
	s_mov_b64 s[22:23], 0
	s_waitcnt vmcnt(0)
	v_cvt_i32_f64_e32 v5, v[2:3]
	s_branch .LBB54_854
.LBB54_850:
                                        ; implicit-def: $vgpr5
	s_branch .LBB54_871
.LBB54_851:
                                        ; implicit-def: $vgpr5
	s_branch .LBB54_860
.LBB54_852:
	s_mov_b64 s[22:23], -1
                                        ; implicit-def: $vgpr5
	s_branch .LBB54_857
.LBB54_853:
	s_mov_b64 s[22:23], -1
                                        ; implicit-def: $vgpr5
.LBB54_854:
	s_andn2_b64 vcc, exec, s[22:23]
	s_cbranch_vccnz .LBB54_856
; %bb.855:
	global_load_dword v2, v[0:1], off
	s_waitcnt vmcnt(0)
	v_cvt_i32_f32_e32 v5, v2
.LBB54_856:
	s_mov_b64 s[22:23], 0
.LBB54_857:
	s_andn2_b64 vcc, exec, s[22:23]
	s_cbranch_vccnz .LBB54_859
; %bb.858:
	global_load_dword v2, v[0:1], off
	s_waitcnt vmcnt(0)
	v_cvt_f32_f16_e32 v2, v2
	v_cvt_i32_f32_e32 v5, v2
.LBB54_859:
	s_cbranch_execnz .LBB54_870
.LBB54_860:
	s_sext_i32_i16 s22, s33
	s_cmp_lt_i32 s22, 6
	s_cbranch_scc1 .LBB54_863
; %bb.861:
	s_cmp_gt_i32 s22, 6
	s_cbranch_scc0 .LBB54_864
; %bb.862:
	global_load_dwordx2 v[2:3], v[0:1], off
	s_mov_b64 s[22:23], 0
	s_waitcnt vmcnt(0)
	v_cvt_i32_f64_e32 v5, v[2:3]
	s_branch .LBB54_865
.LBB54_863:
	s_mov_b64 s[22:23], -1
                                        ; implicit-def: $vgpr5
	s_branch .LBB54_868
.LBB54_864:
	s_mov_b64 s[22:23], -1
                                        ; implicit-def: $vgpr5
.LBB54_865:
	s_andn2_b64 vcc, exec, s[22:23]
	s_cbranch_vccnz .LBB54_867
; %bb.866:
	global_load_dword v2, v[0:1], off
	s_waitcnt vmcnt(0)
	v_cvt_i32_f32_e32 v5, v2
.LBB54_867:
	s_mov_b64 s[22:23], 0
.LBB54_868:
	s_andn2_b64 vcc, exec, s[22:23]
	s_cbranch_vccnz .LBB54_870
; %bb.869:
	global_load_ushort v2, v[0:1], off
	s_waitcnt vmcnt(0)
	v_cvt_f32_f16_e32 v2, v2
	v_cvt_i32_f32_e32 v5, v2
.LBB54_870:
	s_cbranch_execnz .LBB54_889
.LBB54_871:
	s_sext_i32_i16 s22, s33
	s_cmp_lt_i32 s22, 2
	s_cbranch_scc1 .LBB54_875
; %bb.872:
	s_cmp_lt_i32 s22, 3
	s_cbranch_scc1 .LBB54_876
; %bb.873:
	s_cmp_gt_i32 s22, 3
	s_cbranch_scc0 .LBB54_877
; %bb.874:
	global_load_dword v5, v[0:1], off
	s_mov_b64 s[22:23], 0
	s_branch .LBB54_878
.LBB54_875:
                                        ; implicit-def: $vgpr5
	s_branch .LBB54_884
.LBB54_876:
	s_mov_b64 s[22:23], -1
                                        ; implicit-def: $vgpr5
	s_branch .LBB54_881
.LBB54_877:
	s_mov_b64 s[22:23], -1
                                        ; implicit-def: $vgpr5
.LBB54_878:
	s_andn2_b64 vcc, exec, s[22:23]
	s_cbranch_vccnz .LBB54_880
; %bb.879:
	global_load_dword v5, v[0:1], off
.LBB54_880:
	s_mov_b64 s[22:23], 0
.LBB54_881:
	s_andn2_b64 vcc, exec, s[22:23]
	s_cbranch_vccnz .LBB54_883
; %bb.882:
	global_load_sshort v5, v[0:1], off
.LBB54_883:
	s_cbranch_execnz .LBB54_889
.LBB54_884:
	s_sext_i32_i16 s22, s33
	s_cmp_gt_i32 s22, 0
	s_cbranch_scc0 .LBB54_886
; %bb.885:
	global_load_sbyte v5, v[0:1], off
	s_mov_b64 s[22:23], 0
	s_branch .LBB54_887
.LBB54_886:
	s_mov_b64 s[22:23], -1
                                        ; implicit-def: $vgpr5
.LBB54_887:
	s_andn2_b64 vcc, exec, s[22:23]
	s_cbranch_vccnz .LBB54_889
; %bb.888:
	global_load_ubyte v5, v[0:1], off
.LBB54_889:
	s_or_b64 s[28:29], s[28:29], exec
.LBB54_890:
	s_or_b64 exec, exec, s[20:21]
	s_mov_b64 s[24:25], 0
	s_mov_b64 s[22:23], 0
                                        ; implicit-def: $sgpr30
                                        ; implicit-def: $vgpr2_vgpr3
                                        ; implicit-def: $vgpr0
	s_and_saveexec_b64 s[20:21], s[28:29]
	s_cbranch_execz .LBB54_898
; %bb.891:
	v_mul_lo_u32 v1, v4, s12
	v_mov_b32_e32 v0, s15
	v_mov_b32_e32 v3, s9
	s_and_b32 s30, s17, 0xff
	v_ashrrev_i32_e32 v4, 31, v1
	s_waitcnt vmcnt(0)
	v_add_co_u32_e32 v2, vcc, s8, v1
	v_cndmask_b32_e64 v0, v0, v5, s[0:1]
	s_cmp_lt_i32 s30, 11
	v_addc_co_u32_e32 v3, vcc, v3, v4, vcc
	s_cbranch_scc1 .LBB54_901
; %bb.892:
	s_and_b32 s31, 0xffff, s30
	s_mov_b64 s[24:25], -1
	s_cmp_gt_i32 s31, 25
	s_mov_b64 s[0:1], s[18:19]
	s_cbranch_scc0 .LBB54_929
; %bb.893:
	s_mov_b64 s[22:23], -1
	s_cmp_gt_i32 s31, 28
	s_mov_b64 s[0:1], s[18:19]
	s_cbranch_scc0 .LBB54_913
; %bb.894:
	s_cmp_gt_i32 s31, 43
	s_mov_b64 s[0:1], s[18:19]
	s_cbranch_scc0 .LBB54_909
; %bb.895:
	;; [unrolled: 4-line block ×3, first 2 shown]
	s_cmp_eq_u32 s31, 46
	s_mov_b64 s[0:1], -1
	s_cbranch_scc0 .LBB54_902
; %bb.897:
	v_cvt_f32_i32_e32 v1, v0
	s_movk_i32 s0, 0x7fff
	s_mov_b64 s[22:23], 0
	v_bfe_u32 v4, v1, 16, 1
	v_add3_u32 v1, v1, v4, s0
	v_lshrrev_b32_e32 v1, 16, v1
	global_store_dword v[2:3], v1, off
	s_mov_b64 s[0:1], 0
	s_branch .LBB54_903
.LBB54_898:
	s_or_b64 exec, exec, s[20:21]
	s_and_saveexec_b64 s[0:1], s[18:19]
	s_cbranch_execnz .LBB54_971
.LBB54_899:
	s_or_b64 exec, exec, s[0:1]
	s_and_saveexec_b64 s[0:1], s[24:25]
	s_xor_b64 s[0:1], exec, s[0:1]
	s_cbranch_execz .LBB54_972
.LBB54_900:
	v_cmp_ne_u32_e32 vcc, 0, v0
	v_cndmask_b32_e64 v1, 0, 1, vcc
	s_waitcnt vmcnt(0)
	global_store_byte v[2:3], v1, off
	s_or_b64 exec, exec, s[0:1]
	s_and_saveexec_b64 s[0:1], s[22:23]
	s_xor_b64 s[0:1], exec, s[0:1]
	s_cbranch_execz .LBB54_1010
	s_branch .LBB54_973
.LBB54_901:
	s_mov_b64 s[22:23], -1
	s_mov_b64 s[0:1], s[18:19]
	s_branch .LBB54_970
.LBB54_902:
	s_mov_b64 s[22:23], 0
.LBB54_903:
	s_and_b64 vcc, exec, s[22:23]
	s_cbranch_vccz .LBB54_908
; %bb.904:
	s_cmp_eq_u32 s31, 44
	s_mov_b64 s[0:1], -1
	s_cbranch_scc0 .LBB54_908
; %bb.905:
	v_cvt_f32_i32_e32 v1, v0
	s_movk_i32 s0, 0xff
	v_mov_b32_e32 v5, 0xff
	v_bfe_u32 v4, v1, 23, 8
	v_cmp_ne_u32_e32 vcc, s0, v4
	s_and_saveexec_b64 s[22:23], vcc
; %bb.906:
	s_mov_b32 s0, 0x3fffff
	v_lshrrev_b32_e32 v5, 23, v1
	v_and_b32_e32 v6, 0x400000, v1
	v_and_or_b32 v1, v1, s0, v4
	v_cmp_ne_u32_e32 vcc, 0, v6
	v_cmp_ne_u32_e64 s[0:1], 0, v1
	s_and_b64 s[0:1], vcc, s[0:1]
	v_cndmask_b32_e64 v1, 0, 1, s[0:1]
	v_add_u32_e32 v5, v5, v1
; %bb.907:
	s_or_b64 exec, exec, s[22:23]
	s_mov_b64 s[0:1], 0
	global_store_byte v[2:3], v5, off
.LBB54_908:
	s_mov_b64 s[22:23], 0
.LBB54_909:
	s_and_b64 vcc, exec, s[22:23]
	s_cbranch_vccz .LBB54_912
; %bb.910:
	s_cmp_eq_u32 s31, 29
	s_mov_b64 s[0:1], -1
	s_cbranch_scc0 .LBB54_912
; %bb.911:
	v_ashrrev_i32_e32 v1, 31, v0
	global_store_dwordx2 v[2:3], v[0:1], off
	s_mov_b64 s[0:1], 0
.LBB54_912:
	s_mov_b64 s[22:23], 0
.LBB54_913:
	s_and_b64 vcc, exec, s[22:23]
	s_cbranch_vccz .LBB54_928
; %bb.914:
	s_cmp_lt_i32 s31, 27
	s_mov_b64 s[22:23], -1
	s_cbranch_scc1 .LBB54_920
; %bb.915:
	s_cmp_gt_i32 s31, 27
	s_cbranch_scc0 .LBB54_917
; %bb.916:
	s_mov_b64 s[22:23], 0
	global_store_dword v[2:3], v0, off
.LBB54_917:
	s_andn2_b64 vcc, exec, s[22:23]
	s_cbranch_vccnz .LBB54_919
; %bb.918:
	global_store_short v[2:3], v0, off
.LBB54_919:
	s_mov_b64 s[22:23], 0
.LBB54_920:
	s_andn2_b64 vcc, exec, s[22:23]
	s_cbranch_vccnz .LBB54_928
; %bb.921:
	v_cvt_f32_i32_e32 v1, v0
	s_mov_b32 s22, 0x43800000
	v_mov_b32_e32 v5, 0x80
	v_and_b32_e32 v4, 0x7fffffff, v1
	v_cmp_gt_u32_e32 vcc, s22, v4
	s_and_saveexec_b64 s[22:23], vcc
	s_cbranch_execz .LBB54_927
; %bb.922:
	s_mov_b32 s24, 0x3bffffff
	v_cmp_lt_u32_e32 vcc, s24, v4
	s_mov_b64 s[24:25], 0
                                        ; implicit-def: $vgpr4
	s_and_saveexec_b64 s[26:27], vcc
	s_xor_b64 s[26:27], exec, s[26:27]
	s_cbranch_execz .LBB54_1025
; %bb.923:
	v_bfe_u32 v4, v1, 20, 1
	s_mov_b32 s28, 0x487ffff
	v_add3_u32 v4, v1, v4, s28
	s_mov_b64 s[24:25], exec
	v_lshrrev_b32_e32 v4, 20, v4
	s_andn2_saveexec_b64 s[26:27], s[26:27]
	s_cbranch_execnz .LBB54_1026
.LBB54_924:
	s_or_b64 exec, exec, s[26:27]
	v_mov_b32_e32 v5, 0
	s_and_saveexec_b64 s[26:27], s[24:25]
.LBB54_925:
	v_lshrrev_b32_e32 v1, 24, v1
	s_movk_i32 s24, 0x80
	v_and_or_b32 v5, v1, s24, v4
.LBB54_926:
	s_or_b64 exec, exec, s[26:27]
.LBB54_927:
	s_or_b64 exec, exec, s[22:23]
	global_store_byte v[2:3], v5, off
.LBB54_928:
	s_mov_b64 s[24:25], 0
.LBB54_929:
	s_mov_b64 s[22:23], 0
	s_and_b64 vcc, exec, s[24:25]
	s_cbranch_vccz .LBB54_969
; %bb.930:
	s_cmp_gt_i32 s31, 22
	s_mov_b64 s[24:25], -1
	s_cbranch_scc0 .LBB54_962
; %bb.931:
	s_cmp_lt_i32 s31, 24
	s_cbranch_scc1 .LBB54_951
; %bb.932:
	s_cmp_gt_i32 s31, 24
	s_cbranch_scc0 .LBB54_940
; %bb.933:
	v_cvt_f32_i32_e32 v1, v0
	s_mov_b32 s24, 0x47800000
	v_mov_b32_e32 v5, 0x80
	v_and_b32_e32 v4, 0x7fffffff, v1
	v_cmp_gt_u32_e32 vcc, s24, v4
	s_and_saveexec_b64 s[24:25], vcc
	s_cbranch_execz .LBB54_939
; %bb.934:
	s_mov_b32 s26, 0x37ffffff
	v_cmp_lt_u32_e32 vcc, s26, v4
	s_mov_b64 s[26:27], 0
                                        ; implicit-def: $vgpr4
	s_and_saveexec_b64 s[28:29], vcc
	s_xor_b64 s[28:29], exec, s[28:29]
	s_cbranch_execz .LBB54_1146
; %bb.935:
	v_bfe_u32 v4, v1, 21, 1
	s_mov_b32 s34, 0x88fffff
	v_add3_u32 v4, v1, v4, s34
	s_mov_b64 s[26:27], exec
	v_lshrrev_b32_e32 v4, 21, v4
	s_andn2_saveexec_b64 s[28:29], s[28:29]
	s_cbranch_execnz .LBB54_1147
.LBB54_936:
	s_or_b64 exec, exec, s[28:29]
	v_mov_b32_e32 v5, 0
	s_and_saveexec_b64 s[28:29], s[26:27]
.LBB54_937:
	v_lshrrev_b32_e32 v1, 24, v1
	s_movk_i32 s26, 0x80
	v_and_or_b32 v5, v1, s26, v4
.LBB54_938:
	s_or_b64 exec, exec, s[28:29]
.LBB54_939:
	s_or_b64 exec, exec, s[24:25]
	s_mov_b64 s[24:25], 0
	global_store_byte v[2:3], v5, off
.LBB54_940:
	s_and_b64 vcc, exec, s[24:25]
	s_cbranch_vccz .LBB54_950
; %bb.941:
	v_cvt_f32_i32_e32 v1, v0
	s_mov_b32 s24, 0x43f00000
                                        ; implicit-def: $vgpr4
	v_and_b32_e32 v5, 0x7fffffff, v1
	v_cmp_gt_u32_e32 vcc, s24, v5
	s_and_saveexec_b64 s[24:25], vcc
	s_xor_b64 s[24:25], exec, s[24:25]
	s_cbranch_execz .LBB54_947
; %bb.942:
	s_mov_b32 s26, 0x3c7fffff
	v_cmp_lt_u32_e32 vcc, s26, v5
                                        ; implicit-def: $vgpr4
	s_and_saveexec_b64 s[26:27], vcc
	s_xor_b64 s[26:27], exec, s[26:27]
; %bb.943:
	v_bfe_u32 v4, v1, 20, 1
	s_mov_b32 s28, 0x407ffff
	v_add3_u32 v4, v1, v4, s28
	v_lshrrev_b32_e32 v5, 20, v4
	v_and_b32_e32 v4, 0xff00000, v4
	s_mov_b32 s28, 0x7f00000
	v_mov_b32_e32 v6, 0x7e
	v_cmp_ne_u32_e32 vcc, s28, v4
	v_cndmask_b32_e32 v4, v6, v5, vcc
; %bb.944:
	s_andn2_saveexec_b64 s[26:27], s[26:27]
; %bb.945:
	s_mov_b32 s28, 0x46800000
	v_add_f32_e64 v4, |v1|, s28
; %bb.946:
	s_or_b64 exec, exec, s[26:27]
                                        ; implicit-def: $vgpr5
.LBB54_947:
	s_andn2_saveexec_b64 s[24:25], s[24:25]
; %bb.948:
	s_mov_b32 s26, 0x7f800000
	v_mov_b32_e32 v4, 0x7e
	v_mov_b32_e32 v6, 0x7f
	v_cmp_lt_u32_e32 vcc, s26, v5
	v_cndmask_b32_e32 v4, v4, v6, vcc
; %bb.949:
	s_or_b64 exec, exec, s[24:25]
	v_lshrrev_b32_e32 v1, 24, v1
	s_movk_i32 s24, 0x80
	v_and_or_b32 v1, v1, s24, v4
	global_store_byte v[2:3], v1, off
.LBB54_950:
	s_mov_b64 s[24:25], 0
.LBB54_951:
	s_andn2_b64 vcc, exec, s[24:25]
	s_cbranch_vccnz .LBB54_961
; %bb.952:
	v_cvt_f32_i32_e32 v1, v0
	s_mov_b32 s24, 0x47800000
                                        ; implicit-def: $vgpr4
	v_and_b32_e32 v5, 0x7fffffff, v1
	v_cmp_gt_u32_e32 vcc, s24, v5
	s_and_saveexec_b64 s[24:25], vcc
	s_xor_b64 s[24:25], exec, s[24:25]
	s_cbranch_execz .LBB54_958
; %bb.953:
	s_mov_b32 s26, 0x387fffff
	v_cmp_lt_u32_e32 vcc, s26, v5
                                        ; implicit-def: $vgpr4
	s_and_saveexec_b64 s[26:27], vcc
	s_xor_b64 s[26:27], exec, s[26:27]
; %bb.954:
	v_bfe_u32 v4, v1, 21, 1
	s_mov_b32 s28, 0x80fffff
	v_add3_u32 v4, v1, v4, s28
	v_lshrrev_b32_e32 v4, 21, v4
; %bb.955:
	s_andn2_saveexec_b64 s[26:27], s[26:27]
; %bb.956:
	s_mov_b32 s28, 0x43000000
	v_add_f32_e64 v4, |v1|, s28
; %bb.957:
	s_or_b64 exec, exec, s[26:27]
                                        ; implicit-def: $vgpr5
.LBB54_958:
	s_andn2_saveexec_b64 s[24:25], s[24:25]
; %bb.959:
	s_mov_b32 s26, 0x7f800000
	v_mov_b32_e32 v4, 0x7c
	v_mov_b32_e32 v6, 0x7f
	v_cmp_lt_u32_e32 vcc, s26, v5
	v_cndmask_b32_e32 v4, v4, v6, vcc
; %bb.960:
	s_or_b64 exec, exec, s[24:25]
	v_lshrrev_b32_e32 v1, 24, v1
	s_movk_i32 s24, 0x80
	v_and_or_b32 v1, v1, s24, v4
	global_store_byte v[2:3], v1, off
.LBB54_961:
	s_mov_b64 s[24:25], 0
.LBB54_962:
	s_andn2_b64 vcc, exec, s[24:25]
	s_mov_b64 s[24:25], 0
	s_cbranch_vccnz .LBB54_970
; %bb.963:
	s_cmp_gt_i32 s31, 14
	s_mov_b64 s[26:27], -1
	s_cbranch_scc0 .LBB54_967
; %bb.964:
	s_cmp_eq_u32 s31, 15
	s_mov_b64 s[0:1], -1
	s_cbranch_scc0 .LBB54_966
; %bb.965:
	v_cvt_f32_i32_e32 v1, v0
	s_movk_i32 s0, 0x7fff
	v_bfe_u32 v4, v1, 16, 1
	v_add3_u32 v1, v1, v4, s0
	global_store_short_d16_hi v[2:3], v1, off
	s_mov_b64 s[0:1], 0
.LBB54_966:
	s_mov_b64 s[26:27], 0
.LBB54_967:
	s_and_b64 vcc, exec, s[26:27]
	s_cbranch_vccz .LBB54_970
; %bb.968:
	s_cmp_lg_u32 s31, 11
	s_cselect_b64 s[26:27], -1, 0
	s_andn2_b64 s[0:1], s[0:1], exec
	s_and_b64 s[26:27], s[26:27], exec
	s_mov_b64 s[24:25], -1
	s_or_b64 s[0:1], s[0:1], s[26:27]
	s_branch .LBB54_970
.LBB54_969:
	s_mov_b64 s[24:25], 0
.LBB54_970:
	s_andn2_b64 s[18:19], s[18:19], exec
	s_and_b64 s[0:1], s[0:1], exec
	s_and_b64 s[22:23], s[22:23], exec
	;; [unrolled: 1-line block ×3, first 2 shown]
	s_or_b64 s[18:19], s[18:19], s[0:1]
	s_or_b64 exec, exec, s[20:21]
	s_and_saveexec_b64 s[0:1], s[18:19]
	s_cbranch_execz .LBB54_899
.LBB54_971:
	s_or_b64 s[2:3], s[2:3], exec
	s_andn2_b64 s[24:25], s[24:25], exec
	s_trap 2
	s_or_b64 exec, exec, s[0:1]
	s_and_saveexec_b64 s[0:1], s[24:25]
	s_xor_b64 s[0:1], exec, s[0:1]
	s_cbranch_execnz .LBB54_900
.LBB54_972:
	s_or_b64 exec, exec, s[0:1]
	s_and_saveexec_b64 s[0:1], s[22:23]
	s_xor_b64 s[0:1], exec, s[0:1]
	s_cbranch_execz .LBB54_1010
.LBB54_973:
	s_sext_i32_i16 s20, s30
	s_cmp_lt_i32 s20, 5
	s_mov_b64 s[18:19], -1
	s_cbranch_scc1 .LBB54_994
; %bb.974:
	s_cmp_lt_i32 s20, 8
	s_cbranch_scc1 .LBB54_984
; %bb.975:
	s_cmp_lt_i32 s20, 9
	s_cbranch_scc1 .LBB54_981
; %bb.976:
	s_cmp_gt_i32 s20, 9
	s_cbranch_scc0 .LBB54_978
; %bb.977:
	s_waitcnt vmcnt(0)
	v_cvt_f64_i32_e32 v[4:5], v0
	v_mov_b32_e32 v6, 0
	v_mov_b32_e32 v7, v6
	s_mov_b64 s[18:19], 0
	global_store_dwordx4 v[2:3], v[4:7], off
.LBB54_978:
	s_andn2_b64 vcc, exec, s[18:19]
	s_cbranch_vccnz .LBB54_980
; %bb.979:
	v_cvt_f32_i32_e32 v4, v0
	s_waitcnt vmcnt(0)
	v_mov_b32_e32 v5, 0
	global_store_dwordx2 v[2:3], v[4:5], off
.LBB54_980:
	s_mov_b64 s[18:19], 0
.LBB54_981:
	s_andn2_b64 vcc, exec, s[18:19]
	s_cbranch_vccnz .LBB54_983
; %bb.982:
	v_cvt_f32_i32_e32 v1, v0
	v_cvt_f16_f32_e32 v1, v1
	s_waitcnt vmcnt(0)
	global_store_dword v[2:3], v1, off
.LBB54_983:
	s_mov_b64 s[18:19], 0
.LBB54_984:
	s_andn2_b64 vcc, exec, s[18:19]
	s_cbranch_vccnz .LBB54_993
; %bb.985:
	s_sext_i32_i16 s20, s30
	s_cmp_lt_i32 s20, 6
	s_mov_b64 s[18:19], -1
	s_cbranch_scc1 .LBB54_991
; %bb.986:
	s_cmp_gt_i32 s20, 6
	s_cbranch_scc0 .LBB54_988
; %bb.987:
	s_waitcnt vmcnt(0)
	v_cvt_f64_i32_e32 v[4:5], v0
	s_mov_b64 s[18:19], 0
	global_store_dwordx2 v[2:3], v[4:5], off
.LBB54_988:
	s_andn2_b64 vcc, exec, s[18:19]
	s_cbranch_vccnz .LBB54_990
; %bb.989:
	v_cvt_f32_i32_e32 v1, v0
	s_waitcnt vmcnt(0)
	global_store_dword v[2:3], v1, off
.LBB54_990:
	s_mov_b64 s[18:19], 0
.LBB54_991:
	s_andn2_b64 vcc, exec, s[18:19]
	s_cbranch_vccnz .LBB54_993
; %bb.992:
	v_cvt_f32_i32_e32 v1, v0
	v_cvt_f16_f32_e32 v1, v1
	s_waitcnt vmcnt(0)
	global_store_short v[2:3], v1, off
.LBB54_993:
	s_mov_b64 s[18:19], 0
.LBB54_994:
	s_andn2_b64 vcc, exec, s[18:19]
	s_cbranch_vccnz .LBB54_1010
; %bb.995:
	s_sext_i32_i16 s20, s30
	s_cmp_lt_i32 s20, 2
	s_mov_b64 s[18:19], -1
	s_cbranch_scc1 .LBB54_1005
; %bb.996:
	s_cmp_lt_i32 s20, 3
	s_cbranch_scc1 .LBB54_1002
; %bb.997:
	s_cmp_gt_i32 s20, 3
	s_cbranch_scc0 .LBB54_999
; %bb.998:
	v_ashrrev_i32_e32 v1, 31, v0
	s_mov_b64 s[18:19], 0
	s_waitcnt vmcnt(0)
	global_store_dwordx2 v[2:3], v[0:1], off
.LBB54_999:
	s_andn2_b64 vcc, exec, s[18:19]
	s_cbranch_vccnz .LBB54_1001
; %bb.1000:
	s_waitcnt vmcnt(0)
	global_store_dword v[2:3], v0, off
.LBB54_1001:
	s_mov_b64 s[18:19], 0
.LBB54_1002:
	s_andn2_b64 vcc, exec, s[18:19]
	s_cbranch_vccnz .LBB54_1004
; %bb.1003:
	s_waitcnt vmcnt(0)
	global_store_short v[2:3], v0, off
.LBB54_1004:
	s_mov_b64 s[18:19], 0
.LBB54_1005:
	s_andn2_b64 vcc, exec, s[18:19]
	s_cbranch_vccnz .LBB54_1010
; %bb.1006:
	s_sext_i32_i16 s18, s30
	s_cmp_gt_i32 s18, 0
	s_mov_b64 s[18:19], -1
	s_cbranch_scc0 .LBB54_1008
; %bb.1007:
	s_mov_b64 s[18:19], 0
	s_waitcnt vmcnt(0)
	global_store_byte v[2:3], v0, off
.LBB54_1008:
	s_andn2_b64 vcc, exec, s[18:19]
	s_cbranch_vccnz .LBB54_1010
; %bb.1009:
	s_waitcnt vmcnt(0)
	global_store_byte v[2:3], v0, off
.LBB54_1010:
	s_or_b64 exec, exec, s[0:1]
	s_and_b64 s[18:19], s[2:3], exec
                                        ; implicit-def: $vgpr4
.LBB54_1011:
	s_or_saveexec_b64 s[6:7], s[6:7]
	s_mov_b64 s[0:1], 0
                                        ; implicit-def: $sgpr24
                                        ; implicit-def: $vgpr2_vgpr3
                                        ; implicit-def: $vgpr0
	s_xor_b64 exec, exec, s[6:7]
	s_cbranch_execz .LBB54_1943
; %bb.1012:
	v_mul_lo_u32 v3, s13, v4
	v_mov_b32_e32 v1, s11
	s_and_b32 s24, 0xffff, s33
	s_cmp_lt_i32 s24, 11
	s_waitcnt vmcnt(0)
	v_ashrrev_i32_e32 v2, 31, v3
	v_add_co_u32_e32 v0, vcc, s10, v3
	v_addc_co_u32_e32 v1, vcc, v1, v2, vcc
	s_cbranch_scc1 .LBB54_1019
; %bb.1013:
	s_cmp_gt_i32 s24, 25
	s_mov_b64 s[2:3], 0
	s_cbranch_scc0 .LBB54_1021
; %bb.1014:
	s_cmp_gt_i32 s24, 28
	s_cbranch_scc0 .LBB54_1022
; %bb.1015:
	s_cmp_gt_i32 s24, 43
	;; [unrolled: 3-line block ×3, first 2 shown]
	s_cbranch_scc0 .LBB54_1024
; %bb.1017:
	s_cmp_eq_u32 s24, 46
	s_mov_b64 s[20:21], 0
	s_cbranch_scc0 .LBB54_1027
; %bb.1018:
	global_load_dword v2, v[0:1], off
	s_mov_b64 s[4:5], -1
	s_waitcnt vmcnt(0)
	v_lshlrev_b32_e32 v2, 16, v2
	v_cvt_i32_f32_e32 v2, v2
	s_branch .LBB54_1029
.LBB54_1019:
                                        ; implicit-def: $vgpr2
	s_mov_b64 s[20:21], s[18:19]
	s_cbranch_execnz .LBB54_1087
.LBB54_1020:
	s_andn2_b64 vcc, exec, s[4:5]
	s_cbranch_vccz .LBB54_1132
	s_branch .LBB54_1941
.LBB54_1021:
                                        ; implicit-def: $vgpr2
	s_cbranch_execnz .LBB54_1054
	s_branch .LBB54_1083
.LBB54_1022:
                                        ; implicit-def: $vgpr2
	s_cbranch_execz .LBB54_1053
	s_branch .LBB54_1038
.LBB54_1023:
                                        ; implicit-def: $vgpr2
	s_cbranch_execnz .LBB54_1034
	s_branch .LBB54_1037
.LBB54_1024:
	s_mov_b64 s[20:21], -1
	s_branch .LBB54_1028
.LBB54_1025:
	s_andn2_saveexec_b64 s[26:27], s[26:27]
	s_cbranch_execz .LBB54_924
.LBB54_1026:
	s_mov_b32 s28, 0x46000000
	v_add_f32_e64 v4, |v1|, s28
	v_and_b32_e32 v4, 0xff, v4
	v_cmp_ne_u32_e32 vcc, 0, v4
	s_andn2_b64 s[24:25], s[24:25], exec
	s_and_b64 s[28:29], vcc, exec
	s_or_b64 s[24:25], s[24:25], s[28:29]
	s_or_b64 exec, exec, s[26:27]
	v_mov_b32_e32 v5, 0
	s_and_saveexec_b64 s[26:27], s[24:25]
	s_cbranch_execnz .LBB54_925
	s_branch .LBB54_926
.LBB54_1027:
	s_mov_b64 s[0:1], -1
.LBB54_1028:
                                        ; implicit-def: $vgpr2
.LBB54_1029:
	s_and_b64 vcc, exec, s[20:21]
	s_cbranch_vccz .LBB54_1032
; %bb.1030:
	s_cmp_eq_u32 s24, 44
	s_cbranch_scc0 .LBB54_1033
; %bb.1031:
	global_load_ubyte v2, v[0:1], off
	s_mov_b64 s[0:1], 0
	s_mov_b64 s[4:5], -1
	s_waitcnt vmcnt(0)
	v_lshlrev_b32_e32 v5, 23, v2
	v_cvt_i32_f32_e32 v5, v5
	v_cmp_ne_u32_e32 vcc, 0, v2
	v_cndmask_b32_e32 v2, 0, v5, vcc
.LBB54_1032:
	s_branch .LBB54_1037
.LBB54_1033:
	s_mov_b64 s[0:1], -1
                                        ; implicit-def: $vgpr2
	s_branch .LBB54_1037
.LBB54_1034:
	s_cmp_eq_u32 s24, 29
	s_cbranch_scc0 .LBB54_1036
; %bb.1035:
	global_load_dword v2, v[0:1], off
	s_mov_b64 s[0:1], 0
	s_mov_b64 s[4:5], -1
	s_branch .LBB54_1037
.LBB54_1036:
	s_mov_b64 s[0:1], -1
                                        ; implicit-def: $vgpr2
.LBB54_1037:
	s_branch .LBB54_1053
.LBB54_1038:
	s_cmp_lt_i32 s24, 27
	s_cbranch_scc1 .LBB54_1041
; %bb.1039:
	s_cmp_gt_i32 s24, 27
	s_cbranch_scc0 .LBB54_1042
; %bb.1040:
	global_load_dword v2, v[0:1], off
	s_mov_b64 s[4:5], 0
	s_branch .LBB54_1043
.LBB54_1041:
	s_mov_b64 s[4:5], -1
                                        ; implicit-def: $vgpr2
	s_branch .LBB54_1046
.LBB54_1042:
	s_mov_b64 s[4:5], -1
                                        ; implicit-def: $vgpr2
.LBB54_1043:
	s_andn2_b64 vcc, exec, s[4:5]
	s_cbranch_vccnz .LBB54_1045
; %bb.1044:
	global_load_ushort v2, v[0:1], off
.LBB54_1045:
	s_mov_b64 s[4:5], 0
.LBB54_1046:
	s_andn2_b64 vcc, exec, s[4:5]
	s_cbranch_vccnz .LBB54_1052
; %bb.1047:
	global_load_ubyte v5, v[0:1], off
	s_movk_i32 s4, 0x7f
	s_mov_b64 s[20:21], 0
	s_waitcnt vmcnt(0)
	v_cmp_lt_i16_e32 vcc, s4, v5
	s_and_saveexec_b64 s[4:5], vcc
	s_xor_b64 s[4:5], exec, s[4:5]
	s_cbranch_execz .LBB54_1063
; %bb.1048:
	s_movk_i32 s20, 0x80
	v_cmp_ne_u16_e32 vcc, s20, v5
	s_and_b64 s[20:21], vcc, exec
	s_andn2_saveexec_b64 s[4:5], s[4:5]
	s_cbranch_execnz .LBB54_1064
.LBB54_1049:
	s_or_b64 exec, exec, s[4:5]
	v_mov_b32_e32 v2, 0
	s_and_saveexec_b64 s[4:5], s[20:21]
	s_cbranch_execz .LBB54_1051
.LBB54_1050:
	v_lshlrev_b32_e32 v2, 24, v5
	v_and_b32_e32 v5, 0xffff, v5
	v_and_b32_e32 v6, 7, v5
	v_ffbh_u32_e32 v8, v6
	v_min_u32_e32 v8, 32, v8
	v_subrev_u32_e32 v9, 28, v8
	v_bfe_u32 v7, v5, 3, 4
	v_lshlrev_b32_e32 v5, v9, v5
	v_sub_u32_e32 v8, 29, v8
	v_and_b32_e32 v5, 7, v5
	v_cmp_eq_u32_e32 vcc, 0, v7
	v_cndmask_b32_e32 v7, v7, v8, vcc
	v_cndmask_b32_e32 v5, v6, v5, vcc
	v_mov_b32_e32 v6, 0x3b800000
	v_lshlrev_b32_e32 v5, 20, v5
	v_and_b32_e32 v2, 0x80000000, v2
	v_lshl_add_u32 v6, v7, 23, v6
	v_or3_b32 v2, v2, v6, v5
	v_cvt_i32_f32_e32 v2, v2
.LBB54_1051:
	s_or_b64 exec, exec, s[4:5]
.LBB54_1052:
	s_mov_b64 s[4:5], -1
.LBB54_1053:
	s_branch .LBB54_1083
.LBB54_1054:
	s_cmp_gt_i32 s24, 22
	s_cbranch_scc0 .LBB54_1062
; %bb.1055:
	s_cmp_lt_i32 s24, 24
	s_cbranch_scc1 .LBB54_1065
; %bb.1056:
	s_cmp_gt_i32 s24, 24
	s_cbranch_scc0 .LBB54_1066
; %bb.1057:
	global_load_ubyte v5, v[0:1], off
	s_movk_i32 s2, 0x7f
	s_mov_b64 s[4:5], 0
	s_waitcnt vmcnt(0)
	v_cmp_lt_i16_e32 vcc, s2, v5
	s_and_saveexec_b64 s[2:3], vcc
	s_xor_b64 s[2:3], exec, s[2:3]
	s_cbranch_execz .LBB54_1077
; %bb.1058:
	s_movk_i32 s4, 0x80
	v_cmp_ne_u16_e32 vcc, s4, v5
	s_and_b64 s[4:5], vcc, exec
	s_andn2_saveexec_b64 s[2:3], s[2:3]
	s_cbranch_execnz .LBB54_1078
.LBB54_1059:
	s_or_b64 exec, exec, s[2:3]
	v_mov_b32_e32 v2, 0
	s_and_saveexec_b64 s[2:3], s[4:5]
	s_cbranch_execz .LBB54_1061
.LBB54_1060:
	v_lshlrev_b32_e32 v2, 24, v5
	v_and_b32_e32 v5, 0xffff, v5
	v_and_b32_e32 v6, 3, v5
	v_ffbh_u32_e32 v8, v6
	v_min_u32_e32 v8, 32, v8
	v_subrev_u32_e32 v9, 29, v8
	v_bfe_u32 v7, v5, 2, 5
	v_lshlrev_b32_e32 v5, v9, v5
	v_sub_u32_e32 v8, 30, v8
	v_and_b32_e32 v5, 3, v5
	v_cmp_eq_u32_e32 vcc, 0, v7
	v_cndmask_b32_e32 v7, v7, v8, vcc
	v_cndmask_b32_e32 v5, v6, v5, vcc
	v_mov_b32_e32 v6, 0x37800000
	v_lshlrev_b32_e32 v5, 21, v5
	v_and_b32_e32 v2, 0x80000000, v2
	v_lshl_add_u32 v6, v7, 23, v6
	v_or3_b32 v2, v2, v6, v5
	v_cvt_i32_f32_e32 v2, v2
.LBB54_1061:
	s_or_b64 exec, exec, s[2:3]
	s_mov_b64 s[2:3], 0
	s_branch .LBB54_1067
.LBB54_1062:
                                        ; implicit-def: $vgpr2
	s_mov_b64 s[2:3], 0
	s_branch .LBB54_1073
.LBB54_1063:
	s_andn2_saveexec_b64 s[4:5], s[4:5]
	s_cbranch_execz .LBB54_1049
.LBB54_1064:
	v_cmp_ne_u16_e32 vcc, 0, v5
	s_andn2_b64 s[20:21], s[20:21], exec
	s_and_b64 s[22:23], vcc, exec
	s_or_b64 s[20:21], s[20:21], s[22:23]
	s_or_b64 exec, exec, s[4:5]
	v_mov_b32_e32 v2, 0
	s_and_saveexec_b64 s[4:5], s[20:21]
	s_cbranch_execnz .LBB54_1050
	s_branch .LBB54_1051
.LBB54_1065:
	s_mov_b64 s[2:3], -1
                                        ; implicit-def: $vgpr2
	s_branch .LBB54_1070
.LBB54_1066:
	s_mov_b64 s[2:3], -1
                                        ; implicit-def: $vgpr2
.LBB54_1067:
	s_and_b64 vcc, exec, s[2:3]
	s_cbranch_vccz .LBB54_1069
; %bb.1068:
	global_load_ubyte v2, v[0:1], off
	s_mov_b32 s2, 0x7f800000
	s_waitcnt vmcnt(0)
	v_lshlrev_b32_e32 v2, 24, v2
	v_and_b32_e32 v5, 0x7f000000, v2
	v_ffbh_u32_e32 v6, v5
	v_min_u32_e32 v6, 32, v6
	v_sub_u32_e64 v6, v6, 4 clamp
	v_lshlrev_b32_e32 v8, v6, v5
	v_lshlrev_b32_e32 v6, 23, v6
	v_lshrrev_b32_e32 v8, 4, v8
	v_add_u32_e32 v7, 0x1000000, v5
	v_sub_u32_e32 v6, v8, v6
	v_ashrrev_i32_e32 v7, 8, v7
	v_add_u32_e32 v6, 0x3c000000, v6
	v_and_or_b32 v6, v7, s2, v6
	v_cmp_ne_u32_e32 vcc, 0, v5
	v_cndmask_b32_e32 v5, 0, v6, vcc
	s_brev_b32 s2, 1
	v_and_or_b32 v2, v2, s2, v5
	v_cvt_i32_f32_e32 v2, v2
.LBB54_1069:
	s_mov_b64 s[2:3], 0
.LBB54_1070:
	s_andn2_b64 vcc, exec, s[2:3]
	s_cbranch_vccnz .LBB54_1072
; %bb.1071:
	global_load_ubyte v2, v[0:1], off
	s_movk_i32 s2, 0x7f00
	s_brev_b32 s3, 16
	s_waitcnt vmcnt(0)
	v_lshlrev_b16_e32 v5, 8, v2
	v_lshlrev_b32_e32 v2, 25, v2
	v_lshrrev_b32_e32 v6, 4, v2
	v_and_or_b32 v7, v5, s2, 0.5
	v_or_b32_e32 v6, 0x70000000, v6
	v_add_f32_e32 v7, -0.5, v7
	v_mul_f32_e32 v6, 0x7800000, v6
	v_cmp_gt_u32_e32 vcc, s3, v2
	v_bfe_i32 v5, v5, 0, 16
	v_cndmask_b32_e32 v2, v6, v7, vcc
	s_brev_b32 s2, 1
	v_and_or_b32 v2, v5, s2, v2
	v_cvt_i32_f32_e32 v2, v2
.LBB54_1072:
	s_mov_b64 s[4:5], -1
	s_mov_b64 s[2:3], 0
	s_cbranch_execnz .LBB54_1083
.LBB54_1073:
	s_cmp_gt_i32 s24, 14
	s_cbranch_scc0 .LBB54_1076
; %bb.1074:
	s_cmp_eq_u32 s24, 15
	s_cbranch_scc0 .LBB54_1079
; %bb.1075:
	global_load_ushort v2, v[0:1], off
	s_mov_b64 s[0:1], 0
	s_mov_b64 s[4:5], -1
	s_waitcnt vmcnt(0)
	v_lshlrev_b32_e32 v2, 16, v2
	v_cvt_i32_f32_e32 v2, v2
	s_branch .LBB54_1080
.LBB54_1076:
	s_mov_b64 s[20:21], -1
                                        ; implicit-def: $vgpr2
	s_branch .LBB54_1081
.LBB54_1077:
	s_andn2_saveexec_b64 s[2:3], s[2:3]
	s_cbranch_execz .LBB54_1059
.LBB54_1078:
	v_cmp_ne_u16_e32 vcc, 0, v5
	s_andn2_b64 s[4:5], s[4:5], exec
	s_and_b64 s[20:21], vcc, exec
	s_or_b64 s[4:5], s[4:5], s[20:21]
	s_or_b64 exec, exec, s[2:3]
	v_mov_b32_e32 v2, 0
	s_and_saveexec_b64 s[2:3], s[4:5]
	s_cbranch_execnz .LBB54_1060
	s_branch .LBB54_1061
.LBB54_1079:
	s_mov_b64 s[0:1], -1
                                        ; implicit-def: $vgpr2
.LBB54_1080:
	s_mov_b64 s[20:21], 0
.LBB54_1081:
	s_and_b64 vcc, exec, s[20:21]
	s_cbranch_vccz .LBB54_1083
; %bb.1082:
	s_cmp_lg_u32 s24, 11
	s_mov_b64 s[2:3], -1
	s_cselect_b64 s[0:1], -1, 0
.LBB54_1083:
	s_and_b64 vcc, exec, s[0:1]
	s_mov_b64 s[20:21], s[18:19]
	s_cbranch_vccnz .LBB54_1144
; %bb.1084:
	s_andn2_b64 vcc, exec, s[2:3]
	s_cbranch_vccnz .LBB54_1086
.LBB54_1085:
	global_load_ubyte v2, v[0:1], off
	s_mov_b64 s[4:5], -1
	s_waitcnt vmcnt(0)
	v_cmp_ne_u16_e32 vcc, 0, v2
	v_cndmask_b32_e64 v2, 0, 1, vcc
.LBB54_1086:
	s_branch .LBB54_1020
.LBB54_1087:
	s_cmp_lt_i32 s24, 5
	s_cbranch_scc1 .LBB54_1092
; %bb.1088:
	s_cmp_lt_i32 s24, 8
	s_cbranch_scc1 .LBB54_1093
; %bb.1089:
	;; [unrolled: 3-line block ×3, first 2 shown]
	s_cmp_gt_i32 s24, 9
	s_cbranch_scc0 .LBB54_1095
; %bb.1091:
	global_load_dwordx2 v[5:6], v[0:1], off
	s_mov_b64 s[0:1], 0
	s_waitcnt vmcnt(0)
	v_cvt_i32_f64_e32 v2, v[5:6]
	s_branch .LBB54_1096
.LBB54_1092:
                                        ; implicit-def: $vgpr2
	s_branch .LBB54_1113
.LBB54_1093:
                                        ; implicit-def: $vgpr2
	s_branch .LBB54_1102
.LBB54_1094:
	s_mov_b64 s[0:1], -1
                                        ; implicit-def: $vgpr2
	s_branch .LBB54_1099
.LBB54_1095:
	s_mov_b64 s[0:1], -1
                                        ; implicit-def: $vgpr2
.LBB54_1096:
	s_andn2_b64 vcc, exec, s[0:1]
	s_cbranch_vccnz .LBB54_1098
; %bb.1097:
	global_load_dword v2, v[0:1], off
	s_waitcnt vmcnt(0)
	v_cvt_i32_f32_e32 v2, v2
.LBB54_1098:
	s_mov_b64 s[0:1], 0
.LBB54_1099:
	s_andn2_b64 vcc, exec, s[0:1]
	s_cbranch_vccnz .LBB54_1101
; %bb.1100:
	global_load_dword v2, v[0:1], off
	s_waitcnt vmcnt(0)
	v_cvt_f32_f16_e32 v2, v2
	v_cvt_i32_f32_e32 v2, v2
.LBB54_1101:
	s_cbranch_execnz .LBB54_1112
.LBB54_1102:
	s_cmp_lt_i32 s24, 6
	s_cbranch_scc1 .LBB54_1105
; %bb.1103:
	s_cmp_gt_i32 s24, 6
	s_cbranch_scc0 .LBB54_1106
; %bb.1104:
	global_load_dwordx2 v[5:6], v[0:1], off
	s_mov_b64 s[0:1], 0
	s_waitcnt vmcnt(0)
	v_cvt_i32_f64_e32 v2, v[5:6]
	s_branch .LBB54_1107
.LBB54_1105:
	s_mov_b64 s[0:1], -1
                                        ; implicit-def: $vgpr2
	s_branch .LBB54_1110
.LBB54_1106:
	s_mov_b64 s[0:1], -1
                                        ; implicit-def: $vgpr2
.LBB54_1107:
	s_andn2_b64 vcc, exec, s[0:1]
	s_cbranch_vccnz .LBB54_1109
; %bb.1108:
	global_load_dword v2, v[0:1], off
	s_waitcnt vmcnt(0)
	v_cvt_i32_f32_e32 v2, v2
.LBB54_1109:
	s_mov_b64 s[0:1], 0
.LBB54_1110:
	s_andn2_b64 vcc, exec, s[0:1]
	s_cbranch_vccnz .LBB54_1112
; %bb.1111:
	global_load_ushort v2, v[0:1], off
	s_waitcnt vmcnt(0)
	v_cvt_f32_f16_e32 v2, v2
	v_cvt_i32_f32_e32 v2, v2
.LBB54_1112:
	s_cbranch_execnz .LBB54_1131
.LBB54_1113:
	s_cmp_lt_i32 s24, 2
	s_cbranch_scc1 .LBB54_1117
; %bb.1114:
	s_cmp_lt_i32 s24, 3
	s_cbranch_scc1 .LBB54_1118
; %bb.1115:
	s_cmp_gt_i32 s24, 3
	s_cbranch_scc0 .LBB54_1119
; %bb.1116:
	global_load_dword v2, v[0:1], off
	s_mov_b64 s[0:1], 0
	s_branch .LBB54_1120
.LBB54_1117:
                                        ; implicit-def: $vgpr2
	s_branch .LBB54_1126
.LBB54_1118:
	s_mov_b64 s[0:1], -1
                                        ; implicit-def: $vgpr2
	s_branch .LBB54_1123
.LBB54_1119:
	s_mov_b64 s[0:1], -1
                                        ; implicit-def: $vgpr2
.LBB54_1120:
	s_andn2_b64 vcc, exec, s[0:1]
	s_cbranch_vccnz .LBB54_1122
; %bb.1121:
	global_load_dword v2, v[0:1], off
.LBB54_1122:
	s_mov_b64 s[0:1], 0
.LBB54_1123:
	s_andn2_b64 vcc, exec, s[0:1]
	s_cbranch_vccnz .LBB54_1125
; %bb.1124:
	global_load_sshort v2, v[0:1], off
.LBB54_1125:
	s_cbranch_execnz .LBB54_1131
.LBB54_1126:
	s_cmp_gt_i32 s24, 0
	s_cbranch_scc0 .LBB54_1128
; %bb.1127:
	global_load_sbyte v2, v[0:1], off
	s_mov_b64 s[0:1], 0
	s_branch .LBB54_1129
.LBB54_1128:
	s_mov_b64 s[0:1], -1
                                        ; implicit-def: $vgpr2
.LBB54_1129:
	s_andn2_b64 vcc, exec, s[0:1]
	s_cbranch_vccnz .LBB54_1131
; %bb.1130:
	global_load_ubyte v2, v[0:1], off
.LBB54_1131:
.LBB54_1132:
	s_lshl_b32 s13, s13, 7
	v_add_u32_e32 v3, s13, v3
	v_ashrrev_i32_e32 v1, 31, v3
	v_mov_b32_e32 v5, s11
	v_add_co_u32_e32 v0, vcc, s10, v3
	s_cmp_lt_i32 s24, 11
	v_addc_co_u32_e32 v1, vcc, v5, v1, vcc
	s_cbranch_scc1 .LBB54_1139
; %bb.1133:
	s_cmp_gt_i32 s24, 25
	s_mov_b64 s[2:3], 0
	s_cbranch_scc0 .LBB54_1141
; %bb.1134:
	s_cmp_gt_i32 s24, 28
	s_cbranch_scc0 .LBB54_1142
; %bb.1135:
	s_cmp_gt_i32 s24, 43
	;; [unrolled: 3-line block ×3, first 2 shown]
	s_cbranch_scc0 .LBB54_1145
; %bb.1137:
	s_cmp_eq_u32 s24, 46
	s_mov_b64 s[22:23], 0
	s_cbranch_scc0 .LBB54_1148
; %bb.1138:
	global_load_dword v5, v[0:1], off
	s_mov_b64 s[0:1], 0
	s_mov_b64 s[4:5], -1
	s_waitcnt vmcnt(0)
	v_lshlrev_b32_e32 v5, 16, v5
	v_cvt_i32_f32_e32 v7, v5
	s_branch .LBB54_1149
.LBB54_1139:
	s_mov_b64 s[4:5], 0
                                        ; implicit-def: $vgpr7
	s_cbranch_execnz .LBB54_1210
.LBB54_1140:
	s_andn2_b64 vcc, exec, s[4:5]
	s_cbranch_vccnz .LBB54_1941
	s_branch .LBB54_1257
.LBB54_1141:
	s_mov_b64 s[4:5], 0
	s_mov_b64 s[0:1], 0
                                        ; implicit-def: $vgpr7
	s_cbranch_execnz .LBB54_1176
	s_branch .LBB54_1206
.LBB54_1142:
	s_mov_b64 s[22:23], -1
	s_mov_b64 s[4:5], 0
	s_mov_b64 s[0:1], 0
                                        ; implicit-def: $vgpr7
	s_branch .LBB54_1159
.LBB54_1143:
	s_mov_b64 s[22:23], -1
	s_mov_b64 s[4:5], 0
	s_mov_b64 s[0:1], 0
                                        ; implicit-def: $vgpr7
	s_branch .LBB54_1154
.LBB54_1144:
	s_or_b64 s[20:21], s[18:19], exec
	s_trap 2
	s_cbranch_execz .LBB54_1085
	s_branch .LBB54_1086
.LBB54_1145:
	s_mov_b64 s[22:23], -1
	s_mov_b64 s[4:5], 0
	s_mov_b64 s[0:1], 0
                                        ; implicit-def: $vgpr7
	s_branch .LBB54_1149
.LBB54_1146:
	s_andn2_saveexec_b64 s[28:29], s[28:29]
	s_cbranch_execz .LBB54_936
.LBB54_1147:
	s_mov_b32 s34, 0x42800000
	v_add_f32_e64 v4, |v1|, s34
	v_and_b32_e32 v4, 0xff, v4
	v_cmp_ne_u32_e32 vcc, 0, v4
	s_andn2_b64 s[26:27], s[26:27], exec
	s_and_b64 s[34:35], vcc, exec
	s_or_b64 s[26:27], s[26:27], s[34:35]
	s_or_b64 exec, exec, s[28:29]
	v_mov_b32_e32 v5, 0
	s_and_saveexec_b64 s[28:29], s[26:27]
	s_cbranch_execnz .LBB54_937
	s_branch .LBB54_938
.LBB54_1148:
	s_mov_b64 s[0:1], -1
                                        ; implicit-def: $vgpr7
	s_mov_b64 s[4:5], 0
.LBB54_1149:
	s_and_b64 vcc, exec, s[22:23]
	s_cbranch_vccz .LBB54_1153
; %bb.1150:
	s_cmp_eq_u32 s24, 44
	s_cbranch_scc0 .LBB54_1152
; %bb.1151:
	global_load_ubyte v5, v[0:1], off
	s_mov_b64 s[0:1], 0
	s_mov_b64 s[4:5], -1
	s_waitcnt vmcnt(0)
	v_lshlrev_b32_e32 v6, 23, v5
	v_cvt_i32_f32_e32 v6, v6
	v_cmp_ne_u32_e32 vcc, 0, v5
	v_cndmask_b32_e32 v7, 0, v6, vcc
	s_branch .LBB54_1153
.LBB54_1152:
	s_mov_b64 s[0:1], -1
                                        ; implicit-def: $vgpr7
.LBB54_1153:
	s_mov_b64 s[22:23], 0
.LBB54_1154:
	s_and_b64 vcc, exec, s[22:23]
	s_cbranch_vccz .LBB54_1158
; %bb.1155:
	s_cmp_eq_u32 s24, 29
	s_cbranch_scc0 .LBB54_1157
; %bb.1156:
	global_load_dword v7, v[0:1], off
	s_mov_b64 s[0:1], 0
	s_mov_b64 s[4:5], -1
	s_branch .LBB54_1158
.LBB54_1157:
	s_mov_b64 s[0:1], -1
                                        ; implicit-def: $vgpr7
.LBB54_1158:
	s_mov_b64 s[22:23], 0
.LBB54_1159:
	s_and_b64 vcc, exec, s[22:23]
	s_cbranch_vccz .LBB54_1175
; %bb.1160:
	s_cmp_lt_i32 s24, 27
	s_cbranch_scc1 .LBB54_1163
; %bb.1161:
	s_cmp_gt_i32 s24, 27
	s_cbranch_scc0 .LBB54_1164
; %bb.1162:
	global_load_dword v7, v[0:1], off
	s_mov_b64 s[4:5], 0
	s_branch .LBB54_1165
.LBB54_1163:
	s_mov_b64 s[4:5], -1
                                        ; implicit-def: $vgpr7
	s_branch .LBB54_1168
.LBB54_1164:
	s_mov_b64 s[4:5], -1
                                        ; implicit-def: $vgpr7
.LBB54_1165:
	s_andn2_b64 vcc, exec, s[4:5]
	s_cbranch_vccnz .LBB54_1167
; %bb.1166:
	global_load_ushort v7, v[0:1], off
.LBB54_1167:
	s_mov_b64 s[4:5], 0
.LBB54_1168:
	s_andn2_b64 vcc, exec, s[4:5]
	s_cbranch_vccnz .LBB54_1174
; %bb.1169:
	global_load_ubyte v5, v[0:1], off
	s_movk_i32 s4, 0x7f
	s_mov_b64 s[22:23], 0
	s_waitcnt vmcnt(0)
	v_cmp_lt_i16_e32 vcc, s4, v5
	s_and_saveexec_b64 s[4:5], vcc
	s_xor_b64 s[4:5], exec, s[4:5]
	s_cbranch_execz .LBB54_1185
; %bb.1170:
	s_movk_i32 s22, 0x80
	v_cmp_ne_u16_e32 vcc, s22, v5
	s_and_b64 s[22:23], vcc, exec
	s_andn2_saveexec_b64 s[4:5], s[4:5]
	s_cbranch_execnz .LBB54_1186
.LBB54_1171:
	s_or_b64 exec, exec, s[4:5]
	v_mov_b32_e32 v7, 0
	s_and_saveexec_b64 s[4:5], s[22:23]
	s_cbranch_execz .LBB54_1173
.LBB54_1172:
	v_lshlrev_b32_e32 v6, 24, v5
	v_and_b32_e32 v5, 0xffff, v5
	v_and_b32_e32 v7, 7, v5
	v_ffbh_u32_e32 v9, v7
	v_min_u32_e32 v9, 32, v9
	v_subrev_u32_e32 v10, 28, v9
	v_bfe_u32 v8, v5, 3, 4
	v_lshlrev_b32_e32 v5, v10, v5
	v_sub_u32_e32 v9, 29, v9
	v_and_b32_e32 v5, 7, v5
	v_cmp_eq_u32_e32 vcc, 0, v8
	v_cndmask_b32_e32 v8, v8, v9, vcc
	v_cndmask_b32_e32 v5, v7, v5, vcc
	v_mov_b32_e32 v7, 0x3b800000
	v_lshlrev_b32_e32 v5, 20, v5
	v_and_b32_e32 v6, 0x80000000, v6
	v_lshl_add_u32 v7, v8, 23, v7
	v_or3_b32 v5, v6, v7, v5
	v_cvt_i32_f32_e32 v7, v5
.LBB54_1173:
	s_or_b64 exec, exec, s[4:5]
.LBB54_1174:
	s_mov_b64 s[4:5], -1
.LBB54_1175:
	s_branch .LBB54_1206
.LBB54_1176:
	s_cmp_gt_i32 s24, 22
	s_cbranch_scc0 .LBB54_1184
; %bb.1177:
	s_cmp_lt_i32 s24, 24
	s_cbranch_scc1 .LBB54_1187
; %bb.1178:
	s_cmp_gt_i32 s24, 24
	s_cbranch_scc0 .LBB54_1188
; %bb.1179:
	global_load_ubyte v5, v[0:1], off
	s_movk_i32 s2, 0x7f
	s_mov_b64 s[4:5], 0
	s_waitcnt vmcnt(0)
	v_cmp_lt_i16_e32 vcc, s2, v5
	s_and_saveexec_b64 s[2:3], vcc
	s_xor_b64 s[2:3], exec, s[2:3]
	s_cbranch_execz .LBB54_1200
; %bb.1180:
	s_movk_i32 s4, 0x80
	v_cmp_ne_u16_e32 vcc, s4, v5
	s_and_b64 s[4:5], vcc, exec
	s_andn2_saveexec_b64 s[2:3], s[2:3]
	s_cbranch_execnz .LBB54_1201
.LBB54_1181:
	s_or_b64 exec, exec, s[2:3]
	v_mov_b32_e32 v7, 0
	s_and_saveexec_b64 s[2:3], s[4:5]
	s_cbranch_execz .LBB54_1183
.LBB54_1182:
	v_lshlrev_b32_e32 v6, 24, v5
	v_and_b32_e32 v5, 0xffff, v5
	v_and_b32_e32 v7, 3, v5
	v_ffbh_u32_e32 v9, v7
	v_min_u32_e32 v9, 32, v9
	v_subrev_u32_e32 v10, 29, v9
	v_bfe_u32 v8, v5, 2, 5
	v_lshlrev_b32_e32 v5, v10, v5
	v_sub_u32_e32 v9, 30, v9
	v_and_b32_e32 v5, 3, v5
	v_cmp_eq_u32_e32 vcc, 0, v8
	v_cndmask_b32_e32 v8, v8, v9, vcc
	v_cndmask_b32_e32 v5, v7, v5, vcc
	v_mov_b32_e32 v7, 0x37800000
	v_lshlrev_b32_e32 v5, 21, v5
	v_and_b32_e32 v6, 0x80000000, v6
	v_lshl_add_u32 v7, v8, 23, v7
	v_or3_b32 v5, v6, v7, v5
	v_cvt_i32_f32_e32 v7, v5
.LBB54_1183:
	s_or_b64 exec, exec, s[2:3]
	s_mov_b64 s[2:3], 0
	s_branch .LBB54_1189
.LBB54_1184:
	s_mov_b64 s[2:3], -1
                                        ; implicit-def: $vgpr7
	s_branch .LBB54_1195
.LBB54_1185:
	s_andn2_saveexec_b64 s[4:5], s[4:5]
	s_cbranch_execz .LBB54_1171
.LBB54_1186:
	v_cmp_ne_u16_e32 vcc, 0, v5
	s_andn2_b64 s[22:23], s[22:23], exec
	s_and_b64 s[26:27], vcc, exec
	s_or_b64 s[22:23], s[22:23], s[26:27]
	s_or_b64 exec, exec, s[4:5]
	v_mov_b32_e32 v7, 0
	s_and_saveexec_b64 s[4:5], s[22:23]
	s_cbranch_execnz .LBB54_1172
	s_branch .LBB54_1173
.LBB54_1187:
	s_mov_b64 s[2:3], -1
                                        ; implicit-def: $vgpr7
	s_branch .LBB54_1192
.LBB54_1188:
	s_mov_b64 s[2:3], -1
                                        ; implicit-def: $vgpr7
.LBB54_1189:
	s_and_b64 vcc, exec, s[2:3]
	s_cbranch_vccz .LBB54_1191
; %bb.1190:
	global_load_ubyte v5, v[0:1], off
	s_mov_b32 s2, 0x7f800000
	s_waitcnt vmcnt(0)
	v_lshlrev_b32_e32 v5, 24, v5
	v_and_b32_e32 v6, 0x7f000000, v5
	v_ffbh_u32_e32 v7, v6
	v_min_u32_e32 v7, 32, v7
	v_sub_u32_e64 v7, v7, 4 clamp
	v_lshlrev_b32_e32 v9, v7, v6
	v_lshlrev_b32_e32 v7, 23, v7
	v_lshrrev_b32_e32 v9, 4, v9
	v_add_u32_e32 v8, 0x1000000, v6
	v_sub_u32_e32 v7, v9, v7
	v_ashrrev_i32_e32 v8, 8, v8
	v_add_u32_e32 v7, 0x3c000000, v7
	v_and_or_b32 v7, v8, s2, v7
	v_cmp_ne_u32_e32 vcc, 0, v6
	v_cndmask_b32_e32 v6, 0, v7, vcc
	s_brev_b32 s2, 1
	v_and_or_b32 v5, v5, s2, v6
	v_cvt_i32_f32_e32 v7, v5
.LBB54_1191:
	s_mov_b64 s[2:3], 0
.LBB54_1192:
	s_andn2_b64 vcc, exec, s[2:3]
	s_cbranch_vccnz .LBB54_1194
; %bb.1193:
	global_load_ubyte v5, v[0:1], off
	s_movk_i32 s2, 0x7f00
	s_brev_b32 s3, 16
	s_waitcnt vmcnt(0)
	v_lshlrev_b16_e32 v6, 8, v5
	v_lshlrev_b32_e32 v5, 25, v5
	v_lshrrev_b32_e32 v7, 4, v5
	v_and_or_b32 v8, v6, s2, 0.5
	v_or_b32_e32 v7, 0x70000000, v7
	v_add_f32_e32 v8, -0.5, v8
	v_mul_f32_e32 v7, 0x7800000, v7
	v_cmp_gt_u32_e32 vcc, s3, v5
	v_bfe_i32 v6, v6, 0, 16
	v_cndmask_b32_e32 v5, v7, v8, vcc
	s_brev_b32 s2, 1
	v_and_or_b32 v5, v6, s2, v5
	v_cvt_i32_f32_e32 v7, v5
.LBB54_1194:
	s_mov_b64 s[2:3], 0
	s_mov_b64 s[4:5], -1
.LBB54_1195:
	s_andn2_b64 vcc, exec, s[2:3]
	s_mov_b64 s[2:3], 0
	s_cbranch_vccnz .LBB54_1206
; %bb.1196:
	s_cmp_gt_i32 s24, 14
	s_cbranch_scc0 .LBB54_1199
; %bb.1197:
	s_cmp_eq_u32 s24, 15
	s_cbranch_scc0 .LBB54_1202
; %bb.1198:
	global_load_ushort v5, v[0:1], off
	s_mov_b64 s[0:1], 0
	s_mov_b64 s[4:5], -1
	s_waitcnt vmcnt(0)
	v_lshlrev_b32_e32 v5, 16, v5
	v_cvt_i32_f32_e32 v7, v5
	s_branch .LBB54_1203
.LBB54_1199:
	s_mov_b64 s[22:23], -1
                                        ; implicit-def: $vgpr7
	s_branch .LBB54_1204
.LBB54_1200:
	s_andn2_saveexec_b64 s[2:3], s[2:3]
	s_cbranch_execz .LBB54_1181
.LBB54_1201:
	v_cmp_ne_u16_e32 vcc, 0, v5
	s_andn2_b64 s[4:5], s[4:5], exec
	s_and_b64 s[22:23], vcc, exec
	s_or_b64 s[4:5], s[4:5], s[22:23]
	s_or_b64 exec, exec, s[2:3]
	v_mov_b32_e32 v7, 0
	s_and_saveexec_b64 s[2:3], s[4:5]
	s_cbranch_execnz .LBB54_1182
	s_branch .LBB54_1183
.LBB54_1202:
	s_mov_b64 s[0:1], -1
                                        ; implicit-def: $vgpr7
.LBB54_1203:
	s_mov_b64 s[22:23], 0
.LBB54_1204:
	s_and_b64 vcc, exec, s[22:23]
	s_cbranch_vccz .LBB54_1206
; %bb.1205:
	s_cmp_lg_u32 s24, 11
	s_mov_b64 s[2:3], -1
	s_cselect_b64 s[0:1], -1, 0
.LBB54_1206:
	s_and_b64 vcc, exec, s[0:1]
	s_cbranch_vccnz .LBB54_1269
; %bb.1207:
	s_andn2_b64 vcc, exec, s[2:3]
	s_cbranch_vccnz .LBB54_1209
.LBB54_1208:
	global_load_ubyte v5, v[0:1], off
	s_mov_b64 s[4:5], -1
	s_waitcnt vmcnt(0)
	v_cmp_ne_u16_e32 vcc, 0, v5
	v_cndmask_b32_e64 v7, 0, 1, vcc
.LBB54_1209:
	s_branch .LBB54_1140
.LBB54_1210:
	s_cmp_lt_i32 s24, 5
	s_cbranch_scc1 .LBB54_1215
; %bb.1211:
	s_cmp_lt_i32 s24, 8
	s_cbranch_scc1 .LBB54_1216
; %bb.1212:
	;; [unrolled: 3-line block ×3, first 2 shown]
	s_cmp_gt_i32 s24, 9
	s_cbranch_scc0 .LBB54_1218
; %bb.1214:
	global_load_dwordx2 v[5:6], v[0:1], off
	s_mov_b64 s[0:1], 0
	s_waitcnt vmcnt(0)
	v_cvt_i32_f64_e32 v7, v[5:6]
	s_branch .LBB54_1219
.LBB54_1215:
                                        ; implicit-def: $vgpr7
	s_branch .LBB54_1237
.LBB54_1216:
	s_mov_b64 s[0:1], -1
                                        ; implicit-def: $vgpr7
	s_branch .LBB54_1225
.LBB54_1217:
	s_mov_b64 s[0:1], -1
                                        ; implicit-def: $vgpr7
	s_branch .LBB54_1222
.LBB54_1218:
	s_mov_b64 s[0:1], -1
                                        ; implicit-def: $vgpr7
.LBB54_1219:
	s_andn2_b64 vcc, exec, s[0:1]
	s_cbranch_vccnz .LBB54_1221
; %bb.1220:
	global_load_dword v5, v[0:1], off
	s_waitcnt vmcnt(0)
	v_cvt_i32_f32_e32 v7, v5
.LBB54_1221:
	s_mov_b64 s[0:1], 0
.LBB54_1222:
	s_andn2_b64 vcc, exec, s[0:1]
	s_cbranch_vccnz .LBB54_1224
; %bb.1223:
	global_load_dword v5, v[0:1], off
	s_waitcnt vmcnt(0)
	v_cvt_f32_f16_e32 v5, v5
	v_cvt_i32_f32_e32 v7, v5
.LBB54_1224:
	s_mov_b64 s[0:1], 0
.LBB54_1225:
	s_andn2_b64 vcc, exec, s[0:1]
	s_cbranch_vccnz .LBB54_1236
; %bb.1226:
	s_cmp_lt_i32 s24, 6
	s_cbranch_scc1 .LBB54_1229
; %bb.1227:
	s_cmp_gt_i32 s24, 6
	s_cbranch_scc0 .LBB54_1230
; %bb.1228:
	global_load_dwordx2 v[5:6], v[0:1], off
	s_mov_b64 s[0:1], 0
	s_waitcnt vmcnt(0)
	v_cvt_i32_f64_e32 v7, v[5:6]
	s_branch .LBB54_1231
.LBB54_1229:
	s_mov_b64 s[0:1], -1
                                        ; implicit-def: $vgpr7
	s_branch .LBB54_1234
.LBB54_1230:
	s_mov_b64 s[0:1], -1
                                        ; implicit-def: $vgpr7
.LBB54_1231:
	s_andn2_b64 vcc, exec, s[0:1]
	s_cbranch_vccnz .LBB54_1233
; %bb.1232:
	global_load_dword v5, v[0:1], off
	s_waitcnt vmcnt(0)
	v_cvt_i32_f32_e32 v7, v5
.LBB54_1233:
	s_mov_b64 s[0:1], 0
.LBB54_1234:
	s_andn2_b64 vcc, exec, s[0:1]
	s_cbranch_vccnz .LBB54_1236
; %bb.1235:
	global_load_ushort v5, v[0:1], off
	s_waitcnt vmcnt(0)
	v_cvt_f32_f16_e32 v5, v5
	v_cvt_i32_f32_e32 v7, v5
.LBB54_1236:
	s_cbranch_execnz .LBB54_1256
.LBB54_1237:
	s_cmp_lt_i32 s24, 2
	s_cbranch_scc1 .LBB54_1241
; %bb.1238:
	s_cmp_lt_i32 s24, 3
	s_cbranch_scc1 .LBB54_1242
; %bb.1239:
	s_cmp_gt_i32 s24, 3
	s_cbranch_scc0 .LBB54_1243
; %bb.1240:
	global_load_dword v7, v[0:1], off
	s_mov_b64 s[0:1], 0
	s_branch .LBB54_1244
.LBB54_1241:
	s_mov_b64 s[0:1], -1
                                        ; implicit-def: $vgpr7
	s_branch .LBB54_1250
.LBB54_1242:
	s_mov_b64 s[0:1], -1
                                        ; implicit-def: $vgpr7
	s_branch .LBB54_1247
.LBB54_1243:
	s_mov_b64 s[0:1], -1
                                        ; implicit-def: $vgpr7
.LBB54_1244:
	s_andn2_b64 vcc, exec, s[0:1]
	s_cbranch_vccnz .LBB54_1246
; %bb.1245:
	global_load_dword v7, v[0:1], off
.LBB54_1246:
	s_mov_b64 s[0:1], 0
.LBB54_1247:
	s_andn2_b64 vcc, exec, s[0:1]
	s_cbranch_vccnz .LBB54_1249
; %bb.1248:
	global_load_sshort v7, v[0:1], off
.LBB54_1249:
	s_mov_b64 s[0:1], 0
.LBB54_1250:
	s_andn2_b64 vcc, exec, s[0:1]
	s_cbranch_vccnz .LBB54_1256
; %bb.1251:
	s_cmp_gt_i32 s24, 0
	s_cbranch_scc0 .LBB54_1253
; %bb.1252:
	global_load_sbyte v7, v[0:1], off
	s_mov_b64 s[0:1], 0
	s_branch .LBB54_1254
.LBB54_1253:
	s_mov_b64 s[0:1], -1
                                        ; implicit-def: $vgpr7
.LBB54_1254:
	s_andn2_b64 vcc, exec, s[0:1]
	s_cbranch_vccnz .LBB54_1256
; %bb.1255:
	global_load_ubyte v7, v[0:1], off
.LBB54_1256:
.LBB54_1257:
	v_add_u32_e32 v3, s13, v3
	v_ashrrev_i32_e32 v1, 31, v3
	v_mov_b32_e32 v5, s11
	v_add_co_u32_e32 v0, vcc, s10, v3
	s_cmp_lt_i32 s24, 11
	v_addc_co_u32_e32 v1, vcc, v5, v1, vcc
	s_cbranch_scc1 .LBB54_1264
; %bb.1258:
	s_cmp_gt_i32 s24, 25
	s_mov_b64 s[2:3], 0
	s_cbranch_scc0 .LBB54_1266
; %bb.1259:
	s_cmp_gt_i32 s24, 28
	s_cbranch_scc0 .LBB54_1267
; %bb.1260:
	s_cmp_gt_i32 s24, 43
	;; [unrolled: 3-line block ×3, first 2 shown]
	s_cbranch_scc0 .LBB54_1270
; %bb.1262:
	s_cmp_eq_u32 s24, 46
	s_mov_b64 s[22:23], 0
	s_cbranch_scc0 .LBB54_1271
; %bb.1263:
	global_load_dword v5, v[0:1], off
	s_mov_b64 s[0:1], 0
	s_mov_b64 s[4:5], -1
	s_waitcnt vmcnt(0)
	v_lshlrev_b32_e32 v5, 16, v5
	v_cvt_i32_f32_e32 v6, v5
	s_branch .LBB54_1272
.LBB54_1264:
	s_mov_b64 s[4:5], 0
                                        ; implicit-def: $vgpr6
	s_cbranch_execnz .LBB54_1334
.LBB54_1265:
	s_andn2_b64 vcc, exec, s[4:5]
	s_cbranch_vccnz .LBB54_1941
	s_branch .LBB54_1382
.LBB54_1266:
	s_mov_b64 s[22:23], -1
	s_mov_b64 s[4:5], 0
	s_mov_b64 s[0:1], 0
                                        ; implicit-def: $vgpr6
	s_branch .LBB54_1299
.LBB54_1267:
	s_mov_b64 s[22:23], -1
	s_mov_b64 s[4:5], 0
	s_mov_b64 s[0:1], 0
                                        ; implicit-def: $vgpr6
	s_branch .LBB54_1282
.LBB54_1268:
	s_mov_b64 s[22:23], -1
	s_mov_b64 s[4:5], 0
	s_mov_b64 s[0:1], 0
                                        ; implicit-def: $vgpr6
	s_branch .LBB54_1277
.LBB54_1269:
	s_trap 2
	s_or_b64 s[20:21], s[20:21], exec
	s_cbranch_execz .LBB54_1208
	s_branch .LBB54_1209
.LBB54_1270:
	s_mov_b64 s[22:23], -1
	s_mov_b64 s[4:5], 0
	s_mov_b64 s[0:1], 0
                                        ; implicit-def: $vgpr6
	s_branch .LBB54_1272
.LBB54_1271:
	s_mov_b64 s[0:1], -1
                                        ; implicit-def: $vgpr6
	s_mov_b64 s[4:5], 0
.LBB54_1272:
	s_and_b64 vcc, exec, s[22:23]
	s_cbranch_vccz .LBB54_1276
; %bb.1273:
	s_cmp_eq_u32 s24, 44
	s_cbranch_scc0 .LBB54_1275
; %bb.1274:
	global_load_ubyte v5, v[0:1], off
	s_mov_b64 s[0:1], 0
	s_mov_b64 s[4:5], -1
	s_waitcnt vmcnt(0)
	v_lshlrev_b32_e32 v6, 23, v5
	v_cvt_i32_f32_e32 v6, v6
	v_cmp_ne_u32_e32 vcc, 0, v5
	v_cndmask_b32_e32 v6, 0, v6, vcc
	s_branch .LBB54_1276
.LBB54_1275:
	s_mov_b64 s[0:1], -1
                                        ; implicit-def: $vgpr6
.LBB54_1276:
	s_mov_b64 s[22:23], 0
.LBB54_1277:
	s_and_b64 vcc, exec, s[22:23]
	s_cbranch_vccz .LBB54_1281
; %bb.1278:
	s_cmp_eq_u32 s24, 29
	s_cbranch_scc0 .LBB54_1280
; %bb.1279:
	global_load_dword v6, v[0:1], off
	s_mov_b64 s[0:1], 0
	s_mov_b64 s[4:5], -1
	s_branch .LBB54_1281
.LBB54_1280:
	s_mov_b64 s[0:1], -1
                                        ; implicit-def: $vgpr6
.LBB54_1281:
	s_mov_b64 s[22:23], 0
.LBB54_1282:
	s_and_b64 vcc, exec, s[22:23]
	s_cbranch_vccz .LBB54_1298
; %bb.1283:
	s_cmp_lt_i32 s24, 27
	s_cbranch_scc1 .LBB54_1286
; %bb.1284:
	s_cmp_gt_i32 s24, 27
	s_cbranch_scc0 .LBB54_1287
; %bb.1285:
	global_load_dword v6, v[0:1], off
	s_mov_b64 s[4:5], 0
	s_branch .LBB54_1288
.LBB54_1286:
	s_mov_b64 s[4:5], -1
                                        ; implicit-def: $vgpr6
	s_branch .LBB54_1291
.LBB54_1287:
	s_mov_b64 s[4:5], -1
                                        ; implicit-def: $vgpr6
.LBB54_1288:
	s_andn2_b64 vcc, exec, s[4:5]
	s_cbranch_vccnz .LBB54_1290
; %bb.1289:
	global_load_ushort v6, v[0:1], off
.LBB54_1290:
	s_mov_b64 s[4:5], 0
.LBB54_1291:
	s_andn2_b64 vcc, exec, s[4:5]
	s_cbranch_vccnz .LBB54_1297
; %bb.1292:
	global_load_ubyte v5, v[0:1], off
	s_movk_i32 s4, 0x7f
	s_mov_b64 s[22:23], 0
	s_waitcnt vmcnt(0)
	v_cmp_lt_i16_e32 vcc, s4, v5
	s_and_saveexec_b64 s[4:5], vcc
	s_xor_b64 s[4:5], exec, s[4:5]
	s_cbranch_execz .LBB54_1309
; %bb.1293:
	s_movk_i32 s22, 0x80
	v_cmp_ne_u16_e32 vcc, s22, v5
	s_and_b64 s[22:23], vcc, exec
	s_andn2_saveexec_b64 s[4:5], s[4:5]
	s_cbranch_execnz .LBB54_1310
.LBB54_1294:
	s_or_b64 exec, exec, s[4:5]
	v_mov_b32_e32 v6, 0
	s_and_saveexec_b64 s[4:5], s[22:23]
	s_cbranch_execz .LBB54_1296
.LBB54_1295:
	v_lshlrev_b32_e32 v6, 24, v5
	v_and_b32_e32 v5, 0xffff, v5
	v_and_b32_e32 v8, 7, v5
	v_ffbh_u32_e32 v10, v8
	v_min_u32_e32 v10, 32, v10
	v_subrev_u32_e32 v11, 28, v10
	v_bfe_u32 v9, v5, 3, 4
	v_lshlrev_b32_e32 v5, v11, v5
	v_sub_u32_e32 v10, 29, v10
	v_and_b32_e32 v5, 7, v5
	v_cmp_eq_u32_e32 vcc, 0, v9
	v_cndmask_b32_e32 v9, v9, v10, vcc
	v_cndmask_b32_e32 v5, v8, v5, vcc
	v_mov_b32_e32 v8, 0x3b800000
	v_lshlrev_b32_e32 v5, 20, v5
	v_and_b32_e32 v6, 0x80000000, v6
	v_lshl_add_u32 v8, v9, 23, v8
	v_or3_b32 v5, v6, v8, v5
	v_cvt_i32_f32_e32 v6, v5
.LBB54_1296:
	s_or_b64 exec, exec, s[4:5]
.LBB54_1297:
	s_mov_b64 s[4:5], -1
.LBB54_1298:
	s_mov_b64 s[22:23], 0
.LBB54_1299:
	s_and_b64 vcc, exec, s[22:23]
	s_cbranch_vccz .LBB54_1330
; %bb.1300:
	s_cmp_gt_i32 s24, 22
	s_cbranch_scc0 .LBB54_1308
; %bb.1301:
	s_cmp_lt_i32 s24, 24
	s_cbranch_scc1 .LBB54_1311
; %bb.1302:
	s_cmp_gt_i32 s24, 24
	s_cbranch_scc0 .LBB54_1312
; %bb.1303:
	global_load_ubyte v5, v[0:1], off
	s_movk_i32 s2, 0x7f
	s_mov_b64 s[4:5], 0
	s_waitcnt vmcnt(0)
	v_cmp_lt_i16_e32 vcc, s2, v5
	s_and_saveexec_b64 s[2:3], vcc
	s_xor_b64 s[2:3], exec, s[2:3]
	s_cbranch_execz .LBB54_1324
; %bb.1304:
	s_movk_i32 s4, 0x80
	v_cmp_ne_u16_e32 vcc, s4, v5
	s_and_b64 s[4:5], vcc, exec
	s_andn2_saveexec_b64 s[2:3], s[2:3]
	s_cbranch_execnz .LBB54_1325
.LBB54_1305:
	s_or_b64 exec, exec, s[2:3]
	v_mov_b32_e32 v6, 0
	s_and_saveexec_b64 s[2:3], s[4:5]
	s_cbranch_execz .LBB54_1307
.LBB54_1306:
	v_lshlrev_b32_e32 v6, 24, v5
	v_and_b32_e32 v5, 0xffff, v5
	v_and_b32_e32 v8, 3, v5
	v_ffbh_u32_e32 v10, v8
	v_min_u32_e32 v10, 32, v10
	v_subrev_u32_e32 v11, 29, v10
	v_bfe_u32 v9, v5, 2, 5
	v_lshlrev_b32_e32 v5, v11, v5
	v_sub_u32_e32 v10, 30, v10
	v_and_b32_e32 v5, 3, v5
	v_cmp_eq_u32_e32 vcc, 0, v9
	v_cndmask_b32_e32 v9, v9, v10, vcc
	v_cndmask_b32_e32 v5, v8, v5, vcc
	v_mov_b32_e32 v8, 0x37800000
	v_lshlrev_b32_e32 v5, 21, v5
	v_and_b32_e32 v6, 0x80000000, v6
	v_lshl_add_u32 v8, v9, 23, v8
	v_or3_b32 v5, v6, v8, v5
	v_cvt_i32_f32_e32 v6, v5
.LBB54_1307:
	s_or_b64 exec, exec, s[2:3]
	s_mov_b64 s[2:3], 0
	s_branch .LBB54_1313
.LBB54_1308:
	s_mov_b64 s[2:3], -1
                                        ; implicit-def: $vgpr6
	s_branch .LBB54_1319
.LBB54_1309:
	s_andn2_saveexec_b64 s[4:5], s[4:5]
	s_cbranch_execz .LBB54_1294
.LBB54_1310:
	v_cmp_ne_u16_e32 vcc, 0, v5
	s_andn2_b64 s[22:23], s[22:23], exec
	s_and_b64 s[26:27], vcc, exec
	s_or_b64 s[22:23], s[22:23], s[26:27]
	s_or_b64 exec, exec, s[4:5]
	v_mov_b32_e32 v6, 0
	s_and_saveexec_b64 s[4:5], s[22:23]
	s_cbranch_execnz .LBB54_1295
	s_branch .LBB54_1296
.LBB54_1311:
	s_mov_b64 s[2:3], -1
                                        ; implicit-def: $vgpr6
	s_branch .LBB54_1316
.LBB54_1312:
	s_mov_b64 s[2:3], -1
                                        ; implicit-def: $vgpr6
.LBB54_1313:
	s_and_b64 vcc, exec, s[2:3]
	s_cbranch_vccz .LBB54_1315
; %bb.1314:
	global_load_ubyte v5, v[0:1], off
	s_mov_b32 s2, 0x7f800000
	s_waitcnt vmcnt(0)
	v_lshlrev_b32_e32 v5, 24, v5
	v_and_b32_e32 v6, 0x7f000000, v5
	v_ffbh_u32_e32 v8, v6
	v_min_u32_e32 v8, 32, v8
	v_sub_u32_e64 v8, v8, 4 clamp
	v_lshlrev_b32_e32 v10, v8, v6
	v_lshlrev_b32_e32 v8, 23, v8
	v_lshrrev_b32_e32 v10, 4, v10
	v_add_u32_e32 v9, 0x1000000, v6
	v_sub_u32_e32 v8, v10, v8
	v_ashrrev_i32_e32 v9, 8, v9
	v_add_u32_e32 v8, 0x3c000000, v8
	v_and_or_b32 v8, v9, s2, v8
	v_cmp_ne_u32_e32 vcc, 0, v6
	v_cndmask_b32_e32 v6, 0, v8, vcc
	s_brev_b32 s2, 1
	v_and_or_b32 v5, v5, s2, v6
	v_cvt_i32_f32_e32 v6, v5
.LBB54_1315:
	s_mov_b64 s[2:3], 0
.LBB54_1316:
	s_andn2_b64 vcc, exec, s[2:3]
	s_cbranch_vccnz .LBB54_1318
; %bb.1317:
	global_load_ubyte v5, v[0:1], off
	s_movk_i32 s2, 0x7f00
	s_brev_b32 s3, 16
	s_waitcnt vmcnt(0)
	v_lshlrev_b16_e32 v6, 8, v5
	v_lshlrev_b32_e32 v5, 25, v5
	v_lshrrev_b32_e32 v8, 4, v5
	v_and_or_b32 v9, v6, s2, 0.5
	v_or_b32_e32 v8, 0x70000000, v8
	v_add_f32_e32 v9, -0.5, v9
	v_mul_f32_e32 v8, 0x7800000, v8
	v_cmp_gt_u32_e32 vcc, s3, v5
	v_bfe_i32 v6, v6, 0, 16
	v_cndmask_b32_e32 v5, v8, v9, vcc
	s_brev_b32 s2, 1
	v_and_or_b32 v5, v6, s2, v5
	v_cvt_i32_f32_e32 v6, v5
.LBB54_1318:
	s_mov_b64 s[2:3], 0
	s_mov_b64 s[4:5], -1
.LBB54_1319:
	s_andn2_b64 vcc, exec, s[2:3]
	s_mov_b64 s[2:3], 0
	s_cbranch_vccnz .LBB54_1330
; %bb.1320:
	s_cmp_gt_i32 s24, 14
	s_cbranch_scc0 .LBB54_1323
; %bb.1321:
	s_cmp_eq_u32 s24, 15
	s_cbranch_scc0 .LBB54_1326
; %bb.1322:
	global_load_ushort v5, v[0:1], off
	s_mov_b64 s[0:1], 0
	s_mov_b64 s[4:5], -1
	s_waitcnt vmcnt(0)
	v_lshlrev_b32_e32 v5, 16, v5
	v_cvt_i32_f32_e32 v6, v5
	s_branch .LBB54_1327
.LBB54_1323:
	s_mov_b64 s[22:23], -1
                                        ; implicit-def: $vgpr6
	s_branch .LBB54_1328
.LBB54_1324:
	s_andn2_saveexec_b64 s[2:3], s[2:3]
	s_cbranch_execz .LBB54_1305
.LBB54_1325:
	v_cmp_ne_u16_e32 vcc, 0, v5
	s_andn2_b64 s[4:5], s[4:5], exec
	s_and_b64 s[22:23], vcc, exec
	s_or_b64 s[4:5], s[4:5], s[22:23]
	s_or_b64 exec, exec, s[2:3]
	v_mov_b32_e32 v6, 0
	s_and_saveexec_b64 s[2:3], s[4:5]
	s_cbranch_execnz .LBB54_1306
	s_branch .LBB54_1307
.LBB54_1326:
	s_mov_b64 s[0:1], -1
                                        ; implicit-def: $vgpr6
.LBB54_1327:
	s_mov_b64 s[22:23], 0
.LBB54_1328:
	s_and_b64 vcc, exec, s[22:23]
	s_cbranch_vccz .LBB54_1330
; %bb.1329:
	s_cmp_lg_u32 s24, 11
	s_mov_b64 s[2:3], -1
	s_cselect_b64 s[0:1], -1, 0
.LBB54_1330:
	s_and_b64 vcc, exec, s[0:1]
	s_cbranch_vccnz .LBB54_1393
; %bb.1331:
	s_andn2_b64 vcc, exec, s[2:3]
	s_cbranch_vccnz .LBB54_1333
.LBB54_1332:
	global_load_ubyte v5, v[0:1], off
	s_mov_b64 s[4:5], -1
	s_waitcnt vmcnt(0)
	v_cmp_ne_u16_e32 vcc, 0, v5
	v_cndmask_b32_e64 v6, 0, 1, vcc
.LBB54_1333:
	s_branch .LBB54_1265
.LBB54_1334:
	s_cmp_lt_i32 s24, 5
	s_cbranch_scc1 .LBB54_1339
; %bb.1335:
	s_cmp_lt_i32 s24, 8
	s_cbranch_scc1 .LBB54_1340
; %bb.1336:
	;; [unrolled: 3-line block ×3, first 2 shown]
	s_cmp_gt_i32 s24, 9
	s_cbranch_scc0 .LBB54_1342
; %bb.1338:
	global_load_dwordx2 v[5:6], v[0:1], off
	s_mov_b64 s[0:1], 0
	s_waitcnt vmcnt(0)
	v_cvt_i32_f64_e32 v6, v[5:6]
	s_branch .LBB54_1343
.LBB54_1339:
	s_mov_b64 s[0:1], -1
                                        ; implicit-def: $vgpr6
	s_branch .LBB54_1361
.LBB54_1340:
	s_mov_b64 s[0:1], -1
                                        ; implicit-def: $vgpr6
	s_branch .LBB54_1349
.LBB54_1341:
	s_mov_b64 s[0:1], -1
                                        ; implicit-def: $vgpr6
	s_branch .LBB54_1346
.LBB54_1342:
	s_mov_b64 s[0:1], -1
                                        ; implicit-def: $vgpr6
.LBB54_1343:
	s_andn2_b64 vcc, exec, s[0:1]
	s_cbranch_vccnz .LBB54_1345
; %bb.1344:
	global_load_dword v5, v[0:1], off
	s_waitcnt vmcnt(0)
	v_cvt_i32_f32_e32 v6, v5
.LBB54_1345:
	s_mov_b64 s[0:1], 0
.LBB54_1346:
	s_andn2_b64 vcc, exec, s[0:1]
	s_cbranch_vccnz .LBB54_1348
; %bb.1347:
	global_load_dword v5, v[0:1], off
	s_waitcnt vmcnt(0)
	v_cvt_f32_f16_e32 v5, v5
	v_cvt_i32_f32_e32 v6, v5
.LBB54_1348:
	s_mov_b64 s[0:1], 0
.LBB54_1349:
	s_andn2_b64 vcc, exec, s[0:1]
	s_cbranch_vccnz .LBB54_1360
; %bb.1350:
	s_cmp_lt_i32 s24, 6
	s_cbranch_scc1 .LBB54_1353
; %bb.1351:
	s_cmp_gt_i32 s24, 6
	s_cbranch_scc0 .LBB54_1354
; %bb.1352:
	global_load_dwordx2 v[5:6], v[0:1], off
	s_mov_b64 s[0:1], 0
	s_waitcnt vmcnt(0)
	v_cvt_i32_f64_e32 v6, v[5:6]
	s_branch .LBB54_1355
.LBB54_1353:
	s_mov_b64 s[0:1], -1
                                        ; implicit-def: $vgpr6
	s_branch .LBB54_1358
.LBB54_1354:
	s_mov_b64 s[0:1], -1
                                        ; implicit-def: $vgpr6
.LBB54_1355:
	s_andn2_b64 vcc, exec, s[0:1]
	s_cbranch_vccnz .LBB54_1357
; %bb.1356:
	global_load_dword v5, v[0:1], off
	s_waitcnt vmcnt(0)
	v_cvt_i32_f32_e32 v6, v5
.LBB54_1357:
	s_mov_b64 s[0:1], 0
.LBB54_1358:
	s_andn2_b64 vcc, exec, s[0:1]
	s_cbranch_vccnz .LBB54_1360
; %bb.1359:
	global_load_ushort v5, v[0:1], off
	s_waitcnt vmcnt(0)
	v_cvt_f32_f16_e32 v5, v5
	v_cvt_i32_f32_e32 v6, v5
.LBB54_1360:
	s_mov_b64 s[0:1], 0
.LBB54_1361:
	s_andn2_b64 vcc, exec, s[0:1]
	s_cbranch_vccnz .LBB54_1381
; %bb.1362:
	s_cmp_lt_i32 s24, 2
	s_cbranch_scc1 .LBB54_1366
; %bb.1363:
	s_cmp_lt_i32 s24, 3
	s_cbranch_scc1 .LBB54_1367
; %bb.1364:
	s_cmp_gt_i32 s24, 3
	s_cbranch_scc0 .LBB54_1368
; %bb.1365:
	global_load_dword v6, v[0:1], off
	s_mov_b64 s[0:1], 0
	s_branch .LBB54_1369
.LBB54_1366:
	s_mov_b64 s[0:1], -1
                                        ; implicit-def: $vgpr6
	s_branch .LBB54_1375
.LBB54_1367:
	s_mov_b64 s[0:1], -1
                                        ; implicit-def: $vgpr6
	s_branch .LBB54_1372
.LBB54_1368:
	s_mov_b64 s[0:1], -1
                                        ; implicit-def: $vgpr6
.LBB54_1369:
	s_andn2_b64 vcc, exec, s[0:1]
	s_cbranch_vccnz .LBB54_1371
; %bb.1370:
	global_load_dword v6, v[0:1], off
.LBB54_1371:
	s_mov_b64 s[0:1], 0
.LBB54_1372:
	s_andn2_b64 vcc, exec, s[0:1]
	s_cbranch_vccnz .LBB54_1374
; %bb.1373:
	global_load_sshort v6, v[0:1], off
.LBB54_1374:
	s_mov_b64 s[0:1], 0
.LBB54_1375:
	s_andn2_b64 vcc, exec, s[0:1]
	s_cbranch_vccnz .LBB54_1381
; %bb.1376:
	s_cmp_gt_i32 s24, 0
	s_cbranch_scc0 .LBB54_1378
; %bb.1377:
	global_load_sbyte v6, v[0:1], off
	s_mov_b64 s[0:1], 0
	s_branch .LBB54_1379
.LBB54_1378:
	s_mov_b64 s[0:1], -1
                                        ; implicit-def: $vgpr6
.LBB54_1379:
	s_andn2_b64 vcc, exec, s[0:1]
	s_cbranch_vccnz .LBB54_1381
; %bb.1380:
	global_load_ubyte v6, v[0:1], off
.LBB54_1381:
.LBB54_1382:
	v_add_u32_e32 v0, s13, v3
	v_ashrrev_i32_e32 v1, 31, v0
	v_mov_b32_e32 v3, s11
	v_add_co_u32_e32 v0, vcc, s10, v0
	s_cmp_lt_i32 s24, 11
	v_addc_co_u32_e32 v1, vcc, v3, v1, vcc
	s_cbranch_scc1 .LBB54_1389
; %bb.1383:
	s_cmp_gt_i32 s24, 25
	s_mov_b64 s[2:3], 0
	s_cbranch_scc0 .LBB54_1390
; %bb.1384:
	s_cmp_gt_i32 s24, 28
	s_cbranch_scc0 .LBB54_1391
; %bb.1385:
	s_cmp_gt_i32 s24, 43
	;; [unrolled: 3-line block ×3, first 2 shown]
	s_cbranch_scc0 .LBB54_1394
; %bb.1387:
	s_cmp_eq_u32 s24, 46
	s_mov_b64 s[10:11], 0
	s_cbranch_scc0 .LBB54_1395
; %bb.1388:
	global_load_dword v3, v[0:1], off
	s_mov_b64 s[0:1], 0
	s_mov_b64 s[4:5], -1
	s_waitcnt vmcnt(0)
	v_lshlrev_b32_e32 v3, 16, v3
	v_cvt_i32_f32_e32 v5, v3
	s_branch .LBB54_1396
.LBB54_1389:
	s_mov_b64 s[0:1], -1
	s_mov_b64 s[4:5], 0
                                        ; implicit-def: $vgpr5
	s_branch .LBB54_1458
.LBB54_1390:
	s_mov_b64 s[10:11], -1
	s_mov_b64 s[4:5], 0
	s_mov_b64 s[0:1], 0
                                        ; implicit-def: $vgpr5
	s_branch .LBB54_1423
.LBB54_1391:
	s_mov_b64 s[10:11], -1
	s_mov_b64 s[4:5], 0
	s_mov_b64 s[0:1], 0
                                        ; implicit-def: $vgpr5
	s_branch .LBB54_1406
.LBB54_1392:
	s_mov_b64 s[10:11], -1
	s_mov_b64 s[4:5], 0
	s_mov_b64 s[0:1], 0
                                        ; implicit-def: $vgpr5
	s_branch .LBB54_1401
.LBB54_1393:
	s_trap 2
	s_or_b64 s[20:21], s[20:21], exec
	s_cbranch_execz .LBB54_1332
	s_branch .LBB54_1333
.LBB54_1394:
	s_mov_b64 s[10:11], -1
	s_mov_b64 s[4:5], 0
	s_mov_b64 s[0:1], 0
                                        ; implicit-def: $vgpr5
	s_branch .LBB54_1396
.LBB54_1395:
	s_mov_b64 s[0:1], -1
                                        ; implicit-def: $vgpr5
	s_mov_b64 s[4:5], 0
.LBB54_1396:
	s_and_b64 vcc, exec, s[10:11]
	s_cbranch_vccz .LBB54_1400
; %bb.1397:
	s_cmp_eq_u32 s24, 44
	s_cbranch_scc0 .LBB54_1399
; %bb.1398:
	global_load_ubyte v3, v[0:1], off
	s_mov_b64 s[0:1], 0
	s_mov_b64 s[4:5], -1
	s_waitcnt vmcnt(0)
	v_lshlrev_b32_e32 v5, 23, v3
	v_cvt_i32_f32_e32 v5, v5
	v_cmp_ne_u32_e32 vcc, 0, v3
	v_cndmask_b32_e32 v5, 0, v5, vcc
	s_branch .LBB54_1400
.LBB54_1399:
	s_mov_b64 s[0:1], -1
                                        ; implicit-def: $vgpr5
.LBB54_1400:
	s_mov_b64 s[10:11], 0
.LBB54_1401:
	s_and_b64 vcc, exec, s[10:11]
	s_cbranch_vccz .LBB54_1405
; %bb.1402:
	s_cmp_eq_u32 s24, 29
	s_cbranch_scc0 .LBB54_1404
; %bb.1403:
	global_load_dword v5, v[0:1], off
	s_mov_b64 s[0:1], 0
	s_mov_b64 s[4:5], -1
	s_branch .LBB54_1405
.LBB54_1404:
	s_mov_b64 s[0:1], -1
                                        ; implicit-def: $vgpr5
.LBB54_1405:
	s_mov_b64 s[10:11], 0
.LBB54_1406:
	s_and_b64 vcc, exec, s[10:11]
	s_cbranch_vccz .LBB54_1422
; %bb.1407:
	s_cmp_lt_i32 s24, 27
	s_cbranch_scc1 .LBB54_1410
; %bb.1408:
	s_cmp_gt_i32 s24, 27
	s_cbranch_scc0 .LBB54_1411
; %bb.1409:
	global_load_dword v5, v[0:1], off
	s_mov_b64 s[4:5], 0
	s_branch .LBB54_1412
.LBB54_1410:
	s_mov_b64 s[4:5], -1
                                        ; implicit-def: $vgpr5
	s_branch .LBB54_1415
.LBB54_1411:
	s_mov_b64 s[4:5], -1
                                        ; implicit-def: $vgpr5
.LBB54_1412:
	s_andn2_b64 vcc, exec, s[4:5]
	s_cbranch_vccnz .LBB54_1414
; %bb.1413:
	global_load_ushort v5, v[0:1], off
.LBB54_1414:
	s_mov_b64 s[4:5], 0
.LBB54_1415:
	s_andn2_b64 vcc, exec, s[4:5]
	s_cbranch_vccnz .LBB54_1421
; %bb.1416:
	global_load_ubyte v3, v[0:1], off
	s_movk_i32 s4, 0x7f
	s_mov_b64 s[10:11], 0
	s_waitcnt vmcnt(0)
	v_cmp_lt_i16_e32 vcc, s4, v3
	s_and_saveexec_b64 s[4:5], vcc
	s_xor_b64 s[4:5], exec, s[4:5]
	s_cbranch_execz .LBB54_1433
; %bb.1417:
	s_movk_i32 s10, 0x80
	v_cmp_ne_u16_e32 vcc, s10, v3
	s_and_b64 s[10:11], vcc, exec
	s_andn2_saveexec_b64 s[4:5], s[4:5]
	s_cbranch_execnz .LBB54_1434
.LBB54_1418:
	s_or_b64 exec, exec, s[4:5]
	v_mov_b32_e32 v5, 0
	s_and_saveexec_b64 s[4:5], s[10:11]
	s_cbranch_execz .LBB54_1420
.LBB54_1419:
	v_lshlrev_b32_e32 v5, 24, v3
	v_and_b32_e32 v3, 0xffff, v3
	v_and_b32_e32 v8, 7, v3
	v_ffbh_u32_e32 v10, v8
	v_min_u32_e32 v10, 32, v10
	v_subrev_u32_e32 v11, 28, v10
	v_bfe_u32 v9, v3, 3, 4
	v_lshlrev_b32_e32 v3, v11, v3
	v_sub_u32_e32 v10, 29, v10
	v_and_b32_e32 v3, 7, v3
	v_cmp_eq_u32_e32 vcc, 0, v9
	v_cndmask_b32_e32 v9, v9, v10, vcc
	v_cndmask_b32_e32 v3, v8, v3, vcc
	v_mov_b32_e32 v8, 0x3b800000
	v_lshlrev_b32_e32 v3, 20, v3
	v_and_b32_e32 v5, 0x80000000, v5
	v_lshl_add_u32 v8, v9, 23, v8
	v_or3_b32 v3, v5, v8, v3
	v_cvt_i32_f32_e32 v5, v3
.LBB54_1420:
	s_or_b64 exec, exec, s[4:5]
.LBB54_1421:
	s_mov_b64 s[4:5], -1
.LBB54_1422:
	s_mov_b64 s[10:11], 0
.LBB54_1423:
	s_and_b64 vcc, exec, s[10:11]
	s_cbranch_vccz .LBB54_1454
; %bb.1424:
	s_cmp_gt_i32 s24, 22
	s_cbranch_scc0 .LBB54_1432
; %bb.1425:
	s_cmp_lt_i32 s24, 24
	s_cbranch_scc1 .LBB54_1435
; %bb.1426:
	s_cmp_gt_i32 s24, 24
	s_cbranch_scc0 .LBB54_1436
; %bb.1427:
	global_load_ubyte v3, v[0:1], off
	s_movk_i32 s2, 0x7f
	s_mov_b64 s[4:5], 0
	s_waitcnt vmcnt(0)
	v_cmp_lt_i16_e32 vcc, s2, v3
	s_and_saveexec_b64 s[2:3], vcc
	s_xor_b64 s[2:3], exec, s[2:3]
	s_cbranch_execz .LBB54_1448
; %bb.1428:
	s_movk_i32 s4, 0x80
	v_cmp_ne_u16_e32 vcc, s4, v3
	s_and_b64 s[4:5], vcc, exec
	s_andn2_saveexec_b64 s[2:3], s[2:3]
	s_cbranch_execnz .LBB54_1449
.LBB54_1429:
	s_or_b64 exec, exec, s[2:3]
	v_mov_b32_e32 v5, 0
	s_and_saveexec_b64 s[2:3], s[4:5]
	s_cbranch_execz .LBB54_1431
.LBB54_1430:
	v_lshlrev_b32_e32 v5, 24, v3
	v_and_b32_e32 v3, 0xffff, v3
	v_and_b32_e32 v8, 3, v3
	v_ffbh_u32_e32 v10, v8
	v_min_u32_e32 v10, 32, v10
	v_subrev_u32_e32 v11, 29, v10
	v_bfe_u32 v9, v3, 2, 5
	v_lshlrev_b32_e32 v3, v11, v3
	v_sub_u32_e32 v10, 30, v10
	v_and_b32_e32 v3, 3, v3
	v_cmp_eq_u32_e32 vcc, 0, v9
	v_cndmask_b32_e32 v9, v9, v10, vcc
	v_cndmask_b32_e32 v3, v8, v3, vcc
	v_mov_b32_e32 v8, 0x37800000
	v_lshlrev_b32_e32 v3, 21, v3
	v_and_b32_e32 v5, 0x80000000, v5
	v_lshl_add_u32 v8, v9, 23, v8
	v_or3_b32 v3, v5, v8, v3
	v_cvt_i32_f32_e32 v5, v3
.LBB54_1431:
	s_or_b64 exec, exec, s[2:3]
	s_mov_b64 s[2:3], 0
	s_branch .LBB54_1437
.LBB54_1432:
	s_mov_b64 s[2:3], -1
                                        ; implicit-def: $vgpr5
	s_branch .LBB54_1443
.LBB54_1433:
	s_andn2_saveexec_b64 s[4:5], s[4:5]
	s_cbranch_execz .LBB54_1418
.LBB54_1434:
	v_cmp_ne_u16_e32 vcc, 0, v3
	s_andn2_b64 s[10:11], s[10:11], exec
	s_and_b64 s[22:23], vcc, exec
	s_or_b64 s[10:11], s[10:11], s[22:23]
	s_or_b64 exec, exec, s[4:5]
	v_mov_b32_e32 v5, 0
	s_and_saveexec_b64 s[4:5], s[10:11]
	s_cbranch_execnz .LBB54_1419
	s_branch .LBB54_1420
.LBB54_1435:
	s_mov_b64 s[2:3], -1
                                        ; implicit-def: $vgpr5
	s_branch .LBB54_1440
.LBB54_1436:
	s_mov_b64 s[2:3], -1
                                        ; implicit-def: $vgpr5
.LBB54_1437:
	s_and_b64 vcc, exec, s[2:3]
	s_cbranch_vccz .LBB54_1439
; %bb.1438:
	global_load_ubyte v3, v[0:1], off
	s_mov_b32 s2, 0x7f800000
	s_waitcnt vmcnt(0)
	v_lshlrev_b32_e32 v3, 24, v3
	v_and_b32_e32 v5, 0x7f000000, v3
	v_ffbh_u32_e32 v8, v5
	v_min_u32_e32 v8, 32, v8
	v_sub_u32_e64 v8, v8, 4 clamp
	v_lshlrev_b32_e32 v10, v8, v5
	v_lshlrev_b32_e32 v8, 23, v8
	v_lshrrev_b32_e32 v10, 4, v10
	v_add_u32_e32 v9, 0x1000000, v5
	v_sub_u32_e32 v8, v10, v8
	v_ashrrev_i32_e32 v9, 8, v9
	v_add_u32_e32 v8, 0x3c000000, v8
	v_and_or_b32 v8, v9, s2, v8
	v_cmp_ne_u32_e32 vcc, 0, v5
	v_cndmask_b32_e32 v5, 0, v8, vcc
	s_brev_b32 s2, 1
	v_and_or_b32 v3, v3, s2, v5
	v_cvt_i32_f32_e32 v5, v3
.LBB54_1439:
	s_mov_b64 s[2:3], 0
.LBB54_1440:
	s_andn2_b64 vcc, exec, s[2:3]
	s_cbranch_vccnz .LBB54_1442
; %bb.1441:
	global_load_ubyte v3, v[0:1], off
	s_movk_i32 s2, 0x7f00
	s_brev_b32 s3, 16
	s_waitcnt vmcnt(0)
	v_lshlrev_b16_e32 v5, 8, v3
	v_lshlrev_b32_e32 v3, 25, v3
	v_lshrrev_b32_e32 v8, 4, v3
	v_and_or_b32 v9, v5, s2, 0.5
	v_or_b32_e32 v8, 0x70000000, v8
	v_add_f32_e32 v9, -0.5, v9
	v_mul_f32_e32 v8, 0x7800000, v8
	v_cmp_gt_u32_e32 vcc, s3, v3
	v_bfe_i32 v5, v5, 0, 16
	v_cndmask_b32_e32 v3, v8, v9, vcc
	s_brev_b32 s2, 1
	v_and_or_b32 v3, v5, s2, v3
	v_cvt_i32_f32_e32 v5, v3
.LBB54_1442:
	s_mov_b64 s[2:3], 0
	s_mov_b64 s[4:5], -1
.LBB54_1443:
	s_andn2_b64 vcc, exec, s[2:3]
	s_mov_b64 s[2:3], 0
	s_cbranch_vccnz .LBB54_1454
; %bb.1444:
	s_cmp_gt_i32 s24, 14
	s_cbranch_scc0 .LBB54_1447
; %bb.1445:
	s_cmp_eq_u32 s24, 15
	s_cbranch_scc0 .LBB54_1450
; %bb.1446:
	global_load_ushort v3, v[0:1], off
	s_mov_b64 s[0:1], 0
	s_mov_b64 s[4:5], -1
	s_waitcnt vmcnt(0)
	v_lshlrev_b32_e32 v3, 16, v3
	v_cvt_i32_f32_e32 v5, v3
	s_branch .LBB54_1451
.LBB54_1447:
	s_mov_b64 s[10:11], -1
                                        ; implicit-def: $vgpr5
	s_branch .LBB54_1452
.LBB54_1448:
	s_andn2_saveexec_b64 s[2:3], s[2:3]
	s_cbranch_execz .LBB54_1429
.LBB54_1449:
	v_cmp_ne_u16_e32 vcc, 0, v3
	s_andn2_b64 s[4:5], s[4:5], exec
	s_and_b64 s[10:11], vcc, exec
	s_or_b64 s[4:5], s[4:5], s[10:11]
	s_or_b64 exec, exec, s[2:3]
	v_mov_b32_e32 v5, 0
	s_and_saveexec_b64 s[2:3], s[4:5]
	s_cbranch_execnz .LBB54_1430
	s_branch .LBB54_1431
.LBB54_1450:
	s_mov_b64 s[0:1], -1
                                        ; implicit-def: $vgpr5
.LBB54_1451:
	s_mov_b64 s[10:11], 0
.LBB54_1452:
	s_and_b64 vcc, exec, s[10:11]
	s_cbranch_vccz .LBB54_1454
; %bb.1453:
	s_cmp_lg_u32 s24, 11
	s_mov_b64 s[2:3], -1
	s_cselect_b64 s[0:1], -1, 0
.LBB54_1454:
	s_and_b64 vcc, exec, s[0:1]
	s_cbranch_vccnz .LBB54_1987
; %bb.1455:
	s_andn2_b64 vcc, exec, s[2:3]
	s_cbranch_vccnz .LBB54_1457
.LBB54_1456:
	global_load_ubyte v3, v[0:1], off
	s_mov_b64 s[4:5], -1
	s_waitcnt vmcnt(0)
	v_cmp_ne_u16_e32 vcc, 0, v3
	v_cndmask_b32_e64 v5, 0, 1, vcc
.LBB54_1457:
	s_mov_b64 s[0:1], 0
.LBB54_1458:
	s_and_b64 vcc, exec, s[0:1]
	s_cbranch_vccz .LBB54_1507
; %bb.1459:
	s_cmp_lt_i32 s24, 5
	s_cbranch_scc1 .LBB54_1464
; %bb.1460:
	s_cmp_lt_i32 s24, 8
	s_cbranch_scc1 .LBB54_1465
	;; [unrolled: 3-line block ×3, first 2 shown]
; %bb.1462:
	s_cmp_gt_i32 s24, 9
	s_cbranch_scc0 .LBB54_1467
; %bb.1463:
	global_load_dwordx2 v[8:9], v[0:1], off
	s_mov_b64 s[0:1], 0
	s_waitcnt vmcnt(0)
	v_cvt_i32_f64_e32 v5, v[8:9]
	s_branch .LBB54_1468
.LBB54_1464:
	s_mov_b64 s[0:1], -1
                                        ; implicit-def: $vgpr5
	s_branch .LBB54_1486
.LBB54_1465:
	s_mov_b64 s[0:1], -1
                                        ; implicit-def: $vgpr5
	s_branch .LBB54_1474
.LBB54_1466:
	s_mov_b64 s[0:1], -1
                                        ; implicit-def: $vgpr5
	s_branch .LBB54_1471
.LBB54_1467:
	s_mov_b64 s[0:1], -1
                                        ; implicit-def: $vgpr5
.LBB54_1468:
	s_andn2_b64 vcc, exec, s[0:1]
	s_cbranch_vccnz .LBB54_1470
; %bb.1469:
	global_load_dword v3, v[0:1], off
	s_waitcnt vmcnt(0)
	v_cvt_i32_f32_e32 v5, v3
.LBB54_1470:
	s_mov_b64 s[0:1], 0
.LBB54_1471:
	s_andn2_b64 vcc, exec, s[0:1]
	s_cbranch_vccnz .LBB54_1473
; %bb.1472:
	global_load_dword v3, v[0:1], off
	s_waitcnt vmcnt(0)
	v_cvt_f32_f16_e32 v3, v3
	v_cvt_i32_f32_e32 v5, v3
.LBB54_1473:
	s_mov_b64 s[0:1], 0
.LBB54_1474:
	s_andn2_b64 vcc, exec, s[0:1]
	s_cbranch_vccnz .LBB54_1485
; %bb.1475:
	s_cmp_lt_i32 s24, 6
	s_cbranch_scc1 .LBB54_1478
; %bb.1476:
	s_cmp_gt_i32 s24, 6
	s_cbranch_scc0 .LBB54_1479
; %bb.1477:
	global_load_dwordx2 v[8:9], v[0:1], off
	s_mov_b64 s[0:1], 0
	s_waitcnt vmcnt(0)
	v_cvt_i32_f64_e32 v5, v[8:9]
	s_branch .LBB54_1480
.LBB54_1478:
	s_mov_b64 s[0:1], -1
                                        ; implicit-def: $vgpr5
	s_branch .LBB54_1483
.LBB54_1479:
	s_mov_b64 s[0:1], -1
                                        ; implicit-def: $vgpr5
.LBB54_1480:
	s_andn2_b64 vcc, exec, s[0:1]
	s_cbranch_vccnz .LBB54_1482
; %bb.1481:
	global_load_dword v3, v[0:1], off
	s_waitcnt vmcnt(0)
	v_cvt_i32_f32_e32 v5, v3
.LBB54_1482:
	s_mov_b64 s[0:1], 0
.LBB54_1483:
	s_andn2_b64 vcc, exec, s[0:1]
	s_cbranch_vccnz .LBB54_1485
; %bb.1484:
	global_load_ushort v3, v[0:1], off
	s_waitcnt vmcnt(0)
	v_cvt_f32_f16_e32 v3, v3
	v_cvt_i32_f32_e32 v5, v3
.LBB54_1485:
	s_mov_b64 s[0:1], 0
.LBB54_1486:
	s_andn2_b64 vcc, exec, s[0:1]
	s_cbranch_vccnz .LBB54_1506
; %bb.1487:
	s_cmp_lt_i32 s24, 2
	s_cbranch_scc1 .LBB54_1491
; %bb.1488:
	s_cmp_lt_i32 s24, 3
	s_cbranch_scc1 .LBB54_1492
; %bb.1489:
	s_cmp_gt_i32 s24, 3
	s_cbranch_scc0 .LBB54_1493
; %bb.1490:
	global_load_dword v5, v[0:1], off
	s_mov_b64 s[0:1], 0
	s_branch .LBB54_1494
.LBB54_1491:
	s_mov_b64 s[0:1], -1
                                        ; implicit-def: $vgpr5
	s_branch .LBB54_1500
.LBB54_1492:
	s_mov_b64 s[0:1], -1
                                        ; implicit-def: $vgpr5
	s_branch .LBB54_1497
.LBB54_1493:
	s_mov_b64 s[0:1], -1
                                        ; implicit-def: $vgpr5
.LBB54_1494:
	s_andn2_b64 vcc, exec, s[0:1]
	s_cbranch_vccnz .LBB54_1496
; %bb.1495:
	global_load_dword v5, v[0:1], off
.LBB54_1496:
	s_mov_b64 s[0:1], 0
.LBB54_1497:
	s_andn2_b64 vcc, exec, s[0:1]
	s_cbranch_vccnz .LBB54_1499
; %bb.1498:
	global_load_sshort v5, v[0:1], off
.LBB54_1499:
	s_mov_b64 s[0:1], 0
.LBB54_1500:
	s_andn2_b64 vcc, exec, s[0:1]
	s_cbranch_vccnz .LBB54_1506
; %bb.1501:
	s_cmp_gt_i32 s24, 0
	s_cbranch_scc0 .LBB54_1503
; %bb.1502:
	global_load_sbyte v5, v[0:1], off
	s_mov_b64 s[0:1], 0
	s_branch .LBB54_1504
.LBB54_1503:
	s_mov_b64 s[0:1], -1
                                        ; implicit-def: $vgpr5
.LBB54_1504:
	s_andn2_b64 vcc, exec, s[0:1]
	s_cbranch_vccnz .LBB54_1506
; %bb.1505:
	global_load_ubyte v5, v[0:1], off
.LBB54_1506:
	s_mov_b64 s[4:5], -1
.LBB54_1507:
	s_andn2_b64 vcc, exec, s[4:5]
	s_cbranch_vccnz .LBB54_1941
; %bb.1508:
	v_mul_lo_u32 v4, s12, v4
	s_cmp_gt_i32 s16, s14
	v_mov_b32_e32 v0, s15
	s_cselect_b64 s[0:1], -1, 0
	s_waitcnt vmcnt(0)
	v_cndmask_b32_e64 v0, v0, v2, s[0:1]
	v_ashrrev_i32_e32 v1, 31, v4
	v_mov_b32_e32 v3, s9
	s_and_b32 s24, s17, 0xff
	v_add_co_u32_e32 v2, vcc, s8, v4
	s_cmp_lt_i32 s24, 11
	v_addc_co_u32_e32 v3, vcc, v3, v1, vcc
	s_cbranch_scc1 .LBB54_1586
; %bb.1509:
	s_and_b32 s13, 0xffff, s24
	s_mov_b64 s[16:17], -1
	s_mov_b64 s[4:5], 0
	s_cmp_gt_i32 s13, 25
	s_mov_b64 s[10:11], 0
	s_mov_b64 s[2:3], 0
	s_cbranch_scc0 .LBB54_1542
; %bb.1510:
	s_cmp_gt_i32 s13, 28
	s_cbranch_scc0 .LBB54_1525
; %bb.1511:
	s_cmp_gt_i32 s13, 43
	;; [unrolled: 3-line block ×3, first 2 shown]
	s_cbranch_scc0 .LBB54_1515
; %bb.1513:
	s_mov_b64 s[2:3], -1
	s_mov_b64 s[16:17], 0
	s_cmp_eq_u32 s13, 46
	s_cbranch_scc0 .LBB54_1515
; %bb.1514:
	v_cvt_f32_i32_e32 v1, v0
	s_movk_i32 s10, 0x7fff
	s_mov_b64 s[2:3], 0
	v_bfe_u32 v8, v1, 16, 1
	v_add3_u32 v1, v1, v8, s10
	v_lshrrev_b32_e32 v1, 16, v1
	global_store_dword v[2:3], v1, off
	s_mov_b64 s[10:11], -1
.LBB54_1515:
	s_and_b64 vcc, exec, s[16:17]
	s_cbranch_vccz .LBB54_1520
; %bb.1516:
	s_cmp_eq_u32 s13, 44
	s_mov_b64 s[2:3], -1
	s_cbranch_scc0 .LBB54_1520
; %bb.1517:
	v_cvt_f32_i32_e32 v1, v0
	s_movk_i32 s2, 0xff
	v_mov_b32_e32 v9, 0xff
	v_bfe_u32 v8, v1, 23, 8
	v_cmp_ne_u32_e32 vcc, s2, v8
	s_and_saveexec_b64 s[10:11], vcc
; %bb.1518:
	s_mov_b32 s2, 0x3fffff
	v_lshrrev_b32_e32 v9, 23, v1
	v_and_b32_e32 v10, 0x400000, v1
	v_and_or_b32 v1, v1, s2, v8
	v_cmp_ne_u32_e32 vcc, 0, v10
	v_cmp_ne_u32_e64 s[2:3], 0, v1
	s_and_b64 s[2:3], vcc, s[2:3]
	v_cndmask_b32_e64 v1, 0, 1, s[2:3]
	v_add_u32_e32 v9, v9, v1
; %bb.1519:
	s_or_b64 exec, exec, s[10:11]
	s_mov_b64 s[2:3], 0
	s_mov_b64 s[10:11], -1
	global_store_byte v[2:3], v9, off
.LBB54_1520:
	s_mov_b64 s[16:17], 0
.LBB54_1521:
	s_and_b64 vcc, exec, s[16:17]
	s_cbranch_vccz .LBB54_1524
; %bb.1522:
	s_cmp_eq_u32 s13, 29
	s_mov_b64 s[2:3], -1
	s_cbranch_scc0 .LBB54_1524
; %bb.1523:
	v_ashrrev_i32_e32 v1, 31, v0
	global_store_dwordx2 v[2:3], v[0:1], off
	s_mov_b64 s[2:3], 0
	s_mov_b64 s[10:11], -1
.LBB54_1524:
	s_mov_b64 s[16:17], 0
.LBB54_1525:
	s_and_b64 vcc, exec, s[16:17]
	s_cbranch_vccz .LBB54_1541
; %bb.1526:
	s_cmp_lt_i32 s13, 27
	s_mov_b64 s[10:11], -1
	s_cbranch_scc1 .LBB54_1532
; %bb.1527:
	s_cmp_gt_i32 s13, 27
	s_cbranch_scc0 .LBB54_1529
; %bb.1528:
	s_mov_b64 s[10:11], 0
	global_store_dword v[2:3], v0, off
.LBB54_1529:
	s_andn2_b64 vcc, exec, s[10:11]
	s_cbranch_vccnz .LBB54_1531
; %bb.1530:
	global_store_short v[2:3], v0, off
.LBB54_1531:
	s_mov_b64 s[10:11], 0
.LBB54_1532:
	s_andn2_b64 vcc, exec, s[10:11]
	s_cbranch_vccnz .LBB54_1540
; %bb.1533:
	v_cvt_f32_i32_e32 v1, v0
	s_mov_b32 s10, 0x43800000
	v_mov_b32_e32 v9, 0x80
	v_and_b32_e32 v8, 0x7fffffff, v1
	v_cmp_gt_u32_e32 vcc, s10, v8
	s_and_saveexec_b64 s[10:11], vcc
	s_cbranch_execz .LBB54_1539
; %bb.1534:
	s_mov_b32 s14, 0x3bffffff
	v_cmp_lt_u32_e32 vcc, s14, v8
	s_mov_b64 s[16:17], 0
                                        ; implicit-def: $vgpr8
	s_and_saveexec_b64 s[22:23], vcc
	s_xor_b64 s[22:23], exec, s[22:23]
	s_cbranch_execz .LBB54_1988
; %bb.1535:
	v_bfe_u32 v8, v1, 20, 1
	s_mov_b32 s14, 0x487ffff
	v_add3_u32 v8, v1, v8, s14
	s_mov_b64 s[16:17], exec
	v_lshrrev_b32_e32 v8, 20, v8
	s_andn2_saveexec_b64 s[22:23], s[22:23]
	s_cbranch_execnz .LBB54_1989
.LBB54_1536:
	s_or_b64 exec, exec, s[22:23]
	v_mov_b32_e32 v9, 0
	s_and_saveexec_b64 s[22:23], s[16:17]
.LBB54_1537:
	v_lshrrev_b32_e32 v1, 24, v1
	s_movk_i32 s14, 0x80
	v_and_or_b32 v9, v1, s14, v8
.LBB54_1538:
	s_or_b64 exec, exec, s[22:23]
.LBB54_1539:
	s_or_b64 exec, exec, s[10:11]
	global_store_byte v[2:3], v9, off
.LBB54_1540:
	s_mov_b64 s[10:11], -1
.LBB54_1541:
	s_mov_b64 s[16:17], 0
.LBB54_1542:
	s_and_b64 vcc, exec, s[16:17]
	s_cbranch_vccz .LBB54_1582
; %bb.1543:
	s_cmp_gt_i32 s13, 22
	s_mov_b64 s[4:5], -1
	s_cbranch_scc0 .LBB54_1575
; %bb.1544:
	s_cmp_lt_i32 s13, 24
	s_cbranch_scc1 .LBB54_1564
; %bb.1545:
	s_cmp_gt_i32 s13, 24
	s_cbranch_scc0 .LBB54_1553
; %bb.1546:
	v_cvt_f32_i32_e32 v1, v0
	s_mov_b32 s4, 0x47800000
	v_mov_b32_e32 v9, 0x80
	v_and_b32_e32 v8, 0x7fffffff, v1
	v_cmp_gt_u32_e32 vcc, s4, v8
	s_and_saveexec_b64 s[4:5], vcc
	s_cbranch_execz .LBB54_1552
; %bb.1547:
	s_mov_b32 s10, 0x37ffffff
	v_cmp_lt_u32_e32 vcc, s10, v8
	s_mov_b64 s[10:11], 0
                                        ; implicit-def: $vgpr8
	s_and_saveexec_b64 s[16:17], vcc
	s_xor_b64 s[16:17], exec, s[16:17]
	s_cbranch_execz .LBB54_1991
; %bb.1548:
	v_bfe_u32 v8, v1, 21, 1
	s_mov_b32 s14, 0x88fffff
	v_add3_u32 v8, v1, v8, s14
	s_mov_b64 s[10:11], exec
	v_lshrrev_b32_e32 v8, 21, v8
	s_andn2_saveexec_b64 s[16:17], s[16:17]
	s_cbranch_execnz .LBB54_1992
.LBB54_1549:
	s_or_b64 exec, exec, s[16:17]
	v_mov_b32_e32 v9, 0
	s_and_saveexec_b64 s[16:17], s[10:11]
.LBB54_1550:
	v_lshrrev_b32_e32 v1, 24, v1
	s_movk_i32 s10, 0x80
	v_and_or_b32 v9, v1, s10, v8
.LBB54_1551:
	s_or_b64 exec, exec, s[16:17]
.LBB54_1552:
	s_or_b64 exec, exec, s[4:5]
	s_mov_b64 s[4:5], 0
	global_store_byte v[2:3], v9, off
.LBB54_1553:
	s_and_b64 vcc, exec, s[4:5]
	s_cbranch_vccz .LBB54_1563
; %bb.1554:
	v_cvt_f32_i32_e32 v1, v0
	s_mov_b32 s4, 0x43f00000
                                        ; implicit-def: $vgpr8
	v_and_b32_e32 v9, 0x7fffffff, v1
	v_cmp_gt_u32_e32 vcc, s4, v9
	s_and_saveexec_b64 s[4:5], vcc
	s_xor_b64 s[4:5], exec, s[4:5]
	s_cbranch_execz .LBB54_1560
; %bb.1555:
	s_mov_b32 s10, 0x3c7fffff
	v_cmp_lt_u32_e32 vcc, s10, v9
                                        ; implicit-def: $vgpr8
	s_and_saveexec_b64 s[10:11], vcc
	s_xor_b64 s[10:11], exec, s[10:11]
; %bb.1556:
	v_bfe_u32 v8, v1, 20, 1
	s_mov_b32 s14, 0x407ffff
	v_add3_u32 v8, v1, v8, s14
	v_lshrrev_b32_e32 v9, 20, v8
	v_and_b32_e32 v8, 0xff00000, v8
	s_mov_b32 s14, 0x7f00000
	v_mov_b32_e32 v10, 0x7e
	v_cmp_ne_u32_e32 vcc, s14, v8
	v_cndmask_b32_e32 v8, v10, v9, vcc
; %bb.1557:
	s_andn2_saveexec_b64 s[10:11], s[10:11]
; %bb.1558:
	s_mov_b32 s14, 0x46800000
	v_add_f32_e64 v8, |v1|, s14
; %bb.1559:
	s_or_b64 exec, exec, s[10:11]
                                        ; implicit-def: $vgpr9
.LBB54_1560:
	s_andn2_saveexec_b64 s[4:5], s[4:5]
; %bb.1561:
	s_mov_b32 s10, 0x7f800000
	v_mov_b32_e32 v8, 0x7e
	v_mov_b32_e32 v10, 0x7f
	v_cmp_lt_u32_e32 vcc, s10, v9
	v_cndmask_b32_e32 v8, v8, v10, vcc
; %bb.1562:
	s_or_b64 exec, exec, s[4:5]
	v_lshrrev_b32_e32 v1, 24, v1
	s_movk_i32 s4, 0x80
	v_and_or_b32 v1, v1, s4, v8
	global_store_byte v[2:3], v1, off
.LBB54_1563:
	s_mov_b64 s[4:5], 0
.LBB54_1564:
	s_andn2_b64 vcc, exec, s[4:5]
	s_cbranch_vccnz .LBB54_1574
; %bb.1565:
	v_cvt_f32_i32_e32 v1, v0
	s_mov_b32 s4, 0x47800000
                                        ; implicit-def: $vgpr8
	v_and_b32_e32 v9, 0x7fffffff, v1
	v_cmp_gt_u32_e32 vcc, s4, v9
	s_and_saveexec_b64 s[4:5], vcc
	s_xor_b64 s[4:5], exec, s[4:5]
	s_cbranch_execz .LBB54_1571
; %bb.1566:
	s_mov_b32 s10, 0x387fffff
	v_cmp_lt_u32_e32 vcc, s10, v9
                                        ; implicit-def: $vgpr8
	s_and_saveexec_b64 s[10:11], vcc
	s_xor_b64 s[10:11], exec, s[10:11]
; %bb.1567:
	v_bfe_u32 v8, v1, 21, 1
	s_mov_b32 s14, 0x80fffff
	v_add3_u32 v8, v1, v8, s14
	v_lshrrev_b32_e32 v8, 21, v8
; %bb.1568:
	s_andn2_saveexec_b64 s[10:11], s[10:11]
; %bb.1569:
	s_mov_b32 s14, 0x43000000
	v_add_f32_e64 v8, |v1|, s14
; %bb.1570:
	s_or_b64 exec, exec, s[10:11]
                                        ; implicit-def: $vgpr9
.LBB54_1571:
	s_andn2_saveexec_b64 s[4:5], s[4:5]
; %bb.1572:
	s_mov_b32 s10, 0x7f800000
	v_mov_b32_e32 v8, 0x7c
	v_mov_b32_e32 v10, 0x7f
	v_cmp_lt_u32_e32 vcc, s10, v9
	v_cndmask_b32_e32 v8, v8, v10, vcc
; %bb.1573:
	s_or_b64 exec, exec, s[4:5]
	v_lshrrev_b32_e32 v1, 24, v1
	s_movk_i32 s4, 0x80
	v_and_or_b32 v1, v1, s4, v8
	global_store_byte v[2:3], v1, off
.LBB54_1574:
	s_mov_b64 s[4:5], 0
	s_mov_b64 s[10:11], -1
.LBB54_1575:
	s_andn2_b64 vcc, exec, s[4:5]
	s_mov_b64 s[4:5], 0
	s_cbranch_vccnz .LBB54_1582
; %bb.1576:
	s_cmp_gt_i32 s13, 14
	s_mov_b64 s[16:17], -1
	s_cbranch_scc0 .LBB54_1580
; %bb.1577:
	s_cmp_eq_u32 s13, 15
	s_mov_b64 s[2:3], -1
	s_cbranch_scc0 .LBB54_1579
; %bb.1578:
	v_cvt_f32_i32_e32 v1, v0
	s_movk_i32 s4, 0x7fff
	s_mov_b64 s[2:3], 0
	s_mov_b64 s[10:11], -1
	v_bfe_u32 v8, v1, 16, 1
	v_add3_u32 v1, v1, v8, s4
	global_store_short_d16_hi v[2:3], v1, off
.LBB54_1579:
	s_mov_b64 s[16:17], 0
.LBB54_1580:
	s_mov_b64 s[4:5], 0
	s_and_b64 vcc, exec, s[16:17]
	s_cbranch_vccz .LBB54_1582
; %bb.1581:
	s_cmp_lg_u32 s13, 11
	s_mov_b64 s[4:5], -1
	s_cselect_b64 s[2:3], -1, 0
.LBB54_1582:
	s_and_b64 vcc, exec, s[2:3]
	s_cbranch_vccnz .LBB54_1990
; %bb.1583:
	s_andn2_b64 vcc, exec, s[4:5]
	s_cbranch_vccnz .LBB54_1585
.LBB54_1584:
	v_cmp_ne_u32_e32 vcc, 0, v0
	v_cndmask_b32_e64 v1, 0, 1, vcc
	s_mov_b64 s[10:11], -1
	global_store_byte v[2:3], v1, off
.LBB54_1585:
	s_mov_b64 s[2:3], 0
	s_branch .LBB54_1587
.LBB54_1586:
	s_mov_b64 s[2:3], -1
	s_mov_b64 s[10:11], 0
.LBB54_1587:
	s_and_b64 vcc, exec, s[2:3]
	s_cbranch_vccz .LBB54_1626
; %bb.1588:
	s_and_b32 s4, 0xffff, s24
	s_cmp_lt_i32 s4, 5
	s_mov_b64 s[2:3], -1
	s_cbranch_scc1 .LBB54_1609
; %bb.1589:
	s_cmp_lt_i32 s4, 8
	s_cbranch_scc1 .LBB54_1599
; %bb.1590:
	s_cmp_lt_i32 s4, 9
	s_cbranch_scc1 .LBB54_1596
; %bb.1591:
	s_cmp_gt_i32 s4, 9
	s_cbranch_scc0 .LBB54_1593
; %bb.1592:
	v_cvt_f64_i32_e32 v[8:9], v0
	v_mov_b32_e32 v10, 0
	v_mov_b32_e32 v11, v10
	s_mov_b64 s[2:3], 0
	global_store_dwordx4 v[2:3], v[8:11], off
.LBB54_1593:
	s_andn2_b64 vcc, exec, s[2:3]
	s_cbranch_vccnz .LBB54_1595
; %bb.1594:
	v_cvt_f32_i32_e32 v8, v0
	v_mov_b32_e32 v9, 0
	global_store_dwordx2 v[2:3], v[8:9], off
.LBB54_1595:
	s_mov_b64 s[2:3], 0
.LBB54_1596:
	s_andn2_b64 vcc, exec, s[2:3]
	s_cbranch_vccnz .LBB54_1598
; %bb.1597:
	v_cvt_f32_i32_e32 v1, v0
	v_cvt_f16_f32_e32 v1, v1
	global_store_dword v[2:3], v1, off
.LBB54_1598:
	s_mov_b64 s[2:3], 0
.LBB54_1599:
	s_andn2_b64 vcc, exec, s[2:3]
	s_cbranch_vccnz .LBB54_1608
; %bb.1600:
	s_cmp_lt_i32 s4, 6
	s_mov_b64 s[2:3], -1
	s_cbranch_scc1 .LBB54_1606
; %bb.1601:
	s_cmp_gt_i32 s4, 6
	s_cbranch_scc0 .LBB54_1603
; %bb.1602:
	v_cvt_f64_i32_e32 v[8:9], v0
	s_mov_b64 s[2:3], 0
	global_store_dwordx2 v[2:3], v[8:9], off
.LBB54_1603:
	s_andn2_b64 vcc, exec, s[2:3]
	s_cbranch_vccnz .LBB54_1605
; %bb.1604:
	v_cvt_f32_i32_e32 v1, v0
	global_store_dword v[2:3], v1, off
.LBB54_1605:
	s_mov_b64 s[2:3], 0
.LBB54_1606:
	s_andn2_b64 vcc, exec, s[2:3]
	s_cbranch_vccnz .LBB54_1608
; %bb.1607:
	v_cvt_f32_i32_e32 v1, v0
	v_cvt_f16_f32_e32 v1, v1
	global_store_short v[2:3], v1, off
.LBB54_1608:
	s_mov_b64 s[2:3], 0
.LBB54_1609:
	s_andn2_b64 vcc, exec, s[2:3]
	s_cbranch_vccnz .LBB54_1625
; %bb.1610:
	s_cmp_lt_i32 s4, 2
	s_mov_b64 s[2:3], -1
	s_cbranch_scc1 .LBB54_1620
; %bb.1611:
	s_cmp_lt_i32 s4, 3
	s_cbranch_scc1 .LBB54_1617
; %bb.1612:
	s_cmp_gt_i32 s4, 3
	s_cbranch_scc0 .LBB54_1614
; %bb.1613:
	v_ashrrev_i32_e32 v1, 31, v0
	global_store_dwordx2 v[2:3], v[0:1], off
	s_mov_b64 s[2:3], 0
.LBB54_1614:
	s_andn2_b64 vcc, exec, s[2:3]
	s_cbranch_vccnz .LBB54_1616
; %bb.1615:
	global_store_dword v[2:3], v0, off
.LBB54_1616:
	s_mov_b64 s[2:3], 0
.LBB54_1617:
	s_andn2_b64 vcc, exec, s[2:3]
	s_cbranch_vccnz .LBB54_1619
; %bb.1618:
	global_store_short v[2:3], v0, off
.LBB54_1619:
	s_mov_b64 s[2:3], 0
.LBB54_1620:
	s_andn2_b64 vcc, exec, s[2:3]
	s_cbranch_vccnz .LBB54_1625
; %bb.1621:
	s_cmp_gt_i32 s4, 0
	s_mov_b64 s[2:3], -1
	s_cbranch_scc0 .LBB54_1623
; %bb.1622:
	global_store_byte v[2:3], v0, off
	s_mov_b64 s[2:3], 0
.LBB54_1623:
	s_andn2_b64 vcc, exec, s[2:3]
	s_cbranch_vccnz .LBB54_1625
; %bb.1624:
	global_store_byte v[2:3], v0, off
.LBB54_1625:
	s_mov_b64 s[10:11], -1
.LBB54_1626:
	s_andn2_b64 vcc, exec, s[10:11]
	s_cbranch_vccnz .LBB54_1941
; %bb.1627:
	s_lshl_b32 s14, s12, 7
	v_add_u32_e32 v4, s14, v4
	v_mov_b32_e32 v0, s15
	v_ashrrev_i32_e32 v1, 31, v4
	v_mov_b32_e32 v3, s9
	v_add_co_u32_e32 v2, vcc, s8, v4
	v_cndmask_b32_e64 v0, v0, v7, s[0:1]
	s_cmp_lt_i32 s24, 11
	v_addc_co_u32_e32 v3, vcc, v3, v1, vcc
	s_cbranch_scc1 .LBB54_1705
; %bb.1628:
	s_and_b32 s22, 0xffff, s24
	s_mov_b64 s[12:13], -1
	s_mov_b64 s[4:5], 0
	s_cmp_gt_i32 s22, 25
	s_mov_b64 s[10:11], 0
	s_mov_b64 s[2:3], 0
	s_cbranch_scc0 .LBB54_1661
; %bb.1629:
	s_cmp_gt_i32 s22, 28
	s_cbranch_scc0 .LBB54_1644
; %bb.1630:
	s_cmp_gt_i32 s22, 43
	;; [unrolled: 3-line block ×3, first 2 shown]
	s_cbranch_scc0 .LBB54_1634
; %bb.1632:
	s_mov_b64 s[2:3], -1
	s_mov_b64 s[12:13], 0
	s_cmp_eq_u32 s22, 46
	s_cbranch_scc0 .LBB54_1634
; %bb.1633:
	v_cvt_f32_i32_e32 v1, v0
	s_movk_i32 s10, 0x7fff
	s_mov_b64 s[2:3], 0
	v_bfe_u32 v7, v1, 16, 1
	v_add3_u32 v1, v1, v7, s10
	v_lshrrev_b32_e32 v1, 16, v1
	global_store_dword v[2:3], v1, off
	s_mov_b64 s[10:11], -1
.LBB54_1634:
	s_and_b64 vcc, exec, s[12:13]
	s_cbranch_vccz .LBB54_1639
; %bb.1635:
	s_cmp_eq_u32 s22, 44
	s_mov_b64 s[2:3], -1
	s_cbranch_scc0 .LBB54_1639
; %bb.1636:
	v_cvt_f32_i32_e32 v1, v0
	s_movk_i32 s2, 0xff
	v_mov_b32_e32 v8, 0xff
	v_bfe_u32 v7, v1, 23, 8
	v_cmp_ne_u32_e32 vcc, s2, v7
	s_and_saveexec_b64 s[10:11], vcc
; %bb.1637:
	s_mov_b32 s2, 0x3fffff
	v_lshrrev_b32_e32 v8, 23, v1
	v_and_b32_e32 v9, 0x400000, v1
	v_and_or_b32 v1, v1, s2, v7
	v_cmp_ne_u32_e32 vcc, 0, v9
	v_cmp_ne_u32_e64 s[2:3], 0, v1
	s_and_b64 s[2:3], vcc, s[2:3]
	v_cndmask_b32_e64 v1, 0, 1, s[2:3]
	v_add_u32_e32 v8, v8, v1
; %bb.1638:
	s_or_b64 exec, exec, s[10:11]
	s_mov_b64 s[2:3], 0
	s_mov_b64 s[10:11], -1
	global_store_byte v[2:3], v8, off
.LBB54_1639:
	s_mov_b64 s[12:13], 0
.LBB54_1640:
	s_and_b64 vcc, exec, s[12:13]
	s_cbranch_vccz .LBB54_1643
; %bb.1641:
	s_cmp_eq_u32 s22, 29
	s_mov_b64 s[2:3], -1
	s_cbranch_scc0 .LBB54_1643
; %bb.1642:
	v_ashrrev_i32_e32 v1, 31, v0
	global_store_dwordx2 v[2:3], v[0:1], off
	s_mov_b64 s[2:3], 0
	s_mov_b64 s[10:11], -1
.LBB54_1643:
	s_mov_b64 s[12:13], 0
.LBB54_1644:
	s_and_b64 vcc, exec, s[12:13]
	s_cbranch_vccz .LBB54_1660
; %bb.1645:
	s_cmp_lt_i32 s22, 27
	s_mov_b64 s[10:11], -1
	s_cbranch_scc1 .LBB54_1651
; %bb.1646:
	s_cmp_gt_i32 s22, 27
	s_cbranch_scc0 .LBB54_1648
; %bb.1647:
	s_mov_b64 s[10:11], 0
	global_store_dword v[2:3], v0, off
.LBB54_1648:
	s_andn2_b64 vcc, exec, s[10:11]
	s_cbranch_vccnz .LBB54_1650
; %bb.1649:
	global_store_short v[2:3], v0, off
.LBB54_1650:
	s_mov_b64 s[10:11], 0
.LBB54_1651:
	s_andn2_b64 vcc, exec, s[10:11]
	s_cbranch_vccnz .LBB54_1659
; %bb.1652:
	v_cvt_f32_i32_e32 v1, v0
	s_mov_b32 s10, 0x43800000
	v_mov_b32_e32 v8, 0x80
	v_and_b32_e32 v7, 0x7fffffff, v1
	v_cmp_gt_u32_e32 vcc, s10, v7
	s_and_saveexec_b64 s[10:11], vcc
	s_cbranch_execz .LBB54_1658
; %bb.1653:
	s_mov_b32 s12, 0x3bffffff
	v_cmp_lt_u32_e32 vcc, s12, v7
	s_mov_b64 s[12:13], 0
                                        ; implicit-def: $vgpr7
	s_and_saveexec_b64 s[16:17], vcc
	s_xor_b64 s[16:17], exec, s[16:17]
	s_cbranch_execz .LBB54_1993
; %bb.1654:
	v_bfe_u32 v7, v1, 20, 1
	s_mov_b32 s23, 0x487ffff
	v_add3_u32 v7, v1, v7, s23
	s_mov_b64 s[12:13], exec
	v_lshrrev_b32_e32 v7, 20, v7
	s_andn2_saveexec_b64 s[16:17], s[16:17]
	s_cbranch_execnz .LBB54_1994
.LBB54_1655:
	s_or_b64 exec, exec, s[16:17]
	v_mov_b32_e32 v8, 0
	s_and_saveexec_b64 s[16:17], s[12:13]
.LBB54_1656:
	v_lshrrev_b32_e32 v1, 24, v1
	s_movk_i32 s12, 0x80
	v_and_or_b32 v8, v1, s12, v7
.LBB54_1657:
	s_or_b64 exec, exec, s[16:17]
.LBB54_1658:
	s_or_b64 exec, exec, s[10:11]
	global_store_byte v[2:3], v8, off
.LBB54_1659:
	s_mov_b64 s[10:11], -1
.LBB54_1660:
	s_mov_b64 s[12:13], 0
.LBB54_1661:
	s_and_b64 vcc, exec, s[12:13]
	s_cbranch_vccz .LBB54_1701
; %bb.1662:
	s_cmp_gt_i32 s22, 22
	s_mov_b64 s[4:5], -1
	s_cbranch_scc0 .LBB54_1694
; %bb.1663:
	s_cmp_lt_i32 s22, 24
	s_cbranch_scc1 .LBB54_1683
; %bb.1664:
	s_cmp_gt_i32 s22, 24
	s_cbranch_scc0 .LBB54_1672
; %bb.1665:
	v_cvt_f32_i32_e32 v1, v0
	s_mov_b32 s4, 0x47800000
	v_mov_b32_e32 v8, 0x80
	v_and_b32_e32 v7, 0x7fffffff, v1
	v_cmp_gt_u32_e32 vcc, s4, v7
	s_and_saveexec_b64 s[4:5], vcc
	s_cbranch_execz .LBB54_1671
; %bb.1666:
	s_mov_b32 s10, 0x37ffffff
	v_cmp_lt_u32_e32 vcc, s10, v7
	s_mov_b64 s[10:11], 0
                                        ; implicit-def: $vgpr7
	s_and_saveexec_b64 s[12:13], vcc
	s_xor_b64 s[12:13], exec, s[12:13]
	s_cbranch_execz .LBB54_1996
; %bb.1667:
	v_bfe_u32 v7, v1, 21, 1
	s_mov_b32 s16, 0x88fffff
	v_add3_u32 v7, v1, v7, s16
	s_mov_b64 s[10:11], exec
	v_lshrrev_b32_e32 v7, 21, v7
	s_andn2_saveexec_b64 s[12:13], s[12:13]
	s_cbranch_execnz .LBB54_1997
.LBB54_1668:
	s_or_b64 exec, exec, s[12:13]
	v_mov_b32_e32 v8, 0
	s_and_saveexec_b64 s[12:13], s[10:11]
.LBB54_1669:
	v_lshrrev_b32_e32 v1, 24, v1
	s_movk_i32 s10, 0x80
	v_and_or_b32 v8, v1, s10, v7
.LBB54_1670:
	s_or_b64 exec, exec, s[12:13]
.LBB54_1671:
	s_or_b64 exec, exec, s[4:5]
	s_mov_b64 s[4:5], 0
	global_store_byte v[2:3], v8, off
.LBB54_1672:
	s_and_b64 vcc, exec, s[4:5]
	s_cbranch_vccz .LBB54_1682
; %bb.1673:
	v_cvt_f32_i32_e32 v1, v0
	s_mov_b32 s4, 0x43f00000
                                        ; implicit-def: $vgpr7
	v_and_b32_e32 v8, 0x7fffffff, v1
	v_cmp_gt_u32_e32 vcc, s4, v8
	s_and_saveexec_b64 s[4:5], vcc
	s_xor_b64 s[4:5], exec, s[4:5]
	s_cbranch_execz .LBB54_1679
; %bb.1674:
	s_mov_b32 s10, 0x3c7fffff
	v_cmp_lt_u32_e32 vcc, s10, v8
                                        ; implicit-def: $vgpr7
	s_and_saveexec_b64 s[10:11], vcc
	s_xor_b64 s[10:11], exec, s[10:11]
; %bb.1675:
	v_bfe_u32 v7, v1, 20, 1
	s_mov_b32 s12, 0x407ffff
	v_add3_u32 v7, v1, v7, s12
	v_lshrrev_b32_e32 v8, 20, v7
	v_and_b32_e32 v7, 0xff00000, v7
	s_mov_b32 s12, 0x7f00000
	v_mov_b32_e32 v9, 0x7e
	v_cmp_ne_u32_e32 vcc, s12, v7
	v_cndmask_b32_e32 v7, v9, v8, vcc
; %bb.1676:
	s_andn2_saveexec_b64 s[10:11], s[10:11]
; %bb.1677:
	s_mov_b32 s12, 0x46800000
	v_add_f32_e64 v7, |v1|, s12
; %bb.1678:
	s_or_b64 exec, exec, s[10:11]
                                        ; implicit-def: $vgpr8
.LBB54_1679:
	s_andn2_saveexec_b64 s[4:5], s[4:5]
; %bb.1680:
	s_mov_b32 s10, 0x7f800000
	v_mov_b32_e32 v7, 0x7e
	v_mov_b32_e32 v9, 0x7f
	v_cmp_lt_u32_e32 vcc, s10, v8
	v_cndmask_b32_e32 v7, v7, v9, vcc
; %bb.1681:
	s_or_b64 exec, exec, s[4:5]
	v_lshrrev_b32_e32 v1, 24, v1
	s_movk_i32 s4, 0x80
	v_and_or_b32 v1, v1, s4, v7
	global_store_byte v[2:3], v1, off
.LBB54_1682:
	s_mov_b64 s[4:5], 0
.LBB54_1683:
	s_andn2_b64 vcc, exec, s[4:5]
	s_cbranch_vccnz .LBB54_1693
; %bb.1684:
	v_cvt_f32_i32_e32 v1, v0
	s_mov_b32 s4, 0x47800000
                                        ; implicit-def: $vgpr7
	v_and_b32_e32 v8, 0x7fffffff, v1
	v_cmp_gt_u32_e32 vcc, s4, v8
	s_and_saveexec_b64 s[4:5], vcc
	s_xor_b64 s[4:5], exec, s[4:5]
	s_cbranch_execz .LBB54_1690
; %bb.1685:
	s_mov_b32 s10, 0x387fffff
	v_cmp_lt_u32_e32 vcc, s10, v8
                                        ; implicit-def: $vgpr7
	s_and_saveexec_b64 s[10:11], vcc
	s_xor_b64 s[10:11], exec, s[10:11]
; %bb.1686:
	v_bfe_u32 v7, v1, 21, 1
	s_mov_b32 s12, 0x80fffff
	v_add3_u32 v7, v1, v7, s12
	v_lshrrev_b32_e32 v7, 21, v7
; %bb.1687:
	s_andn2_saveexec_b64 s[10:11], s[10:11]
; %bb.1688:
	s_mov_b32 s12, 0x43000000
	v_add_f32_e64 v7, |v1|, s12
; %bb.1689:
	s_or_b64 exec, exec, s[10:11]
                                        ; implicit-def: $vgpr8
.LBB54_1690:
	s_andn2_saveexec_b64 s[4:5], s[4:5]
; %bb.1691:
	s_mov_b32 s10, 0x7f800000
	v_mov_b32_e32 v7, 0x7c
	v_mov_b32_e32 v9, 0x7f
	v_cmp_lt_u32_e32 vcc, s10, v8
	v_cndmask_b32_e32 v7, v7, v9, vcc
; %bb.1692:
	s_or_b64 exec, exec, s[4:5]
	v_lshrrev_b32_e32 v1, 24, v1
	s_movk_i32 s4, 0x80
	v_and_or_b32 v1, v1, s4, v7
	global_store_byte v[2:3], v1, off
.LBB54_1693:
	s_mov_b64 s[4:5], 0
	s_mov_b64 s[10:11], -1
.LBB54_1694:
	s_andn2_b64 vcc, exec, s[4:5]
	s_mov_b64 s[4:5], 0
	s_cbranch_vccnz .LBB54_1701
; %bb.1695:
	s_cmp_gt_i32 s22, 14
	s_mov_b64 s[12:13], -1
	s_cbranch_scc0 .LBB54_1699
; %bb.1696:
	s_cmp_eq_u32 s22, 15
	s_mov_b64 s[2:3], -1
	s_cbranch_scc0 .LBB54_1698
; %bb.1697:
	v_cvt_f32_i32_e32 v1, v0
	s_movk_i32 s4, 0x7fff
	s_mov_b64 s[2:3], 0
	s_mov_b64 s[10:11], -1
	v_bfe_u32 v7, v1, 16, 1
	v_add3_u32 v1, v1, v7, s4
	global_store_short_d16_hi v[2:3], v1, off
.LBB54_1698:
	s_mov_b64 s[12:13], 0
.LBB54_1699:
	s_mov_b64 s[4:5], 0
	s_and_b64 vcc, exec, s[12:13]
	s_cbranch_vccz .LBB54_1701
; %bb.1700:
	s_cmp_lg_u32 s22, 11
	s_mov_b64 s[4:5], -1
	s_cselect_b64 s[2:3], -1, 0
.LBB54_1701:
	s_and_b64 vcc, exec, s[2:3]
	s_cbranch_vccnz .LBB54_1995
; %bb.1702:
	s_andn2_b64 vcc, exec, s[4:5]
	s_cbranch_vccnz .LBB54_1704
.LBB54_1703:
	v_cmp_ne_u32_e32 vcc, 0, v0
	v_cndmask_b32_e64 v1, 0, 1, vcc
	s_mov_b64 s[10:11], -1
	global_store_byte v[2:3], v1, off
.LBB54_1704:
	s_mov_b64 s[2:3], 0
	s_branch .LBB54_1706
.LBB54_1705:
	s_mov_b64 s[2:3], -1
	s_mov_b64 s[10:11], 0
.LBB54_1706:
	s_and_b64 vcc, exec, s[2:3]
	s_cbranch_vccz .LBB54_1745
; %bb.1707:
	s_and_b32 s4, 0xffff, s24
	s_cmp_lt_i32 s4, 5
	s_mov_b64 s[2:3], -1
	s_cbranch_scc1 .LBB54_1728
; %bb.1708:
	s_cmp_lt_i32 s4, 8
	s_cbranch_scc1 .LBB54_1718
; %bb.1709:
	s_cmp_lt_i32 s4, 9
	s_cbranch_scc1 .LBB54_1715
; %bb.1710:
	s_cmp_gt_i32 s4, 9
	s_cbranch_scc0 .LBB54_1712
; %bb.1711:
	v_cvt_f64_i32_e32 v[7:8], v0
	v_mov_b32_e32 v9, 0
	v_mov_b32_e32 v10, v9
	s_mov_b64 s[2:3], 0
	global_store_dwordx4 v[2:3], v[7:10], off
.LBB54_1712:
	s_andn2_b64 vcc, exec, s[2:3]
	s_cbranch_vccnz .LBB54_1714
; %bb.1713:
	v_cvt_f32_i32_e32 v7, v0
	v_mov_b32_e32 v8, 0
	global_store_dwordx2 v[2:3], v[7:8], off
.LBB54_1714:
	s_mov_b64 s[2:3], 0
.LBB54_1715:
	s_andn2_b64 vcc, exec, s[2:3]
	s_cbranch_vccnz .LBB54_1717
; %bb.1716:
	v_cvt_f32_i32_e32 v1, v0
	v_cvt_f16_f32_e32 v1, v1
	global_store_dword v[2:3], v1, off
.LBB54_1717:
	s_mov_b64 s[2:3], 0
.LBB54_1718:
	s_andn2_b64 vcc, exec, s[2:3]
	s_cbranch_vccnz .LBB54_1727
; %bb.1719:
	s_cmp_lt_i32 s4, 6
	s_mov_b64 s[2:3], -1
	s_cbranch_scc1 .LBB54_1725
; %bb.1720:
	s_cmp_gt_i32 s4, 6
	s_cbranch_scc0 .LBB54_1722
; %bb.1721:
	v_cvt_f64_i32_e32 v[7:8], v0
	s_mov_b64 s[2:3], 0
	global_store_dwordx2 v[2:3], v[7:8], off
.LBB54_1722:
	s_andn2_b64 vcc, exec, s[2:3]
	s_cbranch_vccnz .LBB54_1724
; %bb.1723:
	v_cvt_f32_i32_e32 v1, v0
	global_store_dword v[2:3], v1, off
.LBB54_1724:
	s_mov_b64 s[2:3], 0
.LBB54_1725:
	s_andn2_b64 vcc, exec, s[2:3]
	s_cbranch_vccnz .LBB54_1727
; %bb.1726:
	v_cvt_f32_i32_e32 v1, v0
	v_cvt_f16_f32_e32 v1, v1
	global_store_short v[2:3], v1, off
.LBB54_1727:
	s_mov_b64 s[2:3], 0
.LBB54_1728:
	s_andn2_b64 vcc, exec, s[2:3]
	s_cbranch_vccnz .LBB54_1744
; %bb.1729:
	s_cmp_lt_i32 s4, 2
	s_mov_b64 s[2:3], -1
	s_cbranch_scc1 .LBB54_1739
; %bb.1730:
	s_cmp_lt_i32 s4, 3
	s_cbranch_scc1 .LBB54_1736
; %bb.1731:
	s_cmp_gt_i32 s4, 3
	s_cbranch_scc0 .LBB54_1733
; %bb.1732:
	v_ashrrev_i32_e32 v1, 31, v0
	global_store_dwordx2 v[2:3], v[0:1], off
	s_mov_b64 s[2:3], 0
.LBB54_1733:
	s_andn2_b64 vcc, exec, s[2:3]
	s_cbranch_vccnz .LBB54_1735
; %bb.1734:
	global_store_dword v[2:3], v0, off
.LBB54_1735:
	s_mov_b64 s[2:3], 0
.LBB54_1736:
	s_andn2_b64 vcc, exec, s[2:3]
	s_cbranch_vccnz .LBB54_1738
; %bb.1737:
	global_store_short v[2:3], v0, off
.LBB54_1738:
	s_mov_b64 s[2:3], 0
.LBB54_1739:
	s_andn2_b64 vcc, exec, s[2:3]
	s_cbranch_vccnz .LBB54_1744
; %bb.1740:
	s_cmp_gt_i32 s4, 0
	s_mov_b64 s[2:3], -1
	s_cbranch_scc0 .LBB54_1742
; %bb.1741:
	global_store_byte v[2:3], v0, off
	s_mov_b64 s[2:3], 0
.LBB54_1742:
	s_andn2_b64 vcc, exec, s[2:3]
	s_cbranch_vccnz .LBB54_1744
; %bb.1743:
	global_store_byte v[2:3], v0, off
.LBB54_1744:
	s_mov_b64 s[10:11], -1
.LBB54_1745:
	s_andn2_b64 vcc, exec, s[10:11]
	s_cbranch_vccnz .LBB54_1941
; %bb.1746:
	v_add_u32_e32 v4, s14, v4
	v_mov_b32_e32 v0, s15
	v_ashrrev_i32_e32 v1, 31, v4
	v_mov_b32_e32 v3, s9
	v_add_co_u32_e32 v2, vcc, s8, v4
	v_cndmask_b32_e64 v0, v0, v6, s[0:1]
	s_cmp_lt_i32 s24, 11
	v_addc_co_u32_e32 v3, vcc, v3, v1, vcc
	s_cbranch_scc1 .LBB54_1824
; %bb.1747:
	s_and_b32 s22, 0xffff, s24
	s_mov_b64 s[12:13], -1
	s_mov_b64 s[4:5], 0
	s_cmp_gt_i32 s22, 25
	s_mov_b64 s[10:11], 0
	s_mov_b64 s[2:3], 0
	s_cbranch_scc0 .LBB54_1780
; %bb.1748:
	s_cmp_gt_i32 s22, 28
	s_cbranch_scc0 .LBB54_1763
; %bb.1749:
	s_cmp_gt_i32 s22, 43
	;; [unrolled: 3-line block ×3, first 2 shown]
	s_cbranch_scc0 .LBB54_1753
; %bb.1751:
	s_mov_b64 s[2:3], -1
	s_mov_b64 s[12:13], 0
	s_cmp_eq_u32 s22, 46
	s_cbranch_scc0 .LBB54_1753
; %bb.1752:
	v_cvt_f32_i32_e32 v1, v0
	s_movk_i32 s10, 0x7fff
	s_mov_b64 s[2:3], 0
	v_bfe_u32 v6, v1, 16, 1
	v_add3_u32 v1, v1, v6, s10
	v_lshrrev_b32_e32 v1, 16, v1
	global_store_dword v[2:3], v1, off
	s_mov_b64 s[10:11], -1
.LBB54_1753:
	s_and_b64 vcc, exec, s[12:13]
	s_cbranch_vccz .LBB54_1758
; %bb.1754:
	s_cmp_eq_u32 s22, 44
	s_mov_b64 s[2:3], -1
	s_cbranch_scc0 .LBB54_1758
; %bb.1755:
	v_cvt_f32_i32_e32 v1, v0
	s_movk_i32 s2, 0xff
	v_mov_b32_e32 v7, 0xff
	v_bfe_u32 v6, v1, 23, 8
	v_cmp_ne_u32_e32 vcc, s2, v6
	s_and_saveexec_b64 s[10:11], vcc
; %bb.1756:
	s_mov_b32 s2, 0x3fffff
	v_lshrrev_b32_e32 v7, 23, v1
	v_and_b32_e32 v8, 0x400000, v1
	v_and_or_b32 v1, v1, s2, v6
	v_cmp_ne_u32_e32 vcc, 0, v8
	v_cmp_ne_u32_e64 s[2:3], 0, v1
	s_and_b64 s[2:3], vcc, s[2:3]
	v_cndmask_b32_e64 v1, 0, 1, s[2:3]
	v_add_u32_e32 v7, v7, v1
; %bb.1757:
	s_or_b64 exec, exec, s[10:11]
	s_mov_b64 s[2:3], 0
	s_mov_b64 s[10:11], -1
	global_store_byte v[2:3], v7, off
.LBB54_1758:
	s_mov_b64 s[12:13], 0
.LBB54_1759:
	s_and_b64 vcc, exec, s[12:13]
	s_cbranch_vccz .LBB54_1762
; %bb.1760:
	s_cmp_eq_u32 s22, 29
	s_mov_b64 s[2:3], -1
	s_cbranch_scc0 .LBB54_1762
; %bb.1761:
	v_ashrrev_i32_e32 v1, 31, v0
	global_store_dwordx2 v[2:3], v[0:1], off
	s_mov_b64 s[2:3], 0
	s_mov_b64 s[10:11], -1
.LBB54_1762:
	s_mov_b64 s[12:13], 0
.LBB54_1763:
	s_and_b64 vcc, exec, s[12:13]
	s_cbranch_vccz .LBB54_1779
; %bb.1764:
	s_cmp_lt_i32 s22, 27
	s_mov_b64 s[10:11], -1
	s_cbranch_scc1 .LBB54_1770
; %bb.1765:
	s_cmp_gt_i32 s22, 27
	s_cbranch_scc0 .LBB54_1767
; %bb.1766:
	s_mov_b64 s[10:11], 0
	global_store_dword v[2:3], v0, off
.LBB54_1767:
	s_andn2_b64 vcc, exec, s[10:11]
	s_cbranch_vccnz .LBB54_1769
; %bb.1768:
	global_store_short v[2:3], v0, off
.LBB54_1769:
	s_mov_b64 s[10:11], 0
.LBB54_1770:
	s_andn2_b64 vcc, exec, s[10:11]
	s_cbranch_vccnz .LBB54_1778
; %bb.1771:
	v_cvt_f32_i32_e32 v1, v0
	s_mov_b32 s10, 0x43800000
	v_mov_b32_e32 v7, 0x80
	v_and_b32_e32 v6, 0x7fffffff, v1
	v_cmp_gt_u32_e32 vcc, s10, v6
	s_and_saveexec_b64 s[10:11], vcc
	s_cbranch_execz .LBB54_1777
; %bb.1772:
	s_mov_b32 s12, 0x3bffffff
	v_cmp_lt_u32_e32 vcc, s12, v6
	s_mov_b64 s[12:13], 0
                                        ; implicit-def: $vgpr6
	s_and_saveexec_b64 s[16:17], vcc
	s_xor_b64 s[16:17], exec, s[16:17]
	s_cbranch_execz .LBB54_1998
; %bb.1773:
	v_bfe_u32 v6, v1, 20, 1
	s_mov_b32 s23, 0x487ffff
	v_add3_u32 v6, v1, v6, s23
	s_mov_b64 s[12:13], exec
	v_lshrrev_b32_e32 v6, 20, v6
	s_andn2_saveexec_b64 s[16:17], s[16:17]
	s_cbranch_execnz .LBB54_1999
.LBB54_1774:
	s_or_b64 exec, exec, s[16:17]
	v_mov_b32_e32 v7, 0
	s_and_saveexec_b64 s[16:17], s[12:13]
.LBB54_1775:
	v_lshrrev_b32_e32 v1, 24, v1
	s_movk_i32 s12, 0x80
	v_and_or_b32 v7, v1, s12, v6
.LBB54_1776:
	s_or_b64 exec, exec, s[16:17]
.LBB54_1777:
	s_or_b64 exec, exec, s[10:11]
	global_store_byte v[2:3], v7, off
.LBB54_1778:
	s_mov_b64 s[10:11], -1
.LBB54_1779:
	s_mov_b64 s[12:13], 0
.LBB54_1780:
	s_and_b64 vcc, exec, s[12:13]
	s_cbranch_vccz .LBB54_1820
; %bb.1781:
	s_cmp_gt_i32 s22, 22
	s_mov_b64 s[4:5], -1
	s_cbranch_scc0 .LBB54_1813
; %bb.1782:
	s_cmp_lt_i32 s22, 24
	s_cbranch_scc1 .LBB54_1802
; %bb.1783:
	s_cmp_gt_i32 s22, 24
	s_cbranch_scc0 .LBB54_1791
; %bb.1784:
	v_cvt_f32_i32_e32 v1, v0
	s_mov_b32 s4, 0x47800000
	v_mov_b32_e32 v7, 0x80
	v_and_b32_e32 v6, 0x7fffffff, v1
	v_cmp_gt_u32_e32 vcc, s4, v6
	s_and_saveexec_b64 s[4:5], vcc
	s_cbranch_execz .LBB54_1790
; %bb.1785:
	s_mov_b32 s10, 0x37ffffff
	v_cmp_lt_u32_e32 vcc, s10, v6
	s_mov_b64 s[10:11], 0
                                        ; implicit-def: $vgpr6
	s_and_saveexec_b64 s[12:13], vcc
	s_xor_b64 s[12:13], exec, s[12:13]
	s_cbranch_execz .LBB54_2001
; %bb.1786:
	v_bfe_u32 v6, v1, 21, 1
	s_mov_b32 s16, 0x88fffff
	v_add3_u32 v6, v1, v6, s16
	s_mov_b64 s[10:11], exec
	v_lshrrev_b32_e32 v6, 21, v6
	s_andn2_saveexec_b64 s[12:13], s[12:13]
	s_cbranch_execnz .LBB54_2002
.LBB54_1787:
	s_or_b64 exec, exec, s[12:13]
	v_mov_b32_e32 v7, 0
	s_and_saveexec_b64 s[12:13], s[10:11]
.LBB54_1788:
	v_lshrrev_b32_e32 v1, 24, v1
	s_movk_i32 s10, 0x80
	v_and_or_b32 v7, v1, s10, v6
.LBB54_1789:
	s_or_b64 exec, exec, s[12:13]
.LBB54_1790:
	s_or_b64 exec, exec, s[4:5]
	s_mov_b64 s[4:5], 0
	global_store_byte v[2:3], v7, off
.LBB54_1791:
	s_and_b64 vcc, exec, s[4:5]
	s_cbranch_vccz .LBB54_1801
; %bb.1792:
	v_cvt_f32_i32_e32 v1, v0
	s_mov_b32 s4, 0x43f00000
                                        ; implicit-def: $vgpr6
	v_and_b32_e32 v7, 0x7fffffff, v1
	v_cmp_gt_u32_e32 vcc, s4, v7
	s_and_saveexec_b64 s[4:5], vcc
	s_xor_b64 s[4:5], exec, s[4:5]
	s_cbranch_execz .LBB54_1798
; %bb.1793:
	s_mov_b32 s10, 0x3c7fffff
	v_cmp_lt_u32_e32 vcc, s10, v7
                                        ; implicit-def: $vgpr6
	s_and_saveexec_b64 s[10:11], vcc
	s_xor_b64 s[10:11], exec, s[10:11]
; %bb.1794:
	v_bfe_u32 v6, v1, 20, 1
	s_mov_b32 s12, 0x407ffff
	v_add3_u32 v6, v1, v6, s12
	v_lshrrev_b32_e32 v7, 20, v6
	v_and_b32_e32 v6, 0xff00000, v6
	s_mov_b32 s12, 0x7f00000
	v_mov_b32_e32 v8, 0x7e
	v_cmp_ne_u32_e32 vcc, s12, v6
	v_cndmask_b32_e32 v6, v8, v7, vcc
; %bb.1795:
	s_andn2_saveexec_b64 s[10:11], s[10:11]
; %bb.1796:
	s_mov_b32 s12, 0x46800000
	v_add_f32_e64 v6, |v1|, s12
; %bb.1797:
	s_or_b64 exec, exec, s[10:11]
                                        ; implicit-def: $vgpr7
.LBB54_1798:
	s_andn2_saveexec_b64 s[4:5], s[4:5]
; %bb.1799:
	s_mov_b32 s10, 0x7f800000
	v_mov_b32_e32 v6, 0x7e
	v_mov_b32_e32 v8, 0x7f
	v_cmp_lt_u32_e32 vcc, s10, v7
	v_cndmask_b32_e32 v6, v6, v8, vcc
; %bb.1800:
	s_or_b64 exec, exec, s[4:5]
	v_lshrrev_b32_e32 v1, 24, v1
	s_movk_i32 s4, 0x80
	v_and_or_b32 v1, v1, s4, v6
	global_store_byte v[2:3], v1, off
.LBB54_1801:
	s_mov_b64 s[4:5], 0
.LBB54_1802:
	s_andn2_b64 vcc, exec, s[4:5]
	s_cbranch_vccnz .LBB54_1812
; %bb.1803:
	v_cvt_f32_i32_e32 v1, v0
	s_mov_b32 s4, 0x47800000
                                        ; implicit-def: $vgpr6
	v_and_b32_e32 v7, 0x7fffffff, v1
	v_cmp_gt_u32_e32 vcc, s4, v7
	s_and_saveexec_b64 s[4:5], vcc
	s_xor_b64 s[4:5], exec, s[4:5]
	s_cbranch_execz .LBB54_1809
; %bb.1804:
	s_mov_b32 s10, 0x387fffff
	v_cmp_lt_u32_e32 vcc, s10, v7
                                        ; implicit-def: $vgpr6
	s_and_saveexec_b64 s[10:11], vcc
	s_xor_b64 s[10:11], exec, s[10:11]
; %bb.1805:
	v_bfe_u32 v6, v1, 21, 1
	s_mov_b32 s12, 0x80fffff
	v_add3_u32 v6, v1, v6, s12
	v_lshrrev_b32_e32 v6, 21, v6
; %bb.1806:
	s_andn2_saveexec_b64 s[10:11], s[10:11]
; %bb.1807:
	s_mov_b32 s12, 0x43000000
	v_add_f32_e64 v6, |v1|, s12
; %bb.1808:
	s_or_b64 exec, exec, s[10:11]
                                        ; implicit-def: $vgpr7
.LBB54_1809:
	s_andn2_saveexec_b64 s[4:5], s[4:5]
; %bb.1810:
	s_mov_b32 s10, 0x7f800000
	v_mov_b32_e32 v6, 0x7c
	v_mov_b32_e32 v8, 0x7f
	v_cmp_lt_u32_e32 vcc, s10, v7
	v_cndmask_b32_e32 v6, v6, v8, vcc
; %bb.1811:
	s_or_b64 exec, exec, s[4:5]
	v_lshrrev_b32_e32 v1, 24, v1
	s_movk_i32 s4, 0x80
	v_and_or_b32 v1, v1, s4, v6
	global_store_byte v[2:3], v1, off
.LBB54_1812:
	s_mov_b64 s[4:5], 0
	s_mov_b64 s[10:11], -1
.LBB54_1813:
	s_andn2_b64 vcc, exec, s[4:5]
	s_mov_b64 s[4:5], 0
	s_cbranch_vccnz .LBB54_1820
; %bb.1814:
	s_cmp_gt_i32 s22, 14
	s_mov_b64 s[12:13], -1
	s_cbranch_scc0 .LBB54_1818
; %bb.1815:
	s_cmp_eq_u32 s22, 15
	s_mov_b64 s[2:3], -1
	s_cbranch_scc0 .LBB54_1817
; %bb.1816:
	v_cvt_f32_i32_e32 v1, v0
	s_movk_i32 s4, 0x7fff
	s_mov_b64 s[2:3], 0
	s_mov_b64 s[10:11], -1
	v_bfe_u32 v6, v1, 16, 1
	v_add3_u32 v1, v1, v6, s4
	global_store_short_d16_hi v[2:3], v1, off
.LBB54_1817:
	s_mov_b64 s[12:13], 0
.LBB54_1818:
	s_mov_b64 s[4:5], 0
	s_and_b64 vcc, exec, s[12:13]
	s_cbranch_vccz .LBB54_1820
; %bb.1819:
	s_cmp_lg_u32 s22, 11
	s_mov_b64 s[4:5], -1
	s_cselect_b64 s[2:3], -1, 0
.LBB54_1820:
	s_and_b64 vcc, exec, s[2:3]
	s_cbranch_vccnz .LBB54_2000
; %bb.1821:
	s_andn2_b64 vcc, exec, s[4:5]
	s_cbranch_vccnz .LBB54_1823
.LBB54_1822:
	v_cmp_ne_u32_e32 vcc, 0, v0
	v_cndmask_b32_e64 v1, 0, 1, vcc
	s_mov_b64 s[10:11], -1
	global_store_byte v[2:3], v1, off
.LBB54_1823:
	s_mov_b64 s[2:3], 0
	s_branch .LBB54_1825
.LBB54_1824:
	s_mov_b64 s[2:3], -1
	s_mov_b64 s[10:11], 0
.LBB54_1825:
	s_and_b64 vcc, exec, s[2:3]
	s_cbranch_vccz .LBB54_1864
; %bb.1826:
	s_and_b32 s4, 0xffff, s24
	s_cmp_lt_i32 s4, 5
	s_mov_b64 s[2:3], -1
	s_cbranch_scc1 .LBB54_1847
; %bb.1827:
	s_cmp_lt_i32 s4, 8
	s_cbranch_scc1 .LBB54_1837
; %bb.1828:
	s_cmp_lt_i32 s4, 9
	s_cbranch_scc1 .LBB54_1834
; %bb.1829:
	s_cmp_gt_i32 s4, 9
	s_cbranch_scc0 .LBB54_1831
; %bb.1830:
	v_cvt_f64_i32_e32 v[6:7], v0
	v_mov_b32_e32 v8, 0
	v_mov_b32_e32 v9, v8
	s_mov_b64 s[2:3], 0
	global_store_dwordx4 v[2:3], v[6:9], off
.LBB54_1831:
	s_andn2_b64 vcc, exec, s[2:3]
	s_cbranch_vccnz .LBB54_1833
; %bb.1832:
	v_cvt_f32_i32_e32 v6, v0
	v_mov_b32_e32 v7, 0
	global_store_dwordx2 v[2:3], v[6:7], off
.LBB54_1833:
	s_mov_b64 s[2:3], 0
.LBB54_1834:
	s_andn2_b64 vcc, exec, s[2:3]
	s_cbranch_vccnz .LBB54_1836
; %bb.1835:
	v_cvt_f32_i32_e32 v1, v0
	v_cvt_f16_f32_e32 v1, v1
	global_store_dword v[2:3], v1, off
.LBB54_1836:
	s_mov_b64 s[2:3], 0
.LBB54_1837:
	s_andn2_b64 vcc, exec, s[2:3]
	s_cbranch_vccnz .LBB54_1846
; %bb.1838:
	s_cmp_lt_i32 s4, 6
	s_mov_b64 s[2:3], -1
	s_cbranch_scc1 .LBB54_1844
; %bb.1839:
	s_cmp_gt_i32 s4, 6
	s_cbranch_scc0 .LBB54_1841
; %bb.1840:
	v_cvt_f64_i32_e32 v[6:7], v0
	s_mov_b64 s[2:3], 0
	global_store_dwordx2 v[2:3], v[6:7], off
.LBB54_1841:
	s_andn2_b64 vcc, exec, s[2:3]
	s_cbranch_vccnz .LBB54_1843
; %bb.1842:
	v_cvt_f32_i32_e32 v1, v0
	global_store_dword v[2:3], v1, off
.LBB54_1843:
	s_mov_b64 s[2:3], 0
.LBB54_1844:
	s_andn2_b64 vcc, exec, s[2:3]
	s_cbranch_vccnz .LBB54_1846
; %bb.1845:
	v_cvt_f32_i32_e32 v1, v0
	v_cvt_f16_f32_e32 v1, v1
	global_store_short v[2:3], v1, off
.LBB54_1846:
	s_mov_b64 s[2:3], 0
.LBB54_1847:
	s_andn2_b64 vcc, exec, s[2:3]
	s_cbranch_vccnz .LBB54_1863
; %bb.1848:
	s_cmp_lt_i32 s4, 2
	s_mov_b64 s[2:3], -1
	s_cbranch_scc1 .LBB54_1858
; %bb.1849:
	s_cmp_lt_i32 s4, 3
	s_cbranch_scc1 .LBB54_1855
; %bb.1850:
	s_cmp_gt_i32 s4, 3
	s_cbranch_scc0 .LBB54_1852
; %bb.1851:
	v_ashrrev_i32_e32 v1, 31, v0
	global_store_dwordx2 v[2:3], v[0:1], off
	s_mov_b64 s[2:3], 0
.LBB54_1852:
	s_andn2_b64 vcc, exec, s[2:3]
	s_cbranch_vccnz .LBB54_1854
; %bb.1853:
	global_store_dword v[2:3], v0, off
.LBB54_1854:
	s_mov_b64 s[2:3], 0
.LBB54_1855:
	s_andn2_b64 vcc, exec, s[2:3]
	s_cbranch_vccnz .LBB54_1857
; %bb.1856:
	global_store_short v[2:3], v0, off
.LBB54_1857:
	s_mov_b64 s[2:3], 0
.LBB54_1858:
	s_andn2_b64 vcc, exec, s[2:3]
	s_cbranch_vccnz .LBB54_1863
; %bb.1859:
	s_cmp_gt_i32 s4, 0
	s_mov_b64 s[2:3], -1
	s_cbranch_scc0 .LBB54_1861
; %bb.1860:
	global_store_byte v[2:3], v0, off
	s_mov_b64 s[2:3], 0
.LBB54_1861:
	s_andn2_b64 vcc, exec, s[2:3]
	s_cbranch_vccnz .LBB54_1863
; %bb.1862:
	global_store_byte v[2:3], v0, off
.LBB54_1863:
	s_mov_b64 s[10:11], -1
.LBB54_1864:
	s_andn2_b64 vcc, exec, s[10:11]
	s_cbranch_vccnz .LBB54_1941
; %bb.1865:
	v_add_u32_e32 v1, s14, v4
	v_mov_b32_e32 v0, s15
	v_ashrrev_i32_e32 v3, 31, v1
	v_mov_b32_e32 v4, s9
	v_add_co_u32_e32 v2, vcc, s8, v1
	v_cndmask_b32_e64 v0, v0, v5, s[0:1]
	s_cmp_lt_i32 s24, 11
	v_addc_co_u32_e32 v3, vcc, v4, v3, vcc
	s_cbranch_scc1 .LBB54_1986
; %bb.1866:
	s_and_b32 s12, 0xffff, s24
	s_mov_b64 s[4:5], -1
	s_mov_b64 s[2:3], 0
	s_cmp_gt_i32 s12, 25
	s_mov_b64 s[0:1], 0
	s_cbranch_scc0 .LBB54_1899
; %bb.1867:
	s_cmp_gt_i32 s12, 28
	s_cbranch_scc0 .LBB54_1883
; %bb.1868:
	s_cmp_gt_i32 s12, 43
	s_cbranch_scc0 .LBB54_1879
; %bb.1869:
	s_cmp_gt_i32 s12, 45
	s_cbranch_scc0 .LBB54_1873
; %bb.1870:
	s_cmp_eq_u32 s12, 46
	s_mov_b64 s[0:1], -1
	s_cbranch_scc0 .LBB54_1872
; %bb.1871:
	v_cvt_f32_i32_e32 v1, v0
	s_movk_i32 s0, 0x7fff
	v_bfe_u32 v4, v1, 16, 1
	v_add3_u32 v1, v1, v4, s0
	v_lshrrev_b32_e32 v1, 16, v1
	global_store_dword v[2:3], v1, off
	s_mov_b64 s[0:1], 0
.LBB54_1872:
	s_mov_b64 s[4:5], 0
.LBB54_1873:
	s_and_b64 vcc, exec, s[4:5]
	s_cbranch_vccz .LBB54_1878
; %bb.1874:
	s_cmp_eq_u32 s12, 44
	s_mov_b64 s[0:1], -1
	s_cbranch_scc0 .LBB54_1878
; %bb.1875:
	v_cvt_f32_i32_e32 v1, v0
	s_movk_i32 s0, 0xff
	v_mov_b32_e32 v5, 0xff
	v_bfe_u32 v4, v1, 23, 8
	v_cmp_ne_u32_e32 vcc, s0, v4
	s_and_saveexec_b64 s[4:5], vcc
; %bb.1876:
	s_mov_b32 s0, 0x3fffff
	v_lshrrev_b32_e32 v5, 23, v1
	v_and_b32_e32 v6, 0x400000, v1
	v_and_or_b32 v1, v1, s0, v4
	v_cmp_ne_u32_e32 vcc, 0, v6
	v_cmp_ne_u32_e64 s[0:1], 0, v1
	s_and_b64 s[0:1], vcc, s[0:1]
	v_cndmask_b32_e64 v1, 0, 1, s[0:1]
	v_add_u32_e32 v5, v5, v1
; %bb.1877:
	s_or_b64 exec, exec, s[4:5]
	s_mov_b64 s[0:1], 0
	global_store_byte v[2:3], v5, off
.LBB54_1878:
	s_mov_b64 s[4:5], 0
.LBB54_1879:
	s_and_b64 vcc, exec, s[4:5]
	s_cbranch_vccz .LBB54_1882
; %bb.1880:
	s_cmp_eq_u32 s12, 29
	s_mov_b64 s[0:1], -1
	s_cbranch_scc0 .LBB54_1882
; %bb.1881:
	v_ashrrev_i32_e32 v1, 31, v0
	global_store_dwordx2 v[2:3], v[0:1], off
	s_mov_b64 s[0:1], 0
.LBB54_1882:
	s_mov_b64 s[4:5], 0
.LBB54_1883:
	s_and_b64 vcc, exec, s[4:5]
	s_cbranch_vccz .LBB54_1898
; %bb.1884:
	s_cmp_lt_i32 s12, 27
	s_mov_b64 s[4:5], -1
	s_cbranch_scc1 .LBB54_1890
; %bb.1885:
	s_cmp_gt_i32 s12, 27
	s_cbranch_scc0 .LBB54_1887
; %bb.1886:
	global_store_dword v[2:3], v0, off
	s_mov_b64 s[4:5], 0
.LBB54_1887:
	s_andn2_b64 vcc, exec, s[4:5]
	s_cbranch_vccnz .LBB54_1889
; %bb.1888:
	global_store_short v[2:3], v0, off
.LBB54_1889:
	s_mov_b64 s[4:5], 0
.LBB54_1890:
	s_andn2_b64 vcc, exec, s[4:5]
	s_cbranch_vccnz .LBB54_1898
; %bb.1891:
	v_cvt_f32_i32_e32 v1, v0
	s_mov_b32 s4, 0x43800000
	v_mov_b32_e32 v5, 0x80
	v_and_b32_e32 v4, 0x7fffffff, v1
	v_cmp_gt_u32_e32 vcc, s4, v4
	s_and_saveexec_b64 s[4:5], vcc
	s_cbranch_execz .LBB54_1897
; %bb.1892:
	s_mov_b32 s8, 0x3bffffff
	v_cmp_lt_u32_e32 vcc, s8, v4
	s_mov_b64 s[8:9], 0
                                        ; implicit-def: $vgpr4
	s_and_saveexec_b64 s[10:11], vcc
	s_xor_b64 s[10:11], exec, s[10:11]
	s_cbranch_execz .LBB54_2003
; %bb.1893:
	v_bfe_u32 v4, v1, 20, 1
	s_mov_b32 s13, 0x487ffff
	v_add3_u32 v4, v1, v4, s13
	s_mov_b64 s[8:9], exec
	v_lshrrev_b32_e32 v4, 20, v4
	s_andn2_saveexec_b64 s[10:11], s[10:11]
	s_cbranch_execnz .LBB54_2004
.LBB54_1894:
	s_or_b64 exec, exec, s[10:11]
	v_mov_b32_e32 v5, 0
	s_and_saveexec_b64 s[10:11], s[8:9]
.LBB54_1895:
	v_lshrrev_b32_e32 v1, 24, v1
	s_movk_i32 s8, 0x80
	v_and_or_b32 v5, v1, s8, v4
.LBB54_1896:
	s_or_b64 exec, exec, s[10:11]
.LBB54_1897:
	s_or_b64 exec, exec, s[4:5]
	global_store_byte v[2:3], v5, off
.LBB54_1898:
	s_mov_b64 s[4:5], 0
.LBB54_1899:
	s_and_b64 vcc, exec, s[4:5]
	s_cbranch_vccz .LBB54_1939
; %bb.1900:
	s_cmp_gt_i32 s12, 22
	s_mov_b64 s[2:3], -1
	s_cbranch_scc0 .LBB54_1932
; %bb.1901:
	s_cmp_lt_i32 s12, 24
	s_cbranch_scc1 .LBB54_1921
; %bb.1902:
	s_cmp_gt_i32 s12, 24
	s_cbranch_scc0 .LBB54_1910
; %bb.1903:
	v_cvt_f32_i32_e32 v1, v0
	s_mov_b32 s2, 0x47800000
	v_mov_b32_e32 v5, 0x80
	v_and_b32_e32 v4, 0x7fffffff, v1
	v_cmp_gt_u32_e32 vcc, s2, v4
	s_and_saveexec_b64 s[2:3], vcc
	s_cbranch_execz .LBB54_1909
; %bb.1904:
	s_mov_b32 s4, 0x37ffffff
	v_cmp_lt_u32_e32 vcc, s4, v4
	s_mov_b64 s[4:5], 0
                                        ; implicit-def: $vgpr4
	s_and_saveexec_b64 s[8:9], vcc
	s_xor_b64 s[8:9], exec, s[8:9]
	s_cbranch_execz .LBB54_2006
; %bb.1905:
	v_bfe_u32 v4, v1, 21, 1
	s_mov_b32 s10, 0x88fffff
	v_add3_u32 v4, v1, v4, s10
	s_mov_b64 s[4:5], exec
	v_lshrrev_b32_e32 v4, 21, v4
	s_andn2_saveexec_b64 s[8:9], s[8:9]
	s_cbranch_execnz .LBB54_2007
.LBB54_1906:
	s_or_b64 exec, exec, s[8:9]
	v_mov_b32_e32 v5, 0
	s_and_saveexec_b64 s[8:9], s[4:5]
.LBB54_1907:
	v_lshrrev_b32_e32 v1, 24, v1
	s_movk_i32 s4, 0x80
	v_and_or_b32 v5, v1, s4, v4
.LBB54_1908:
	s_or_b64 exec, exec, s[8:9]
.LBB54_1909:
	s_or_b64 exec, exec, s[2:3]
	s_mov_b64 s[2:3], 0
	global_store_byte v[2:3], v5, off
.LBB54_1910:
	s_and_b64 vcc, exec, s[2:3]
	s_cbranch_vccz .LBB54_1920
; %bb.1911:
	v_cvt_f32_i32_e32 v1, v0
	s_mov_b32 s2, 0x43f00000
                                        ; implicit-def: $vgpr4
	v_and_b32_e32 v5, 0x7fffffff, v1
	v_cmp_gt_u32_e32 vcc, s2, v5
	s_and_saveexec_b64 s[2:3], vcc
	s_xor_b64 s[2:3], exec, s[2:3]
	s_cbranch_execz .LBB54_1917
; %bb.1912:
	s_mov_b32 s4, 0x3c7fffff
	v_cmp_lt_u32_e32 vcc, s4, v5
                                        ; implicit-def: $vgpr4
	s_and_saveexec_b64 s[4:5], vcc
	s_xor_b64 s[4:5], exec, s[4:5]
; %bb.1913:
	v_bfe_u32 v4, v1, 20, 1
	s_mov_b32 s8, 0x407ffff
	v_add3_u32 v4, v1, v4, s8
	v_lshrrev_b32_e32 v5, 20, v4
	v_and_b32_e32 v4, 0xff00000, v4
	s_mov_b32 s8, 0x7f00000
	v_mov_b32_e32 v6, 0x7e
	v_cmp_ne_u32_e32 vcc, s8, v4
	v_cndmask_b32_e32 v4, v6, v5, vcc
; %bb.1914:
	s_andn2_saveexec_b64 s[4:5], s[4:5]
; %bb.1915:
	s_mov_b32 s8, 0x46800000
	v_add_f32_e64 v4, |v1|, s8
; %bb.1916:
	s_or_b64 exec, exec, s[4:5]
                                        ; implicit-def: $vgpr5
.LBB54_1917:
	s_andn2_saveexec_b64 s[2:3], s[2:3]
; %bb.1918:
	s_mov_b32 s4, 0x7f800000
	v_mov_b32_e32 v4, 0x7e
	v_mov_b32_e32 v6, 0x7f
	v_cmp_lt_u32_e32 vcc, s4, v5
	v_cndmask_b32_e32 v4, v4, v6, vcc
; %bb.1919:
	s_or_b64 exec, exec, s[2:3]
	v_lshrrev_b32_e32 v1, 24, v1
	s_movk_i32 s2, 0x80
	v_and_or_b32 v1, v1, s2, v4
	global_store_byte v[2:3], v1, off
.LBB54_1920:
	s_mov_b64 s[2:3], 0
.LBB54_1921:
	s_andn2_b64 vcc, exec, s[2:3]
	s_cbranch_vccnz .LBB54_1931
; %bb.1922:
	v_cvt_f32_i32_e32 v1, v0
	s_mov_b32 s2, 0x47800000
                                        ; implicit-def: $vgpr4
	v_and_b32_e32 v5, 0x7fffffff, v1
	v_cmp_gt_u32_e32 vcc, s2, v5
	s_and_saveexec_b64 s[2:3], vcc
	s_xor_b64 s[2:3], exec, s[2:3]
	s_cbranch_execz .LBB54_1928
; %bb.1923:
	s_mov_b32 s4, 0x387fffff
	v_cmp_lt_u32_e32 vcc, s4, v5
                                        ; implicit-def: $vgpr4
	s_and_saveexec_b64 s[4:5], vcc
	s_xor_b64 s[4:5], exec, s[4:5]
; %bb.1924:
	v_bfe_u32 v4, v1, 21, 1
	s_mov_b32 s8, 0x80fffff
	v_add3_u32 v4, v1, v4, s8
	v_lshrrev_b32_e32 v4, 21, v4
; %bb.1925:
	s_andn2_saveexec_b64 s[4:5], s[4:5]
; %bb.1926:
	s_mov_b32 s8, 0x43000000
	v_add_f32_e64 v4, |v1|, s8
; %bb.1927:
	s_or_b64 exec, exec, s[4:5]
                                        ; implicit-def: $vgpr5
.LBB54_1928:
	s_andn2_saveexec_b64 s[2:3], s[2:3]
; %bb.1929:
	s_mov_b32 s4, 0x7f800000
	v_mov_b32_e32 v4, 0x7c
	v_mov_b32_e32 v6, 0x7f
	v_cmp_lt_u32_e32 vcc, s4, v5
	v_cndmask_b32_e32 v4, v4, v6, vcc
; %bb.1930:
	s_or_b64 exec, exec, s[2:3]
	v_lshrrev_b32_e32 v1, 24, v1
	s_movk_i32 s2, 0x80
	v_and_or_b32 v1, v1, s2, v4
	global_store_byte v[2:3], v1, off
.LBB54_1931:
	s_mov_b64 s[2:3], 0
.LBB54_1932:
	s_andn2_b64 vcc, exec, s[2:3]
	s_mov_b64 s[2:3], 0
	s_cbranch_vccnz .LBB54_1939
; %bb.1933:
	s_cmp_gt_i32 s12, 14
	s_mov_b64 s[4:5], -1
	s_cbranch_scc0 .LBB54_1937
; %bb.1934:
	s_cmp_eq_u32 s12, 15
	s_mov_b64 s[0:1], -1
	s_cbranch_scc0 .LBB54_1936
; %bb.1935:
	v_cvt_f32_i32_e32 v1, v0
	s_movk_i32 s0, 0x7fff
	v_bfe_u32 v4, v1, 16, 1
	v_add3_u32 v1, v1, v4, s0
	global_store_short_d16_hi v[2:3], v1, off
	s_mov_b64 s[0:1], 0
.LBB54_1936:
	s_mov_b64 s[4:5], 0
.LBB54_1937:
	s_and_b64 vcc, exec, s[4:5]
	s_cbranch_vccz .LBB54_1939
; %bb.1938:
	s_cmp_lg_u32 s12, 11
	s_mov_b64 s[2:3], -1
	s_cselect_b64 s[0:1], -1, 0
.LBB54_1939:
	s_and_b64 vcc, exec, s[0:1]
	s_cbranch_vccnz .LBB54_2005
.LBB54_1940:
	s_mov_b64 s[0:1], 0
	s_branch .LBB54_1942
.LBB54_1941:
	s_mov_b64 s[0:1], 0
	s_mov_b64 s[2:3], 0
                                        ; implicit-def: $sgpr24
                                        ; implicit-def: $vgpr2_vgpr3
                                        ; implicit-def: $vgpr0
.LBB54_1942:
	s_and_b64 s[4:5], s[2:3], exec
	s_andn2_b64 s[2:3], s[18:19], exec
	s_and_b64 s[8:9], s[20:21], exec
	s_and_b64 s[0:1], s[0:1], exec
	s_or_b64 s[18:19], s[2:3], s[8:9]
.LBB54_1943:
	s_or_b64 exec, exec, s[6:7]
	s_and_saveexec_b64 s[2:3], s[18:19]
	s_cbranch_execz .LBB54_1946
; %bb.1944:
	; divergent unreachable
	s_or_b64 exec, exec, s[2:3]
	s_and_saveexec_b64 s[2:3], s[4:5]
	s_xor_b64 s[2:3], exec, s[2:3]
	s_cbranch_execnz .LBB54_1947
.LBB54_1945:
	s_or_b64 exec, exec, s[2:3]
	s_and_saveexec_b64 s[2:3], s[0:1]
	s_cbranch_execnz .LBB54_1948
	s_branch .LBB54_1985
.LBB54_1946:
	s_or_b64 exec, exec, s[2:3]
	s_and_saveexec_b64 s[2:3], s[4:5]
	s_xor_b64 s[2:3], exec, s[2:3]
	s_cbranch_execz .LBB54_1945
.LBB54_1947:
	v_cmp_ne_u32_e32 vcc, 0, v0
	v_cndmask_b32_e64 v1, 0, 1, vcc
	s_waitcnt vmcnt(0)
	global_store_byte v[2:3], v1, off
	s_or_b64 exec, exec, s[2:3]
	s_and_saveexec_b64 s[2:3], s[0:1]
	s_cbranch_execz .LBB54_1985
.LBB54_1948:
	s_sext_i32_i16 s2, s24
	s_cmp_lt_i32 s2, 5
	s_mov_b64 s[0:1], -1
	s_cbranch_scc1 .LBB54_1969
; %bb.1949:
	s_cmp_lt_i32 s2, 8
	s_cbranch_scc1 .LBB54_1959
; %bb.1950:
	s_cmp_lt_i32 s2, 9
	s_cbranch_scc1 .LBB54_1956
; %bb.1951:
	s_cmp_gt_i32 s2, 9
	s_cbranch_scc0 .LBB54_1953
; %bb.1952:
	s_waitcnt vmcnt(0)
	v_cvt_f64_i32_e32 v[4:5], v0
	v_mov_b32_e32 v6, 0
	v_mov_b32_e32 v7, v6
	s_mov_b64 s[0:1], 0
	global_store_dwordx4 v[2:3], v[4:7], off
.LBB54_1953:
	s_andn2_b64 vcc, exec, s[0:1]
	s_cbranch_vccnz .LBB54_1955
; %bb.1954:
	v_cvt_f32_i32_e32 v4, v0
	s_waitcnt vmcnt(0)
	v_mov_b32_e32 v5, 0
	global_store_dwordx2 v[2:3], v[4:5], off
.LBB54_1955:
	s_mov_b64 s[0:1], 0
.LBB54_1956:
	s_andn2_b64 vcc, exec, s[0:1]
	s_cbranch_vccnz .LBB54_1958
; %bb.1957:
	v_cvt_f32_i32_e32 v1, v0
	v_cvt_f16_f32_e32 v1, v1
	s_waitcnt vmcnt(0)
	global_store_dword v[2:3], v1, off
.LBB54_1958:
	s_mov_b64 s[0:1], 0
.LBB54_1959:
	s_andn2_b64 vcc, exec, s[0:1]
	s_cbranch_vccnz .LBB54_1968
; %bb.1960:
	s_sext_i32_i16 s2, s24
	s_cmp_lt_i32 s2, 6
	s_mov_b64 s[0:1], -1
	s_cbranch_scc1 .LBB54_1966
; %bb.1961:
	s_cmp_gt_i32 s2, 6
	s_cbranch_scc0 .LBB54_1963
; %bb.1962:
	s_waitcnt vmcnt(0)
	v_cvt_f64_i32_e32 v[4:5], v0
	s_mov_b64 s[0:1], 0
	global_store_dwordx2 v[2:3], v[4:5], off
.LBB54_1963:
	s_andn2_b64 vcc, exec, s[0:1]
	s_cbranch_vccnz .LBB54_1965
; %bb.1964:
	v_cvt_f32_i32_e32 v1, v0
	s_waitcnt vmcnt(0)
	global_store_dword v[2:3], v1, off
.LBB54_1965:
	s_mov_b64 s[0:1], 0
.LBB54_1966:
	s_andn2_b64 vcc, exec, s[0:1]
	s_cbranch_vccnz .LBB54_1968
; %bb.1967:
	v_cvt_f32_i32_e32 v1, v0
	v_cvt_f16_f32_e32 v1, v1
	s_waitcnt vmcnt(0)
	global_store_short v[2:3], v1, off
.LBB54_1968:
	s_mov_b64 s[0:1], 0
.LBB54_1969:
	s_andn2_b64 vcc, exec, s[0:1]
	s_cbranch_vccnz .LBB54_1985
; %bb.1970:
	s_sext_i32_i16 s2, s24
	s_cmp_lt_i32 s2, 2
	s_mov_b64 s[0:1], -1
	s_cbranch_scc1 .LBB54_1980
; %bb.1971:
	s_cmp_lt_i32 s2, 3
	s_cbranch_scc1 .LBB54_1977
; %bb.1972:
	s_cmp_gt_i32 s2, 3
	s_cbranch_scc0 .LBB54_1974
; %bb.1973:
	v_ashrrev_i32_e32 v1, 31, v0
	s_waitcnt vmcnt(0)
	global_store_dwordx2 v[2:3], v[0:1], off
	s_mov_b64 s[0:1], 0
.LBB54_1974:
	s_andn2_b64 vcc, exec, s[0:1]
	s_cbranch_vccnz .LBB54_1976
; %bb.1975:
	s_waitcnt vmcnt(0)
	global_store_dword v[2:3], v0, off
.LBB54_1976:
	s_mov_b64 s[0:1], 0
.LBB54_1977:
	s_andn2_b64 vcc, exec, s[0:1]
	s_cbranch_vccnz .LBB54_1979
; %bb.1978:
	s_waitcnt vmcnt(0)
	global_store_short v[2:3], v0, off
.LBB54_1979:
	s_mov_b64 s[0:1], 0
.LBB54_1980:
	s_andn2_b64 vcc, exec, s[0:1]
	s_cbranch_vccnz .LBB54_1985
; %bb.1981:
	s_sext_i32_i16 s0, s24
	s_cmp_gt_i32 s0, 0
	s_mov_b64 s[0:1], -1
	s_cbranch_scc0 .LBB54_1983
; %bb.1982:
	s_waitcnt vmcnt(0)
	global_store_byte v[2:3], v0, off
	s_mov_b64 s[0:1], 0
.LBB54_1983:
	s_andn2_b64 vcc, exec, s[0:1]
	s_cbranch_vccnz .LBB54_1985
; %bb.1984:
	s_waitcnt vmcnt(0)
	global_store_byte v[2:3], v0, off
	s_endpgm
.LBB54_1985:
	s_endpgm
.LBB54_1986:
	s_mov_b64 s[2:3], 0
	s_mov_b64 s[0:1], -1
	s_branch .LBB54_1942
.LBB54_1987:
	s_trap 2
	s_or_b64 s[20:21], s[20:21], exec
	s_cbranch_execz .LBB54_1456
	s_branch .LBB54_1457
.LBB54_1988:
	s_andn2_saveexec_b64 s[22:23], s[22:23]
	s_cbranch_execz .LBB54_1536
.LBB54_1989:
	s_mov_b32 s14, 0x46000000
	v_add_f32_e64 v8, |v1|, s14
	v_and_b32_e32 v8, 0xff, v8
	v_cmp_ne_u32_e32 vcc, 0, v8
	s_andn2_b64 s[16:17], s[16:17], exec
	s_and_b64 s[26:27], vcc, exec
	s_or_b64 s[16:17], s[16:17], s[26:27]
	s_or_b64 exec, exec, s[22:23]
	v_mov_b32_e32 v9, 0
	s_and_saveexec_b64 s[22:23], s[16:17]
	s_cbranch_execnz .LBB54_1537
	s_branch .LBB54_1538
.LBB54_1990:
	s_trap 2
	s_or_b64 s[20:21], s[20:21], exec
	s_cbranch_execz .LBB54_1584
	s_branch .LBB54_1585
.LBB54_1991:
	s_andn2_saveexec_b64 s[16:17], s[16:17]
	s_cbranch_execz .LBB54_1549
.LBB54_1992:
	s_mov_b32 s14, 0x42800000
	v_add_f32_e64 v8, |v1|, s14
	v_and_b32_e32 v8, 0xff, v8
	v_cmp_ne_u32_e32 vcc, 0, v8
	s_andn2_b64 s[10:11], s[10:11], exec
	s_and_b64 s[22:23], vcc, exec
	s_or_b64 s[10:11], s[10:11], s[22:23]
	s_or_b64 exec, exec, s[16:17]
	v_mov_b32_e32 v9, 0
	s_and_saveexec_b64 s[16:17], s[10:11]
	s_cbranch_execnz .LBB54_1550
	s_branch .LBB54_1551
.LBB54_1993:
	s_andn2_saveexec_b64 s[16:17], s[16:17]
	s_cbranch_execz .LBB54_1655
.LBB54_1994:
	s_mov_b32 s23, 0x46000000
	v_add_f32_e64 v7, |v1|, s23
	v_and_b32_e32 v7, 0xff, v7
	v_cmp_ne_u32_e32 vcc, 0, v7
	s_andn2_b64 s[12:13], s[12:13], exec
	s_and_b64 s[26:27], vcc, exec
	s_or_b64 s[12:13], s[12:13], s[26:27]
	s_or_b64 exec, exec, s[16:17]
	v_mov_b32_e32 v8, 0
	s_and_saveexec_b64 s[16:17], s[12:13]
	s_cbranch_execnz .LBB54_1656
	s_branch .LBB54_1657
.LBB54_1995:
	s_trap 2
	s_or_b64 s[20:21], s[20:21], exec
	s_cbranch_execz .LBB54_1703
	s_branch .LBB54_1704
.LBB54_1996:
	s_andn2_saveexec_b64 s[12:13], s[12:13]
	s_cbranch_execz .LBB54_1668
.LBB54_1997:
	s_mov_b32 s16, 0x42800000
	v_add_f32_e64 v7, |v1|, s16
	v_and_b32_e32 v7, 0xff, v7
	v_cmp_ne_u32_e32 vcc, 0, v7
	s_andn2_b64 s[10:11], s[10:11], exec
	s_and_b64 s[16:17], vcc, exec
	s_or_b64 s[10:11], s[10:11], s[16:17]
	s_or_b64 exec, exec, s[12:13]
	v_mov_b32_e32 v8, 0
	s_and_saveexec_b64 s[12:13], s[10:11]
	s_cbranch_execnz .LBB54_1669
	s_branch .LBB54_1670
.LBB54_1998:
	s_andn2_saveexec_b64 s[16:17], s[16:17]
	s_cbranch_execz .LBB54_1774
.LBB54_1999:
	s_mov_b32 s23, 0x46000000
	v_add_f32_e64 v6, |v1|, s23
	v_and_b32_e32 v6, 0xff, v6
	v_cmp_ne_u32_e32 vcc, 0, v6
	s_andn2_b64 s[12:13], s[12:13], exec
	s_and_b64 s[26:27], vcc, exec
	s_or_b64 s[12:13], s[12:13], s[26:27]
	s_or_b64 exec, exec, s[16:17]
	v_mov_b32_e32 v7, 0
	s_and_saveexec_b64 s[16:17], s[12:13]
	s_cbranch_execnz .LBB54_1775
	s_branch .LBB54_1776
.LBB54_2000:
	s_trap 2
	s_or_b64 s[20:21], s[20:21], exec
	s_cbranch_execz .LBB54_1822
	s_branch .LBB54_1823
.LBB54_2001:
	s_andn2_saveexec_b64 s[12:13], s[12:13]
	s_cbranch_execz .LBB54_1787
.LBB54_2002:
	s_mov_b32 s16, 0x42800000
	v_add_f32_e64 v6, |v1|, s16
	v_and_b32_e32 v6, 0xff, v6
	v_cmp_ne_u32_e32 vcc, 0, v6
	s_andn2_b64 s[10:11], s[10:11], exec
	s_and_b64 s[16:17], vcc, exec
	s_or_b64 s[10:11], s[10:11], s[16:17]
	s_or_b64 exec, exec, s[12:13]
	v_mov_b32_e32 v7, 0
	s_and_saveexec_b64 s[12:13], s[10:11]
	s_cbranch_execnz .LBB54_1788
	s_branch .LBB54_1789
.LBB54_2003:
	s_andn2_saveexec_b64 s[10:11], s[10:11]
	s_cbranch_execz .LBB54_1894
.LBB54_2004:
	s_mov_b32 s13, 0x46000000
	v_add_f32_e64 v4, |v1|, s13
	v_and_b32_e32 v4, 0xff, v4
	v_cmp_ne_u32_e32 vcc, 0, v4
	s_andn2_b64 s[8:9], s[8:9], exec
	s_and_b64 s[14:15], vcc, exec
	s_or_b64 s[8:9], s[8:9], s[14:15]
	s_or_b64 exec, exec, s[10:11]
	v_mov_b32_e32 v5, 0
	s_and_saveexec_b64 s[10:11], s[8:9]
	s_cbranch_execnz .LBB54_1895
	s_branch .LBB54_1896
.LBB54_2005:
	s_mov_b64 s[2:3], 0
	s_or_b64 s[20:21], s[20:21], exec
	s_trap 2
	s_branch .LBB54_1940
.LBB54_2006:
	s_andn2_saveexec_b64 s[8:9], s[8:9]
	s_cbranch_execz .LBB54_1906
.LBB54_2007:
	s_mov_b32 s10, 0x42800000
	v_add_f32_e64 v4, |v1|, s10
	v_and_b32_e32 v4, 0xff, v4
	v_cmp_ne_u32_e32 vcc, 0, v4
	s_andn2_b64 s[4:5], s[4:5], exec
	s_and_b64 s[10:11], vcc, exec
	s_or_b64 s[4:5], s[4:5], s[10:11]
	s_or_b64 exec, exec, s[8:9]
	v_mov_b32_e32 v5, 0
	s_and_saveexec_b64 s[8:9], s[4:5]
	s_cbranch_execnz .LBB54_1907
	s_branch .LBB54_1908
	.section	.rodata,"a",@progbits
	.p2align	6, 0x0
	.amdhsa_kernel _ZN2at6native32elementwise_kernel_manual_unrollILi128ELi4EZNS0_15gpu_kernel_implINS0_13AUnaryFunctorIiiiZNS0_12_GLOBAL__N_121threshold_kernel_implIiEEvRNS_18TensorIteratorBaseET_S8_EUliiE_EEEEvS7_RKS8_EUlibE_EEviT1_
		.amdhsa_group_segment_fixed_size 0
		.amdhsa_private_segment_fixed_size 0
		.amdhsa_kernarg_size 48
		.amdhsa_user_sgpr_count 6
		.amdhsa_user_sgpr_private_segment_buffer 1
		.amdhsa_user_sgpr_dispatch_ptr 0
		.amdhsa_user_sgpr_queue_ptr 0
		.amdhsa_user_sgpr_kernarg_segment_ptr 1
		.amdhsa_user_sgpr_dispatch_id 0
		.amdhsa_user_sgpr_flat_scratch_init 0
		.amdhsa_user_sgpr_private_segment_size 0
		.amdhsa_uses_dynamic_stack 0
		.amdhsa_system_sgpr_private_segment_wavefront_offset 0
		.amdhsa_system_sgpr_workgroup_id_x 1
		.amdhsa_system_sgpr_workgroup_id_y 0
		.amdhsa_system_sgpr_workgroup_id_z 0
		.amdhsa_system_sgpr_workgroup_info 0
		.amdhsa_system_vgpr_workitem_id 0
		.amdhsa_next_free_vgpr 12
		.amdhsa_next_free_sgpr 50
		.amdhsa_reserve_vcc 1
		.amdhsa_reserve_flat_scratch 0
		.amdhsa_float_round_mode_32 0
		.amdhsa_float_round_mode_16_64 0
		.amdhsa_float_denorm_mode_32 3
		.amdhsa_float_denorm_mode_16_64 3
		.amdhsa_dx10_clamp 1
		.amdhsa_ieee_mode 1
		.amdhsa_fp16_overflow 0
		.amdhsa_exception_fp_ieee_invalid_op 0
		.amdhsa_exception_fp_denorm_src 0
		.amdhsa_exception_fp_ieee_div_zero 0
		.amdhsa_exception_fp_ieee_overflow 0
		.amdhsa_exception_fp_ieee_underflow 0
		.amdhsa_exception_fp_ieee_inexact 0
		.amdhsa_exception_int_div_zero 0
	.end_amdhsa_kernel
	.section	.text._ZN2at6native32elementwise_kernel_manual_unrollILi128ELi4EZNS0_15gpu_kernel_implINS0_13AUnaryFunctorIiiiZNS0_12_GLOBAL__N_121threshold_kernel_implIiEEvRNS_18TensorIteratorBaseET_S8_EUliiE_EEEEvS7_RKS8_EUlibE_EEviT1_,"axG",@progbits,_ZN2at6native32elementwise_kernel_manual_unrollILi128ELi4EZNS0_15gpu_kernel_implINS0_13AUnaryFunctorIiiiZNS0_12_GLOBAL__N_121threshold_kernel_implIiEEvRNS_18TensorIteratorBaseET_S8_EUliiE_EEEEvS7_RKS8_EUlibE_EEviT1_,comdat
.Lfunc_end54:
	.size	_ZN2at6native32elementwise_kernel_manual_unrollILi128ELi4EZNS0_15gpu_kernel_implINS0_13AUnaryFunctorIiiiZNS0_12_GLOBAL__N_121threshold_kernel_implIiEEvRNS_18TensorIteratorBaseET_S8_EUliiE_EEEEvS7_RKS8_EUlibE_EEviT1_, .Lfunc_end54-_ZN2at6native32elementwise_kernel_manual_unrollILi128ELi4EZNS0_15gpu_kernel_implINS0_13AUnaryFunctorIiiiZNS0_12_GLOBAL__N_121threshold_kernel_implIiEEvRNS_18TensorIteratorBaseET_S8_EUliiE_EEEEvS7_RKS8_EUlibE_EEviT1_
                                        ; -- End function
	.set _ZN2at6native32elementwise_kernel_manual_unrollILi128ELi4EZNS0_15gpu_kernel_implINS0_13AUnaryFunctorIiiiZNS0_12_GLOBAL__N_121threshold_kernel_implIiEEvRNS_18TensorIteratorBaseET_S8_EUliiE_EEEEvS7_RKS8_EUlibE_EEviT1_.num_vgpr, 12
	.set _ZN2at6native32elementwise_kernel_manual_unrollILi128ELi4EZNS0_15gpu_kernel_implINS0_13AUnaryFunctorIiiiZNS0_12_GLOBAL__N_121threshold_kernel_implIiEEvRNS_18TensorIteratorBaseET_S8_EUliiE_EEEEvS7_RKS8_EUlibE_EEviT1_.num_agpr, 0
	.set _ZN2at6native32elementwise_kernel_manual_unrollILi128ELi4EZNS0_15gpu_kernel_implINS0_13AUnaryFunctorIiiiZNS0_12_GLOBAL__N_121threshold_kernel_implIiEEvRNS_18TensorIteratorBaseET_S8_EUliiE_EEEEvS7_RKS8_EUlibE_EEviT1_.numbered_sgpr, 50
	.set _ZN2at6native32elementwise_kernel_manual_unrollILi128ELi4EZNS0_15gpu_kernel_implINS0_13AUnaryFunctorIiiiZNS0_12_GLOBAL__N_121threshold_kernel_implIiEEvRNS_18TensorIteratorBaseET_S8_EUliiE_EEEEvS7_RKS8_EUlibE_EEviT1_.num_named_barrier, 0
	.set _ZN2at6native32elementwise_kernel_manual_unrollILi128ELi4EZNS0_15gpu_kernel_implINS0_13AUnaryFunctorIiiiZNS0_12_GLOBAL__N_121threshold_kernel_implIiEEvRNS_18TensorIteratorBaseET_S8_EUliiE_EEEEvS7_RKS8_EUlibE_EEviT1_.private_seg_size, 0
	.set _ZN2at6native32elementwise_kernel_manual_unrollILi128ELi4EZNS0_15gpu_kernel_implINS0_13AUnaryFunctorIiiiZNS0_12_GLOBAL__N_121threshold_kernel_implIiEEvRNS_18TensorIteratorBaseET_S8_EUliiE_EEEEvS7_RKS8_EUlibE_EEviT1_.uses_vcc, 1
	.set _ZN2at6native32elementwise_kernel_manual_unrollILi128ELi4EZNS0_15gpu_kernel_implINS0_13AUnaryFunctorIiiiZNS0_12_GLOBAL__N_121threshold_kernel_implIiEEvRNS_18TensorIteratorBaseET_S8_EUliiE_EEEEvS7_RKS8_EUlibE_EEviT1_.uses_flat_scratch, 0
	.set _ZN2at6native32elementwise_kernel_manual_unrollILi128ELi4EZNS0_15gpu_kernel_implINS0_13AUnaryFunctorIiiiZNS0_12_GLOBAL__N_121threshold_kernel_implIiEEvRNS_18TensorIteratorBaseET_S8_EUliiE_EEEEvS7_RKS8_EUlibE_EEviT1_.has_dyn_sized_stack, 0
	.set _ZN2at6native32elementwise_kernel_manual_unrollILi128ELi4EZNS0_15gpu_kernel_implINS0_13AUnaryFunctorIiiiZNS0_12_GLOBAL__N_121threshold_kernel_implIiEEvRNS_18TensorIteratorBaseET_S8_EUliiE_EEEEvS7_RKS8_EUlibE_EEviT1_.has_recursion, 0
	.set _ZN2at6native32elementwise_kernel_manual_unrollILi128ELi4EZNS0_15gpu_kernel_implINS0_13AUnaryFunctorIiiiZNS0_12_GLOBAL__N_121threshold_kernel_implIiEEvRNS_18TensorIteratorBaseET_S8_EUliiE_EEEEvS7_RKS8_EUlibE_EEviT1_.has_indirect_call, 0
	.section	.AMDGPU.csdata,"",@progbits
; Kernel info:
; codeLenInByte = 29352
; TotalNumSgprs: 54
; NumVgprs: 12
; ScratchSize: 0
; MemoryBound: 1
; FloatMode: 240
; IeeeMode: 1
; LDSByteSize: 0 bytes/workgroup (compile time only)
; SGPRBlocks: 6
; VGPRBlocks: 2
; NumSGPRsForWavesPerEU: 54
; NumVGPRsForWavesPerEU: 12
; Occupancy: 10
; WaveLimiterHint : 0
; COMPUTE_PGM_RSRC2:SCRATCH_EN: 0
; COMPUTE_PGM_RSRC2:USER_SGPR: 6
; COMPUTE_PGM_RSRC2:TRAP_HANDLER: 0
; COMPUTE_PGM_RSRC2:TGID_X_EN: 1
; COMPUTE_PGM_RSRC2:TGID_Y_EN: 0
; COMPUTE_PGM_RSRC2:TGID_Z_EN: 0
; COMPUTE_PGM_RSRC2:TIDIG_COMP_CNT: 0
	.section	.text._ZN2at6native32elementwise_kernel_manual_unrollILi128ELi4EZNS0_15gpu_kernel_implINS0_13AUnaryFunctorIiiiZNS0_12_GLOBAL__N_121threshold_kernel_implIiEEvRNS_18TensorIteratorBaseET_S8_EUliiE_EEEEvS7_RKS8_EUlibE0_EEviT1_,"axG",@progbits,_ZN2at6native32elementwise_kernel_manual_unrollILi128ELi4EZNS0_15gpu_kernel_implINS0_13AUnaryFunctorIiiiZNS0_12_GLOBAL__N_121threshold_kernel_implIiEEvRNS_18TensorIteratorBaseET_S8_EUliiE_EEEEvS7_RKS8_EUlibE0_EEviT1_,comdat
	.globl	_ZN2at6native32elementwise_kernel_manual_unrollILi128ELi4EZNS0_15gpu_kernel_implINS0_13AUnaryFunctorIiiiZNS0_12_GLOBAL__N_121threshold_kernel_implIiEEvRNS_18TensorIteratorBaseET_S8_EUliiE_EEEEvS7_RKS8_EUlibE0_EEviT1_ ; -- Begin function _ZN2at6native32elementwise_kernel_manual_unrollILi128ELi4EZNS0_15gpu_kernel_implINS0_13AUnaryFunctorIiiiZNS0_12_GLOBAL__N_121threshold_kernel_implIiEEvRNS_18TensorIteratorBaseET_S8_EUliiE_EEEEvS7_RKS8_EUlibE0_EEviT1_
	.p2align	8
	.type	_ZN2at6native32elementwise_kernel_manual_unrollILi128ELi4EZNS0_15gpu_kernel_implINS0_13AUnaryFunctorIiiiZNS0_12_GLOBAL__N_121threshold_kernel_implIiEEvRNS_18TensorIteratorBaseET_S8_EUliiE_EEEEvS7_RKS8_EUlibE0_EEviT1_,@function
_ZN2at6native32elementwise_kernel_manual_unrollILi128ELi4EZNS0_15gpu_kernel_implINS0_13AUnaryFunctorIiiiZNS0_12_GLOBAL__N_121threshold_kernel_implIiEEvRNS_18TensorIteratorBaseET_S8_EUliiE_EEEEvS7_RKS8_EUlibE0_EEviT1_: ; @_ZN2at6native32elementwise_kernel_manual_unrollILi128ELi4EZNS0_15gpu_kernel_implINS0_13AUnaryFunctorIiiiZNS0_12_GLOBAL__N_121threshold_kernel_implIiEEvRNS_18TensorIteratorBaseET_S8_EUliiE_EEEEvS7_RKS8_EUlibE0_EEviT1_
; %bb.0:
	s_load_dword s74, s[4:5], 0x0
	s_load_dword s33, s[4:5], 0x8
	s_add_u32 s34, s4, 8
	s_addc_u32 s35, s5, 0
	v_lshl_or_b32 v8, s6, 9, v0
	v_or_b32_e32 v15, 0x180, v8
	s_waitcnt lgkmcnt(0)
	s_add_i32 s76, s33, -1
	s_cmp_gt_u32 s76, 1
	v_cmp_le_i32_e32 vcc, s74, v15
	s_cselect_b64 s[48:49], -1, 0
	s_mov_b64 s[6:7], 0
	s_mov_b64 s[28:29], 0
	s_and_saveexec_b64 s[0:1], vcc
	s_xor_b64 s[50:51], exec, s[0:1]
	s_cbranch_execz .LBB55_1070
; %bb.1:
	s_cmp_lg_u32 s33, 0
	s_cselect_b64 s[58:59], -1, 0
	s_add_u32 s56, s34, 0xc4
	s_load_dwordx4 s[36:39], s[34:35], 0x4
	s_load_dwordx2 s[52:53], s[34:35], 0x14
	s_load_dword s77, s[34:35], 0x164
	s_load_dwordx8 s[8:15], s[34:35], 0x148
	s_load_dwordx4 s[40:43], s[34:35], 0xc4
	s_addc_u32 s57, s35, 0
	s_min_u32 s79, s76, 15
	s_cmp_gt_u32 s33, 1
	s_cselect_b64 s[54:55], -1, 0
	s_waitcnt lgkmcnt(0)
	s_bfe_u32 s78, s77, 0x80008
	s_cmp_gt_i32 s14, s12
	s_cselect_b64 s[0:1], -1, 0
	v_cmp_gt_i32_e32 vcc, s74, v8
	s_mov_b64 s[2:3], -1
	s_mov_b64 s[66:67], 0
	s_mov_b64 s[60:61], 0
	;; [unrolled: 1-line block ×3, first 2 shown]
	s_and_saveexec_b64 s[62:63], vcc
	s_cbranch_execz .LBB55_262
; %bb.2:
	s_andn2_b64 vcc, exec, s[48:49]
	s_cbranch_vccnz .LBB55_7
; %bb.3:
	s_andn2_b64 vcc, exec, s[58:59]
	s_cbranch_vccnz .LBB55_8
; %bb.4:
	s_add_i32 s60, s79, 1
	s_cmp_eq_u32 s76, 2
	s_cbranch_scc1 .LBB55_9
; %bb.5:
	s_and_b32 s12, s60, 28
	v_mov_b32_e32 v2, 0
	s_mov_b32 s61, 0
	s_mov_b64 s[2:3], s[34:35]
	s_mov_b64 s[14:15], s[56:57]
	v_mov_b32_e32 v0, 0
	v_mov_b32_e32 v1, v8
.LBB55_6:                               ; =>This Inner Loop Header: Depth=1
	s_load_dwordx8 s[24:31], s[2:3], 0x4
	s_load_dwordx4 s[44:47], s[2:3], 0x24
	s_load_dwordx8 s[16:23], s[14:15], 0x0
	s_add_u32 s2, s2, 48
	s_addc_u32 s3, s3, 0
	s_waitcnt lgkmcnt(0)
	v_mul_hi_u32 v3, s25, v1
	s_add_i32 s61, s61, 4
	s_add_u32 s14, s14, 32
	s_addc_u32 s15, s15, 0
	v_add_u32_e32 v3, v1, v3
	v_lshrrev_b32_e32 v3, s26, v3
	v_mul_lo_u32 v4, v3, s24
	v_mul_hi_u32 v5, s28, v3
	s_cmp_lg_u32 s12, s61
	v_sub_u32_e32 v1, v1, v4
	v_add_u32_e32 v4, v3, v5
	v_mul_lo_u32 v5, v1, s16
	v_mul_lo_u32 v6, v1, s17
	v_lshrrev_b32_e32 v1, s29, v4
	v_mul_lo_u32 v4, v1, s27
	v_mul_hi_u32 v7, s31, v1
	v_sub_u32_e32 v3, v3, v4
	v_add_u32_e32 v4, v1, v7
	v_lshrrev_b32_e32 v4, s44, v4
	v_mul_hi_u32 v9, s46, v4
	v_mul_lo_u32 v10, v4, s30
	v_mul_lo_u32 v7, v3, s18
	v_mul_lo_u32 v3, v3, s19
	v_sub_u32_e32 v10, v1, v10
	v_add_u32_e32 v1, v4, v9
	v_lshrrev_b32_e32 v1, s47, v1
	v_mul_lo_u32 v9, v1, s45
	v_mul_lo_u32 v11, v10, s20
	;; [unrolled: 1-line block ×3, first 2 shown]
	v_add3_u32 v0, v5, v0, v7
	v_sub_u32_e32 v4, v4, v9
	v_mul_lo_u32 v9, v4, s22
	v_mul_lo_u32 v4, v4, s23
	v_add3_u32 v2, v6, v2, v3
	v_add3_u32 v0, v11, v0, v9
	;; [unrolled: 1-line block ×3, first 2 shown]
	s_cbranch_scc1 .LBB55_6
	s_branch .LBB55_10
.LBB55_7:
                                        ; implicit-def: $vgpr0
                                        ; implicit-def: $vgpr2
	s_andn2_b64 vcc, exec, s[2:3]
	s_cbranch_vccz .LBB55_14
	s_branch .LBB55_16
.LBB55_8:
	v_mov_b32_e32 v0, 0
	v_mov_b32_e32 v2, 0
	s_branch .LBB55_13
.LBB55_9:
	s_mov_b32 s12, 0
	v_mov_b32_e32 v0, 0
	v_mov_b32_e32 v2, 0
	;; [unrolled: 1-line block ×3, first 2 shown]
.LBB55_10:
	s_and_b32 s16, s60, 3
	s_cmp_eq_u32 s16, 0
	s_cbranch_scc1 .LBB55_13
; %bb.11:
	s_lshl_b32 s2, s12, 3
	s_add_u32 s2, s34, s2
	s_addc_u32 s3, s35, 0
	s_add_u32 s2, s2, 0xc4
	s_addc_u32 s3, s3, 0
	s_mul_i32 s12, s12, 12
	s_add_u32 s14, s34, s12
	s_addc_u32 s15, s35, 0
.LBB55_12:                              ; =>This Inner Loop Header: Depth=1
	s_load_dwordx2 s[18:19], s[14:15], 0x4
	s_load_dword s12, s[14:15], 0xc
	s_load_dwordx2 s[20:21], s[2:3], 0x0
	s_add_u32 s14, s14, 12
	s_addc_u32 s15, s15, 0
	s_waitcnt lgkmcnt(0)
	v_mul_hi_u32 v3, s19, v1
	s_add_u32 s2, s2, 8
	s_addc_u32 s3, s3, 0
	s_add_i32 s16, s16, -1
	v_add_u32_e32 v3, v1, v3
	v_lshrrev_b32_e32 v4, s12, v3
	v_mul_lo_u32 v3, v4, s18
	s_cmp_lg_u32 s16, 0
	v_sub_u32_e32 v3, v1, v3
	v_mad_u64_u32 v[0:1], s[18:19], v3, s20, v[0:1]
	v_mad_u64_u32 v[2:3], s[18:19], v3, s21, v[2:3]
	v_mov_b32_e32 v1, v4
	s_cbranch_scc1 .LBB55_12
.LBB55_13:
	s_cbranch_execnz .LBB55_16
.LBB55_14:
	v_mul_hi_u32 v0, s37, v8
	s_andn2_b64 vcc, exec, s[54:55]
	v_add_u32_e32 v0, v8, v0
	v_lshrrev_b32_e32 v1, s38, v0
	v_mul_lo_u32 v0, v1, s36
	v_sub_u32_e32 v2, v8, v0
	v_mul_lo_u32 v0, v2, s40
	v_mul_lo_u32 v2, v2, s41
	s_cbranch_vccnz .LBB55_16
; %bb.15:
	v_mul_hi_u32 v3, s52, v1
	v_add_u32_e32 v3, v1, v3
	v_lshrrev_b32_e32 v3, s53, v3
	v_mul_lo_u32 v3, v3, s39
	v_sub_u32_e32 v3, v1, v3
	v_mad_u64_u32 v[0:1], s[2:3], v3, s42, v[0:1]
	v_mad_u64_u32 v[2:3], s[2:3], v3, s43, v[2:3]
.LBB55_16:
	v_mov_b32_e32 v3, s11
	s_and_b32 s12, 0xffff, s78
	v_add_co_u32_e32 v1, vcc, s10, v2
	s_cmp_lt_i32 s12, 11
	v_addc_co_u32_e32 v2, vcc, 0, v3, vcc
	s_cbranch_scc1 .LBB55_23
; %bb.17:
	s_cmp_gt_i32 s12, 25
	s_cbranch_scc0 .LBB55_32
; %bb.18:
	s_cmp_gt_i32 s12, 28
	s_cbranch_scc0 .LBB55_35
	;; [unrolled: 3-line block ×4, first 2 shown]
; %bb.21:
	s_cmp_eq_u32 s12, 46
	s_mov_b64 s[14:15], 0
	s_cbranch_scc0 .LBB55_41
; %bb.22:
	global_load_dword v3, v[1:2], off
	s_mov_b64 s[2:3], -1
	s_mov_b64 s[16:17], 0
	s_waitcnt vmcnt(0)
	v_lshlrev_b32_e32 v3, 16, v3
	v_cvt_i32_f32_e32 v3, v3
	s_branch .LBB55_43
.LBB55_23:
	s_mov_b64 s[16:17], 0
                                        ; implicit-def: $vgpr3
	s_mov_b64 s[2:3], 0
	s_cbranch_execnz .LBB55_212
.LBB55_24:
	s_andn2_b64 vcc, exec, s[2:3]
	s_cbranch_vccnz .LBB55_259
.LBB55_25:
	v_mov_b32_e32 v1, s13
	s_waitcnt vmcnt(0)
	v_cndmask_b32_e64 v1, v1, v3, s[0:1]
	v_mov_b32_e32 v2, s9
	s_and_b32 s12, s77, 0xff
	v_add_co_u32_e32 v3, vcc, s8, v0
	s_cmp_lt_i32 s12, 11
	v_addc_co_u32_e32 v4, vcc, 0, v2, vcc
	s_cbranch_scc1 .LBB55_33
; %bb.26:
	s_and_b32 s22, 0xffff, s12
	s_cmp_gt_i32 s22, 25
	s_cbranch_scc0 .LBB55_36
; %bb.27:
	s_cmp_gt_i32 s22, 28
	s_cbranch_scc0 .LBB55_38
; %bb.28:
	;; [unrolled: 3-line block ×4, first 2 shown]
	s_mov_b64 s[18:19], 0
	s_mov_b64 s[2:3], -1
	s_cmp_eq_u32 s22, 46
	s_mov_b64 s[14:15], 0
	s_cbranch_scc0 .LBB55_47
; %bb.31:
	v_cvt_f32_i32_e32 v0, v1
	s_movk_i32 s2, 0x7fff
	s_mov_b64 s[14:15], -1
	v_bfe_u32 v2, v0, 16, 1
	v_add3_u32 v0, v0, v2, s2
	v_lshrrev_b32_e32 v0, 16, v0
	global_store_dword v[3:4], v0, off
	s_mov_b64 s[2:3], 0
	s_branch .LBB55_47
.LBB55_32:
	s_mov_b64 s[16:17], 0
	s_mov_b64 s[2:3], 0
                                        ; implicit-def: $vgpr3
	s_cbranch_execnz .LBB55_179
	s_branch .LBB55_211
.LBB55_33:
	s_mov_b64 s[2:3], 0
	s_mov_b64 s[14:15], 0
	s_cbranch_execnz .LBB55_116
.LBB55_34:
	s_andn2_b64 vcc, exec, s[14:15]
	s_cbranch_vccnz .LBB55_260
	s_branch .LBB55_154
.LBB55_35:
	s_mov_b64 s[14:15], -1
	s_mov_b64 s[16:17], 0
	s_mov_b64 s[2:3], 0
                                        ; implicit-def: $vgpr3
	s_branch .LBB55_162
.LBB55_36:
	s_mov_b64 s[18:19], -1
	s_mov_b64 s[2:3], 0
	s_mov_b64 s[14:15], 0
	s_branch .LBB55_74
.LBB55_37:
	s_mov_b64 s[14:15], -1
	s_mov_b64 s[16:17], 0
	s_mov_b64 s[2:3], 0
                                        ; implicit-def: $vgpr3
	s_branch .LBB55_157
.LBB55_38:
	s_mov_b64 s[18:19], -1
	s_mov_b64 s[2:3], 0
	s_mov_b64 s[14:15], 0
	s_branch .LBB55_57
.LBB55_39:
	s_mov_b64 s[14:15], -1
	s_mov_b64 s[16:17], 0
	s_branch .LBB55_42
.LBB55_40:
	s_mov_b64 s[18:19], -1
	s_mov_b64 s[2:3], 0
	s_mov_b64 s[14:15], 0
	s_branch .LBB55_53
.LBB55_41:
	s_mov_b64 s[16:17], -1
.LBB55_42:
	s_mov_b64 s[2:3], 0
                                        ; implicit-def: $vgpr3
.LBB55_43:
	s_and_b64 vcc, exec, s[14:15]
	s_cbranch_vccz .LBB55_156
; %bb.44:
	s_cmp_eq_u32 s12, 44
	s_cbranch_scc0 .LBB55_155
; %bb.45:
	global_load_ubyte v3, v[1:2], off
	s_mov_b64 s[2:3], -1
	s_mov_b64 s[16:17], 0
	s_waitcnt vmcnt(0)
	v_lshlrev_b32_e32 v4, 23, v3
	v_cvt_i32_f32_e32 v4, v4
	v_cmp_ne_u32_e32 vcc, 0, v3
	v_cndmask_b32_e32 v3, 0, v4, vcc
	s_branch .LBB55_156
.LBB55_46:
	s_mov_b64 s[18:19], -1
	s_mov_b64 s[2:3], 0
	s_mov_b64 s[14:15], 0
.LBB55_47:
	s_and_b64 vcc, exec, s[18:19]
	s_cbranch_vccz .LBB55_52
; %bb.48:
	s_cmp_eq_u32 s22, 44
	s_mov_b64 s[2:3], -1
	s_cbranch_scc0 .LBB55_52
; %bb.49:
	v_cvt_f32_i32_e32 v0, v1
	s_movk_i32 s2, 0xff
	v_mov_b32_e32 v5, 0xff
	v_bfe_u32 v2, v0, 23, 8
	v_cmp_ne_u32_e32 vcc, s2, v2
	s_and_saveexec_b64 s[14:15], vcc
; %bb.50:
	s_mov_b32 s2, 0x3fffff
	v_lshrrev_b32_e32 v5, 23, v0
	v_and_b32_e32 v6, 0x400000, v0
	v_and_or_b32 v0, v0, s2, v2
	v_cmp_ne_u32_e32 vcc, 0, v6
	v_cmp_ne_u32_e64 s[2:3], 0, v0
	s_and_b64 s[2:3], vcc, s[2:3]
	v_cndmask_b32_e64 v0, 0, 1, s[2:3]
	v_add_u32_e32 v5, v5, v0
; %bb.51:
	s_or_b64 exec, exec, s[14:15]
	s_mov_b64 s[14:15], -1
	s_mov_b64 s[2:3], 0
	global_store_byte v[3:4], v5, off
.LBB55_52:
	s_mov_b64 s[18:19], 0
.LBB55_53:
	s_and_b64 vcc, exec, s[18:19]
	s_cbranch_vccz .LBB55_56
; %bb.54:
	s_cmp_eq_u32 s22, 29
	s_mov_b64 s[2:3], -1
	s_cbranch_scc0 .LBB55_56
; %bb.55:
	v_ashrrev_i32_e32 v2, 31, v1
	global_store_dwordx2 v[3:4], v[1:2], off
	s_mov_b64 s[14:15], -1
	s_mov_b64 s[2:3], 0
.LBB55_56:
	s_mov_b64 s[18:19], 0
.LBB55_57:
	s_and_b64 vcc, exec, s[18:19]
	s_cbranch_vccz .LBB55_73
; %bb.58:
	s_cmp_lt_i32 s22, 27
	s_mov_b64 s[14:15], -1
	s_cbranch_scc1 .LBB55_64
; %bb.59:
	s_cmp_gt_i32 s22, 27
	s_cbranch_scc0 .LBB55_61
; %bb.60:
	s_mov_b64 s[14:15], 0
	global_store_dword v[3:4], v1, off
.LBB55_61:
	s_andn2_b64 vcc, exec, s[14:15]
	s_cbranch_vccnz .LBB55_63
; %bb.62:
	global_store_short v[3:4], v1, off
.LBB55_63:
	s_mov_b64 s[14:15], 0
.LBB55_64:
	s_andn2_b64 vcc, exec, s[14:15]
	s_cbranch_vccnz .LBB55_72
; %bb.65:
	v_cvt_f32_i32_e32 v0, v1
	s_mov_b32 s14, 0x43800000
	v_mov_b32_e32 v5, 0x80
	v_and_b32_e32 v2, 0x7fffffff, v0
	v_cmp_gt_u32_e32 vcc, s14, v2
	s_and_saveexec_b64 s[14:15], vcc
	s_cbranch_execz .LBB55_71
; %bb.66:
	s_mov_b32 s18, 0x3bffffff
	v_cmp_lt_u32_e32 vcc, s18, v2
	s_mov_b64 s[18:19], 0
                                        ; implicit-def: $vgpr2
	s_and_saveexec_b64 s[20:21], vcc
	s_xor_b64 s[20:21], exec, s[20:21]
	s_cbranch_execz .LBB55_303
; %bb.67:
	v_bfe_u32 v2, v0, 20, 1
	s_mov_b32 s23, 0x487ffff
	v_add3_u32 v2, v0, v2, s23
	s_mov_b64 s[18:19], exec
	v_lshrrev_b32_e32 v2, 20, v2
	s_andn2_saveexec_b64 s[20:21], s[20:21]
	s_cbranch_execnz .LBB55_304
.LBB55_68:
	s_or_b64 exec, exec, s[20:21]
	v_mov_b32_e32 v5, 0
	s_and_saveexec_b64 s[20:21], s[18:19]
.LBB55_69:
	v_lshrrev_b32_e32 v0, 24, v0
	s_movk_i32 s18, 0x80
	v_and_or_b32 v5, v0, s18, v2
.LBB55_70:
	s_or_b64 exec, exec, s[20:21]
.LBB55_71:
	s_or_b64 exec, exec, s[14:15]
	global_store_byte v[3:4], v5, off
.LBB55_72:
	s_mov_b64 s[14:15], -1
.LBB55_73:
	s_mov_b64 s[18:19], 0
.LBB55_74:
	s_and_b64 vcc, exec, s[18:19]
	s_cbranch_vccz .LBB55_115
; %bb.75:
	s_cmp_gt_i32 s22, 22
	s_mov_b64 s[18:19], -1
	s_cbranch_scc0 .LBB55_107
; %bb.76:
	s_cmp_lt_i32 s22, 24
	s_mov_b64 s[14:15], -1
	s_cbranch_scc1 .LBB55_96
; %bb.77:
	s_cmp_gt_i32 s22, 24
	s_cbranch_scc0 .LBB55_85
; %bb.78:
	v_cvt_f32_i32_e32 v0, v1
	s_mov_b32 s14, 0x47800000
	v_mov_b32_e32 v5, 0x80
	v_and_b32_e32 v2, 0x7fffffff, v0
	v_cmp_gt_u32_e32 vcc, s14, v2
	s_and_saveexec_b64 s[14:15], vcc
	s_cbranch_execz .LBB55_84
; %bb.79:
	s_mov_b32 s18, 0x37ffffff
	v_cmp_lt_u32_e32 vcc, s18, v2
	s_mov_b64 s[18:19], 0
                                        ; implicit-def: $vgpr2
	s_and_saveexec_b64 s[20:21], vcc
	s_xor_b64 s[20:21], exec, s[20:21]
	s_cbranch_execz .LBB55_307
; %bb.80:
	v_bfe_u32 v2, v0, 21, 1
	s_mov_b32 s23, 0x88fffff
	v_add3_u32 v2, v0, v2, s23
	s_mov_b64 s[18:19], exec
	v_lshrrev_b32_e32 v2, 21, v2
	s_andn2_saveexec_b64 s[20:21], s[20:21]
	s_cbranch_execnz .LBB55_308
.LBB55_81:
	s_or_b64 exec, exec, s[20:21]
	v_mov_b32_e32 v5, 0
	s_and_saveexec_b64 s[20:21], s[18:19]
.LBB55_82:
	v_lshrrev_b32_e32 v0, 24, v0
	s_movk_i32 s18, 0x80
	v_and_or_b32 v5, v0, s18, v2
.LBB55_83:
	s_or_b64 exec, exec, s[20:21]
.LBB55_84:
	s_or_b64 exec, exec, s[14:15]
	s_mov_b64 s[14:15], 0
	global_store_byte v[3:4], v5, off
.LBB55_85:
	s_and_b64 vcc, exec, s[14:15]
	s_cbranch_vccz .LBB55_95
; %bb.86:
	v_cvt_f32_i32_e32 v0, v1
	s_mov_b32 s14, 0x43f00000
                                        ; implicit-def: $vgpr2
	v_and_b32_e32 v5, 0x7fffffff, v0
	v_cmp_gt_u32_e32 vcc, s14, v5
	s_and_saveexec_b64 s[14:15], vcc
	s_xor_b64 s[14:15], exec, s[14:15]
	s_cbranch_execz .LBB55_92
; %bb.87:
	s_mov_b32 s18, 0x3c7fffff
	v_cmp_lt_u32_e32 vcc, s18, v5
                                        ; implicit-def: $vgpr2
	s_and_saveexec_b64 s[18:19], vcc
	s_xor_b64 s[18:19], exec, s[18:19]
; %bb.88:
	v_bfe_u32 v2, v0, 20, 1
	s_mov_b32 s20, 0x407ffff
	v_add3_u32 v2, v0, v2, s20
	v_lshrrev_b32_e32 v5, 20, v2
	v_and_b32_e32 v2, 0xff00000, v2
	s_mov_b32 s20, 0x7f00000
	v_mov_b32_e32 v6, 0x7e
	v_cmp_ne_u32_e32 vcc, s20, v2
	v_cndmask_b32_e32 v2, v6, v5, vcc
; %bb.89:
	s_andn2_saveexec_b64 s[18:19], s[18:19]
; %bb.90:
	s_mov_b32 s20, 0x46800000
	v_add_f32_e64 v2, |v0|, s20
; %bb.91:
	s_or_b64 exec, exec, s[18:19]
                                        ; implicit-def: $vgpr5
.LBB55_92:
	s_andn2_saveexec_b64 s[14:15], s[14:15]
; %bb.93:
	s_mov_b32 s18, 0x7f800000
	v_mov_b32_e32 v2, 0x7e
	v_mov_b32_e32 v6, 0x7f
	v_cmp_lt_u32_e32 vcc, s18, v5
	v_cndmask_b32_e32 v2, v2, v6, vcc
; %bb.94:
	s_or_b64 exec, exec, s[14:15]
	v_lshrrev_b32_e32 v0, 24, v0
	s_movk_i32 s14, 0x80
	v_and_or_b32 v0, v0, s14, v2
	global_store_byte v[3:4], v0, off
.LBB55_95:
	s_mov_b64 s[14:15], 0
.LBB55_96:
	s_andn2_b64 vcc, exec, s[14:15]
	s_cbranch_vccnz .LBB55_106
; %bb.97:
	v_cvt_f32_i32_e32 v0, v1
	s_mov_b32 s14, 0x47800000
                                        ; implicit-def: $vgpr2
	v_and_b32_e32 v5, 0x7fffffff, v0
	v_cmp_gt_u32_e32 vcc, s14, v5
	s_and_saveexec_b64 s[14:15], vcc
	s_xor_b64 s[14:15], exec, s[14:15]
	s_cbranch_execz .LBB55_103
; %bb.98:
	s_mov_b32 s18, 0x387fffff
	v_cmp_lt_u32_e32 vcc, s18, v5
                                        ; implicit-def: $vgpr2
	s_and_saveexec_b64 s[18:19], vcc
	s_xor_b64 s[18:19], exec, s[18:19]
; %bb.99:
	v_bfe_u32 v2, v0, 21, 1
	s_mov_b32 s20, 0x80fffff
	v_add3_u32 v2, v0, v2, s20
	v_lshrrev_b32_e32 v2, 21, v2
; %bb.100:
	s_andn2_saveexec_b64 s[18:19], s[18:19]
; %bb.101:
	s_mov_b32 s20, 0x43000000
	v_add_f32_e64 v2, |v0|, s20
; %bb.102:
	s_or_b64 exec, exec, s[18:19]
                                        ; implicit-def: $vgpr5
.LBB55_103:
	s_andn2_saveexec_b64 s[14:15], s[14:15]
; %bb.104:
	s_mov_b32 s18, 0x7f800000
	v_mov_b32_e32 v2, 0x7c
	v_mov_b32_e32 v6, 0x7f
	v_cmp_lt_u32_e32 vcc, s18, v5
	v_cndmask_b32_e32 v2, v2, v6, vcc
; %bb.105:
	s_or_b64 exec, exec, s[14:15]
	v_lshrrev_b32_e32 v0, 24, v0
	s_movk_i32 s14, 0x80
	v_and_or_b32 v0, v0, s14, v2
	global_store_byte v[3:4], v0, off
.LBB55_106:
	s_mov_b64 s[18:19], 0
	s_mov_b64 s[14:15], -1
.LBB55_107:
	s_andn2_b64 vcc, exec, s[18:19]
	s_cbranch_vccnz .LBB55_115
; %bb.108:
	s_cmp_gt_i32 s22, 14
	s_mov_b64 s[18:19], -1
	s_cbranch_scc0 .LBB55_112
; %bb.109:
	s_cmp_eq_u32 s22, 15
	s_mov_b64 s[2:3], -1
	s_cbranch_scc0 .LBB55_111
; %bb.110:
	v_cvt_f32_i32_e32 v0, v1
	s_movk_i32 s2, 0x7fff
	s_mov_b64 s[14:15], -1
	v_bfe_u32 v2, v0, 16, 1
	v_add3_u32 v0, v0, v2, s2
	global_store_short_d16_hi v[3:4], v0, off
	s_mov_b64 s[2:3], 0
.LBB55_111:
	s_mov_b64 s[18:19], 0
.LBB55_112:
	s_and_b64 vcc, exec, s[18:19]
	s_cbranch_vccz .LBB55_115
; %bb.113:
	s_cmp_eq_u32 s22, 11
	s_mov_b64 s[2:3], -1
	s_cbranch_scc0 .LBB55_115
; %bb.114:
	v_cmp_ne_u32_e32 vcc, 0, v1
	v_cndmask_b32_e64 v0, 0, 1, vcc
	s_mov_b64 s[14:15], -1
	s_mov_b64 s[2:3], 0
	global_store_byte v[3:4], v0, off
.LBB55_115:
	s_branch .LBB55_34
.LBB55_116:
	s_and_b32 s12, 0xffff, s12
	s_cmp_lt_i32 s12, 5
	s_mov_b64 s[14:15], -1
	s_cbranch_scc1 .LBB55_137
; %bb.117:
	s_cmp_lt_i32 s12, 8
	s_cbranch_scc1 .LBB55_127
; %bb.118:
	s_cmp_lt_i32 s12, 9
	s_cbranch_scc1 .LBB55_124
; %bb.119:
	s_cmp_gt_i32 s12, 9
	s_cbranch_scc0 .LBB55_121
; %bb.120:
	v_cvt_f64_i32_e32 v[9:10], v1
	v_mov_b32_e32 v11, 0
	v_mov_b32_e32 v12, v11
	s_mov_b64 s[14:15], 0
	global_store_dwordx4 v[3:4], v[9:12], off
.LBB55_121:
	s_andn2_b64 vcc, exec, s[14:15]
	s_cbranch_vccnz .LBB55_123
; %bb.122:
	v_cvt_f32_i32_e32 v5, v1
	v_mov_b32_e32 v6, 0
	global_store_dwordx2 v[3:4], v[5:6], off
.LBB55_123:
	s_mov_b64 s[14:15], 0
.LBB55_124:
	s_andn2_b64 vcc, exec, s[14:15]
	s_cbranch_vccnz .LBB55_126
; %bb.125:
	v_cvt_f32_i32_e32 v0, v1
	v_cvt_f16_f32_e32 v0, v0
	global_store_dword v[3:4], v0, off
.LBB55_126:
	s_mov_b64 s[14:15], 0
.LBB55_127:
	s_andn2_b64 vcc, exec, s[14:15]
	s_cbranch_vccnz .LBB55_136
; %bb.128:
	s_cmp_lt_i32 s12, 6
	s_mov_b64 s[14:15], -1
	s_cbranch_scc1 .LBB55_134
; %bb.129:
	s_cmp_gt_i32 s12, 6
	s_cbranch_scc0 .LBB55_131
; %bb.130:
	v_cvt_f64_i32_e32 v[5:6], v1
	s_mov_b64 s[14:15], 0
	global_store_dwordx2 v[3:4], v[5:6], off
.LBB55_131:
	s_andn2_b64 vcc, exec, s[14:15]
	s_cbranch_vccnz .LBB55_133
; %bb.132:
	v_cvt_f32_i32_e32 v0, v1
	global_store_dword v[3:4], v0, off
.LBB55_133:
	s_mov_b64 s[14:15], 0
.LBB55_134:
	s_andn2_b64 vcc, exec, s[14:15]
	s_cbranch_vccnz .LBB55_136
; %bb.135:
	v_cvt_f32_i32_e32 v0, v1
	v_cvt_f16_f32_e32 v0, v0
	global_store_short v[3:4], v0, off
.LBB55_136:
	s_mov_b64 s[14:15], 0
.LBB55_137:
	s_andn2_b64 vcc, exec, s[14:15]
	s_cbranch_vccnz .LBB55_153
; %bb.138:
	s_cmp_lt_i32 s12, 2
	s_mov_b64 s[14:15], -1
	s_cbranch_scc1 .LBB55_148
; %bb.139:
	s_cmp_lt_i32 s12, 3
	s_cbranch_scc1 .LBB55_145
; %bb.140:
	s_cmp_gt_i32 s12, 3
	s_cbranch_scc0 .LBB55_142
; %bb.141:
	v_ashrrev_i32_e32 v2, 31, v1
	global_store_dwordx2 v[3:4], v[1:2], off
	s_mov_b64 s[14:15], 0
.LBB55_142:
	s_andn2_b64 vcc, exec, s[14:15]
	s_cbranch_vccnz .LBB55_144
; %bb.143:
	global_store_dword v[3:4], v1, off
.LBB55_144:
	s_mov_b64 s[14:15], 0
.LBB55_145:
	s_andn2_b64 vcc, exec, s[14:15]
	s_cbranch_vccnz .LBB55_147
; %bb.146:
	global_store_short v[3:4], v1, off
.LBB55_147:
	s_mov_b64 s[14:15], 0
.LBB55_148:
	s_andn2_b64 vcc, exec, s[14:15]
	s_cbranch_vccnz .LBB55_153
; %bb.149:
	s_cmp_gt_i32 s12, 0
	s_mov_b64 s[14:15], -1
	s_cbranch_scc0 .LBB55_151
; %bb.150:
	global_store_byte v[3:4], v1, off
	s_mov_b64 s[14:15], 0
.LBB55_151:
	s_andn2_b64 vcc, exec, s[14:15]
	s_cbranch_vccnz .LBB55_153
; %bb.152:
	global_store_byte v[3:4], v1, off
.LBB55_153:
.LBB55_154:
	v_add_u32_e32 v8, 0x80, v8
	s_mov_b64 s[18:19], -1
	s_branch .LBB55_261
.LBB55_155:
	s_mov_b64 s[16:17], -1
                                        ; implicit-def: $vgpr3
.LBB55_156:
	s_mov_b64 s[14:15], 0
.LBB55_157:
	s_and_b64 vcc, exec, s[14:15]
	s_cbranch_vccz .LBB55_161
; %bb.158:
	s_cmp_eq_u32 s12, 29
	s_cbranch_scc0 .LBB55_160
; %bb.159:
	global_load_dword v3, v[1:2], off
	s_mov_b64 s[2:3], -1
	s_mov_b64 s[16:17], 0
	s_branch .LBB55_161
.LBB55_160:
	s_mov_b64 s[16:17], -1
                                        ; implicit-def: $vgpr3
.LBB55_161:
	s_mov_b64 s[14:15], 0
.LBB55_162:
	s_and_b64 vcc, exec, s[14:15]
	s_cbranch_vccz .LBB55_178
; %bb.163:
	s_cmp_lt_i32 s12, 27
	s_cbranch_scc1 .LBB55_166
; %bb.164:
	s_cmp_gt_i32 s12, 27
	s_cbranch_scc0 .LBB55_167
; %bb.165:
	global_load_dword v3, v[1:2], off
	s_mov_b64 s[2:3], 0
	s_branch .LBB55_168
.LBB55_166:
	s_mov_b64 s[2:3], -1
                                        ; implicit-def: $vgpr3
	s_branch .LBB55_171
.LBB55_167:
	s_mov_b64 s[2:3], -1
                                        ; implicit-def: $vgpr3
.LBB55_168:
	s_andn2_b64 vcc, exec, s[2:3]
	s_cbranch_vccnz .LBB55_170
; %bb.169:
	global_load_ushort v3, v[1:2], off
.LBB55_170:
	s_mov_b64 s[2:3], 0
.LBB55_171:
	s_andn2_b64 vcc, exec, s[2:3]
	s_cbranch_vccnz .LBB55_177
; %bb.172:
	global_load_ubyte v4, v[1:2], off
	s_movk_i32 s2, 0x7f
	s_mov_b64 s[14:15], 0
	s_waitcnt vmcnt(0)
	v_cmp_lt_i16_e32 vcc, s2, v4
	s_and_saveexec_b64 s[2:3], vcc
	s_xor_b64 s[2:3], exec, s[2:3]
	s_cbranch_execz .LBB55_188
; %bb.173:
	s_movk_i32 s14, 0x80
	v_cmp_ne_u16_e32 vcc, s14, v4
	s_and_b64 s[14:15], vcc, exec
	s_andn2_saveexec_b64 s[2:3], s[2:3]
	s_cbranch_execnz .LBB55_189
.LBB55_174:
	s_or_b64 exec, exec, s[2:3]
	v_mov_b32_e32 v3, 0
	s_and_saveexec_b64 s[2:3], s[14:15]
	s_cbranch_execz .LBB55_176
.LBB55_175:
	v_lshlrev_b32_e32 v3, 24, v4
	v_and_b32_e32 v4, 0xffff, v4
	v_and_b32_e32 v5, 7, v4
	v_ffbh_u32_e32 v7, v5
	v_min_u32_e32 v7, 32, v7
	v_subrev_u32_e32 v9, 28, v7
	v_bfe_u32 v6, v4, 3, 4
	v_lshlrev_b32_e32 v4, v9, v4
	v_sub_u32_e32 v7, 29, v7
	v_and_b32_e32 v4, 7, v4
	v_cmp_eq_u32_e32 vcc, 0, v6
	v_cndmask_b32_e32 v6, v6, v7, vcc
	v_cndmask_b32_e32 v4, v5, v4, vcc
	v_mov_b32_e32 v5, 0x3b800000
	v_lshlrev_b32_e32 v4, 20, v4
	v_and_b32_e32 v3, 0x80000000, v3
	v_lshl_add_u32 v5, v6, 23, v5
	v_or3_b32 v3, v3, v5, v4
	v_cvt_i32_f32_e32 v3, v3
.LBB55_176:
	s_or_b64 exec, exec, s[2:3]
.LBB55_177:
	s_mov_b64 s[2:3], -1
.LBB55_178:
	s_branch .LBB55_211
.LBB55_179:
	s_cmp_gt_i32 s12, 22
	s_cbranch_scc0 .LBB55_187
; %bb.180:
	s_cmp_lt_i32 s12, 24
	s_cbranch_scc1 .LBB55_190
; %bb.181:
	s_cmp_gt_i32 s12, 24
	s_cbranch_scc0 .LBB55_191
; %bb.182:
	global_load_ubyte v4, v[1:2], off
	s_movk_i32 s2, 0x7f
	s_mov_b64 s[14:15], 0
	s_waitcnt vmcnt(0)
	v_cmp_lt_i16_e32 vcc, s2, v4
	s_and_saveexec_b64 s[2:3], vcc
	s_xor_b64 s[2:3], exec, s[2:3]
	s_cbranch_execz .LBB55_203
; %bb.183:
	s_movk_i32 s14, 0x80
	v_cmp_ne_u16_e32 vcc, s14, v4
	s_and_b64 s[14:15], vcc, exec
	s_andn2_saveexec_b64 s[2:3], s[2:3]
	s_cbranch_execnz .LBB55_204
.LBB55_184:
	s_or_b64 exec, exec, s[2:3]
	v_mov_b32_e32 v3, 0
	s_and_saveexec_b64 s[2:3], s[14:15]
	s_cbranch_execz .LBB55_186
.LBB55_185:
	v_lshlrev_b32_e32 v3, 24, v4
	v_and_b32_e32 v4, 0xffff, v4
	v_and_b32_e32 v5, 3, v4
	v_ffbh_u32_e32 v7, v5
	v_min_u32_e32 v7, 32, v7
	v_subrev_u32_e32 v9, 29, v7
	v_bfe_u32 v6, v4, 2, 5
	v_lshlrev_b32_e32 v4, v9, v4
	v_sub_u32_e32 v7, 30, v7
	v_and_b32_e32 v4, 3, v4
	v_cmp_eq_u32_e32 vcc, 0, v6
	v_cndmask_b32_e32 v6, v6, v7, vcc
	v_cndmask_b32_e32 v4, v5, v4, vcc
	v_mov_b32_e32 v5, 0x37800000
	v_lshlrev_b32_e32 v4, 21, v4
	v_and_b32_e32 v3, 0x80000000, v3
	v_lshl_add_u32 v5, v6, 23, v5
	v_or3_b32 v3, v3, v5, v4
	v_cvt_i32_f32_e32 v3, v3
.LBB55_186:
	s_or_b64 exec, exec, s[2:3]
	s_mov_b64 s[2:3], 0
	s_branch .LBB55_192
.LBB55_187:
	s_mov_b64 s[14:15], -1
                                        ; implicit-def: $vgpr3
	s_branch .LBB55_198
.LBB55_188:
	s_andn2_saveexec_b64 s[2:3], s[2:3]
	s_cbranch_execz .LBB55_174
.LBB55_189:
	v_cmp_ne_u16_e32 vcc, 0, v4
	s_andn2_b64 s[14:15], s[14:15], exec
	s_and_b64 s[18:19], vcc, exec
	s_or_b64 s[14:15], s[14:15], s[18:19]
	s_or_b64 exec, exec, s[2:3]
	v_mov_b32_e32 v3, 0
	s_and_saveexec_b64 s[2:3], s[14:15]
	s_cbranch_execnz .LBB55_175
	s_branch .LBB55_176
.LBB55_190:
	s_mov_b64 s[2:3], -1
                                        ; implicit-def: $vgpr3
	s_branch .LBB55_195
.LBB55_191:
	s_mov_b64 s[2:3], -1
                                        ; implicit-def: $vgpr3
.LBB55_192:
	s_and_b64 vcc, exec, s[2:3]
	s_cbranch_vccz .LBB55_194
; %bb.193:
	global_load_ubyte v3, v[1:2], off
	s_mov_b32 s2, 0x7f800000
	s_waitcnt vmcnt(0)
	v_lshlrev_b32_e32 v3, 24, v3
	v_and_b32_e32 v4, 0x7f000000, v3
	v_ffbh_u32_e32 v5, v4
	v_min_u32_e32 v5, 32, v5
	v_sub_u32_e64 v5, v5, 4 clamp
	v_lshlrev_b32_e32 v7, v5, v4
	v_lshlrev_b32_e32 v5, 23, v5
	v_lshrrev_b32_e32 v7, 4, v7
	v_add_u32_e32 v6, 0x1000000, v4
	v_sub_u32_e32 v5, v7, v5
	v_ashrrev_i32_e32 v6, 8, v6
	v_add_u32_e32 v5, 0x3c000000, v5
	v_and_or_b32 v5, v6, s2, v5
	v_cmp_ne_u32_e32 vcc, 0, v4
	v_cndmask_b32_e32 v4, 0, v5, vcc
	s_brev_b32 s2, 1
	v_and_or_b32 v3, v3, s2, v4
	v_cvt_i32_f32_e32 v3, v3
.LBB55_194:
	s_mov_b64 s[2:3], 0
.LBB55_195:
	s_andn2_b64 vcc, exec, s[2:3]
	s_cbranch_vccnz .LBB55_197
; %bb.196:
	global_load_ubyte v3, v[1:2], off
	s_movk_i32 s2, 0x7f00
	s_brev_b32 s3, 16
	s_waitcnt vmcnt(0)
	v_lshlrev_b16_e32 v4, 8, v3
	v_lshlrev_b32_e32 v3, 25, v3
	v_lshrrev_b32_e32 v5, 4, v3
	v_and_or_b32 v6, v4, s2, 0.5
	v_or_b32_e32 v5, 0x70000000, v5
	v_add_f32_e32 v6, -0.5, v6
	v_mul_f32_e32 v5, 0x7800000, v5
	v_cmp_gt_u32_e32 vcc, s3, v3
	v_bfe_i32 v4, v4, 0, 16
	v_cndmask_b32_e32 v3, v5, v6, vcc
	s_brev_b32 s2, 1
	v_and_or_b32 v3, v4, s2, v3
	v_cvt_i32_f32_e32 v3, v3
.LBB55_197:
	s_mov_b64 s[14:15], 0
	s_mov_b64 s[2:3], -1
.LBB55_198:
	s_andn2_b64 vcc, exec, s[14:15]
	s_cbranch_vccnz .LBB55_211
; %bb.199:
	s_cmp_gt_i32 s12, 14
	s_cbranch_scc0 .LBB55_202
; %bb.200:
	s_cmp_eq_u32 s12, 15
	s_cbranch_scc0 .LBB55_205
; %bb.201:
	global_load_ushort v3, v[1:2], off
	s_mov_b64 s[2:3], -1
	s_mov_b64 s[16:17], 0
	s_waitcnt vmcnt(0)
	v_lshlrev_b32_e32 v3, 16, v3
	v_cvt_i32_f32_e32 v3, v3
	s_branch .LBB55_206
.LBB55_202:
	s_mov_b64 s[14:15], -1
                                        ; implicit-def: $vgpr3
	s_branch .LBB55_207
.LBB55_203:
	s_andn2_saveexec_b64 s[2:3], s[2:3]
	s_cbranch_execz .LBB55_184
.LBB55_204:
	v_cmp_ne_u16_e32 vcc, 0, v4
	s_andn2_b64 s[14:15], s[14:15], exec
	s_and_b64 s[18:19], vcc, exec
	s_or_b64 s[14:15], s[14:15], s[18:19]
	s_or_b64 exec, exec, s[2:3]
	v_mov_b32_e32 v3, 0
	s_and_saveexec_b64 s[2:3], s[14:15]
	s_cbranch_execnz .LBB55_185
	s_branch .LBB55_186
.LBB55_205:
	s_mov_b64 s[16:17], -1
                                        ; implicit-def: $vgpr3
.LBB55_206:
	s_mov_b64 s[14:15], 0
.LBB55_207:
	s_and_b64 vcc, exec, s[14:15]
	s_cbranch_vccz .LBB55_211
; %bb.208:
	s_cmp_eq_u32 s12, 11
	s_cbranch_scc0 .LBB55_210
; %bb.209:
	global_load_ubyte v3, v[1:2], off
	s_mov_b64 s[2:3], -1
	s_mov_b64 s[16:17], 0
	s_waitcnt vmcnt(0)
	v_cmp_ne_u16_e32 vcc, 0, v3
	v_cndmask_b32_e64 v3, 0, 1, vcc
	s_branch .LBB55_211
.LBB55_210:
	s_mov_b64 s[16:17], -1
                                        ; implicit-def: $vgpr3
.LBB55_211:
	s_branch .LBB55_24
.LBB55_212:
	s_cmp_lt_i32 s12, 5
	s_cbranch_scc1 .LBB55_217
; %bb.213:
	s_cmp_lt_i32 s12, 8
	s_cbranch_scc1 .LBB55_218
; %bb.214:
	;; [unrolled: 3-line block ×3, first 2 shown]
	s_cmp_gt_i32 s12, 9
	s_cbranch_scc0 .LBB55_220
; %bb.216:
	global_load_dwordx2 v[3:4], v[1:2], off
	s_mov_b64 s[2:3], 0
	s_waitcnt vmcnt(0)
	v_cvt_i32_f64_e32 v3, v[3:4]
	s_branch .LBB55_221
.LBB55_217:
                                        ; implicit-def: $vgpr3
	s_branch .LBB55_239
.LBB55_218:
	s_mov_b64 s[2:3], -1
                                        ; implicit-def: $vgpr3
	s_branch .LBB55_227
.LBB55_219:
	s_mov_b64 s[2:3], -1
                                        ; implicit-def: $vgpr3
	s_branch .LBB55_224
.LBB55_220:
	s_mov_b64 s[2:3], -1
                                        ; implicit-def: $vgpr3
.LBB55_221:
	s_andn2_b64 vcc, exec, s[2:3]
	s_cbranch_vccnz .LBB55_223
; %bb.222:
	global_load_dword v3, v[1:2], off
	s_waitcnt vmcnt(0)
	v_cvt_i32_f32_e32 v3, v3
.LBB55_223:
	s_mov_b64 s[2:3], 0
.LBB55_224:
	s_andn2_b64 vcc, exec, s[2:3]
	s_cbranch_vccnz .LBB55_226
; %bb.225:
	global_load_dword v3, v[1:2], off
	s_waitcnt vmcnt(0)
	v_cvt_f32_f16_e32 v3, v3
	v_cvt_i32_f32_e32 v3, v3
.LBB55_226:
	s_mov_b64 s[2:3], 0
.LBB55_227:
	s_andn2_b64 vcc, exec, s[2:3]
	s_cbranch_vccnz .LBB55_238
; %bb.228:
	s_cmp_lt_i32 s12, 6
	s_cbranch_scc1 .LBB55_231
; %bb.229:
	s_cmp_gt_i32 s12, 6
	s_cbranch_scc0 .LBB55_232
; %bb.230:
	global_load_dwordx2 v[3:4], v[1:2], off
	s_mov_b64 s[2:3], 0
	s_waitcnt vmcnt(0)
	v_cvt_i32_f64_e32 v3, v[3:4]
	s_branch .LBB55_233
.LBB55_231:
	s_mov_b64 s[2:3], -1
                                        ; implicit-def: $vgpr3
	s_branch .LBB55_236
.LBB55_232:
	s_mov_b64 s[2:3], -1
                                        ; implicit-def: $vgpr3
.LBB55_233:
	s_andn2_b64 vcc, exec, s[2:3]
	s_cbranch_vccnz .LBB55_235
; %bb.234:
	global_load_dword v3, v[1:2], off
	s_waitcnt vmcnt(0)
	v_cvt_i32_f32_e32 v3, v3
.LBB55_235:
	s_mov_b64 s[2:3], 0
.LBB55_236:
	s_andn2_b64 vcc, exec, s[2:3]
	s_cbranch_vccnz .LBB55_238
; %bb.237:
	global_load_ushort v3, v[1:2], off
	s_waitcnt vmcnt(0)
	v_cvt_f32_f16_e32 v3, v3
	v_cvt_i32_f32_e32 v3, v3
.LBB55_238:
	s_cbranch_execnz .LBB55_258
.LBB55_239:
	s_cmp_lt_i32 s12, 2
	s_cbranch_scc1 .LBB55_243
; %bb.240:
	s_cmp_lt_i32 s12, 3
	s_cbranch_scc1 .LBB55_244
; %bb.241:
	s_cmp_gt_i32 s12, 3
	s_cbranch_scc0 .LBB55_245
; %bb.242:
	global_load_dword v3, v[1:2], off
	s_mov_b64 s[2:3], 0
	s_branch .LBB55_246
.LBB55_243:
	s_mov_b64 s[2:3], -1
                                        ; implicit-def: $vgpr3
	s_branch .LBB55_252
.LBB55_244:
	s_mov_b64 s[2:3], -1
                                        ; implicit-def: $vgpr3
	s_branch .LBB55_249
.LBB55_245:
	s_mov_b64 s[2:3], -1
                                        ; implicit-def: $vgpr3
.LBB55_246:
	s_andn2_b64 vcc, exec, s[2:3]
	s_cbranch_vccnz .LBB55_248
; %bb.247:
	global_load_dword v3, v[1:2], off
.LBB55_248:
	s_mov_b64 s[2:3], 0
.LBB55_249:
	s_andn2_b64 vcc, exec, s[2:3]
	s_cbranch_vccnz .LBB55_251
; %bb.250:
	global_load_sshort v3, v[1:2], off
.LBB55_251:
	s_mov_b64 s[2:3], 0
.LBB55_252:
	s_andn2_b64 vcc, exec, s[2:3]
	s_cbranch_vccnz .LBB55_258
; %bb.253:
	s_cmp_gt_i32 s12, 0
	s_cbranch_scc0 .LBB55_255
; %bb.254:
	global_load_sbyte v3, v[1:2], off
	s_mov_b64 s[2:3], 0
	s_branch .LBB55_256
.LBB55_255:
	s_mov_b64 s[2:3], -1
                                        ; implicit-def: $vgpr3
.LBB55_256:
	s_andn2_b64 vcc, exec, s[2:3]
	s_cbranch_vccnz .LBB55_258
; %bb.257:
	global_load_ubyte v3, v[1:2], off
.LBB55_258:
	s_branch .LBB55_25
.LBB55_259:
	s_mov_b64 s[2:3], 0
.LBB55_260:
	s_mov_b64 s[18:19], 0
                                        ; implicit-def: $vgpr8
.LBB55_261:
	s_and_b64 s[14:15], s[2:3], exec
	s_and_b64 s[60:61], s[16:17], exec
	s_orn2_b64 s[2:3], s[18:19], exec
.LBB55_262:
	s_or_b64 exec, exec, s[62:63]
	s_mov_b64 s[18:19], 0
	s_mov_b64 s[16:17], 0
                                        ; implicit-def: $vgpr1_vgpr2
                                        ; implicit-def: $vgpr0
                                        ; implicit-def: $vgpr5
	s_and_saveexec_b64 s[62:63], s[2:3]
	s_cbranch_execz .LBB55_269
; %bb.263:
	v_cmp_gt_i32_e32 vcc, s74, v8
	s_mov_b64 s[2:3], -1
	s_mov_b64 s[64:65], s[60:61]
	s_mov_b64 s[66:67], s[14:15]
	s_and_saveexec_b64 s[68:69], vcc
	s_cbranch_execz .LBB55_534
; %bb.264:
	s_andn2_b64 vcc, exec, s[48:49]
	s_cbranch_vccnz .LBB55_272
; %bb.265:
	s_andn2_b64 vcc, exec, s[58:59]
	s_cbranch_vccnz .LBB55_273
; %bb.266:
	s_add_i32 s66, s79, 1
	s_cmp_eq_u32 s76, 2
	s_cbranch_scc1 .LBB55_274
; %bb.267:
	s_and_b32 s12, s66, 28
	v_mov_b32_e32 v2, 0
	s_mov_b32 s67, 0
	s_mov_b64 s[2:3], s[34:35]
	s_mov_b64 s[64:65], s[56:57]
	v_mov_b32_e32 v0, 0
	v_mov_b32_e32 v1, v8
.LBB55_268:                             ; =>This Inner Loop Header: Depth=1
	s_load_dwordx8 s[24:31], s[2:3], 0x4
	s_load_dwordx4 s[44:47], s[2:3], 0x24
	s_load_dwordx8 s[16:23], s[64:65], 0x0
	s_add_u32 s2, s2, 48
	s_addc_u32 s3, s3, 0
	s_waitcnt vmcnt(0) lgkmcnt(0)
	v_mul_hi_u32 v3, s25, v1
	s_add_i32 s67, s67, 4
	s_add_u32 s64, s64, 32
	s_addc_u32 s65, s65, 0
	v_add_u32_e32 v3, v1, v3
	v_lshrrev_b32_e32 v3, s26, v3
	v_mul_lo_u32 v4, v3, s24
	v_mul_hi_u32 v5, s28, v3
	s_cmp_eq_u32 s12, s67
	v_sub_u32_e32 v1, v1, v4
	v_add_u32_e32 v4, v3, v5
	v_mul_lo_u32 v5, v1, s16
	v_mul_lo_u32 v6, v1, s17
	v_lshrrev_b32_e32 v1, s29, v4
	v_mul_lo_u32 v4, v1, s27
	v_mul_hi_u32 v7, s31, v1
	v_sub_u32_e32 v3, v3, v4
	v_add_u32_e32 v4, v1, v7
	v_lshrrev_b32_e32 v4, s44, v4
	v_mul_hi_u32 v9, s46, v4
	v_mul_lo_u32 v10, v4, s30
	v_mul_lo_u32 v7, v3, s18
	v_mul_lo_u32 v3, v3, s19
	v_sub_u32_e32 v10, v1, v10
	v_add_u32_e32 v1, v4, v9
	v_lshrrev_b32_e32 v1, s47, v1
	v_mul_lo_u32 v9, v1, s45
	v_mul_lo_u32 v11, v10, s20
	;; [unrolled: 1-line block ×3, first 2 shown]
	v_add3_u32 v0, v5, v0, v7
	v_sub_u32_e32 v4, v4, v9
	v_mul_lo_u32 v9, v4, s22
	v_mul_lo_u32 v4, v4, s23
	v_add3_u32 v2, v6, v2, v3
	v_add3_u32 v0, v11, v0, v9
	;; [unrolled: 1-line block ×3, first 2 shown]
	s_cbranch_scc0 .LBB55_268
	s_branch .LBB55_275
.LBB55_269:
	s_or_b64 exec, exec, s[62:63]
	s_mov_b64 s[2:3], 0
	s_and_saveexec_b64 s[10:11], s[60:61]
	s_cbranch_execnz .LBB55_902
.LBB55_270:
	s_or_b64 exec, exec, s[10:11]
	s_and_saveexec_b64 s[10:11], s[66:67]
	s_xor_b64 s[10:11], exec, s[10:11]
	s_cbranch_execz .LBB55_903
.LBB55_271:
	global_load_ubyte v3, v[1:2], off
	s_or_b64 s[16:17], s[16:17], exec
	s_waitcnt vmcnt(0)
	v_cmp_ne_u16_e32 vcc, 0, v3
	v_cndmask_b32_e64 v5, 0, 1, vcc
	s_or_b64 exec, exec, s[10:11]
	s_and_saveexec_b64 s[10:11], s[18:19]
	s_cbranch_execz .LBB55_949
	s_branch .LBB55_904
.LBB55_272:
                                        ; implicit-def: $vgpr0
                                        ; implicit-def: $vgpr2
	s_andn2_b64 vcc, exec, s[2:3]
	s_cbranch_vccz .LBB55_279
	s_branch .LBB55_281
.LBB55_273:
	v_mov_b32_e32 v0, 0
	v_mov_b32_e32 v2, 0
	s_branch .LBB55_278
.LBB55_274:
	s_mov_b32 s12, 0
	v_mov_b32_e32 v0, 0
	v_mov_b32_e32 v2, 0
	;; [unrolled: 1-line block ×3, first 2 shown]
.LBB55_275:
	s_and_b32 s18, s66, 3
	s_cmp_eq_u32 s18, 0
	s_cbranch_scc1 .LBB55_278
; %bb.276:
	s_lshl_b32 s2, s12, 3
	s_add_u32 s2, s34, s2
	s_addc_u32 s3, s35, 0
	s_add_u32 s2, s2, 0xc4
	s_addc_u32 s3, s3, 0
	s_mul_i32 s12, s12, 12
	s_add_u32 s16, s34, s12
	s_addc_u32 s17, s35, 0
.LBB55_277:                             ; =>This Inner Loop Header: Depth=1
	s_load_dwordx2 s[20:21], s[16:17], 0x4
	s_load_dword s12, s[16:17], 0xc
	s_load_dwordx2 s[22:23], s[2:3], 0x0
	s_add_u32 s16, s16, 12
	s_addc_u32 s17, s17, 0
	s_waitcnt vmcnt(0) lgkmcnt(0)
	v_mul_hi_u32 v3, s21, v1
	s_add_u32 s2, s2, 8
	s_addc_u32 s3, s3, 0
	s_add_i32 s18, s18, -1
	v_add_u32_e32 v3, v1, v3
	v_lshrrev_b32_e32 v4, s12, v3
	v_mul_lo_u32 v3, v4, s20
	s_cmp_lg_u32 s18, 0
	v_sub_u32_e32 v3, v1, v3
	v_mad_u64_u32 v[0:1], s[20:21], v3, s22, v[0:1]
	v_mad_u64_u32 v[2:3], s[20:21], v3, s23, v[2:3]
	v_mov_b32_e32 v1, v4
	s_cbranch_scc1 .LBB55_277
.LBB55_278:
	s_cbranch_execnz .LBB55_281
.LBB55_279:
	v_mul_hi_u32 v0, s37, v8
	s_andn2_b64 vcc, exec, s[54:55]
	v_add_u32_e32 v0, v8, v0
	v_lshrrev_b32_e32 v1, s38, v0
	v_mul_lo_u32 v0, v1, s36
	v_sub_u32_e32 v2, v8, v0
	v_mul_lo_u32 v0, v2, s40
	v_mul_lo_u32 v2, v2, s41
	s_cbranch_vccnz .LBB55_281
; %bb.280:
	s_waitcnt vmcnt(0)
	v_mul_hi_u32 v3, s52, v1
	v_add_u32_e32 v3, v1, v3
	v_lshrrev_b32_e32 v3, s53, v3
	v_mul_lo_u32 v3, v3, s39
	v_sub_u32_e32 v3, v1, v3
	v_mad_u64_u32 v[0:1], s[2:3], v3, s42, v[0:1]
	v_mad_u64_u32 v[2:3], s[2:3], v3, s43, v[2:3]
.LBB55_281:
	s_waitcnt vmcnt(0)
	v_mov_b32_e32 v3, s11
	s_and_b32 s12, 0xffff, s78
	v_add_co_u32_e32 v1, vcc, s10, v2
	s_cmp_lt_i32 s12, 11
	v_addc_co_u32_e32 v2, vcc, 0, v3, vcc
	s_cbranch_scc1 .LBB55_288
; %bb.282:
	s_cmp_gt_i32 s12, 25
	s_cbranch_scc0 .LBB55_297
; %bb.283:
	s_cmp_gt_i32 s12, 28
	s_cbranch_scc0 .LBB55_299
	;; [unrolled: 3-line block ×4, first 2 shown]
; %bb.286:
	s_cmp_eq_u32 s12, 46
	s_mov_b64 s[18:19], 0
	s_cbranch_scc0 .LBB55_309
; %bb.287:
	global_load_dword v3, v[1:2], off
	s_mov_b64 s[2:3], -1
	s_mov_b64 s[16:17], 0
	s_waitcnt vmcnt(0)
	v_lshlrev_b32_e32 v3, 16, v3
	v_cvt_i32_f32_e32 v3, v3
	s_branch .LBB55_310
.LBB55_288:
	s_mov_b64 s[2:3], 0
                                        ; implicit-def: $vgpr3
	s_mov_b64 s[16:17], s[60:61]
	s_cbranch_execnz .LBB55_483
.LBB55_289:
	s_andn2_b64 vcc, exec, s[2:3]
	s_cbranch_vccnz .LBB55_531
.LBB55_290:
	v_mov_b32_e32 v1, s13
	s_waitcnt vmcnt(0)
	v_cndmask_b32_e64 v1, v1, v3, s[0:1]
	v_mov_b32_e32 v2, s9
	s_and_b32 s12, s77, 0xff
	v_add_co_u32_e32 v3, vcc, s8, v0
	s_cmp_lt_i32 s12, 11
	v_addc_co_u32_e32 v4, vcc, 0, v2, vcc
	s_cbranch_scc1 .LBB55_298
; %bb.291:
	s_and_b32 s24, 0xffff, s12
	s_cmp_gt_i32 s24, 25
	s_cbranch_scc0 .LBB55_300
; %bb.292:
	s_cmp_gt_i32 s24, 28
	s_cbranch_scc0 .LBB55_302
; %bb.293:
	;; [unrolled: 3-line block ×4, first 2 shown]
	s_mov_b64 s[20:21], 0
	s_mov_b64 s[2:3], -1
	s_cmp_eq_u32 s24, 46
	s_mov_b64 s[18:19], 0
	s_cbranch_scc0 .LBB55_314
; %bb.296:
	v_cvt_f32_i32_e32 v0, v1
	s_movk_i32 s2, 0x7fff
	s_mov_b64 s[18:19], -1
	v_bfe_u32 v2, v0, 16, 1
	v_add3_u32 v0, v0, v2, s2
	v_lshrrev_b32_e32 v0, 16, v0
	global_store_dword v[3:4], v0, off
	s_mov_b64 s[2:3], 0
	s_branch .LBB55_314
.LBB55_297:
	s_mov_b64 s[18:19], -1
	s_mov_b64 s[2:3], 0
	s_mov_b64 s[16:17], s[60:61]
                                        ; implicit-def: $vgpr3
	s_branch .LBB55_449
.LBB55_298:
	s_mov_b64 s[20:21], -1
	s_mov_b64 s[18:19], 0
	s_mov_b64 s[2:3], s[14:15]
	s_branch .LBB55_383
.LBB55_299:
	s_mov_b64 s[18:19], -1
	s_mov_b64 s[2:3], 0
	s_mov_b64 s[16:17], s[60:61]
                                        ; implicit-def: $vgpr3
	s_branch .LBB55_432
.LBB55_300:
	s_mov_b64 s[20:21], -1
	s_mov_b64 s[18:19], 0
	s_mov_b64 s[2:3], s[14:15]
	s_branch .LBB55_341
.LBB55_301:
	s_mov_b64 s[18:19], -1
	s_mov_b64 s[2:3], 0
	s_mov_b64 s[16:17], s[60:61]
                                        ; implicit-def: $vgpr3
	s_branch .LBB55_427
.LBB55_302:
	s_mov_b64 s[20:21], -1
	s_mov_b64 s[18:19], 0
	s_mov_b64 s[2:3], s[14:15]
	s_branch .LBB55_324
.LBB55_303:
	s_andn2_saveexec_b64 s[20:21], s[20:21]
	s_cbranch_execz .LBB55_68
.LBB55_304:
	s_mov_b32 s23, 0x46000000
	v_add_f32_e64 v2, |v0|, s23
	v_and_b32_e32 v2, 0xff, v2
	v_cmp_ne_u32_e32 vcc, 0, v2
	s_andn2_b64 s[18:19], s[18:19], exec
	s_and_b64 s[24:25], vcc, exec
	s_or_b64 s[18:19], s[18:19], s[24:25]
	s_or_b64 exec, exec, s[20:21]
	v_mov_b32_e32 v5, 0
	s_and_saveexec_b64 s[20:21], s[18:19]
	s_cbranch_execnz .LBB55_69
	s_branch .LBB55_70
.LBB55_305:
	s_mov_b64 s[18:19], -1
	s_mov_b64 s[2:3], 0
	s_mov_b64 s[16:17], s[60:61]
                                        ; implicit-def: $vgpr3
	s_branch .LBB55_310
.LBB55_306:
	s_mov_b64 s[20:21], -1
	s_mov_b64 s[18:19], 0
	s_mov_b64 s[2:3], s[14:15]
	s_branch .LBB55_320
.LBB55_307:
	s_andn2_saveexec_b64 s[20:21], s[20:21]
	s_cbranch_execz .LBB55_81
.LBB55_308:
	s_mov_b32 s23, 0x42800000
	v_add_f32_e64 v2, |v0|, s23
	v_and_b32_e32 v2, 0xff, v2
	v_cmp_ne_u32_e32 vcc, 0, v2
	s_andn2_b64 s[18:19], s[18:19], exec
	s_and_b64 s[24:25], vcc, exec
	s_or_b64 s[18:19], s[18:19], s[24:25]
	s_or_b64 exec, exec, s[20:21]
	v_mov_b32_e32 v5, 0
	s_and_saveexec_b64 s[20:21], s[18:19]
	s_cbranch_execnz .LBB55_82
	s_branch .LBB55_83
.LBB55_309:
	s_mov_b64 s[16:17], -1
                                        ; implicit-def: $vgpr3
	s_mov_b64 s[2:3], 0
.LBB55_310:
	s_and_b64 vcc, exec, s[18:19]
	s_cbranch_vccz .LBB55_426
; %bb.311:
	s_cmp_eq_u32 s12, 44
	s_cbranch_scc0 .LBB55_425
; %bb.312:
	global_load_ubyte v3, v[1:2], off
	s_mov_b64 s[2:3], -1
	s_mov_b64 s[16:17], 0
	s_waitcnt vmcnt(0)
	v_lshlrev_b32_e32 v4, 23, v3
	v_cvt_i32_f32_e32 v4, v4
	v_cmp_ne_u32_e32 vcc, 0, v3
	v_cndmask_b32_e32 v3, 0, v4, vcc
	s_branch .LBB55_426
.LBB55_313:
	s_mov_b64 s[20:21], -1
	s_mov_b64 s[18:19], 0
	s_mov_b64 s[2:3], s[14:15]
.LBB55_314:
	s_and_b64 vcc, exec, s[20:21]
	s_cbranch_vccz .LBB55_319
; %bb.315:
	s_cmp_eq_u32 s24, 44
	s_mov_b64 s[2:3], -1
	s_cbranch_scc0 .LBB55_319
; %bb.316:
	v_cvt_f32_i32_e32 v0, v1
	s_movk_i32 s2, 0xff
	v_mov_b32_e32 v5, 0xff
	v_bfe_u32 v2, v0, 23, 8
	v_cmp_ne_u32_e32 vcc, s2, v2
	s_and_saveexec_b64 s[18:19], vcc
; %bb.317:
	s_mov_b32 s2, 0x3fffff
	v_lshrrev_b32_e32 v5, 23, v0
	v_and_b32_e32 v6, 0x400000, v0
	v_and_or_b32 v0, v0, s2, v2
	v_cmp_ne_u32_e32 vcc, 0, v6
	v_cmp_ne_u32_e64 s[2:3], 0, v0
	s_and_b64 s[2:3], vcc, s[2:3]
	v_cndmask_b32_e64 v0, 0, 1, s[2:3]
	v_add_u32_e32 v5, v5, v0
; %bb.318:
	s_or_b64 exec, exec, s[18:19]
	s_mov_b64 s[18:19], -1
	s_mov_b64 s[2:3], 0
	global_store_byte v[3:4], v5, off
.LBB55_319:
	s_mov_b64 s[20:21], 0
.LBB55_320:
	s_and_b64 vcc, exec, s[20:21]
	s_cbranch_vccz .LBB55_323
; %bb.321:
	s_cmp_eq_u32 s24, 29
	s_mov_b64 s[2:3], -1
	s_cbranch_scc0 .LBB55_323
; %bb.322:
	v_ashrrev_i32_e32 v2, 31, v1
	global_store_dwordx2 v[3:4], v[1:2], off
	s_mov_b64 s[18:19], -1
	s_mov_b64 s[2:3], 0
.LBB55_323:
	s_mov_b64 s[20:21], 0
.LBB55_324:
	s_and_b64 vcc, exec, s[20:21]
	s_cbranch_vccz .LBB55_340
; %bb.325:
	s_cmp_lt_i32 s24, 27
	s_mov_b64 s[18:19], -1
	s_cbranch_scc1 .LBB55_331
; %bb.326:
	s_cmp_gt_i32 s24, 27
	s_cbranch_scc0 .LBB55_328
; %bb.327:
	s_mov_b64 s[18:19], 0
	global_store_dword v[3:4], v1, off
.LBB55_328:
	s_andn2_b64 vcc, exec, s[18:19]
	s_cbranch_vccnz .LBB55_330
; %bb.329:
	global_store_short v[3:4], v1, off
.LBB55_330:
	s_mov_b64 s[18:19], 0
.LBB55_331:
	s_andn2_b64 vcc, exec, s[18:19]
	s_cbranch_vccnz .LBB55_339
; %bb.332:
	v_cvt_f32_i32_e32 v0, v1
	s_mov_b32 s18, 0x43800000
	v_mov_b32_e32 v5, 0x80
	v_and_b32_e32 v2, 0x7fffffff, v0
	v_cmp_gt_u32_e32 vcc, s18, v2
	s_and_saveexec_b64 s[18:19], vcc
	s_cbranch_execz .LBB55_338
; %bb.333:
	s_mov_b32 s20, 0x3bffffff
	v_cmp_lt_u32_e32 vcc, s20, v2
	s_mov_b64 s[20:21], 0
                                        ; implicit-def: $vgpr2
	s_and_saveexec_b64 s[22:23], vcc
	s_xor_b64 s[22:23], exec, s[22:23]
	s_cbranch_execz .LBB55_562
; %bb.334:
	v_bfe_u32 v2, v0, 20, 1
	s_mov_b32 s25, 0x487ffff
	v_add3_u32 v2, v0, v2, s25
	s_mov_b64 s[20:21], exec
	v_lshrrev_b32_e32 v2, 20, v2
	s_andn2_saveexec_b64 s[22:23], s[22:23]
	s_cbranch_execnz .LBB55_563
.LBB55_335:
	s_or_b64 exec, exec, s[22:23]
	v_mov_b32_e32 v5, 0
	s_and_saveexec_b64 s[22:23], s[20:21]
.LBB55_336:
	v_lshrrev_b32_e32 v0, 24, v0
	s_movk_i32 s20, 0x80
	v_and_or_b32 v5, v0, s20, v2
.LBB55_337:
	s_or_b64 exec, exec, s[22:23]
.LBB55_338:
	s_or_b64 exec, exec, s[18:19]
	global_store_byte v[3:4], v5, off
.LBB55_339:
	s_mov_b64 s[18:19], -1
.LBB55_340:
	s_mov_b64 s[20:21], 0
.LBB55_341:
	s_and_b64 vcc, exec, s[20:21]
	s_cbranch_vccz .LBB55_382
; %bb.342:
	s_cmp_gt_i32 s24, 22
	s_mov_b64 s[20:21], -1
	s_cbranch_scc0 .LBB55_374
; %bb.343:
	s_cmp_lt_i32 s24, 24
	s_mov_b64 s[18:19], -1
	s_cbranch_scc1 .LBB55_363
; %bb.344:
	s_cmp_gt_i32 s24, 24
	s_cbranch_scc0 .LBB55_352
; %bb.345:
	v_cvt_f32_i32_e32 v0, v1
	s_mov_b32 s18, 0x47800000
	v_mov_b32_e32 v5, 0x80
	v_and_b32_e32 v2, 0x7fffffff, v0
	v_cmp_gt_u32_e32 vcc, s18, v2
	s_and_saveexec_b64 s[18:19], vcc
	s_cbranch_execz .LBB55_351
; %bb.346:
	s_mov_b32 s20, 0x37ffffff
	v_cmp_lt_u32_e32 vcc, s20, v2
	s_mov_b64 s[20:21], 0
                                        ; implicit-def: $vgpr2
	s_and_saveexec_b64 s[22:23], vcc
	s_xor_b64 s[22:23], exec, s[22:23]
	s_cbranch_execz .LBB55_565
; %bb.347:
	v_bfe_u32 v2, v0, 21, 1
	s_mov_b32 s25, 0x88fffff
	v_add3_u32 v2, v0, v2, s25
	s_mov_b64 s[20:21], exec
	v_lshrrev_b32_e32 v2, 21, v2
	s_andn2_saveexec_b64 s[22:23], s[22:23]
	s_cbranch_execnz .LBB55_566
.LBB55_348:
	s_or_b64 exec, exec, s[22:23]
	v_mov_b32_e32 v5, 0
	s_and_saveexec_b64 s[22:23], s[20:21]
.LBB55_349:
	v_lshrrev_b32_e32 v0, 24, v0
	s_movk_i32 s20, 0x80
	v_and_or_b32 v5, v0, s20, v2
.LBB55_350:
	s_or_b64 exec, exec, s[22:23]
.LBB55_351:
	s_or_b64 exec, exec, s[18:19]
	s_mov_b64 s[18:19], 0
	global_store_byte v[3:4], v5, off
.LBB55_352:
	s_and_b64 vcc, exec, s[18:19]
	s_cbranch_vccz .LBB55_362
; %bb.353:
	v_cvt_f32_i32_e32 v0, v1
	s_mov_b32 s18, 0x43f00000
                                        ; implicit-def: $vgpr2
	v_and_b32_e32 v5, 0x7fffffff, v0
	v_cmp_gt_u32_e32 vcc, s18, v5
	s_and_saveexec_b64 s[18:19], vcc
	s_xor_b64 s[18:19], exec, s[18:19]
	s_cbranch_execz .LBB55_359
; %bb.354:
	s_mov_b32 s20, 0x3c7fffff
	v_cmp_lt_u32_e32 vcc, s20, v5
                                        ; implicit-def: $vgpr2
	s_and_saveexec_b64 s[20:21], vcc
	s_xor_b64 s[20:21], exec, s[20:21]
; %bb.355:
	v_bfe_u32 v2, v0, 20, 1
	s_mov_b32 s22, 0x407ffff
	v_add3_u32 v2, v0, v2, s22
	v_lshrrev_b32_e32 v5, 20, v2
	v_and_b32_e32 v2, 0xff00000, v2
	s_mov_b32 s22, 0x7f00000
	v_mov_b32_e32 v6, 0x7e
	v_cmp_ne_u32_e32 vcc, s22, v2
	v_cndmask_b32_e32 v2, v6, v5, vcc
; %bb.356:
	s_andn2_saveexec_b64 s[20:21], s[20:21]
; %bb.357:
	s_mov_b32 s22, 0x46800000
	v_add_f32_e64 v2, |v0|, s22
; %bb.358:
	s_or_b64 exec, exec, s[20:21]
                                        ; implicit-def: $vgpr5
.LBB55_359:
	s_andn2_saveexec_b64 s[18:19], s[18:19]
; %bb.360:
	s_mov_b32 s20, 0x7f800000
	v_mov_b32_e32 v2, 0x7e
	v_mov_b32_e32 v6, 0x7f
	v_cmp_lt_u32_e32 vcc, s20, v5
	v_cndmask_b32_e32 v2, v2, v6, vcc
; %bb.361:
	s_or_b64 exec, exec, s[18:19]
	v_lshrrev_b32_e32 v0, 24, v0
	s_movk_i32 s18, 0x80
	v_and_or_b32 v0, v0, s18, v2
	global_store_byte v[3:4], v0, off
.LBB55_362:
	s_mov_b64 s[18:19], 0
.LBB55_363:
	s_andn2_b64 vcc, exec, s[18:19]
	s_cbranch_vccnz .LBB55_373
; %bb.364:
	v_cvt_f32_i32_e32 v0, v1
	s_mov_b32 s18, 0x47800000
                                        ; implicit-def: $vgpr2
	v_and_b32_e32 v5, 0x7fffffff, v0
	v_cmp_gt_u32_e32 vcc, s18, v5
	s_and_saveexec_b64 s[18:19], vcc
	s_xor_b64 s[18:19], exec, s[18:19]
	s_cbranch_execz .LBB55_370
; %bb.365:
	s_mov_b32 s20, 0x387fffff
	v_cmp_lt_u32_e32 vcc, s20, v5
                                        ; implicit-def: $vgpr2
	s_and_saveexec_b64 s[20:21], vcc
	s_xor_b64 s[20:21], exec, s[20:21]
; %bb.366:
	v_bfe_u32 v2, v0, 21, 1
	s_mov_b32 s22, 0x80fffff
	v_add3_u32 v2, v0, v2, s22
	v_lshrrev_b32_e32 v2, 21, v2
; %bb.367:
	s_andn2_saveexec_b64 s[20:21], s[20:21]
; %bb.368:
	s_mov_b32 s22, 0x43000000
	v_add_f32_e64 v2, |v0|, s22
; %bb.369:
	s_or_b64 exec, exec, s[20:21]
                                        ; implicit-def: $vgpr5
.LBB55_370:
	s_andn2_saveexec_b64 s[18:19], s[18:19]
; %bb.371:
	s_mov_b32 s20, 0x7f800000
	v_mov_b32_e32 v2, 0x7c
	v_mov_b32_e32 v6, 0x7f
	v_cmp_lt_u32_e32 vcc, s20, v5
	v_cndmask_b32_e32 v2, v2, v6, vcc
; %bb.372:
	s_or_b64 exec, exec, s[18:19]
	v_lshrrev_b32_e32 v0, 24, v0
	s_movk_i32 s18, 0x80
	v_and_or_b32 v0, v0, s18, v2
	global_store_byte v[3:4], v0, off
.LBB55_373:
	s_mov_b64 s[20:21], 0
	s_mov_b64 s[18:19], -1
.LBB55_374:
	s_andn2_b64 vcc, exec, s[20:21]
	s_cbranch_vccnz .LBB55_382
; %bb.375:
	s_cmp_gt_i32 s24, 14
	s_mov_b64 s[20:21], -1
	s_cbranch_scc0 .LBB55_379
; %bb.376:
	s_cmp_eq_u32 s24, 15
	s_mov_b64 s[2:3], -1
	s_cbranch_scc0 .LBB55_378
; %bb.377:
	v_cvt_f32_i32_e32 v0, v1
	s_movk_i32 s2, 0x7fff
	s_mov_b64 s[18:19], -1
	v_bfe_u32 v2, v0, 16, 1
	v_add3_u32 v0, v0, v2, s2
	global_store_short_d16_hi v[3:4], v0, off
	s_mov_b64 s[2:3], 0
.LBB55_378:
	s_mov_b64 s[20:21], 0
.LBB55_379:
	s_and_b64 vcc, exec, s[20:21]
	s_cbranch_vccz .LBB55_382
; %bb.380:
	s_cmp_eq_u32 s24, 11
	s_mov_b64 s[2:3], -1
	s_cbranch_scc0 .LBB55_382
; %bb.381:
	v_cmp_ne_u32_e32 vcc, 0, v1
	v_cndmask_b32_e64 v0, 0, 1, vcc
	s_mov_b64 s[18:19], -1
	s_mov_b64 s[2:3], 0
	global_store_byte v[3:4], v0, off
.LBB55_382:
	s_mov_b64 s[20:21], 0
.LBB55_383:
	s_and_b64 vcc, exec, s[20:21]
	s_cbranch_vccz .LBB55_422
; %bb.384:
	s_and_b32 s12, 0xffff, s12
	s_cmp_lt_i32 s12, 5
	s_mov_b64 s[18:19], -1
	s_cbranch_scc1 .LBB55_405
; %bb.385:
	s_cmp_lt_i32 s12, 8
	s_cbranch_scc1 .LBB55_395
; %bb.386:
	s_cmp_lt_i32 s12, 9
	s_cbranch_scc1 .LBB55_392
; %bb.387:
	s_cmp_gt_i32 s12, 9
	s_cbranch_scc0 .LBB55_389
; %bb.388:
	v_cvt_f64_i32_e32 v[9:10], v1
	v_mov_b32_e32 v11, 0
	v_mov_b32_e32 v12, v11
	s_mov_b64 s[18:19], 0
	global_store_dwordx4 v[3:4], v[9:12], off
.LBB55_389:
	s_andn2_b64 vcc, exec, s[18:19]
	s_cbranch_vccnz .LBB55_391
; %bb.390:
	v_cvt_f32_i32_e32 v5, v1
	v_mov_b32_e32 v6, 0
	global_store_dwordx2 v[3:4], v[5:6], off
.LBB55_391:
	s_mov_b64 s[18:19], 0
.LBB55_392:
	s_andn2_b64 vcc, exec, s[18:19]
	s_cbranch_vccnz .LBB55_394
; %bb.393:
	v_cvt_f32_i32_e32 v0, v1
	v_cvt_f16_f32_e32 v0, v0
	global_store_dword v[3:4], v0, off
.LBB55_394:
	s_mov_b64 s[18:19], 0
.LBB55_395:
	s_andn2_b64 vcc, exec, s[18:19]
	s_cbranch_vccnz .LBB55_404
; %bb.396:
	s_cmp_lt_i32 s12, 6
	s_mov_b64 s[18:19], -1
	s_cbranch_scc1 .LBB55_402
; %bb.397:
	s_cmp_gt_i32 s12, 6
	s_cbranch_scc0 .LBB55_399
; %bb.398:
	v_cvt_f64_i32_e32 v[5:6], v1
	s_mov_b64 s[18:19], 0
	global_store_dwordx2 v[3:4], v[5:6], off
.LBB55_399:
	s_andn2_b64 vcc, exec, s[18:19]
	s_cbranch_vccnz .LBB55_401
; %bb.400:
	v_cvt_f32_i32_e32 v0, v1
	global_store_dword v[3:4], v0, off
.LBB55_401:
	s_mov_b64 s[18:19], 0
.LBB55_402:
	s_andn2_b64 vcc, exec, s[18:19]
	s_cbranch_vccnz .LBB55_404
; %bb.403:
	v_cvt_f32_i32_e32 v0, v1
	v_cvt_f16_f32_e32 v0, v0
	global_store_short v[3:4], v0, off
.LBB55_404:
	s_mov_b64 s[18:19], 0
.LBB55_405:
	s_andn2_b64 vcc, exec, s[18:19]
	s_cbranch_vccnz .LBB55_421
; %bb.406:
	s_cmp_lt_i32 s12, 2
	s_mov_b64 s[18:19], -1
	s_cbranch_scc1 .LBB55_416
; %bb.407:
	s_cmp_lt_i32 s12, 3
	s_cbranch_scc1 .LBB55_413
; %bb.408:
	s_cmp_gt_i32 s12, 3
	s_cbranch_scc0 .LBB55_410
; %bb.409:
	v_ashrrev_i32_e32 v2, 31, v1
	s_mov_b64 s[18:19], 0
	global_store_dwordx2 v[3:4], v[1:2], off
.LBB55_410:
	s_andn2_b64 vcc, exec, s[18:19]
	s_cbranch_vccnz .LBB55_412
; %bb.411:
	global_store_dword v[3:4], v1, off
.LBB55_412:
	s_mov_b64 s[18:19], 0
.LBB55_413:
	s_andn2_b64 vcc, exec, s[18:19]
	s_cbranch_vccnz .LBB55_415
; %bb.414:
	global_store_short v[3:4], v1, off
.LBB55_415:
	s_mov_b64 s[18:19], 0
.LBB55_416:
	s_andn2_b64 vcc, exec, s[18:19]
	s_cbranch_vccnz .LBB55_421
; %bb.417:
	s_cmp_gt_i32 s12, 0
	s_mov_b64 s[18:19], -1
	s_cbranch_scc0 .LBB55_419
; %bb.418:
	s_mov_b64 s[18:19], 0
	global_store_byte v[3:4], v1, off
.LBB55_419:
	s_andn2_b64 vcc, exec, s[18:19]
	s_cbranch_vccnz .LBB55_421
; %bb.420:
	global_store_byte v[3:4], v1, off
.LBB55_421:
	s_mov_b64 s[18:19], -1
.LBB55_422:
	s_andn2_b64 vcc, exec, s[18:19]
	s_cbranch_vccnz .LBB55_424
; %bb.423:
	v_add_u32_e32 v8, 0x80, v8
	s_mov_b64 s[18:19], -1
	s_branch .LBB55_533
.LBB55_424:
	s_mov_b64 s[18:19], 0
	s_branch .LBB55_532
.LBB55_425:
	s_mov_b64 s[16:17], -1
                                        ; implicit-def: $vgpr3
.LBB55_426:
	s_mov_b64 s[18:19], 0
.LBB55_427:
	s_and_b64 vcc, exec, s[18:19]
	s_cbranch_vccz .LBB55_431
; %bb.428:
	s_cmp_eq_u32 s12, 29
	s_cbranch_scc0 .LBB55_430
; %bb.429:
	global_load_dword v3, v[1:2], off
	s_mov_b64 s[2:3], -1
	s_mov_b64 s[16:17], 0
	s_branch .LBB55_431
.LBB55_430:
	s_mov_b64 s[16:17], -1
                                        ; implicit-def: $vgpr3
.LBB55_431:
	s_mov_b64 s[18:19], 0
.LBB55_432:
	s_and_b64 vcc, exec, s[18:19]
	s_cbranch_vccz .LBB55_448
; %bb.433:
	s_cmp_lt_i32 s12, 27
	s_cbranch_scc1 .LBB55_436
; %bb.434:
	s_cmp_gt_i32 s12, 27
	s_cbranch_scc0 .LBB55_437
; %bb.435:
	global_load_dword v3, v[1:2], off
	s_mov_b64 s[2:3], 0
	s_branch .LBB55_438
.LBB55_436:
	s_mov_b64 s[2:3], -1
                                        ; implicit-def: $vgpr3
	s_branch .LBB55_441
.LBB55_437:
	s_mov_b64 s[2:3], -1
                                        ; implicit-def: $vgpr3
.LBB55_438:
	s_andn2_b64 vcc, exec, s[2:3]
	s_cbranch_vccnz .LBB55_440
; %bb.439:
	global_load_ushort v3, v[1:2], off
.LBB55_440:
	s_mov_b64 s[2:3], 0
.LBB55_441:
	s_andn2_b64 vcc, exec, s[2:3]
	s_cbranch_vccnz .LBB55_447
; %bb.442:
	global_load_ubyte v4, v[1:2], off
	s_movk_i32 s2, 0x7f
	s_mov_b64 s[18:19], 0
	s_waitcnt vmcnt(0)
	v_cmp_lt_i16_e32 vcc, s2, v4
	s_and_saveexec_b64 s[2:3], vcc
	s_xor_b64 s[2:3], exec, s[2:3]
	s_cbranch_execz .LBB55_459
; %bb.443:
	s_movk_i32 s18, 0x80
	v_cmp_ne_u16_e32 vcc, s18, v4
	s_and_b64 s[18:19], vcc, exec
	s_andn2_saveexec_b64 s[2:3], s[2:3]
	s_cbranch_execnz .LBB55_460
.LBB55_444:
	s_or_b64 exec, exec, s[2:3]
	v_mov_b32_e32 v3, 0
	s_and_saveexec_b64 s[2:3], s[18:19]
	s_cbranch_execz .LBB55_446
.LBB55_445:
	v_lshlrev_b32_e32 v3, 24, v4
	v_and_b32_e32 v4, 0xffff, v4
	v_and_b32_e32 v5, 7, v4
	v_ffbh_u32_e32 v7, v5
	v_min_u32_e32 v7, 32, v7
	v_subrev_u32_e32 v9, 28, v7
	v_bfe_u32 v6, v4, 3, 4
	v_lshlrev_b32_e32 v4, v9, v4
	v_sub_u32_e32 v7, 29, v7
	v_and_b32_e32 v4, 7, v4
	v_cmp_eq_u32_e32 vcc, 0, v6
	v_cndmask_b32_e32 v6, v6, v7, vcc
	v_cndmask_b32_e32 v4, v5, v4, vcc
	v_mov_b32_e32 v5, 0x3b800000
	v_lshlrev_b32_e32 v4, 20, v4
	v_and_b32_e32 v3, 0x80000000, v3
	v_lshl_add_u32 v5, v6, 23, v5
	v_or3_b32 v3, v3, v5, v4
	v_cvt_i32_f32_e32 v3, v3
.LBB55_446:
	s_or_b64 exec, exec, s[2:3]
.LBB55_447:
	s_mov_b64 s[2:3], -1
.LBB55_448:
	s_mov_b64 s[18:19], 0
.LBB55_449:
	s_and_b64 vcc, exec, s[18:19]
	s_cbranch_vccz .LBB55_482
; %bb.450:
	s_cmp_gt_i32 s12, 22
	s_cbranch_scc0 .LBB55_458
; %bb.451:
	s_cmp_lt_i32 s12, 24
	s_cbranch_scc1 .LBB55_461
; %bb.452:
	s_cmp_gt_i32 s12, 24
	s_cbranch_scc0 .LBB55_462
; %bb.453:
	global_load_ubyte v4, v[1:2], off
	s_movk_i32 s2, 0x7f
	s_mov_b64 s[18:19], 0
	s_waitcnt vmcnt(0)
	v_cmp_lt_i16_e32 vcc, s2, v4
	s_and_saveexec_b64 s[2:3], vcc
	s_xor_b64 s[2:3], exec, s[2:3]
	s_cbranch_execz .LBB55_474
; %bb.454:
	s_movk_i32 s18, 0x80
	v_cmp_ne_u16_e32 vcc, s18, v4
	s_and_b64 s[18:19], vcc, exec
	s_andn2_saveexec_b64 s[2:3], s[2:3]
	s_cbranch_execnz .LBB55_475
.LBB55_455:
	s_or_b64 exec, exec, s[2:3]
	v_mov_b32_e32 v3, 0
	s_and_saveexec_b64 s[2:3], s[18:19]
	s_cbranch_execz .LBB55_457
.LBB55_456:
	v_lshlrev_b32_e32 v3, 24, v4
	v_and_b32_e32 v4, 0xffff, v4
	v_and_b32_e32 v5, 3, v4
	v_ffbh_u32_e32 v7, v5
	v_min_u32_e32 v7, 32, v7
	v_subrev_u32_e32 v9, 29, v7
	v_bfe_u32 v6, v4, 2, 5
	v_lshlrev_b32_e32 v4, v9, v4
	v_sub_u32_e32 v7, 30, v7
	v_and_b32_e32 v4, 3, v4
	v_cmp_eq_u32_e32 vcc, 0, v6
	v_cndmask_b32_e32 v6, v6, v7, vcc
	v_cndmask_b32_e32 v4, v5, v4, vcc
	v_mov_b32_e32 v5, 0x37800000
	v_lshlrev_b32_e32 v4, 21, v4
	v_and_b32_e32 v3, 0x80000000, v3
	v_lshl_add_u32 v5, v6, 23, v5
	v_or3_b32 v3, v3, v5, v4
	v_cvt_i32_f32_e32 v3, v3
.LBB55_457:
	s_or_b64 exec, exec, s[2:3]
	s_mov_b64 s[2:3], 0
	s_branch .LBB55_463
.LBB55_458:
	s_mov_b64 s[18:19], -1
                                        ; implicit-def: $vgpr3
	s_branch .LBB55_469
.LBB55_459:
	s_andn2_saveexec_b64 s[2:3], s[2:3]
	s_cbranch_execz .LBB55_444
.LBB55_460:
	v_cmp_ne_u16_e32 vcc, 0, v4
	s_andn2_b64 s[18:19], s[18:19], exec
	s_and_b64 s[20:21], vcc, exec
	s_or_b64 s[18:19], s[18:19], s[20:21]
	s_or_b64 exec, exec, s[2:3]
	v_mov_b32_e32 v3, 0
	s_and_saveexec_b64 s[2:3], s[18:19]
	s_cbranch_execnz .LBB55_445
	s_branch .LBB55_446
.LBB55_461:
	s_mov_b64 s[2:3], -1
                                        ; implicit-def: $vgpr3
	s_branch .LBB55_466
.LBB55_462:
	s_mov_b64 s[2:3], -1
                                        ; implicit-def: $vgpr3
.LBB55_463:
	s_and_b64 vcc, exec, s[2:3]
	s_cbranch_vccz .LBB55_465
; %bb.464:
	global_load_ubyte v3, v[1:2], off
	s_mov_b32 s2, 0x7f800000
	s_waitcnt vmcnt(0)
	v_lshlrev_b32_e32 v3, 24, v3
	v_and_b32_e32 v4, 0x7f000000, v3
	v_ffbh_u32_e32 v5, v4
	v_min_u32_e32 v5, 32, v5
	v_sub_u32_e64 v5, v5, 4 clamp
	v_lshlrev_b32_e32 v7, v5, v4
	v_lshlrev_b32_e32 v5, 23, v5
	v_lshrrev_b32_e32 v7, 4, v7
	v_add_u32_e32 v6, 0x1000000, v4
	v_sub_u32_e32 v5, v7, v5
	v_ashrrev_i32_e32 v6, 8, v6
	v_add_u32_e32 v5, 0x3c000000, v5
	v_and_or_b32 v5, v6, s2, v5
	v_cmp_ne_u32_e32 vcc, 0, v4
	v_cndmask_b32_e32 v4, 0, v5, vcc
	s_brev_b32 s2, 1
	v_and_or_b32 v3, v3, s2, v4
	v_cvt_i32_f32_e32 v3, v3
.LBB55_465:
	s_mov_b64 s[2:3], 0
.LBB55_466:
	s_andn2_b64 vcc, exec, s[2:3]
	s_cbranch_vccnz .LBB55_468
; %bb.467:
	global_load_ubyte v3, v[1:2], off
	s_movk_i32 s2, 0x7f00
	s_brev_b32 s3, 16
	s_waitcnt vmcnt(0)
	v_lshlrev_b16_e32 v4, 8, v3
	v_lshlrev_b32_e32 v3, 25, v3
	v_lshrrev_b32_e32 v5, 4, v3
	v_and_or_b32 v6, v4, s2, 0.5
	v_or_b32_e32 v5, 0x70000000, v5
	v_add_f32_e32 v6, -0.5, v6
	v_mul_f32_e32 v5, 0x7800000, v5
	v_cmp_gt_u32_e32 vcc, s3, v3
	v_bfe_i32 v4, v4, 0, 16
	v_cndmask_b32_e32 v3, v5, v6, vcc
	s_brev_b32 s2, 1
	v_and_or_b32 v3, v4, s2, v3
	v_cvt_i32_f32_e32 v3, v3
.LBB55_468:
	s_mov_b64 s[18:19], 0
	s_mov_b64 s[2:3], -1
.LBB55_469:
	s_andn2_b64 vcc, exec, s[18:19]
	s_cbranch_vccnz .LBB55_482
; %bb.470:
	s_cmp_gt_i32 s12, 14
	s_cbranch_scc0 .LBB55_473
; %bb.471:
	s_cmp_eq_u32 s12, 15
	s_cbranch_scc0 .LBB55_476
; %bb.472:
	global_load_ushort v3, v[1:2], off
	s_mov_b64 s[2:3], -1
	s_mov_b64 s[16:17], 0
	s_waitcnt vmcnt(0)
	v_lshlrev_b32_e32 v3, 16, v3
	v_cvt_i32_f32_e32 v3, v3
	s_branch .LBB55_477
.LBB55_473:
	s_mov_b64 s[18:19], -1
                                        ; implicit-def: $vgpr3
	s_branch .LBB55_478
.LBB55_474:
	s_andn2_saveexec_b64 s[2:3], s[2:3]
	s_cbranch_execz .LBB55_455
.LBB55_475:
	v_cmp_ne_u16_e32 vcc, 0, v4
	s_andn2_b64 s[18:19], s[18:19], exec
	s_and_b64 s[20:21], vcc, exec
	s_or_b64 s[18:19], s[18:19], s[20:21]
	s_or_b64 exec, exec, s[2:3]
	v_mov_b32_e32 v3, 0
	s_and_saveexec_b64 s[2:3], s[18:19]
	s_cbranch_execnz .LBB55_456
	s_branch .LBB55_457
.LBB55_476:
	s_mov_b64 s[16:17], -1
                                        ; implicit-def: $vgpr3
.LBB55_477:
	s_mov_b64 s[18:19], 0
.LBB55_478:
	s_and_b64 vcc, exec, s[18:19]
	s_cbranch_vccz .LBB55_482
; %bb.479:
	s_cmp_eq_u32 s12, 11
	s_cbranch_scc0 .LBB55_481
; %bb.480:
	global_load_ubyte v3, v[1:2], off
	s_mov_b64 s[2:3], -1
	s_mov_b64 s[16:17], 0
	s_waitcnt vmcnt(0)
	v_cmp_ne_u16_e32 vcc, 0, v3
	v_cndmask_b32_e64 v3, 0, 1, vcc
	s_branch .LBB55_482
.LBB55_481:
	s_mov_b64 s[16:17], -1
                                        ; implicit-def: $vgpr3
.LBB55_482:
	s_branch .LBB55_289
.LBB55_483:
	s_cmp_lt_i32 s12, 5
	s_cbranch_scc1 .LBB55_488
; %bb.484:
	s_cmp_lt_i32 s12, 8
	s_cbranch_scc1 .LBB55_489
; %bb.485:
	;; [unrolled: 3-line block ×3, first 2 shown]
	s_cmp_gt_i32 s12, 9
	s_cbranch_scc0 .LBB55_491
; %bb.487:
	global_load_dwordx2 v[3:4], v[1:2], off
	s_mov_b64 s[2:3], 0
	s_waitcnt vmcnt(0)
	v_cvt_i32_f64_e32 v3, v[3:4]
	s_branch .LBB55_492
.LBB55_488:
	s_mov_b64 s[2:3], -1
                                        ; implicit-def: $vgpr3
	s_branch .LBB55_510
.LBB55_489:
	s_mov_b64 s[2:3], -1
                                        ; implicit-def: $vgpr3
	s_branch .LBB55_498
.LBB55_490:
	s_mov_b64 s[2:3], -1
                                        ; implicit-def: $vgpr3
	s_branch .LBB55_495
.LBB55_491:
	s_mov_b64 s[2:3], -1
                                        ; implicit-def: $vgpr3
.LBB55_492:
	s_andn2_b64 vcc, exec, s[2:3]
	s_cbranch_vccnz .LBB55_494
; %bb.493:
	global_load_dword v3, v[1:2], off
	s_waitcnt vmcnt(0)
	v_cvt_i32_f32_e32 v3, v3
.LBB55_494:
	s_mov_b64 s[2:3], 0
.LBB55_495:
	s_andn2_b64 vcc, exec, s[2:3]
	s_cbranch_vccnz .LBB55_497
; %bb.496:
	global_load_dword v3, v[1:2], off
	s_waitcnt vmcnt(0)
	v_cvt_f32_f16_e32 v3, v3
	v_cvt_i32_f32_e32 v3, v3
.LBB55_497:
	s_mov_b64 s[2:3], 0
.LBB55_498:
	s_andn2_b64 vcc, exec, s[2:3]
	s_cbranch_vccnz .LBB55_509
; %bb.499:
	s_cmp_lt_i32 s12, 6
	s_cbranch_scc1 .LBB55_502
; %bb.500:
	s_cmp_gt_i32 s12, 6
	s_cbranch_scc0 .LBB55_503
; %bb.501:
	global_load_dwordx2 v[3:4], v[1:2], off
	s_mov_b64 s[2:3], 0
	s_waitcnt vmcnt(0)
	v_cvt_i32_f64_e32 v3, v[3:4]
	s_branch .LBB55_504
.LBB55_502:
	s_mov_b64 s[2:3], -1
                                        ; implicit-def: $vgpr3
	s_branch .LBB55_507
.LBB55_503:
	s_mov_b64 s[2:3], -1
                                        ; implicit-def: $vgpr3
.LBB55_504:
	s_andn2_b64 vcc, exec, s[2:3]
	s_cbranch_vccnz .LBB55_506
; %bb.505:
	global_load_dword v3, v[1:2], off
	s_waitcnt vmcnt(0)
	v_cvt_i32_f32_e32 v3, v3
.LBB55_506:
	s_mov_b64 s[2:3], 0
.LBB55_507:
	s_andn2_b64 vcc, exec, s[2:3]
	s_cbranch_vccnz .LBB55_509
; %bb.508:
	global_load_ushort v3, v[1:2], off
	s_waitcnt vmcnt(0)
	v_cvt_f32_f16_e32 v3, v3
	v_cvt_i32_f32_e32 v3, v3
.LBB55_509:
	s_mov_b64 s[2:3], 0
.LBB55_510:
	s_andn2_b64 vcc, exec, s[2:3]
	s_cbranch_vccnz .LBB55_530
; %bb.511:
	s_cmp_lt_i32 s12, 2
	s_cbranch_scc1 .LBB55_515
; %bb.512:
	s_cmp_lt_i32 s12, 3
	s_cbranch_scc1 .LBB55_516
; %bb.513:
	s_cmp_gt_i32 s12, 3
	s_cbranch_scc0 .LBB55_517
; %bb.514:
	global_load_dword v3, v[1:2], off
	s_mov_b64 s[2:3], 0
	s_branch .LBB55_518
.LBB55_515:
	s_mov_b64 s[2:3], -1
                                        ; implicit-def: $vgpr3
	s_branch .LBB55_524
.LBB55_516:
	s_mov_b64 s[2:3], -1
                                        ; implicit-def: $vgpr3
	s_branch .LBB55_521
.LBB55_517:
	s_mov_b64 s[2:3], -1
                                        ; implicit-def: $vgpr3
.LBB55_518:
	s_andn2_b64 vcc, exec, s[2:3]
	s_cbranch_vccnz .LBB55_520
; %bb.519:
	global_load_dword v3, v[1:2], off
.LBB55_520:
	s_mov_b64 s[2:3], 0
.LBB55_521:
	s_andn2_b64 vcc, exec, s[2:3]
	s_cbranch_vccnz .LBB55_523
; %bb.522:
	global_load_sshort v3, v[1:2], off
.LBB55_523:
	s_mov_b64 s[2:3], 0
.LBB55_524:
	s_andn2_b64 vcc, exec, s[2:3]
	s_cbranch_vccnz .LBB55_530
; %bb.525:
	s_cmp_gt_i32 s12, 0
	s_cbranch_scc0 .LBB55_527
; %bb.526:
	global_load_sbyte v3, v[1:2], off
	s_mov_b64 s[2:3], 0
	s_branch .LBB55_528
.LBB55_527:
	s_mov_b64 s[2:3], -1
                                        ; implicit-def: $vgpr3
.LBB55_528:
	s_andn2_b64 vcc, exec, s[2:3]
	s_cbranch_vccnz .LBB55_530
; %bb.529:
	global_load_ubyte v3, v[1:2], off
.LBB55_530:
	s_branch .LBB55_290
.LBB55_531:
	s_mov_b64 s[18:19], 0
	s_mov_b64 s[2:3], s[14:15]
.LBB55_532:
                                        ; implicit-def: $vgpr8
.LBB55_533:
	s_andn2_b64 s[20:21], s[14:15], exec
	s_and_b64 s[2:3], s[2:3], exec
	s_or_b64 s[66:67], s[20:21], s[2:3]
	s_andn2_b64 s[2:3], s[60:61], exec
	s_and_b64 s[16:17], s[16:17], exec
	s_or_b64 s[64:65], s[2:3], s[16:17]
	s_orn2_b64 s[2:3], s[18:19], exec
.LBB55_534:
	s_or_b64 exec, exec, s[68:69]
	s_mov_b64 s[20:21], 0
	s_mov_b64 s[18:19], 0
	;; [unrolled: 1-line block ×3, first 2 shown]
                                        ; implicit-def: $vgpr1_vgpr2
                                        ; implicit-def: $vgpr0
                                        ; implicit-def: $vgpr5
	s_and_saveexec_b64 s[68:69], s[2:3]
	s_cbranch_execz .LBB55_901
; %bb.535:
	v_cmp_gt_i32_e32 vcc, s74, v8
	s_mov_b64 s[22:23], -1
	s_mov_b64 s[2:3], s[64:65]
	s_mov_b64 s[72:73], s[66:67]
	s_and_saveexec_b64 s[70:71], vcc
	s_cbranch_execz .LBB55_805
; %bb.536:
	s_andn2_b64 vcc, exec, s[48:49]
	s_cbranch_vccnz .LBB55_541
; %bb.537:
	s_andn2_b64 vcc, exec, s[58:59]
	s_cbranch_vccnz .LBB55_542
; %bb.538:
	s_add_i32 s75, s79, 1
	s_cmp_eq_u32 s76, 2
	s_cbranch_scc1 .LBB55_543
; %bb.539:
	s_and_b32 s12, s75, 28
	v_mov_b32_e32 v2, 0
	s_mov_b32 s80, 0
	s_mov_b64 s[2:3], s[34:35]
	s_mov_b64 s[72:73], s[56:57]
	v_mov_b32_e32 v0, 0
	v_mov_b32_e32 v1, v8
.LBB55_540:                             ; =>This Inner Loop Header: Depth=1
	s_load_dwordx8 s[24:31], s[2:3], 0x4
	s_load_dwordx4 s[44:47], s[2:3], 0x24
	s_load_dwordx8 s[16:23], s[72:73], 0x0
	s_add_u32 s2, s2, 48
	s_addc_u32 s3, s3, 0
	s_waitcnt vmcnt(0) lgkmcnt(0)
	v_mul_hi_u32 v3, s25, v1
	s_add_i32 s80, s80, 4
	s_add_u32 s72, s72, 32
	s_addc_u32 s73, s73, 0
	v_add_u32_e32 v3, v1, v3
	v_lshrrev_b32_e32 v3, s26, v3
	v_mul_lo_u32 v4, v3, s24
	v_mul_hi_u32 v5, s28, v3
	s_cmp_eq_u32 s12, s80
	v_sub_u32_e32 v1, v1, v4
	v_add_u32_e32 v4, v3, v5
	v_mul_lo_u32 v5, v1, s16
	v_mul_lo_u32 v6, v1, s17
	v_lshrrev_b32_e32 v1, s29, v4
	v_mul_lo_u32 v4, v1, s27
	v_mul_hi_u32 v7, s31, v1
	v_sub_u32_e32 v3, v3, v4
	v_add_u32_e32 v4, v1, v7
	v_lshrrev_b32_e32 v4, s44, v4
	v_mul_hi_u32 v9, s46, v4
	v_mul_lo_u32 v10, v4, s30
	v_mul_lo_u32 v7, v3, s18
	;; [unrolled: 1-line block ×3, first 2 shown]
	v_sub_u32_e32 v10, v1, v10
	v_add_u32_e32 v1, v4, v9
	v_lshrrev_b32_e32 v1, s47, v1
	v_mul_lo_u32 v9, v1, s45
	v_mul_lo_u32 v11, v10, s20
	;; [unrolled: 1-line block ×3, first 2 shown]
	v_add3_u32 v0, v5, v0, v7
	v_sub_u32_e32 v4, v4, v9
	v_mul_lo_u32 v9, v4, s22
	v_mul_lo_u32 v4, v4, s23
	v_add3_u32 v2, v6, v2, v3
	v_add3_u32 v0, v11, v0, v9
	;; [unrolled: 1-line block ×3, first 2 shown]
	s_cbranch_scc0 .LBB55_540
	s_branch .LBB55_544
.LBB55_541:
	s_mov_b64 s[2:3], -1
                                        ; implicit-def: $vgpr0
                                        ; implicit-def: $vgpr2
	s_branch .LBB55_548
.LBB55_542:
	v_mov_b32_e32 v0, 0
	v_mov_b32_e32 v2, 0
	s_branch .LBB55_547
.LBB55_543:
	s_mov_b32 s12, 0
	v_mov_b32_e32 v0, 0
	v_mov_b32_e32 v2, 0
	;; [unrolled: 1-line block ×3, first 2 shown]
.LBB55_544:
	s_and_b32 s18, s75, 3
	s_cmp_eq_u32 s18, 0
	s_cbranch_scc1 .LBB55_547
; %bb.545:
	s_lshl_b32 s2, s12, 3
	s_add_u32 s2, s34, s2
	s_addc_u32 s3, s35, 0
	s_add_u32 s2, s2, 0xc4
	s_addc_u32 s3, s3, 0
	s_mul_i32 s12, s12, 12
	s_add_u32 s16, s34, s12
	s_addc_u32 s17, s35, 0
.LBB55_546:                             ; =>This Inner Loop Header: Depth=1
	s_load_dwordx2 s[20:21], s[16:17], 0x4
	s_load_dword s12, s[16:17], 0xc
	s_load_dwordx2 s[22:23], s[2:3], 0x0
	s_add_u32 s16, s16, 12
	s_addc_u32 s17, s17, 0
	s_waitcnt vmcnt(0) lgkmcnt(0)
	v_mul_hi_u32 v3, s21, v1
	s_add_u32 s2, s2, 8
	s_addc_u32 s3, s3, 0
	s_add_i32 s18, s18, -1
	v_add_u32_e32 v3, v1, v3
	v_lshrrev_b32_e32 v4, s12, v3
	v_mul_lo_u32 v3, v4, s20
	s_cmp_lg_u32 s18, 0
	v_sub_u32_e32 v3, v1, v3
	v_mad_u64_u32 v[0:1], s[20:21], v3, s22, v[0:1]
	v_mad_u64_u32 v[2:3], s[20:21], v3, s23, v[2:3]
	v_mov_b32_e32 v1, v4
	s_cbranch_scc1 .LBB55_546
.LBB55_547:
	s_mov_b64 s[2:3], 0
.LBB55_548:
	s_andn2_b64 vcc, exec, s[2:3]
	s_cbranch_vccnz .LBB55_551
; %bb.549:
	v_mul_hi_u32 v0, s37, v8
	s_andn2_b64 vcc, exec, s[54:55]
	v_add_u32_e32 v0, v8, v0
	v_lshrrev_b32_e32 v1, s38, v0
	v_mul_lo_u32 v0, v1, s36
	v_sub_u32_e32 v2, v8, v0
	v_mul_lo_u32 v0, v2, s40
	v_mul_lo_u32 v2, v2, s41
	s_cbranch_vccnz .LBB55_551
; %bb.550:
	s_waitcnt vmcnt(0)
	v_mul_hi_u32 v3, s52, v1
	v_add_u32_e32 v3, v1, v3
	v_lshrrev_b32_e32 v3, s53, v3
	v_mul_lo_u32 v3, v3, s39
	v_sub_u32_e32 v3, v1, v3
	v_mad_u64_u32 v[0:1], s[2:3], v3, s42, v[0:1]
	v_mad_u64_u32 v[2:3], s[2:3], v3, s43, v[2:3]
.LBB55_551:
	s_waitcnt vmcnt(0)
	v_mov_b32_e32 v3, s11
	s_and_b32 s12, 0xffff, s78
	v_add_co_u32_e32 v1, vcc, s10, v2
	s_cmp_lt_i32 s12, 11
	v_addc_co_u32_e32 v2, vcc, 0, v3, vcc
	s_cbranch_scc1 .LBB55_558
; %bb.552:
	s_cmp_gt_i32 s12, 25
	s_cbranch_scc0 .LBB55_559
; %bb.553:
	s_cmp_gt_i32 s12, 28
	s_cbranch_scc0 .LBB55_560
	;; [unrolled: 3-line block ×4, first 2 shown]
; %bb.556:
	s_cmp_eq_u32 s12, 46
	s_mov_b64 s[18:19], 0
	s_cbranch_scc0 .LBB55_567
; %bb.557:
	global_load_dword v3, v[1:2], off
	s_mov_b64 s[2:3], -1
	s_mov_b64 s[16:17], 0
	s_waitcnt vmcnt(0)
	v_lshlrev_b32_e32 v3, 16, v3
	v_cvt_i32_f32_e32 v3, v3
	s_branch .LBB55_568
.LBB55_558:
	s_mov_b64 s[18:19], -1
	s_mov_b64 s[2:3], 0
                                        ; implicit-def: $vgpr3
	s_mov_b64 s[16:17], s[64:65]
	s_branch .LBB55_629
.LBB55_559:
	s_mov_b64 s[18:19], -1
	s_mov_b64 s[2:3], 0
	s_mov_b64 s[16:17], s[64:65]
                                        ; implicit-def: $vgpr3
	s_branch .LBB55_595
.LBB55_560:
	s_mov_b64 s[18:19], -1
	s_mov_b64 s[2:3], 0
	s_mov_b64 s[16:17], s[64:65]
                                        ; implicit-def: $vgpr3
	s_branch .LBB55_578
.LBB55_561:
	s_mov_b64 s[18:19], -1
	s_mov_b64 s[2:3], 0
	s_mov_b64 s[16:17], s[64:65]
                                        ; implicit-def: $vgpr3
	s_branch .LBB55_573
.LBB55_562:
	s_andn2_saveexec_b64 s[22:23], s[22:23]
	s_cbranch_execz .LBB55_335
.LBB55_563:
	s_mov_b32 s25, 0x46000000
	v_add_f32_e64 v2, |v0|, s25
	v_and_b32_e32 v2, 0xff, v2
	v_cmp_ne_u32_e32 vcc, 0, v2
	s_andn2_b64 s[20:21], s[20:21], exec
	s_and_b64 s[26:27], vcc, exec
	s_or_b64 s[20:21], s[20:21], s[26:27]
	s_or_b64 exec, exec, s[22:23]
	v_mov_b32_e32 v5, 0
	s_and_saveexec_b64 s[22:23], s[20:21]
	s_cbranch_execnz .LBB55_336
	s_branch .LBB55_337
.LBB55_564:
	s_mov_b64 s[18:19], -1
	s_mov_b64 s[2:3], 0
	s_mov_b64 s[16:17], s[64:65]
                                        ; implicit-def: $vgpr3
	s_branch .LBB55_568
.LBB55_565:
	s_andn2_saveexec_b64 s[22:23], s[22:23]
	s_cbranch_execz .LBB55_348
.LBB55_566:
	s_mov_b32 s25, 0x42800000
	v_add_f32_e64 v2, |v0|, s25
	v_and_b32_e32 v2, 0xff, v2
	v_cmp_ne_u32_e32 vcc, 0, v2
	s_andn2_b64 s[20:21], s[20:21], exec
	s_and_b64 s[26:27], vcc, exec
	s_or_b64 s[20:21], s[20:21], s[26:27]
	s_or_b64 exec, exec, s[22:23]
	v_mov_b32_e32 v5, 0
	s_and_saveexec_b64 s[22:23], s[20:21]
	s_cbranch_execnz .LBB55_349
	s_branch .LBB55_350
.LBB55_567:
	s_mov_b64 s[16:17], -1
                                        ; implicit-def: $vgpr3
	s_mov_b64 s[2:3], 0
.LBB55_568:
	s_and_b64 vcc, exec, s[18:19]
	s_cbranch_vccz .LBB55_572
; %bb.569:
	s_cmp_eq_u32 s12, 44
	s_cbranch_scc0 .LBB55_571
; %bb.570:
	global_load_ubyte v3, v[1:2], off
	s_mov_b64 s[2:3], -1
	s_mov_b64 s[16:17], 0
	s_waitcnt vmcnt(0)
	v_lshlrev_b32_e32 v4, 23, v3
	v_cvt_i32_f32_e32 v4, v4
	v_cmp_ne_u32_e32 vcc, 0, v3
	v_cndmask_b32_e32 v3, 0, v4, vcc
	s_branch .LBB55_572
.LBB55_571:
	s_mov_b64 s[16:17], -1
                                        ; implicit-def: $vgpr3
.LBB55_572:
	s_mov_b64 s[18:19], 0
.LBB55_573:
	s_and_b64 vcc, exec, s[18:19]
	s_cbranch_vccz .LBB55_577
; %bb.574:
	s_cmp_eq_u32 s12, 29
	s_cbranch_scc0 .LBB55_576
; %bb.575:
	global_load_dword v3, v[1:2], off
	s_mov_b64 s[2:3], -1
	s_mov_b64 s[16:17], 0
	s_branch .LBB55_577
.LBB55_576:
	s_mov_b64 s[16:17], -1
                                        ; implicit-def: $vgpr3
.LBB55_577:
	s_mov_b64 s[18:19], 0
.LBB55_578:
	s_and_b64 vcc, exec, s[18:19]
	s_cbranch_vccz .LBB55_594
; %bb.579:
	s_cmp_lt_i32 s12, 27
	s_cbranch_scc1 .LBB55_582
; %bb.580:
	s_cmp_gt_i32 s12, 27
	s_cbranch_scc0 .LBB55_583
; %bb.581:
	global_load_dword v3, v[1:2], off
	s_mov_b64 s[2:3], 0
	s_branch .LBB55_584
.LBB55_582:
	s_mov_b64 s[2:3], -1
                                        ; implicit-def: $vgpr3
	s_branch .LBB55_587
.LBB55_583:
	s_mov_b64 s[2:3], -1
                                        ; implicit-def: $vgpr3
.LBB55_584:
	s_andn2_b64 vcc, exec, s[2:3]
	s_cbranch_vccnz .LBB55_586
; %bb.585:
	global_load_ushort v3, v[1:2], off
.LBB55_586:
	s_mov_b64 s[2:3], 0
.LBB55_587:
	s_andn2_b64 vcc, exec, s[2:3]
	s_cbranch_vccnz .LBB55_593
; %bb.588:
	global_load_ubyte v4, v[1:2], off
	s_movk_i32 s2, 0x7f
	s_mov_b64 s[18:19], 0
	s_waitcnt vmcnt(0)
	v_cmp_lt_i16_e32 vcc, s2, v4
	s_and_saveexec_b64 s[2:3], vcc
	s_xor_b64 s[2:3], exec, s[2:3]
	s_cbranch_execz .LBB55_605
; %bb.589:
	s_movk_i32 s18, 0x80
	v_cmp_ne_u16_e32 vcc, s18, v4
	s_and_b64 s[18:19], vcc, exec
	s_andn2_saveexec_b64 s[2:3], s[2:3]
	s_cbranch_execnz .LBB55_606
.LBB55_590:
	s_or_b64 exec, exec, s[2:3]
	v_mov_b32_e32 v3, 0
	s_and_saveexec_b64 s[2:3], s[18:19]
	s_cbranch_execz .LBB55_592
.LBB55_591:
	v_lshlrev_b32_e32 v3, 24, v4
	v_and_b32_e32 v4, 0xffff, v4
	v_and_b32_e32 v5, 7, v4
	v_ffbh_u32_e32 v7, v5
	v_min_u32_e32 v7, 32, v7
	v_subrev_u32_e32 v9, 28, v7
	v_bfe_u32 v6, v4, 3, 4
	v_lshlrev_b32_e32 v4, v9, v4
	v_sub_u32_e32 v7, 29, v7
	v_and_b32_e32 v4, 7, v4
	v_cmp_eq_u32_e32 vcc, 0, v6
	v_cndmask_b32_e32 v6, v6, v7, vcc
	v_cndmask_b32_e32 v4, v5, v4, vcc
	v_mov_b32_e32 v5, 0x3b800000
	v_lshlrev_b32_e32 v4, 20, v4
	v_and_b32_e32 v3, 0x80000000, v3
	v_lshl_add_u32 v5, v6, 23, v5
	v_or3_b32 v3, v3, v5, v4
	v_cvt_i32_f32_e32 v3, v3
.LBB55_592:
	s_or_b64 exec, exec, s[2:3]
.LBB55_593:
	s_mov_b64 s[2:3], -1
.LBB55_594:
	s_mov_b64 s[18:19], 0
.LBB55_595:
	s_and_b64 vcc, exec, s[18:19]
	s_cbranch_vccz .LBB55_628
; %bb.596:
	s_cmp_gt_i32 s12, 22
	s_cbranch_scc0 .LBB55_604
; %bb.597:
	s_cmp_lt_i32 s12, 24
	s_cbranch_scc1 .LBB55_607
; %bb.598:
	s_cmp_gt_i32 s12, 24
	s_cbranch_scc0 .LBB55_608
; %bb.599:
	global_load_ubyte v4, v[1:2], off
	s_movk_i32 s2, 0x7f
	s_mov_b64 s[18:19], 0
	s_waitcnt vmcnt(0)
	v_cmp_lt_i16_e32 vcc, s2, v4
	s_and_saveexec_b64 s[2:3], vcc
	s_xor_b64 s[2:3], exec, s[2:3]
	s_cbranch_execz .LBB55_620
; %bb.600:
	s_movk_i32 s18, 0x80
	v_cmp_ne_u16_e32 vcc, s18, v4
	s_and_b64 s[18:19], vcc, exec
	s_andn2_saveexec_b64 s[2:3], s[2:3]
	s_cbranch_execnz .LBB55_621
.LBB55_601:
	s_or_b64 exec, exec, s[2:3]
	v_mov_b32_e32 v3, 0
	s_and_saveexec_b64 s[2:3], s[18:19]
	s_cbranch_execz .LBB55_603
.LBB55_602:
	v_lshlrev_b32_e32 v3, 24, v4
	v_and_b32_e32 v4, 0xffff, v4
	v_and_b32_e32 v5, 3, v4
	v_ffbh_u32_e32 v7, v5
	v_min_u32_e32 v7, 32, v7
	v_subrev_u32_e32 v9, 29, v7
	v_bfe_u32 v6, v4, 2, 5
	v_lshlrev_b32_e32 v4, v9, v4
	v_sub_u32_e32 v7, 30, v7
	v_and_b32_e32 v4, 3, v4
	v_cmp_eq_u32_e32 vcc, 0, v6
	v_cndmask_b32_e32 v6, v6, v7, vcc
	v_cndmask_b32_e32 v4, v5, v4, vcc
	v_mov_b32_e32 v5, 0x37800000
	v_lshlrev_b32_e32 v4, 21, v4
	v_and_b32_e32 v3, 0x80000000, v3
	v_lshl_add_u32 v5, v6, 23, v5
	v_or3_b32 v3, v3, v5, v4
	v_cvt_i32_f32_e32 v3, v3
.LBB55_603:
	s_or_b64 exec, exec, s[2:3]
	s_mov_b64 s[2:3], 0
	s_branch .LBB55_609
.LBB55_604:
	s_mov_b64 s[18:19], -1
                                        ; implicit-def: $vgpr3
	s_branch .LBB55_615
.LBB55_605:
	s_andn2_saveexec_b64 s[2:3], s[2:3]
	s_cbranch_execz .LBB55_590
.LBB55_606:
	v_cmp_ne_u16_e32 vcc, 0, v4
	s_andn2_b64 s[18:19], s[18:19], exec
	s_and_b64 s[20:21], vcc, exec
	s_or_b64 s[18:19], s[18:19], s[20:21]
	s_or_b64 exec, exec, s[2:3]
	v_mov_b32_e32 v3, 0
	s_and_saveexec_b64 s[2:3], s[18:19]
	s_cbranch_execnz .LBB55_591
	s_branch .LBB55_592
.LBB55_607:
	s_mov_b64 s[2:3], -1
                                        ; implicit-def: $vgpr3
	s_branch .LBB55_612
.LBB55_608:
	s_mov_b64 s[2:3], -1
                                        ; implicit-def: $vgpr3
.LBB55_609:
	s_and_b64 vcc, exec, s[2:3]
	s_cbranch_vccz .LBB55_611
; %bb.610:
	global_load_ubyte v3, v[1:2], off
	s_mov_b32 s2, 0x7f800000
	s_waitcnt vmcnt(0)
	v_lshlrev_b32_e32 v3, 24, v3
	v_and_b32_e32 v4, 0x7f000000, v3
	v_ffbh_u32_e32 v5, v4
	v_min_u32_e32 v5, 32, v5
	v_sub_u32_e64 v5, v5, 4 clamp
	v_lshlrev_b32_e32 v7, v5, v4
	v_lshlrev_b32_e32 v5, 23, v5
	v_lshrrev_b32_e32 v7, 4, v7
	v_add_u32_e32 v6, 0x1000000, v4
	v_sub_u32_e32 v5, v7, v5
	v_ashrrev_i32_e32 v6, 8, v6
	v_add_u32_e32 v5, 0x3c000000, v5
	v_and_or_b32 v5, v6, s2, v5
	v_cmp_ne_u32_e32 vcc, 0, v4
	v_cndmask_b32_e32 v4, 0, v5, vcc
	s_brev_b32 s2, 1
	v_and_or_b32 v3, v3, s2, v4
	v_cvt_i32_f32_e32 v3, v3
.LBB55_611:
	s_mov_b64 s[2:3], 0
.LBB55_612:
	s_andn2_b64 vcc, exec, s[2:3]
	s_cbranch_vccnz .LBB55_614
; %bb.613:
	global_load_ubyte v3, v[1:2], off
	s_movk_i32 s2, 0x7f00
	s_brev_b32 s3, 16
	s_waitcnt vmcnt(0)
	v_lshlrev_b16_e32 v4, 8, v3
	v_lshlrev_b32_e32 v3, 25, v3
	v_lshrrev_b32_e32 v5, 4, v3
	v_and_or_b32 v6, v4, s2, 0.5
	v_or_b32_e32 v5, 0x70000000, v5
	v_add_f32_e32 v6, -0.5, v6
	v_mul_f32_e32 v5, 0x7800000, v5
	v_cmp_gt_u32_e32 vcc, s3, v3
	v_bfe_i32 v4, v4, 0, 16
	v_cndmask_b32_e32 v3, v5, v6, vcc
	s_brev_b32 s2, 1
	v_and_or_b32 v3, v4, s2, v3
	v_cvt_i32_f32_e32 v3, v3
.LBB55_614:
	s_mov_b64 s[18:19], 0
	s_mov_b64 s[2:3], -1
.LBB55_615:
	s_andn2_b64 vcc, exec, s[18:19]
	s_cbranch_vccnz .LBB55_628
; %bb.616:
	s_cmp_gt_i32 s12, 14
	s_cbranch_scc0 .LBB55_619
; %bb.617:
	s_cmp_eq_u32 s12, 15
	s_cbranch_scc0 .LBB55_622
; %bb.618:
	global_load_ushort v3, v[1:2], off
	s_mov_b64 s[2:3], -1
	s_mov_b64 s[16:17], 0
	s_waitcnt vmcnt(0)
	v_lshlrev_b32_e32 v3, 16, v3
	v_cvt_i32_f32_e32 v3, v3
	s_branch .LBB55_623
.LBB55_619:
	s_mov_b64 s[18:19], -1
                                        ; implicit-def: $vgpr3
	s_branch .LBB55_624
.LBB55_620:
	s_andn2_saveexec_b64 s[2:3], s[2:3]
	s_cbranch_execz .LBB55_601
.LBB55_621:
	v_cmp_ne_u16_e32 vcc, 0, v4
	s_andn2_b64 s[18:19], s[18:19], exec
	s_and_b64 s[20:21], vcc, exec
	s_or_b64 s[18:19], s[18:19], s[20:21]
	s_or_b64 exec, exec, s[2:3]
	v_mov_b32_e32 v3, 0
	s_and_saveexec_b64 s[2:3], s[18:19]
	s_cbranch_execnz .LBB55_602
	s_branch .LBB55_603
.LBB55_622:
	s_mov_b64 s[16:17], -1
                                        ; implicit-def: $vgpr3
.LBB55_623:
	s_mov_b64 s[18:19], 0
.LBB55_624:
	s_and_b64 vcc, exec, s[18:19]
	s_cbranch_vccz .LBB55_628
; %bb.625:
	s_cmp_eq_u32 s12, 11
	s_cbranch_scc0 .LBB55_627
; %bb.626:
	global_load_ubyte v3, v[1:2], off
	s_mov_b64 s[2:3], -1
	s_mov_b64 s[16:17], 0
	s_waitcnt vmcnt(0)
	v_cmp_ne_u16_e32 vcc, 0, v3
	v_cndmask_b32_e64 v3, 0, 1, vcc
	s_branch .LBB55_628
.LBB55_627:
	s_mov_b64 s[16:17], -1
                                        ; implicit-def: $vgpr3
.LBB55_628:
	s_mov_b64 s[18:19], 0
.LBB55_629:
	s_and_b64 vcc, exec, s[18:19]
	s_cbranch_vccz .LBB55_678
; %bb.630:
	s_cmp_lt_i32 s12, 5
	s_cbranch_scc1 .LBB55_635
; %bb.631:
	s_cmp_lt_i32 s12, 8
	s_cbranch_scc1 .LBB55_636
; %bb.632:
	s_cmp_lt_i32 s12, 9
	s_cbranch_scc1 .LBB55_637
; %bb.633:
	s_cmp_gt_i32 s12, 9
	s_cbranch_scc0 .LBB55_638
; %bb.634:
	global_load_dwordx2 v[3:4], v[1:2], off
	s_mov_b64 s[2:3], 0
	s_waitcnt vmcnt(0)
	v_cvt_i32_f64_e32 v3, v[3:4]
	s_branch .LBB55_639
.LBB55_635:
	s_mov_b64 s[2:3], -1
                                        ; implicit-def: $vgpr3
	s_branch .LBB55_657
.LBB55_636:
	s_mov_b64 s[2:3], -1
                                        ; implicit-def: $vgpr3
	s_branch .LBB55_645
.LBB55_637:
	s_mov_b64 s[2:3], -1
                                        ; implicit-def: $vgpr3
	s_branch .LBB55_642
.LBB55_638:
	s_mov_b64 s[2:3], -1
                                        ; implicit-def: $vgpr3
.LBB55_639:
	s_andn2_b64 vcc, exec, s[2:3]
	s_cbranch_vccnz .LBB55_641
; %bb.640:
	global_load_dword v3, v[1:2], off
	s_waitcnt vmcnt(0)
	v_cvt_i32_f32_e32 v3, v3
.LBB55_641:
	s_mov_b64 s[2:3], 0
.LBB55_642:
	s_andn2_b64 vcc, exec, s[2:3]
	s_cbranch_vccnz .LBB55_644
; %bb.643:
	global_load_dword v3, v[1:2], off
	s_waitcnt vmcnt(0)
	v_cvt_f32_f16_e32 v3, v3
	v_cvt_i32_f32_e32 v3, v3
.LBB55_644:
	s_mov_b64 s[2:3], 0
.LBB55_645:
	s_andn2_b64 vcc, exec, s[2:3]
	s_cbranch_vccnz .LBB55_656
; %bb.646:
	s_cmp_lt_i32 s12, 6
	s_cbranch_scc1 .LBB55_649
; %bb.647:
	s_cmp_gt_i32 s12, 6
	s_cbranch_scc0 .LBB55_650
; %bb.648:
	global_load_dwordx2 v[3:4], v[1:2], off
	s_mov_b64 s[2:3], 0
	s_waitcnt vmcnt(0)
	v_cvt_i32_f64_e32 v3, v[3:4]
	s_branch .LBB55_651
.LBB55_649:
	s_mov_b64 s[2:3], -1
                                        ; implicit-def: $vgpr3
	s_branch .LBB55_654
.LBB55_650:
	s_mov_b64 s[2:3], -1
                                        ; implicit-def: $vgpr3
.LBB55_651:
	s_andn2_b64 vcc, exec, s[2:3]
	s_cbranch_vccnz .LBB55_653
; %bb.652:
	global_load_dword v3, v[1:2], off
	s_waitcnt vmcnt(0)
	v_cvt_i32_f32_e32 v3, v3
.LBB55_653:
	s_mov_b64 s[2:3], 0
.LBB55_654:
	s_andn2_b64 vcc, exec, s[2:3]
	s_cbranch_vccnz .LBB55_656
; %bb.655:
	global_load_ushort v3, v[1:2], off
	s_waitcnt vmcnt(0)
	v_cvt_f32_f16_e32 v3, v3
	v_cvt_i32_f32_e32 v3, v3
.LBB55_656:
	s_mov_b64 s[2:3], 0
.LBB55_657:
	s_andn2_b64 vcc, exec, s[2:3]
	s_cbranch_vccnz .LBB55_677
; %bb.658:
	s_cmp_lt_i32 s12, 2
	s_cbranch_scc1 .LBB55_662
; %bb.659:
	s_cmp_lt_i32 s12, 3
	s_cbranch_scc1 .LBB55_663
; %bb.660:
	s_cmp_gt_i32 s12, 3
	s_cbranch_scc0 .LBB55_664
; %bb.661:
	global_load_dword v3, v[1:2], off
	s_mov_b64 s[2:3], 0
	s_branch .LBB55_665
.LBB55_662:
	s_mov_b64 s[2:3], -1
                                        ; implicit-def: $vgpr3
	s_branch .LBB55_671
.LBB55_663:
	s_mov_b64 s[2:3], -1
                                        ; implicit-def: $vgpr3
	s_branch .LBB55_668
.LBB55_664:
	s_mov_b64 s[2:3], -1
                                        ; implicit-def: $vgpr3
.LBB55_665:
	s_andn2_b64 vcc, exec, s[2:3]
	s_cbranch_vccnz .LBB55_667
; %bb.666:
	global_load_dword v3, v[1:2], off
.LBB55_667:
	s_mov_b64 s[2:3], 0
.LBB55_668:
	s_andn2_b64 vcc, exec, s[2:3]
	s_cbranch_vccnz .LBB55_670
; %bb.669:
	global_load_sshort v3, v[1:2], off
.LBB55_670:
	s_mov_b64 s[2:3], 0
.LBB55_671:
	s_andn2_b64 vcc, exec, s[2:3]
	s_cbranch_vccnz .LBB55_677
; %bb.672:
	s_cmp_gt_i32 s12, 0
	s_cbranch_scc0 .LBB55_674
; %bb.673:
	global_load_sbyte v3, v[1:2], off
	s_mov_b64 s[2:3], 0
	s_branch .LBB55_675
.LBB55_674:
	s_mov_b64 s[2:3], -1
                                        ; implicit-def: $vgpr3
.LBB55_675:
	s_andn2_b64 vcc, exec, s[2:3]
	s_cbranch_vccnz .LBB55_677
; %bb.676:
	global_load_ubyte v3, v[1:2], off
.LBB55_677:
	s_mov_b64 s[2:3], -1
.LBB55_678:
	s_andn2_b64 vcc, exec, s[2:3]
	s_cbranch_vccnz .LBB55_686
; %bb.679:
	v_mov_b32_e32 v1, s13
	s_waitcnt vmcnt(0)
	v_cndmask_b32_e64 v1, v1, v3, s[0:1]
	v_mov_b32_e32 v2, s9
	s_and_b32 s12, s77, 0xff
	v_add_co_u32_e32 v3, vcc, s8, v0
	s_cmp_lt_i32 s12, 11
	v_addc_co_u32_e32 v4, vcc, 0, v2, vcc
	s_cbranch_scc1 .LBB55_687
; %bb.680:
	s_and_b32 s24, 0xffff, s12
	s_cmp_gt_i32 s24, 25
	s_cbranch_scc0 .LBB55_688
; %bb.681:
	s_cmp_gt_i32 s24, 28
	s_cbranch_scc0 .LBB55_689
; %bb.682:
	;; [unrolled: 3-line block ×4, first 2 shown]
	s_mov_b64 s[20:21], 0
	s_mov_b64 s[2:3], -1
	s_cmp_eq_u32 s24, 46
	s_mov_b64 s[18:19], 0
	s_cbranch_scc0 .LBB55_692
; %bb.685:
	v_cvt_f32_i32_e32 v0, v1
	s_movk_i32 s2, 0x7fff
	s_mov_b64 s[18:19], -1
	v_bfe_u32 v2, v0, 16, 1
	v_add3_u32 v0, v0, v2, s2
	v_lshrrev_b32_e32 v0, 16, v0
	global_store_dword v[3:4], v0, off
	s_mov_b64 s[2:3], 0
	s_branch .LBB55_692
.LBB55_686:
	s_mov_b64 s[18:19], 0
	s_mov_b64 s[2:3], s[66:67]
	s_branch .LBB55_803
.LBB55_687:
	s_mov_b64 s[20:21], -1
	s_mov_b64 s[18:19], 0
	s_mov_b64 s[2:3], s[66:67]
	s_branch .LBB55_761
.LBB55_688:
	s_mov_b64 s[20:21], -1
	s_mov_b64 s[18:19], 0
	s_mov_b64 s[2:3], s[66:67]
	s_branch .LBB55_719
.LBB55_689:
	s_mov_b64 s[20:21], -1
	s_mov_b64 s[18:19], 0
	s_mov_b64 s[2:3], s[66:67]
	s_branch .LBB55_702
.LBB55_690:
	s_mov_b64 s[20:21], -1
	s_mov_b64 s[18:19], 0
	s_mov_b64 s[2:3], s[66:67]
	s_branch .LBB55_698
.LBB55_691:
	s_mov_b64 s[20:21], -1
	s_mov_b64 s[18:19], 0
	s_mov_b64 s[2:3], s[66:67]
.LBB55_692:
	s_and_b64 vcc, exec, s[20:21]
	s_cbranch_vccz .LBB55_697
; %bb.693:
	s_cmp_eq_u32 s24, 44
	s_mov_b64 s[2:3], -1
	s_cbranch_scc0 .LBB55_697
; %bb.694:
	v_cvt_f32_i32_e32 v0, v1
	s_movk_i32 s2, 0xff
	v_mov_b32_e32 v5, 0xff
	v_bfe_u32 v2, v0, 23, 8
	v_cmp_ne_u32_e32 vcc, s2, v2
	s_and_saveexec_b64 s[18:19], vcc
; %bb.695:
	s_mov_b32 s2, 0x3fffff
	v_lshrrev_b32_e32 v5, 23, v0
	v_and_b32_e32 v6, 0x400000, v0
	v_and_or_b32 v0, v0, s2, v2
	v_cmp_ne_u32_e32 vcc, 0, v6
	v_cmp_ne_u32_e64 s[2:3], 0, v0
	s_and_b64 s[2:3], vcc, s[2:3]
	v_cndmask_b32_e64 v0, 0, 1, s[2:3]
	v_add_u32_e32 v5, v5, v0
; %bb.696:
	s_or_b64 exec, exec, s[18:19]
	s_mov_b64 s[18:19], -1
	s_mov_b64 s[2:3], 0
	global_store_byte v[3:4], v5, off
.LBB55_697:
	s_mov_b64 s[20:21], 0
.LBB55_698:
	s_and_b64 vcc, exec, s[20:21]
	s_cbranch_vccz .LBB55_701
; %bb.699:
	s_cmp_eq_u32 s24, 29
	s_mov_b64 s[2:3], -1
	s_cbranch_scc0 .LBB55_701
; %bb.700:
	v_ashrrev_i32_e32 v2, 31, v1
	global_store_dwordx2 v[3:4], v[1:2], off
	s_mov_b64 s[18:19], -1
	s_mov_b64 s[2:3], 0
.LBB55_701:
	s_mov_b64 s[20:21], 0
.LBB55_702:
	s_and_b64 vcc, exec, s[20:21]
	s_cbranch_vccz .LBB55_718
; %bb.703:
	s_cmp_lt_i32 s24, 27
	s_mov_b64 s[18:19], -1
	s_cbranch_scc1 .LBB55_709
; %bb.704:
	s_cmp_gt_i32 s24, 27
	s_cbranch_scc0 .LBB55_706
; %bb.705:
	s_mov_b64 s[18:19], 0
	global_store_dword v[3:4], v1, off
.LBB55_706:
	s_andn2_b64 vcc, exec, s[18:19]
	s_cbranch_vccnz .LBB55_708
; %bb.707:
	global_store_short v[3:4], v1, off
.LBB55_708:
	s_mov_b64 s[18:19], 0
.LBB55_709:
	s_andn2_b64 vcc, exec, s[18:19]
	s_cbranch_vccnz .LBB55_717
; %bb.710:
	v_cvt_f32_i32_e32 v0, v1
	s_mov_b32 s18, 0x43800000
	v_mov_b32_e32 v5, 0x80
	v_and_b32_e32 v2, 0x7fffffff, v0
	v_cmp_gt_u32_e32 vcc, s18, v2
	s_and_saveexec_b64 s[18:19], vcc
	s_cbranch_execz .LBB55_716
; %bb.711:
	s_mov_b32 s20, 0x3bffffff
	v_cmp_lt_u32_e32 vcc, s20, v2
	s_mov_b64 s[20:21], 0
                                        ; implicit-def: $vgpr2
	s_and_saveexec_b64 s[22:23], vcc
	s_xor_b64 s[22:23], exec, s[22:23]
	s_cbranch_execz .LBB55_833
; %bb.712:
	v_bfe_u32 v2, v0, 20, 1
	s_mov_b32 s25, 0x487ffff
	v_add3_u32 v2, v0, v2, s25
	s_mov_b64 s[20:21], exec
	v_lshrrev_b32_e32 v2, 20, v2
	s_andn2_saveexec_b64 s[22:23], s[22:23]
	s_cbranch_execnz .LBB55_834
.LBB55_713:
	s_or_b64 exec, exec, s[22:23]
	v_mov_b32_e32 v5, 0
	s_and_saveexec_b64 s[22:23], s[20:21]
.LBB55_714:
	v_lshrrev_b32_e32 v0, 24, v0
	s_movk_i32 s20, 0x80
	v_and_or_b32 v5, v0, s20, v2
.LBB55_715:
	s_or_b64 exec, exec, s[22:23]
.LBB55_716:
	s_or_b64 exec, exec, s[18:19]
	global_store_byte v[3:4], v5, off
.LBB55_717:
	s_mov_b64 s[18:19], -1
.LBB55_718:
	s_mov_b64 s[20:21], 0
.LBB55_719:
	s_and_b64 vcc, exec, s[20:21]
	s_cbranch_vccz .LBB55_760
; %bb.720:
	s_cmp_gt_i32 s24, 22
	s_mov_b64 s[20:21], -1
	s_cbranch_scc0 .LBB55_752
; %bb.721:
	s_cmp_lt_i32 s24, 24
	s_mov_b64 s[18:19], -1
	s_cbranch_scc1 .LBB55_741
; %bb.722:
	s_cmp_gt_i32 s24, 24
	s_cbranch_scc0 .LBB55_730
; %bb.723:
	v_cvt_f32_i32_e32 v0, v1
	s_mov_b32 s18, 0x47800000
	v_mov_b32_e32 v5, 0x80
	v_and_b32_e32 v2, 0x7fffffff, v0
	v_cmp_gt_u32_e32 vcc, s18, v2
	s_and_saveexec_b64 s[18:19], vcc
	s_cbranch_execz .LBB55_729
; %bb.724:
	s_mov_b32 s20, 0x37ffffff
	v_cmp_lt_u32_e32 vcc, s20, v2
	s_mov_b64 s[20:21], 0
                                        ; implicit-def: $vgpr2
	s_and_saveexec_b64 s[22:23], vcc
	s_xor_b64 s[22:23], exec, s[22:23]
	s_cbranch_execz .LBB55_836
; %bb.725:
	v_bfe_u32 v2, v0, 21, 1
	s_mov_b32 s25, 0x88fffff
	v_add3_u32 v2, v0, v2, s25
	s_mov_b64 s[20:21], exec
	v_lshrrev_b32_e32 v2, 21, v2
	s_andn2_saveexec_b64 s[22:23], s[22:23]
	s_cbranch_execnz .LBB55_837
.LBB55_726:
	s_or_b64 exec, exec, s[22:23]
	v_mov_b32_e32 v5, 0
	s_and_saveexec_b64 s[22:23], s[20:21]
.LBB55_727:
	v_lshrrev_b32_e32 v0, 24, v0
	s_movk_i32 s20, 0x80
	v_and_or_b32 v5, v0, s20, v2
.LBB55_728:
	s_or_b64 exec, exec, s[22:23]
.LBB55_729:
	s_or_b64 exec, exec, s[18:19]
	s_mov_b64 s[18:19], 0
	global_store_byte v[3:4], v5, off
.LBB55_730:
	s_and_b64 vcc, exec, s[18:19]
	s_cbranch_vccz .LBB55_740
; %bb.731:
	v_cvt_f32_i32_e32 v0, v1
	s_mov_b32 s18, 0x43f00000
                                        ; implicit-def: $vgpr2
	v_and_b32_e32 v5, 0x7fffffff, v0
	v_cmp_gt_u32_e32 vcc, s18, v5
	s_and_saveexec_b64 s[18:19], vcc
	s_xor_b64 s[18:19], exec, s[18:19]
	s_cbranch_execz .LBB55_737
; %bb.732:
	s_mov_b32 s20, 0x3c7fffff
	v_cmp_lt_u32_e32 vcc, s20, v5
                                        ; implicit-def: $vgpr2
	s_and_saveexec_b64 s[20:21], vcc
	s_xor_b64 s[20:21], exec, s[20:21]
; %bb.733:
	v_bfe_u32 v2, v0, 20, 1
	s_mov_b32 s22, 0x407ffff
	v_add3_u32 v2, v0, v2, s22
	v_lshrrev_b32_e32 v5, 20, v2
	v_and_b32_e32 v2, 0xff00000, v2
	s_mov_b32 s22, 0x7f00000
	v_mov_b32_e32 v6, 0x7e
	v_cmp_ne_u32_e32 vcc, s22, v2
	v_cndmask_b32_e32 v2, v6, v5, vcc
; %bb.734:
	s_andn2_saveexec_b64 s[20:21], s[20:21]
; %bb.735:
	s_mov_b32 s22, 0x46800000
	v_add_f32_e64 v2, |v0|, s22
; %bb.736:
	s_or_b64 exec, exec, s[20:21]
                                        ; implicit-def: $vgpr5
.LBB55_737:
	s_andn2_saveexec_b64 s[18:19], s[18:19]
; %bb.738:
	s_mov_b32 s20, 0x7f800000
	v_mov_b32_e32 v2, 0x7e
	v_mov_b32_e32 v6, 0x7f
	v_cmp_lt_u32_e32 vcc, s20, v5
	v_cndmask_b32_e32 v2, v2, v6, vcc
; %bb.739:
	s_or_b64 exec, exec, s[18:19]
	v_lshrrev_b32_e32 v0, 24, v0
	s_movk_i32 s18, 0x80
	v_and_or_b32 v0, v0, s18, v2
	global_store_byte v[3:4], v0, off
.LBB55_740:
	s_mov_b64 s[18:19], 0
.LBB55_741:
	s_andn2_b64 vcc, exec, s[18:19]
	s_cbranch_vccnz .LBB55_751
; %bb.742:
	v_cvt_f32_i32_e32 v0, v1
	s_mov_b32 s18, 0x47800000
                                        ; implicit-def: $vgpr2
	v_and_b32_e32 v5, 0x7fffffff, v0
	v_cmp_gt_u32_e32 vcc, s18, v5
	s_and_saveexec_b64 s[18:19], vcc
	s_xor_b64 s[18:19], exec, s[18:19]
	s_cbranch_execz .LBB55_748
; %bb.743:
	s_mov_b32 s20, 0x387fffff
	v_cmp_lt_u32_e32 vcc, s20, v5
                                        ; implicit-def: $vgpr2
	s_and_saveexec_b64 s[20:21], vcc
	s_xor_b64 s[20:21], exec, s[20:21]
; %bb.744:
	v_bfe_u32 v2, v0, 21, 1
	s_mov_b32 s22, 0x80fffff
	v_add3_u32 v2, v0, v2, s22
	v_lshrrev_b32_e32 v2, 21, v2
; %bb.745:
	s_andn2_saveexec_b64 s[20:21], s[20:21]
; %bb.746:
	s_mov_b32 s22, 0x43000000
	v_add_f32_e64 v2, |v0|, s22
; %bb.747:
	s_or_b64 exec, exec, s[20:21]
                                        ; implicit-def: $vgpr5
.LBB55_748:
	s_andn2_saveexec_b64 s[18:19], s[18:19]
; %bb.749:
	s_mov_b32 s20, 0x7f800000
	v_mov_b32_e32 v2, 0x7c
	v_mov_b32_e32 v6, 0x7f
	v_cmp_lt_u32_e32 vcc, s20, v5
	v_cndmask_b32_e32 v2, v2, v6, vcc
; %bb.750:
	s_or_b64 exec, exec, s[18:19]
	v_lshrrev_b32_e32 v0, 24, v0
	s_movk_i32 s18, 0x80
	v_and_or_b32 v0, v0, s18, v2
	global_store_byte v[3:4], v0, off
.LBB55_751:
	s_mov_b64 s[20:21], 0
	s_mov_b64 s[18:19], -1
.LBB55_752:
	s_andn2_b64 vcc, exec, s[20:21]
	s_cbranch_vccnz .LBB55_760
; %bb.753:
	s_cmp_gt_i32 s24, 14
	s_mov_b64 s[20:21], -1
	s_cbranch_scc0 .LBB55_757
; %bb.754:
	s_cmp_eq_u32 s24, 15
	s_mov_b64 s[2:3], -1
	s_cbranch_scc0 .LBB55_756
; %bb.755:
	v_cvt_f32_i32_e32 v0, v1
	s_movk_i32 s2, 0x7fff
	s_mov_b64 s[18:19], -1
	v_bfe_u32 v2, v0, 16, 1
	v_add3_u32 v0, v0, v2, s2
	global_store_short_d16_hi v[3:4], v0, off
	s_mov_b64 s[2:3], 0
.LBB55_756:
	s_mov_b64 s[20:21], 0
.LBB55_757:
	s_and_b64 vcc, exec, s[20:21]
	s_cbranch_vccz .LBB55_760
; %bb.758:
	s_cmp_eq_u32 s24, 11
	s_mov_b64 s[2:3], -1
	s_cbranch_scc0 .LBB55_760
; %bb.759:
	v_cmp_ne_u32_e32 vcc, 0, v1
	v_cndmask_b32_e64 v0, 0, 1, vcc
	s_mov_b64 s[18:19], -1
	s_mov_b64 s[2:3], 0
	global_store_byte v[3:4], v0, off
.LBB55_760:
	s_mov_b64 s[20:21], 0
.LBB55_761:
	s_and_b64 vcc, exec, s[20:21]
	s_cbranch_vccz .LBB55_800
; %bb.762:
	s_and_b32 s12, 0xffff, s12
	s_cmp_lt_i32 s12, 5
	s_mov_b64 s[18:19], -1
	s_cbranch_scc1 .LBB55_783
; %bb.763:
	s_cmp_lt_i32 s12, 8
	s_cbranch_scc1 .LBB55_773
; %bb.764:
	s_cmp_lt_i32 s12, 9
	s_cbranch_scc1 .LBB55_770
; %bb.765:
	s_cmp_gt_i32 s12, 9
	s_cbranch_scc0 .LBB55_767
; %bb.766:
	v_cvt_f64_i32_e32 v[9:10], v1
	v_mov_b32_e32 v11, 0
	v_mov_b32_e32 v12, v11
	s_mov_b64 s[18:19], 0
	global_store_dwordx4 v[3:4], v[9:12], off
.LBB55_767:
	s_andn2_b64 vcc, exec, s[18:19]
	s_cbranch_vccnz .LBB55_769
; %bb.768:
	v_cvt_f32_i32_e32 v5, v1
	v_mov_b32_e32 v6, 0
	global_store_dwordx2 v[3:4], v[5:6], off
.LBB55_769:
	s_mov_b64 s[18:19], 0
.LBB55_770:
	s_andn2_b64 vcc, exec, s[18:19]
	s_cbranch_vccnz .LBB55_772
; %bb.771:
	v_cvt_f32_i32_e32 v0, v1
	v_cvt_f16_f32_e32 v0, v0
	global_store_dword v[3:4], v0, off
.LBB55_772:
	s_mov_b64 s[18:19], 0
.LBB55_773:
	s_andn2_b64 vcc, exec, s[18:19]
	s_cbranch_vccnz .LBB55_782
; %bb.774:
	s_cmp_lt_i32 s12, 6
	s_mov_b64 s[18:19], -1
	s_cbranch_scc1 .LBB55_780
; %bb.775:
	s_cmp_gt_i32 s12, 6
	s_cbranch_scc0 .LBB55_777
; %bb.776:
	v_cvt_f64_i32_e32 v[5:6], v1
	s_mov_b64 s[18:19], 0
	global_store_dwordx2 v[3:4], v[5:6], off
.LBB55_777:
	s_andn2_b64 vcc, exec, s[18:19]
	s_cbranch_vccnz .LBB55_779
; %bb.778:
	v_cvt_f32_i32_e32 v0, v1
	global_store_dword v[3:4], v0, off
.LBB55_779:
	s_mov_b64 s[18:19], 0
.LBB55_780:
	s_andn2_b64 vcc, exec, s[18:19]
	s_cbranch_vccnz .LBB55_782
; %bb.781:
	v_cvt_f32_i32_e32 v0, v1
	v_cvt_f16_f32_e32 v0, v0
	global_store_short v[3:4], v0, off
.LBB55_782:
	s_mov_b64 s[18:19], 0
.LBB55_783:
	s_andn2_b64 vcc, exec, s[18:19]
	s_cbranch_vccnz .LBB55_799
; %bb.784:
	s_cmp_lt_i32 s12, 2
	s_mov_b64 s[18:19], -1
	s_cbranch_scc1 .LBB55_794
; %bb.785:
	s_cmp_lt_i32 s12, 3
	s_cbranch_scc1 .LBB55_791
; %bb.786:
	s_cmp_gt_i32 s12, 3
	s_cbranch_scc0 .LBB55_788
; %bb.787:
	v_ashrrev_i32_e32 v2, 31, v1
	s_mov_b64 s[18:19], 0
	global_store_dwordx2 v[3:4], v[1:2], off
.LBB55_788:
	s_andn2_b64 vcc, exec, s[18:19]
	s_cbranch_vccnz .LBB55_790
; %bb.789:
	global_store_dword v[3:4], v1, off
.LBB55_790:
	s_mov_b64 s[18:19], 0
.LBB55_791:
	s_andn2_b64 vcc, exec, s[18:19]
	s_cbranch_vccnz .LBB55_793
; %bb.792:
	global_store_short v[3:4], v1, off
.LBB55_793:
	s_mov_b64 s[18:19], 0
.LBB55_794:
	s_andn2_b64 vcc, exec, s[18:19]
	s_cbranch_vccnz .LBB55_799
; %bb.795:
	s_cmp_gt_i32 s12, 0
	s_mov_b64 s[18:19], -1
	s_cbranch_scc0 .LBB55_797
; %bb.796:
	s_mov_b64 s[18:19], 0
	global_store_byte v[3:4], v1, off
.LBB55_797:
	s_andn2_b64 vcc, exec, s[18:19]
	s_cbranch_vccnz .LBB55_799
; %bb.798:
	global_store_byte v[3:4], v1, off
.LBB55_799:
	s_mov_b64 s[18:19], -1
.LBB55_800:
	s_andn2_b64 vcc, exec, s[18:19]
	s_cbranch_vccnz .LBB55_802
; %bb.801:
	v_add_u32_e32 v8, 0x80, v8
	s_mov_b64 s[18:19], -1
	s_branch .LBB55_804
.LBB55_802:
	s_mov_b64 s[18:19], 0
.LBB55_803:
                                        ; implicit-def: $vgpr8
.LBB55_804:
	s_andn2_b64 s[20:21], s[66:67], exec
	s_and_b64 s[2:3], s[2:3], exec
	s_or_b64 s[72:73], s[20:21], s[2:3]
	s_andn2_b64 s[2:3], s[64:65], exec
	s_and_b64 s[16:17], s[16:17], exec
	s_or_b64 s[2:3], s[2:3], s[16:17]
	s_orn2_b64 s[22:23], s[18:19], exec
.LBB55_805:
	s_or_b64 exec, exec, s[70:71]
	s_mov_b64 s[16:17], 0
	s_mov_b64 s[18:19], 0
	s_mov_b64 s[20:21], 0
                                        ; implicit-def: $vgpr1_vgpr2
                                        ; implicit-def: $vgpr0
                                        ; implicit-def: $vgpr5
	s_and_saveexec_b64 s[70:71], s[22:23]
	s_cbranch_execz .LBB55_900
; %bb.806:
	v_cmp_gt_i32_e32 vcc, s74, v8
	s_mov_b64 s[22:23], s[2:3]
                                        ; implicit-def: $vgpr1_vgpr2
                                        ; implicit-def: $vgpr0
                                        ; implicit-def: $vgpr5
	s_and_saveexec_b64 s[74:75], vcc
	s_cbranch_execz .LBB55_899
; %bb.807:
	s_andn2_b64 vcc, exec, s[48:49]
	s_cbranch_vccnz .LBB55_812
; %bb.808:
	s_andn2_b64 vcc, exec, s[58:59]
	s_cbranch_vccnz .LBB55_813
; %bb.809:
	s_add_i32 s79, s79, 1
	s_cmp_eq_u32 s76, 2
	s_cbranch_scc1 .LBB55_814
; %bb.810:
	s_and_b32 s12, s79, 28
	v_mov_b32_e32 v2, 0
	s_mov_b32 s80, 0
	s_mov_b64 s[58:59], s[34:35]
	v_mov_b32_e32 v0, 0
	v_mov_b32_e32 v1, v8
.LBB55_811:                             ; =>This Inner Loop Header: Depth=1
	s_load_dwordx8 s[24:31], s[58:59], 0x4
	s_load_dwordx4 s[44:47], s[58:59], 0x24
	s_load_dwordx8 s[16:23], s[56:57], 0x0
	s_add_u32 s58, s58, 48
	s_addc_u32 s59, s59, 0
	s_waitcnt vmcnt(0) lgkmcnt(0)
	v_mul_hi_u32 v3, s25, v1
	s_add_i32 s80, s80, 4
	s_add_u32 s56, s56, 32
	s_addc_u32 s57, s57, 0
	v_add_u32_e32 v3, v1, v3
	v_lshrrev_b32_e32 v3, s26, v3
	v_mul_lo_u32 v4, v3, s24
	v_mul_hi_u32 v5, s28, v3
	s_cmp_eq_u32 s12, s80
	v_sub_u32_e32 v1, v1, v4
	v_add_u32_e32 v4, v3, v5
	v_mul_lo_u32 v5, v1, s16
	v_mul_lo_u32 v6, v1, s17
	v_lshrrev_b32_e32 v1, s29, v4
	v_mul_lo_u32 v4, v1, s27
	v_mul_hi_u32 v7, s31, v1
	v_sub_u32_e32 v3, v3, v4
	v_add_u32_e32 v4, v1, v7
	v_lshrrev_b32_e32 v4, s44, v4
	v_mul_hi_u32 v9, s46, v4
	v_mul_lo_u32 v10, v4, s30
	v_mul_lo_u32 v7, v3, s18
	;; [unrolled: 1-line block ×3, first 2 shown]
	v_sub_u32_e32 v10, v1, v10
	v_add_u32_e32 v1, v4, v9
	v_lshrrev_b32_e32 v1, s47, v1
	v_mul_lo_u32 v9, v1, s45
	v_mul_lo_u32 v11, v10, s20
	;; [unrolled: 1-line block ×3, first 2 shown]
	v_add3_u32 v0, v5, v0, v7
	v_sub_u32_e32 v4, v4, v9
	v_mul_lo_u32 v9, v4, s22
	v_mul_lo_u32 v4, v4, s23
	v_add3_u32 v2, v6, v2, v3
	v_add3_u32 v0, v11, v0, v9
	;; [unrolled: 1-line block ×3, first 2 shown]
	s_cbranch_scc0 .LBB55_811
	s_branch .LBB55_815
.LBB55_812:
	s_mov_b64 s[16:17], -1
                                        ; implicit-def: $vgpr0
                                        ; implicit-def: $vgpr2
	s_branch .LBB55_819
.LBB55_813:
	v_mov_b32_e32 v0, 0
	v_mov_b32_e32 v2, 0
	s_branch .LBB55_818
.LBB55_814:
	s_mov_b32 s12, 0
	v_mov_b32_e32 v0, 0
	v_mov_b32_e32 v2, 0
	;; [unrolled: 1-line block ×3, first 2 shown]
.LBB55_815:
	s_and_b32 s20, s79, 3
	s_cmp_eq_u32 s20, 0
	s_cbranch_scc1 .LBB55_818
; %bb.816:
	s_lshl_b32 s16, s12, 3
	s_add_u32 s16, s34, s16
	s_addc_u32 s17, s35, 0
	s_add_u32 s16, s16, 0xc4
	s_addc_u32 s17, s17, 0
	s_mul_i32 s12, s12, 12
	s_add_u32 s18, s34, s12
	s_addc_u32 s19, s35, 0
.LBB55_817:                             ; =>This Inner Loop Header: Depth=1
	s_load_dwordx2 s[22:23], s[18:19], 0x4
	s_load_dword s12, s[18:19], 0xc
	s_load_dwordx2 s[24:25], s[16:17], 0x0
	s_add_u32 s18, s18, 12
	s_addc_u32 s19, s19, 0
	s_waitcnt vmcnt(0) lgkmcnt(0)
	v_mul_hi_u32 v3, s23, v1
	s_add_u32 s16, s16, 8
	s_addc_u32 s17, s17, 0
	s_add_i32 s20, s20, -1
	v_add_u32_e32 v3, v1, v3
	v_lshrrev_b32_e32 v4, s12, v3
	v_mul_lo_u32 v3, v4, s22
	s_cmp_lg_u32 s20, 0
	v_sub_u32_e32 v3, v1, v3
	v_mad_u64_u32 v[0:1], s[22:23], v3, s24, v[0:1]
	v_mad_u64_u32 v[2:3], s[22:23], v3, s25, v[2:3]
	v_mov_b32_e32 v1, v4
	s_cbranch_scc1 .LBB55_817
.LBB55_818:
	s_mov_b64 s[16:17], 0
.LBB55_819:
	s_andn2_b64 vcc, exec, s[16:17]
	s_cbranch_vccnz .LBB55_822
; %bb.820:
	v_mul_hi_u32 v0, s37, v8
	s_andn2_b64 vcc, exec, s[54:55]
	v_add_u32_e32 v0, v8, v0
	v_lshrrev_b32_e32 v1, s38, v0
	v_mul_lo_u32 v0, v1, s36
	v_sub_u32_e32 v2, v8, v0
	v_mul_lo_u32 v0, v2, s40
	v_mul_lo_u32 v2, v2, s41
	s_cbranch_vccnz .LBB55_822
; %bb.821:
	s_waitcnt vmcnt(0)
	v_mul_hi_u32 v3, s52, v1
	v_add_u32_e32 v3, v1, v3
	v_lshrrev_b32_e32 v3, s53, v3
	v_mul_lo_u32 v3, v3, s39
	v_sub_u32_e32 v3, v1, v3
	v_mad_u64_u32 v[0:1], s[16:17], v3, s42, v[0:1]
	v_mad_u64_u32 v[2:3], s[16:17], v3, s43, v[2:3]
.LBB55_822:
	s_waitcnt vmcnt(0)
	v_mov_b32_e32 v3, s11
	s_and_b32 s12, 0xffff, s78
	v_add_co_u32_e32 v1, vcc, s10, v2
	s_cmp_lt_i32 s12, 11
	v_addc_co_u32_e32 v2, vcc, 0, v3, vcc
	s_cbranch_scc1 .LBB55_829
; %bb.823:
	s_cmp_gt_i32 s12, 25
	s_mov_b64 s[16:17], 0
	s_cbranch_scc0 .LBB55_830
; %bb.824:
	s_cmp_gt_i32 s12, 28
	s_cbranch_scc0 .LBB55_831
; %bb.825:
	s_cmp_gt_i32 s12, 43
	;; [unrolled: 3-line block ×3, first 2 shown]
	s_cbranch_scc0 .LBB55_835
; %bb.827:
	s_cmp_eq_u32 s12, 46
	s_mov_b64 s[20:21], 0
	s_cbranch_scc0 .LBB55_838
; %bb.828:
	global_load_dword v3, v[1:2], off
	s_mov_b64 s[10:11], 0
	s_mov_b64 s[18:19], -1
	s_waitcnt vmcnt(0)
	v_lshlrev_b32_e32 v3, 16, v3
	v_cvt_i32_f32_e32 v5, v3
	s_branch .LBB55_839
.LBB55_829:
	s_mov_b64 s[22:23], -1
	s_mov_b64 s[18:19], 0
	s_mov_b64 s[16:17], 0
	;; [unrolled: 1-line block ×3, first 2 shown]
                                        ; implicit-def: $vgpr5
	s_branch .LBB55_898
.LBB55_830:
	s_mov_b64 s[20:21], -1
	s_mov_b64 s[18:19], 0
	s_mov_b64 s[10:11], s[2:3]
                                        ; implicit-def: $vgpr5
	s_branch .LBB55_866
.LBB55_831:
	s_mov_b64 s[20:21], -1
	s_mov_b64 s[18:19], 0
	s_mov_b64 s[10:11], s[2:3]
                                        ; implicit-def: $vgpr5
	s_branch .LBB55_849
.LBB55_832:
	s_mov_b64 s[20:21], -1
	s_mov_b64 s[18:19], 0
	s_mov_b64 s[10:11], s[2:3]
                                        ; implicit-def: $vgpr5
	s_branch .LBB55_844
.LBB55_833:
	s_andn2_saveexec_b64 s[22:23], s[22:23]
	s_cbranch_execz .LBB55_713
.LBB55_834:
	s_mov_b32 s25, 0x46000000
	v_add_f32_e64 v2, |v0|, s25
	v_and_b32_e32 v2, 0xff, v2
	v_cmp_ne_u32_e32 vcc, 0, v2
	s_andn2_b64 s[20:21], s[20:21], exec
	s_and_b64 s[26:27], vcc, exec
	s_or_b64 s[20:21], s[20:21], s[26:27]
	s_or_b64 exec, exec, s[22:23]
	v_mov_b32_e32 v5, 0
	s_and_saveexec_b64 s[22:23], s[20:21]
	s_cbranch_execnz .LBB55_714
	s_branch .LBB55_715
.LBB55_835:
	s_mov_b64 s[20:21], -1
	s_mov_b64 s[18:19], 0
	s_mov_b64 s[10:11], s[2:3]
                                        ; implicit-def: $vgpr5
	s_branch .LBB55_839
.LBB55_836:
	s_andn2_saveexec_b64 s[22:23], s[22:23]
	s_cbranch_execz .LBB55_726
.LBB55_837:
	s_mov_b32 s25, 0x42800000
	v_add_f32_e64 v2, |v0|, s25
	v_and_b32_e32 v2, 0xff, v2
	v_cmp_ne_u32_e32 vcc, 0, v2
	s_andn2_b64 s[20:21], s[20:21], exec
	s_and_b64 s[26:27], vcc, exec
	s_or_b64 s[20:21], s[20:21], s[26:27]
	s_or_b64 exec, exec, s[22:23]
	v_mov_b32_e32 v5, 0
	s_and_saveexec_b64 s[22:23], s[20:21]
	s_cbranch_execnz .LBB55_727
	s_branch .LBB55_728
.LBB55_838:
	s_mov_b64 s[10:11], -1
                                        ; implicit-def: $vgpr5
	s_mov_b64 s[18:19], 0
.LBB55_839:
	s_and_b64 vcc, exec, s[20:21]
	s_cbranch_vccz .LBB55_843
; %bb.840:
	s_cmp_eq_u32 s12, 44
	s_cbranch_scc0 .LBB55_842
; %bb.841:
	global_load_ubyte v3, v[1:2], off
	s_mov_b64 s[10:11], 0
	s_mov_b64 s[18:19], -1
	s_waitcnt vmcnt(0)
	v_lshlrev_b32_e32 v4, 23, v3
	v_cvt_i32_f32_e32 v4, v4
	v_cmp_ne_u32_e32 vcc, 0, v3
	v_cndmask_b32_e32 v5, 0, v4, vcc
	s_branch .LBB55_843
.LBB55_842:
	s_mov_b64 s[10:11], -1
                                        ; implicit-def: $vgpr5
.LBB55_843:
	s_mov_b64 s[20:21], 0
.LBB55_844:
	s_and_b64 vcc, exec, s[20:21]
	s_cbranch_vccz .LBB55_848
; %bb.845:
	s_cmp_eq_u32 s12, 29
	s_cbranch_scc0 .LBB55_847
; %bb.846:
	global_load_dword v5, v[1:2], off
	s_mov_b64 s[10:11], 0
	s_mov_b64 s[18:19], -1
	s_branch .LBB55_848
.LBB55_847:
	s_mov_b64 s[10:11], -1
                                        ; implicit-def: $vgpr5
.LBB55_848:
	s_mov_b64 s[20:21], 0
.LBB55_849:
	s_and_b64 vcc, exec, s[20:21]
	s_cbranch_vccz .LBB55_865
; %bb.850:
	s_cmp_lt_i32 s12, 27
	s_cbranch_scc1 .LBB55_853
; %bb.851:
	s_cmp_gt_i32 s12, 27
	s_cbranch_scc0 .LBB55_854
; %bb.852:
	global_load_dword v5, v[1:2], off
	s_mov_b64 s[18:19], 0
	s_branch .LBB55_855
.LBB55_853:
	s_mov_b64 s[18:19], -1
                                        ; implicit-def: $vgpr5
	s_branch .LBB55_858
.LBB55_854:
	s_mov_b64 s[18:19], -1
                                        ; implicit-def: $vgpr5
.LBB55_855:
	s_andn2_b64 vcc, exec, s[18:19]
	s_cbranch_vccnz .LBB55_857
; %bb.856:
	global_load_ushort v5, v[1:2], off
.LBB55_857:
	s_mov_b64 s[18:19], 0
.LBB55_858:
	s_andn2_b64 vcc, exec, s[18:19]
	s_cbranch_vccnz .LBB55_864
; %bb.859:
	global_load_ubyte v3, v[1:2], off
	s_movk_i32 s18, 0x7f
	s_mov_b64 s[20:21], 0
	s_waitcnt vmcnt(0)
	v_cmp_lt_i16_e32 vcc, s18, v3
	s_and_saveexec_b64 s[18:19], vcc
	s_xor_b64 s[18:19], exec, s[18:19]
	s_cbranch_execz .LBB55_876
; %bb.860:
	s_movk_i32 s20, 0x80
	v_cmp_ne_u16_e32 vcc, s20, v3
	s_and_b64 s[20:21], vcc, exec
	s_andn2_saveexec_b64 s[18:19], s[18:19]
	s_cbranch_execnz .LBB55_877
.LBB55_861:
	s_or_b64 exec, exec, s[18:19]
	v_mov_b32_e32 v5, 0
	s_and_saveexec_b64 s[18:19], s[20:21]
	s_cbranch_execz .LBB55_863
.LBB55_862:
	v_lshlrev_b32_e32 v4, 24, v3
	v_and_b32_e32 v3, 0xffff, v3
	v_and_b32_e32 v5, 7, v3
	v_ffbh_u32_e32 v7, v5
	v_min_u32_e32 v7, 32, v7
	v_subrev_u32_e32 v8, 28, v7
	v_bfe_u32 v6, v3, 3, 4
	v_lshlrev_b32_e32 v3, v8, v3
	v_sub_u32_e32 v7, 29, v7
	v_and_b32_e32 v3, 7, v3
	v_cmp_eq_u32_e32 vcc, 0, v6
	v_cndmask_b32_e32 v6, v6, v7, vcc
	v_cndmask_b32_e32 v3, v5, v3, vcc
	v_mov_b32_e32 v5, 0x3b800000
	v_lshlrev_b32_e32 v3, 20, v3
	v_and_b32_e32 v4, 0x80000000, v4
	v_lshl_add_u32 v5, v6, 23, v5
	v_or3_b32 v3, v4, v5, v3
	v_cvt_i32_f32_e32 v5, v3
.LBB55_863:
	s_or_b64 exec, exec, s[18:19]
.LBB55_864:
	s_mov_b64 s[18:19], -1
.LBB55_865:
	s_mov_b64 s[20:21], 0
.LBB55_866:
	s_and_b64 vcc, exec, s[20:21]
	s_cbranch_vccz .LBB55_897
; %bb.867:
	s_cmp_gt_i32 s12, 22
	s_cbranch_scc0 .LBB55_875
; %bb.868:
	s_cmp_lt_i32 s12, 24
	s_cbranch_scc1 .LBB55_878
; %bb.869:
	s_cmp_gt_i32 s12, 24
	s_cbranch_scc0 .LBB55_879
; %bb.870:
	global_load_ubyte v3, v[1:2], off
	s_movk_i32 s16, 0x7f
	s_mov_b64 s[18:19], 0
	s_waitcnt vmcnt(0)
	v_cmp_lt_i16_e32 vcc, s16, v3
	s_and_saveexec_b64 s[16:17], vcc
	s_xor_b64 s[16:17], exec, s[16:17]
	s_cbranch_execz .LBB55_891
; %bb.871:
	s_movk_i32 s18, 0x80
	v_cmp_ne_u16_e32 vcc, s18, v3
	s_and_b64 s[18:19], vcc, exec
	s_andn2_saveexec_b64 s[16:17], s[16:17]
	s_cbranch_execnz .LBB55_892
.LBB55_872:
	s_or_b64 exec, exec, s[16:17]
	v_mov_b32_e32 v5, 0
	s_and_saveexec_b64 s[16:17], s[18:19]
	s_cbranch_execz .LBB55_874
.LBB55_873:
	v_lshlrev_b32_e32 v4, 24, v3
	v_and_b32_e32 v3, 0xffff, v3
	v_and_b32_e32 v5, 3, v3
	v_ffbh_u32_e32 v7, v5
	v_min_u32_e32 v7, 32, v7
	v_subrev_u32_e32 v8, 29, v7
	v_bfe_u32 v6, v3, 2, 5
	v_lshlrev_b32_e32 v3, v8, v3
	v_sub_u32_e32 v7, 30, v7
	v_and_b32_e32 v3, 3, v3
	v_cmp_eq_u32_e32 vcc, 0, v6
	v_cndmask_b32_e32 v6, v6, v7, vcc
	v_cndmask_b32_e32 v3, v5, v3, vcc
	v_mov_b32_e32 v5, 0x37800000
	v_lshlrev_b32_e32 v3, 21, v3
	v_and_b32_e32 v4, 0x80000000, v4
	v_lshl_add_u32 v5, v6, 23, v5
	v_or3_b32 v3, v4, v5, v3
	v_cvt_i32_f32_e32 v5, v3
.LBB55_874:
	s_or_b64 exec, exec, s[16:17]
	s_mov_b64 s[16:17], 0
	s_branch .LBB55_880
.LBB55_875:
	s_mov_b64 s[16:17], -1
                                        ; implicit-def: $vgpr5
	s_branch .LBB55_886
.LBB55_876:
	s_andn2_saveexec_b64 s[18:19], s[18:19]
	s_cbranch_execz .LBB55_861
.LBB55_877:
	v_cmp_ne_u16_e32 vcc, 0, v3
	s_andn2_b64 s[20:21], s[20:21], exec
	s_and_b64 s[22:23], vcc, exec
	s_or_b64 s[20:21], s[20:21], s[22:23]
	s_or_b64 exec, exec, s[18:19]
	v_mov_b32_e32 v5, 0
	s_and_saveexec_b64 s[18:19], s[20:21]
	s_cbranch_execnz .LBB55_862
	s_branch .LBB55_863
.LBB55_878:
	s_mov_b64 s[16:17], -1
                                        ; implicit-def: $vgpr5
	s_branch .LBB55_883
.LBB55_879:
	s_mov_b64 s[16:17], -1
                                        ; implicit-def: $vgpr5
.LBB55_880:
	s_and_b64 vcc, exec, s[16:17]
	s_cbranch_vccz .LBB55_882
; %bb.881:
	global_load_ubyte v3, v[1:2], off
	s_mov_b32 s16, 0x7f800000
	s_waitcnt vmcnt(0)
	v_lshlrev_b32_e32 v3, 24, v3
	v_and_b32_e32 v4, 0x7f000000, v3
	v_ffbh_u32_e32 v5, v4
	v_min_u32_e32 v5, 32, v5
	v_sub_u32_e64 v5, v5, 4 clamp
	v_lshlrev_b32_e32 v7, v5, v4
	v_lshlrev_b32_e32 v5, 23, v5
	v_lshrrev_b32_e32 v7, 4, v7
	v_add_u32_e32 v6, 0x1000000, v4
	v_sub_u32_e32 v5, v7, v5
	v_ashrrev_i32_e32 v6, 8, v6
	v_add_u32_e32 v5, 0x3c000000, v5
	v_and_or_b32 v5, v6, s16, v5
	v_cmp_ne_u32_e32 vcc, 0, v4
	v_cndmask_b32_e32 v4, 0, v5, vcc
	s_brev_b32 s16, 1
	v_and_or_b32 v3, v3, s16, v4
	v_cvt_i32_f32_e32 v5, v3
.LBB55_882:
	s_mov_b64 s[16:17], 0
.LBB55_883:
	s_andn2_b64 vcc, exec, s[16:17]
	s_cbranch_vccnz .LBB55_885
; %bb.884:
	global_load_ubyte v3, v[1:2], off
	s_movk_i32 s16, 0x7f00
	s_brev_b32 s17, 16
	s_waitcnt vmcnt(0)
	v_lshlrev_b16_e32 v4, 8, v3
	v_lshlrev_b32_e32 v3, 25, v3
	v_lshrrev_b32_e32 v5, 4, v3
	v_and_or_b32 v6, v4, s16, 0.5
	v_or_b32_e32 v5, 0x70000000, v5
	v_add_f32_e32 v6, -0.5, v6
	v_mul_f32_e32 v5, 0x7800000, v5
	v_cmp_gt_u32_e32 vcc, s17, v3
	v_bfe_i32 v4, v4, 0, 16
	v_cndmask_b32_e32 v3, v5, v6, vcc
	s_brev_b32 s16, 1
	v_and_or_b32 v3, v4, s16, v3
	v_cvt_i32_f32_e32 v5, v3
.LBB55_885:
	s_mov_b64 s[16:17], 0
	s_mov_b64 s[18:19], -1
.LBB55_886:
	s_andn2_b64 vcc, exec, s[16:17]
	s_mov_b64 s[16:17], 0
	s_cbranch_vccnz .LBB55_897
; %bb.887:
	s_cmp_gt_i32 s12, 14
	s_cbranch_scc0 .LBB55_890
; %bb.888:
	s_cmp_eq_u32 s12, 15
	s_cbranch_scc0 .LBB55_893
; %bb.889:
	global_load_ushort v3, v[1:2], off
	s_mov_b64 s[10:11], 0
	s_mov_b64 s[18:19], -1
	s_waitcnt vmcnt(0)
	v_lshlrev_b32_e32 v3, 16, v3
	v_cvt_i32_f32_e32 v5, v3
	s_branch .LBB55_894
.LBB55_890:
	s_mov_b64 s[20:21], -1
                                        ; implicit-def: $vgpr5
	s_branch .LBB55_895
.LBB55_891:
	s_andn2_saveexec_b64 s[16:17], s[16:17]
	s_cbranch_execz .LBB55_872
.LBB55_892:
	v_cmp_ne_u16_e32 vcc, 0, v3
	s_andn2_b64 s[18:19], s[18:19], exec
	s_and_b64 s[20:21], vcc, exec
	s_or_b64 s[18:19], s[18:19], s[20:21]
	s_or_b64 exec, exec, s[16:17]
	v_mov_b32_e32 v5, 0
	s_and_saveexec_b64 s[16:17], s[18:19]
	s_cbranch_execnz .LBB55_873
	s_branch .LBB55_874
.LBB55_893:
	s_mov_b64 s[10:11], -1
                                        ; implicit-def: $vgpr5
.LBB55_894:
	s_mov_b64 s[20:21], 0
.LBB55_895:
	s_and_b64 vcc, exec, s[20:21]
	s_cbranch_vccz .LBB55_897
; %bb.896:
	s_cmp_lg_u32 s12, 11
	s_cselect_b64 s[20:21], -1, 0
	s_andn2_b64 s[10:11], s[10:11], exec
	s_and_b64 s[20:21], s[20:21], exec
	s_mov_b64 s[16:17], -1
	s_or_b64 s[10:11], s[10:11], s[20:21]
.LBB55_897:
	s_mov_b64 s[22:23], 0
.LBB55_898:
	s_and_b64 s[20:21], s[18:19], exec
	s_and_b64 s[18:19], s[22:23], exec
	s_andn2_b64 s[22:23], s[2:3], exec
	s_and_b64 s[10:11], s[10:11], exec
	s_and_b64 s[16:17], s[16:17], exec
	s_or_b64 s[22:23], s[22:23], s[10:11]
.LBB55_899:
	s_or_b64 exec, exec, s[74:75]
	s_andn2_b64 s[2:3], s[2:3], exec
	s_and_b64 s[10:11], s[22:23], exec
	s_and_b64 s[20:21], s[20:21], exec
	;; [unrolled: 1-line block ×4, first 2 shown]
	s_or_b64 s[2:3], s[2:3], s[10:11]
.LBB55_900:
	s_or_b64 exec, exec, s[70:71]
	s_andn2_b64 s[10:11], s[66:67], exec
	s_and_b64 s[22:23], s[72:73], exec
	s_or_b64 s[66:67], s[10:11], s[22:23]
	s_andn2_b64 s[10:11], s[64:65], exec
	s_and_b64 s[2:3], s[2:3], exec
	s_and_b64 s[22:23], s[20:21], exec
	;; [unrolled: 1-line block ×4, first 2 shown]
	s_or_b64 s[64:65], s[10:11], s[2:3]
.LBB55_901:
	s_or_b64 exec, exec, s[68:69]
	s_andn2_b64 s[2:3], s[14:15], exec
	s_and_b64 s[10:11], s[66:67], exec
	s_or_b64 s[14:15], s[2:3], s[10:11]
	s_andn2_b64 s[2:3], s[60:61], exec
	s_and_b64 s[10:11], s[64:65], exec
	s_and_b64 s[16:17], s[22:23], exec
	;; [unrolled: 1-line block ×4, first 2 shown]
	s_or_b64 s[60:61], s[2:3], s[10:11]
	s_or_b64 exec, exec, s[62:63]
	s_mov_b64 s[2:3], 0
	s_and_saveexec_b64 s[10:11], s[60:61]
	s_cbranch_execz .LBB55_270
.LBB55_902:
	s_mov_b64 s[2:3], exec
	s_andn2_b64 s[66:67], s[66:67], exec
	s_trap 2
	s_or_b64 exec, exec, s[10:11]
	s_and_saveexec_b64 s[10:11], s[66:67]
	s_xor_b64 s[10:11], exec, s[10:11]
	s_cbranch_execnz .LBB55_271
.LBB55_903:
	s_or_b64 exec, exec, s[10:11]
	s_and_saveexec_b64 s[10:11], s[18:19]
	s_cbranch_execz .LBB55_949
.LBB55_904:
	s_sext_i32_i16 s12, s78
	s_cmp_lt_i32 s12, 5
	s_cbranch_scc1 .LBB55_909
; %bb.905:
	s_cmp_lt_i32 s12, 8
	s_cbranch_scc1 .LBB55_910
; %bb.906:
	;; [unrolled: 3-line block ×3, first 2 shown]
	s_cmp_gt_i32 s12, 9
	s_cbranch_scc0 .LBB55_912
; %bb.908:
	global_load_dwordx2 v[3:4], v[1:2], off
	s_mov_b64 s[18:19], 0
	s_waitcnt vmcnt(0)
	v_cvt_i32_f64_e32 v5, v[3:4]
	s_branch .LBB55_913
.LBB55_909:
                                        ; implicit-def: $vgpr5
	s_branch .LBB55_930
.LBB55_910:
                                        ; implicit-def: $vgpr5
	s_branch .LBB55_919
.LBB55_911:
	s_mov_b64 s[18:19], -1
                                        ; implicit-def: $vgpr5
	s_branch .LBB55_916
.LBB55_912:
	s_mov_b64 s[18:19], -1
                                        ; implicit-def: $vgpr5
.LBB55_913:
	s_andn2_b64 vcc, exec, s[18:19]
	s_cbranch_vccnz .LBB55_915
; %bb.914:
	global_load_dword v3, v[1:2], off
	s_waitcnt vmcnt(0)
	v_cvt_i32_f32_e32 v5, v3
.LBB55_915:
	s_mov_b64 s[18:19], 0
.LBB55_916:
	s_andn2_b64 vcc, exec, s[18:19]
	s_cbranch_vccnz .LBB55_918
; %bb.917:
	global_load_dword v3, v[1:2], off
	s_waitcnt vmcnt(0)
	v_cvt_f32_f16_e32 v3, v3
	v_cvt_i32_f32_e32 v5, v3
.LBB55_918:
	s_cbranch_execnz .LBB55_929
.LBB55_919:
	s_sext_i32_i16 s12, s78
	s_cmp_lt_i32 s12, 6
	s_cbranch_scc1 .LBB55_922
; %bb.920:
	s_cmp_gt_i32 s12, 6
	s_cbranch_scc0 .LBB55_923
; %bb.921:
	global_load_dwordx2 v[3:4], v[1:2], off
	s_mov_b64 s[18:19], 0
	s_waitcnt vmcnt(0)
	v_cvt_i32_f64_e32 v5, v[3:4]
	s_branch .LBB55_924
.LBB55_922:
	s_mov_b64 s[18:19], -1
                                        ; implicit-def: $vgpr5
	s_branch .LBB55_927
.LBB55_923:
	s_mov_b64 s[18:19], -1
                                        ; implicit-def: $vgpr5
.LBB55_924:
	s_andn2_b64 vcc, exec, s[18:19]
	s_cbranch_vccnz .LBB55_926
; %bb.925:
	global_load_dword v3, v[1:2], off
	s_waitcnt vmcnt(0)
	v_cvt_i32_f32_e32 v5, v3
.LBB55_926:
	s_mov_b64 s[18:19], 0
.LBB55_927:
	s_andn2_b64 vcc, exec, s[18:19]
	s_cbranch_vccnz .LBB55_929
; %bb.928:
	global_load_ushort v3, v[1:2], off
	s_waitcnt vmcnt(0)
	v_cvt_f32_f16_e32 v3, v3
	v_cvt_i32_f32_e32 v5, v3
.LBB55_929:
	s_cbranch_execnz .LBB55_948
.LBB55_930:
	s_sext_i32_i16 s12, s78
	s_cmp_lt_i32 s12, 2
	s_cbranch_scc1 .LBB55_934
; %bb.931:
	s_cmp_lt_i32 s12, 3
	s_cbranch_scc1 .LBB55_935
; %bb.932:
	s_cmp_gt_i32 s12, 3
	s_cbranch_scc0 .LBB55_936
; %bb.933:
	global_load_dword v5, v[1:2], off
	s_mov_b64 s[18:19], 0
	s_branch .LBB55_937
.LBB55_934:
                                        ; implicit-def: $vgpr5
	s_branch .LBB55_943
.LBB55_935:
	s_mov_b64 s[18:19], -1
                                        ; implicit-def: $vgpr5
	s_branch .LBB55_940
.LBB55_936:
	s_mov_b64 s[18:19], -1
                                        ; implicit-def: $vgpr5
.LBB55_937:
	s_andn2_b64 vcc, exec, s[18:19]
	s_cbranch_vccnz .LBB55_939
; %bb.938:
	global_load_dword v5, v[1:2], off
.LBB55_939:
	s_mov_b64 s[18:19], 0
.LBB55_940:
	s_andn2_b64 vcc, exec, s[18:19]
	s_cbranch_vccnz .LBB55_942
; %bb.941:
	global_load_sshort v5, v[1:2], off
.LBB55_942:
	s_cbranch_execnz .LBB55_948
.LBB55_943:
	s_sext_i32_i16 s12, s78
	s_cmp_gt_i32 s12, 0
	s_cbranch_scc0 .LBB55_945
; %bb.944:
	global_load_sbyte v5, v[1:2], off
	s_mov_b64 s[18:19], 0
	s_branch .LBB55_946
.LBB55_945:
	s_mov_b64 s[18:19], -1
                                        ; implicit-def: $vgpr5
.LBB55_946:
	s_andn2_b64 vcc, exec, s[18:19]
	s_cbranch_vccnz .LBB55_948
; %bb.947:
	global_load_ubyte v5, v[1:2], off
.LBB55_948:
	s_or_b64 s[16:17], s[16:17], exec
.LBB55_949:
	s_or_b64 exec, exec, s[10:11]
	s_mov_b64 s[20:21], 0
	s_mov_b64 s[18:19], 0
                                        ; implicit-def: $sgpr22
                                        ; implicit-def: $vgpr3_vgpr4
                                        ; implicit-def: $vgpr1
	s_and_saveexec_b64 s[10:11], s[16:17]
	s_cbranch_execz .LBB55_957
; %bb.950:
	v_mov_b32_e32 v1, s13
	v_mov_b32_e32 v2, s9
	s_and_b32 s22, s77, 0xff
	s_waitcnt vmcnt(0)
	v_add_co_u32_e32 v3, vcc, s8, v0
	v_cndmask_b32_e64 v1, v1, v5, s[0:1]
	s_cmp_lt_i32 s22, 11
	v_addc_co_u32_e32 v4, vcc, 0, v2, vcc
	s_cbranch_scc1 .LBB55_960
; %bb.951:
	s_and_b32 s20, 0xffff, s22
	s_mov_b64 s[12:13], -1
	s_cmp_gt_i32 s20, 25
	s_mov_b64 s[0:1], s[14:15]
	s_cbranch_scc0 .LBB55_988
; %bb.952:
	s_mov_b64 s[8:9], -1
	s_cmp_gt_i32 s20, 28
	s_mov_b64 s[0:1], s[14:15]
	s_cbranch_scc0 .LBB55_972
; %bb.953:
	s_cmp_gt_i32 s20, 43
	s_mov_b64 s[0:1], s[14:15]
	s_cbranch_scc0 .LBB55_968
; %bb.954:
	;; [unrolled: 4-line block ×3, first 2 shown]
	s_cmp_eq_u32 s20, 46
	s_mov_b64 s[0:1], -1
	s_cbranch_scc0 .LBB55_961
; %bb.956:
	v_cvt_f32_i32_e32 v0, v1
	s_movk_i32 s0, 0x7fff
	s_mov_b64 s[8:9], 0
	v_bfe_u32 v2, v0, 16, 1
	v_add3_u32 v0, v0, v2, s0
	v_lshrrev_b32_e32 v0, 16, v0
	global_store_dword v[3:4], v0, off
	s_mov_b64 s[0:1], 0
	s_branch .LBB55_962
.LBB55_957:
	s_or_b64 exec, exec, s[10:11]
	s_and_saveexec_b64 s[0:1], s[14:15]
	s_cbranch_execnz .LBB55_1030
.LBB55_958:
	s_or_b64 exec, exec, s[0:1]
	s_and_saveexec_b64 s[0:1], s[20:21]
	s_xor_b64 s[0:1], exec, s[0:1]
	s_cbranch_execz .LBB55_1031
.LBB55_959:
	v_cmp_ne_u32_e32 vcc, 0, v1
	v_cndmask_b32_e64 v0, 0, 1, vcc
	s_waitcnt vmcnt(0)
	global_store_byte v[3:4], v0, off
	s_or_b64 exec, exec, s[0:1]
	s_and_saveexec_b64 s[0:1], s[18:19]
	s_xor_b64 s[0:1], exec, s[0:1]
	s_cbranch_execz .LBB55_1069
	s_branch .LBB55_1032
.LBB55_960:
	s_mov_b64 s[12:13], 0
	s_mov_b64 s[8:9], -1
	s_mov_b64 s[0:1], s[14:15]
	s_branch .LBB55_1029
.LBB55_961:
	s_mov_b64 s[8:9], 0
.LBB55_962:
	s_and_b64 vcc, exec, s[8:9]
	s_cbranch_vccz .LBB55_967
; %bb.963:
	s_cmp_eq_u32 s20, 44
	s_mov_b64 s[0:1], -1
	s_cbranch_scc0 .LBB55_967
; %bb.964:
	v_cvt_f32_i32_e32 v0, v1
	s_movk_i32 s0, 0xff
	v_mov_b32_e32 v5, 0xff
	v_bfe_u32 v2, v0, 23, 8
	v_cmp_ne_u32_e32 vcc, s0, v2
	s_and_saveexec_b64 s[8:9], vcc
; %bb.965:
	s_mov_b32 s0, 0x3fffff
	v_lshrrev_b32_e32 v5, 23, v0
	v_and_b32_e32 v6, 0x400000, v0
	v_and_or_b32 v0, v0, s0, v2
	v_cmp_ne_u32_e32 vcc, 0, v6
	v_cmp_ne_u32_e64 s[0:1], 0, v0
	s_and_b64 s[0:1], vcc, s[0:1]
	v_cndmask_b32_e64 v0, 0, 1, s[0:1]
	v_add_u32_e32 v5, v5, v0
; %bb.966:
	s_or_b64 exec, exec, s[8:9]
	s_mov_b64 s[0:1], 0
	global_store_byte v[3:4], v5, off
.LBB55_967:
	s_mov_b64 s[8:9], 0
.LBB55_968:
	s_and_b64 vcc, exec, s[8:9]
	s_cbranch_vccz .LBB55_971
; %bb.969:
	s_cmp_eq_u32 s20, 29
	s_mov_b64 s[0:1], -1
	s_cbranch_scc0 .LBB55_971
; %bb.970:
	v_ashrrev_i32_e32 v2, 31, v1
	global_store_dwordx2 v[3:4], v[1:2], off
	s_mov_b64 s[0:1], 0
.LBB55_971:
	s_mov_b64 s[8:9], 0
.LBB55_972:
	s_and_b64 vcc, exec, s[8:9]
	s_cbranch_vccz .LBB55_987
; %bb.973:
	s_cmp_lt_i32 s20, 27
	s_mov_b64 s[8:9], -1
	s_cbranch_scc1 .LBB55_979
; %bb.974:
	s_cmp_gt_i32 s20, 27
	s_cbranch_scc0 .LBB55_976
; %bb.975:
	s_mov_b64 s[8:9], 0
	global_store_dword v[3:4], v1, off
.LBB55_976:
	s_andn2_b64 vcc, exec, s[8:9]
	s_cbranch_vccnz .LBB55_978
; %bb.977:
	global_store_short v[3:4], v1, off
.LBB55_978:
	s_mov_b64 s[8:9], 0
.LBB55_979:
	s_andn2_b64 vcc, exec, s[8:9]
	s_cbranch_vccnz .LBB55_987
; %bb.980:
	v_cvt_f32_i32_e32 v0, v1
	s_mov_b32 s8, 0x43800000
	v_mov_b32_e32 v5, 0x80
	v_and_b32_e32 v2, 0x7fffffff, v0
	v_cmp_gt_u32_e32 vcc, s8, v2
	s_and_saveexec_b64 s[8:9], vcc
	s_cbranch_execz .LBB55_986
; %bb.981:
	s_mov_b32 s12, 0x3bffffff
	v_cmp_lt_u32_e32 vcc, s12, v2
	s_mov_b64 s[12:13], 0
                                        ; implicit-def: $vgpr2
	s_and_saveexec_b64 s[16:17], vcc
	s_xor_b64 s[16:17], exec, s[16:17]
	s_cbranch_execz .LBB55_1140
; %bb.982:
	v_bfe_u32 v2, v0, 20, 1
	s_mov_b32 s18, 0x487ffff
	v_add3_u32 v2, v0, v2, s18
	s_mov_b64 s[12:13], exec
	v_lshrrev_b32_e32 v2, 20, v2
	s_andn2_saveexec_b64 s[16:17], s[16:17]
	s_cbranch_execnz .LBB55_1141
.LBB55_983:
	s_or_b64 exec, exec, s[16:17]
	v_mov_b32_e32 v5, 0
	s_and_saveexec_b64 s[16:17], s[12:13]
.LBB55_984:
	v_lshrrev_b32_e32 v0, 24, v0
	s_movk_i32 s12, 0x80
	v_and_or_b32 v5, v0, s12, v2
.LBB55_985:
	s_or_b64 exec, exec, s[16:17]
.LBB55_986:
	s_or_b64 exec, exec, s[8:9]
	global_store_byte v[3:4], v5, off
.LBB55_987:
	s_mov_b64 s[12:13], 0
.LBB55_988:
	s_mov_b64 s[8:9], 0
	s_and_b64 vcc, exec, s[12:13]
	s_cbranch_vccz .LBB55_1028
; %bb.989:
	s_cmp_gt_i32 s20, 22
	s_mov_b64 s[12:13], -1
	s_cbranch_scc0 .LBB55_1021
; %bb.990:
	s_cmp_lt_i32 s20, 24
	s_cbranch_scc1 .LBB55_1010
; %bb.991:
	s_cmp_gt_i32 s20, 24
	s_cbranch_scc0 .LBB55_999
; %bb.992:
	v_cvt_f32_i32_e32 v0, v1
	s_mov_b32 s12, 0x47800000
	v_mov_b32_e32 v5, 0x80
	v_and_b32_e32 v2, 0x7fffffff, v0
	v_cmp_gt_u32_e32 vcc, s12, v2
	s_and_saveexec_b64 s[12:13], vcc
	s_cbranch_execz .LBB55_998
; %bb.993:
	s_mov_b32 s16, 0x37ffffff
	v_cmp_lt_u32_e32 vcc, s16, v2
	s_mov_b64 s[16:17], 0
                                        ; implicit-def: $vgpr2
	s_and_saveexec_b64 s[18:19], vcc
	s_xor_b64 s[18:19], exec, s[18:19]
	s_cbranch_execz .LBB55_1260
; %bb.994:
	v_bfe_u32 v2, v0, 21, 1
	s_mov_b32 s21, 0x88fffff
	v_add3_u32 v2, v0, v2, s21
	s_mov_b64 s[16:17], exec
	v_lshrrev_b32_e32 v2, 21, v2
	s_andn2_saveexec_b64 s[18:19], s[18:19]
	s_cbranch_execnz .LBB55_1261
.LBB55_995:
	s_or_b64 exec, exec, s[18:19]
	v_mov_b32_e32 v5, 0
	s_and_saveexec_b64 s[18:19], s[16:17]
.LBB55_996:
	v_lshrrev_b32_e32 v0, 24, v0
	s_movk_i32 s16, 0x80
	v_and_or_b32 v5, v0, s16, v2
.LBB55_997:
	s_or_b64 exec, exec, s[18:19]
.LBB55_998:
	s_or_b64 exec, exec, s[12:13]
	s_mov_b64 s[12:13], 0
	global_store_byte v[3:4], v5, off
.LBB55_999:
	s_and_b64 vcc, exec, s[12:13]
	s_cbranch_vccz .LBB55_1009
; %bb.1000:
	v_cvt_f32_i32_e32 v0, v1
	s_mov_b32 s12, 0x43f00000
                                        ; implicit-def: $vgpr2
	v_and_b32_e32 v5, 0x7fffffff, v0
	v_cmp_gt_u32_e32 vcc, s12, v5
	s_and_saveexec_b64 s[12:13], vcc
	s_xor_b64 s[12:13], exec, s[12:13]
	s_cbranch_execz .LBB55_1006
; %bb.1001:
	s_mov_b32 s16, 0x3c7fffff
	v_cmp_lt_u32_e32 vcc, s16, v5
                                        ; implicit-def: $vgpr2
	s_and_saveexec_b64 s[16:17], vcc
	s_xor_b64 s[16:17], exec, s[16:17]
; %bb.1002:
	v_bfe_u32 v2, v0, 20, 1
	s_mov_b32 s18, 0x407ffff
	v_add3_u32 v2, v0, v2, s18
	v_lshrrev_b32_e32 v5, 20, v2
	v_and_b32_e32 v2, 0xff00000, v2
	s_mov_b32 s18, 0x7f00000
	v_mov_b32_e32 v6, 0x7e
	v_cmp_ne_u32_e32 vcc, s18, v2
	v_cndmask_b32_e32 v2, v6, v5, vcc
; %bb.1003:
	s_andn2_saveexec_b64 s[16:17], s[16:17]
; %bb.1004:
	s_mov_b32 s18, 0x46800000
	v_add_f32_e64 v2, |v0|, s18
; %bb.1005:
	s_or_b64 exec, exec, s[16:17]
                                        ; implicit-def: $vgpr5
.LBB55_1006:
	s_andn2_saveexec_b64 s[12:13], s[12:13]
; %bb.1007:
	s_mov_b32 s16, 0x7f800000
	v_mov_b32_e32 v2, 0x7e
	v_mov_b32_e32 v6, 0x7f
	v_cmp_lt_u32_e32 vcc, s16, v5
	v_cndmask_b32_e32 v2, v2, v6, vcc
; %bb.1008:
	s_or_b64 exec, exec, s[12:13]
	v_lshrrev_b32_e32 v0, 24, v0
	s_movk_i32 s12, 0x80
	v_and_or_b32 v0, v0, s12, v2
	global_store_byte v[3:4], v0, off
.LBB55_1009:
	s_mov_b64 s[12:13], 0
.LBB55_1010:
	s_andn2_b64 vcc, exec, s[12:13]
	s_cbranch_vccnz .LBB55_1020
; %bb.1011:
	v_cvt_f32_i32_e32 v0, v1
	s_mov_b32 s12, 0x47800000
                                        ; implicit-def: $vgpr2
	v_and_b32_e32 v5, 0x7fffffff, v0
	v_cmp_gt_u32_e32 vcc, s12, v5
	s_and_saveexec_b64 s[12:13], vcc
	s_xor_b64 s[12:13], exec, s[12:13]
	s_cbranch_execz .LBB55_1017
; %bb.1012:
	s_mov_b32 s16, 0x387fffff
	v_cmp_lt_u32_e32 vcc, s16, v5
                                        ; implicit-def: $vgpr2
	s_and_saveexec_b64 s[16:17], vcc
	s_xor_b64 s[16:17], exec, s[16:17]
; %bb.1013:
	v_bfe_u32 v2, v0, 21, 1
	s_mov_b32 s18, 0x80fffff
	v_add3_u32 v2, v0, v2, s18
	v_lshrrev_b32_e32 v2, 21, v2
; %bb.1014:
	s_andn2_saveexec_b64 s[16:17], s[16:17]
; %bb.1015:
	s_mov_b32 s18, 0x43000000
	v_add_f32_e64 v2, |v0|, s18
; %bb.1016:
	s_or_b64 exec, exec, s[16:17]
                                        ; implicit-def: $vgpr5
.LBB55_1017:
	s_andn2_saveexec_b64 s[12:13], s[12:13]
; %bb.1018:
	s_mov_b32 s16, 0x7f800000
	v_mov_b32_e32 v2, 0x7c
	v_mov_b32_e32 v6, 0x7f
	v_cmp_lt_u32_e32 vcc, s16, v5
	v_cndmask_b32_e32 v2, v2, v6, vcc
; %bb.1019:
	s_or_b64 exec, exec, s[12:13]
	v_lshrrev_b32_e32 v0, 24, v0
	s_movk_i32 s12, 0x80
	v_and_or_b32 v0, v0, s12, v2
	global_store_byte v[3:4], v0, off
.LBB55_1020:
	s_mov_b64 s[12:13], 0
.LBB55_1021:
	s_andn2_b64 vcc, exec, s[12:13]
	s_mov_b64 s[12:13], 0
	s_cbranch_vccnz .LBB55_1029
; %bb.1022:
	s_cmp_gt_i32 s20, 14
	s_mov_b64 s[16:17], -1
	s_cbranch_scc0 .LBB55_1026
; %bb.1023:
	s_cmp_eq_u32 s20, 15
	s_mov_b64 s[0:1], -1
	s_cbranch_scc0 .LBB55_1025
; %bb.1024:
	v_cvt_f32_i32_e32 v0, v1
	s_movk_i32 s0, 0x7fff
	v_bfe_u32 v2, v0, 16, 1
	v_add3_u32 v0, v0, v2, s0
	global_store_short_d16_hi v[3:4], v0, off
	s_mov_b64 s[0:1], 0
.LBB55_1025:
	s_mov_b64 s[16:17], 0
.LBB55_1026:
	s_and_b64 vcc, exec, s[16:17]
	s_cbranch_vccz .LBB55_1029
; %bb.1027:
	s_cmp_lg_u32 s20, 11
	s_cselect_b64 s[16:17], -1, 0
	s_andn2_b64 s[0:1], s[0:1], exec
	s_and_b64 s[16:17], s[16:17], exec
	s_mov_b64 s[12:13], -1
	s_or_b64 s[0:1], s[0:1], s[16:17]
	s_branch .LBB55_1029
.LBB55_1028:
	s_mov_b64 s[12:13], 0
.LBB55_1029:
	s_and_b64 s[18:19], s[8:9], exec
	s_andn2_b64 s[8:9], s[14:15], exec
	s_and_b64 s[0:1], s[0:1], exec
	s_and_b64 s[20:21], s[12:13], exec
	s_or_b64 s[14:15], s[8:9], s[0:1]
	s_or_b64 exec, exec, s[10:11]
	s_and_saveexec_b64 s[0:1], s[14:15]
	s_cbranch_execz .LBB55_958
.LBB55_1030:
	s_or_b64 s[2:3], s[2:3], exec
	s_andn2_b64 s[20:21], s[20:21], exec
	s_trap 2
	s_or_b64 exec, exec, s[0:1]
	s_and_saveexec_b64 s[0:1], s[20:21]
	s_xor_b64 s[0:1], exec, s[0:1]
	s_cbranch_execnz .LBB55_959
.LBB55_1031:
	s_or_b64 exec, exec, s[0:1]
	s_and_saveexec_b64 s[0:1], s[18:19]
	s_xor_b64 s[0:1], exec, s[0:1]
	s_cbranch_execz .LBB55_1069
.LBB55_1032:
	s_sext_i32_i16 s10, s22
	s_cmp_lt_i32 s10, 5
	s_mov_b64 s[8:9], -1
	s_cbranch_scc1 .LBB55_1053
; %bb.1033:
	s_cmp_lt_i32 s10, 8
	s_cbranch_scc1 .LBB55_1043
; %bb.1034:
	s_cmp_lt_i32 s10, 9
	s_cbranch_scc1 .LBB55_1040
; %bb.1035:
	s_cmp_gt_i32 s10, 9
	s_cbranch_scc0 .LBB55_1037
; %bb.1036:
	s_waitcnt vmcnt(0)
	v_cvt_f64_i32_e32 v[5:6], v1
	v_mov_b32_e32 v7, 0
	v_mov_b32_e32 v8, v7
	s_mov_b64 s[8:9], 0
	global_store_dwordx4 v[3:4], v[5:8], off
.LBB55_1037:
	s_andn2_b64 vcc, exec, s[8:9]
	s_cbranch_vccnz .LBB55_1039
; %bb.1038:
	s_waitcnt vmcnt(0)
	v_cvt_f32_i32_e32 v5, v1
	v_mov_b32_e32 v6, 0
	global_store_dwordx2 v[3:4], v[5:6], off
.LBB55_1039:
	s_mov_b64 s[8:9], 0
.LBB55_1040:
	s_andn2_b64 vcc, exec, s[8:9]
	s_cbranch_vccnz .LBB55_1042
; %bb.1041:
	v_cvt_f32_i32_e32 v0, v1
	v_cvt_f16_f32_e32 v0, v0
	s_waitcnt vmcnt(0)
	global_store_dword v[3:4], v0, off
.LBB55_1042:
	s_mov_b64 s[8:9], 0
.LBB55_1043:
	s_andn2_b64 vcc, exec, s[8:9]
	s_cbranch_vccnz .LBB55_1052
; %bb.1044:
	s_sext_i32_i16 s10, s22
	s_cmp_lt_i32 s10, 6
	s_mov_b64 s[8:9], -1
	s_cbranch_scc1 .LBB55_1050
; %bb.1045:
	s_cmp_gt_i32 s10, 6
	s_cbranch_scc0 .LBB55_1047
; %bb.1046:
	s_waitcnt vmcnt(0)
	v_cvt_f64_i32_e32 v[5:6], v1
	s_mov_b64 s[8:9], 0
	global_store_dwordx2 v[3:4], v[5:6], off
.LBB55_1047:
	s_andn2_b64 vcc, exec, s[8:9]
	s_cbranch_vccnz .LBB55_1049
; %bb.1048:
	v_cvt_f32_i32_e32 v0, v1
	s_waitcnt vmcnt(0)
	global_store_dword v[3:4], v0, off
.LBB55_1049:
	s_mov_b64 s[8:9], 0
.LBB55_1050:
	s_andn2_b64 vcc, exec, s[8:9]
	s_cbranch_vccnz .LBB55_1052
; %bb.1051:
	v_cvt_f32_i32_e32 v0, v1
	v_cvt_f16_f32_e32 v0, v0
	s_waitcnt vmcnt(0)
	global_store_short v[3:4], v0, off
.LBB55_1052:
	s_mov_b64 s[8:9], 0
.LBB55_1053:
	s_andn2_b64 vcc, exec, s[8:9]
	s_cbranch_vccnz .LBB55_1069
; %bb.1054:
	s_sext_i32_i16 s10, s22
	s_cmp_lt_i32 s10, 2
	s_mov_b64 s[8:9], -1
	s_cbranch_scc1 .LBB55_1064
; %bb.1055:
	s_cmp_lt_i32 s10, 3
	s_cbranch_scc1 .LBB55_1061
; %bb.1056:
	s_cmp_gt_i32 s10, 3
	s_cbranch_scc0 .LBB55_1058
; %bb.1057:
	v_ashrrev_i32_e32 v2, 31, v1
	s_mov_b64 s[8:9], 0
	s_waitcnt vmcnt(0)
	global_store_dwordx2 v[3:4], v[1:2], off
.LBB55_1058:
	s_andn2_b64 vcc, exec, s[8:9]
	s_cbranch_vccnz .LBB55_1060
; %bb.1059:
	s_waitcnt vmcnt(0)
	global_store_dword v[3:4], v1, off
.LBB55_1060:
	s_mov_b64 s[8:9], 0
.LBB55_1061:
	s_andn2_b64 vcc, exec, s[8:9]
	s_cbranch_vccnz .LBB55_1063
; %bb.1062:
	s_waitcnt vmcnt(0)
	global_store_short v[3:4], v1, off
.LBB55_1063:
	s_mov_b64 s[8:9], 0
.LBB55_1064:
	s_andn2_b64 vcc, exec, s[8:9]
	s_cbranch_vccnz .LBB55_1069
; %bb.1065:
	s_sext_i32_i16 s8, s22
	s_cmp_gt_i32 s8, 0
	s_mov_b64 s[8:9], -1
	s_cbranch_scc0 .LBB55_1067
; %bb.1066:
	s_mov_b64 s[8:9], 0
	s_waitcnt vmcnt(0)
	global_store_byte v[3:4], v1, off
.LBB55_1067:
	s_andn2_b64 vcc, exec, s[8:9]
	s_cbranch_vccnz .LBB55_1069
; %bb.1068:
	s_waitcnt vmcnt(0)
	global_store_byte v[3:4], v1, off
.LBB55_1069:
	s_or_b64 exec, exec, s[0:1]
	s_and_b64 s[28:29], s[2:3], exec
                                        ; implicit-def: $vgpr15
                                        ; implicit-def: $vgpr8
.LBB55_1070:
	s_or_saveexec_b64 s[30:31], s[50:51]
	s_mov_b64 s[0:1], 0
                                        ; implicit-def: $vgpr0_vgpr1
                                        ; implicit-def: $sgpr18
                                        ; implicit-def: $vgpr2
	s_xor_b64 exec, exec, s[30:31]
	s_cbranch_execz .LBB55_2057
; %bb.1071:
	v_cndmask_b32_e64 v0, 0, 1, s[48:49]
	v_cmp_ne_u32_e64 s[0:1], 1, v0
	s_andn2_b64 vcc, exec, s[48:49]
	s_cbranch_vccnz .LBB55_1077
; %bb.1072:
	s_cmp_lg_u32 s33, 0
	s_mov_b32 s36, 0
	s_cbranch_scc0 .LBB55_1078
; %bb.1073:
	s_min_u32 s37, s76, 15
	s_add_i32 s37, s37, 1
	s_cmp_eq_u32 s76, 2
	s_cbranch_scc1 .LBB55_1079
; %bb.1074:
	s_and_b32 s36, s37, 28
	s_add_u32 s2, s34, 0xc4
	s_addc_u32 s3, s35, 0
	v_mov_b32_e32 v13, 0
	s_mov_b32 s38, 0
	s_mov_b64 s[6:7], s[34:35]
	v_mov_b32_e32 v6, 0
	v_mov_b32_e32 v0, v8
.LBB55_1075:                            ; =>This Inner Loop Header: Depth=1
	s_load_dwordx8 s[16:23], s[6:7], 0x4
	s_load_dwordx4 s[24:27], s[6:7], 0x24
	s_load_dwordx8 s[8:15], s[2:3], 0x0
	s_add_u32 s6, s6, 48
	s_addc_u32 s7, s7, 0
	s_waitcnt lgkmcnt(0)
	v_mul_hi_u32 v1, s17, v0
	s_add_i32 s38, s38, 4
	s_add_u32 s2, s2, 32
	s_addc_u32 s3, s3, 0
	v_add_u32_e32 v1, v0, v1
	v_lshrrev_b32_e32 v1, s18, v1
	v_mul_lo_u32 v2, v1, s16
	s_waitcnt vmcnt(0)
	v_mul_hi_u32 v3, s20, v1
	s_cmp_lg_u32 s36, s38
	v_sub_u32_e32 v0, v0, v2
	v_add_u32_e32 v2, v1, v3
	v_mul_lo_u32 v3, v0, s8
	v_mul_lo_u32 v4, v0, s9
	v_lshrrev_b32_e32 v0, s21, v2
	v_mul_lo_u32 v2, v0, s19
	v_mul_hi_u32 v5, s23, v0
	v_sub_u32_e32 v1, v1, v2
	v_add_u32_e32 v2, v0, v5
	v_lshrrev_b32_e32 v2, s24, v2
	v_mul_hi_u32 v7, s26, v2
	v_mul_lo_u32 v9, v2, s22
	v_mul_lo_u32 v5, v1, s10
	;; [unrolled: 1-line block ×3, first 2 shown]
	v_sub_u32_e32 v9, v0, v9
	v_add_u32_e32 v0, v2, v7
	v_lshrrev_b32_e32 v0, s27, v0
	v_mul_lo_u32 v7, v0, s25
	v_mul_lo_u32 v10, v9, s12
	;; [unrolled: 1-line block ×3, first 2 shown]
	v_add3_u32 v3, v3, v6, v5
	v_sub_u32_e32 v2, v2, v7
	v_mul_lo_u32 v7, v2, s14
	v_mul_lo_u32 v2, v2, s15
	v_add3_u32 v1, v4, v13, v1
	v_add3_u32 v6, v10, v3, v7
	;; [unrolled: 1-line block ×3, first 2 shown]
	s_cbranch_scc1 .LBB55_1075
; %bb.1076:
	s_and_b32 s8, s37, 3
	s_cmp_eq_u32 s8, 0
	s_cbranch_scc0 .LBB55_1080
	s_branch .LBB55_1082
.LBB55_1077:
                                        ; implicit-def: $vgpr6
                                        ; implicit-def: $vgpr13
	s_branch .LBB55_1083
.LBB55_1078:
	v_mov_b32_e32 v6, 0
	v_mov_b32_e32 v13, 0
	s_branch .LBB55_1082
.LBB55_1079:
	v_mov_b32_e32 v6, 0
	v_mov_b32_e32 v13, 0
	;; [unrolled: 1-line block ×3, first 2 shown]
	s_and_b32 s8, s37, 3
	s_cmp_eq_u32 s8, 0
	s_cbranch_scc1 .LBB55_1082
.LBB55_1080:
	s_lshl_b32 s2, s36, 3
	s_add_u32 s2, s34, s2
	s_addc_u32 s3, s35, 0
	s_add_u32 s2, s2, 0xc4
	s_addc_u32 s3, s3, 0
	s_mul_i32 s6, s36, 12
	s_add_u32 s6, s34, s6
	s_addc_u32 s7, s35, 0
.LBB55_1081:                            ; =>This Inner Loop Header: Depth=1
	s_load_dwordx2 s[10:11], s[6:7], 0x4
	s_load_dword s9, s[6:7], 0xc
	s_load_dwordx2 s[12:13], s[2:3], 0x0
	s_add_u32 s6, s6, 12
	s_addc_u32 s7, s7, 0
	s_waitcnt lgkmcnt(0)
	v_mul_hi_u32 v1, s11, v0
	s_add_u32 s2, s2, 8
	s_addc_u32 s3, s3, 0
	s_add_i32 s8, s8, -1
	v_add_u32_e32 v1, v0, v1
	v_lshrrev_b32_e32 v1, s9, v1
	v_mul_lo_u32 v2, v1, s10
	s_cmp_lg_u32 s8, 0
	v_sub_u32_e32 v0, v0, v2
	v_mad_u64_u32 v[6:7], s[10:11], v0, s12, v[6:7]
	v_mad_u64_u32 v[13:14], s[10:11], v0, s13, v[13:14]
	v_mov_b32_e32 v0, v1
	s_cbranch_scc1 .LBB55_1081
.LBB55_1082:
	s_cbranch_execnz .LBB55_1085
.LBB55_1083:
	s_load_dwordx4 s[8:11], s[34:35], 0x4
	s_load_dwordx2 s[2:3], s[34:35], 0xc4
	s_cmp_lt_u32 s33, 2
	s_waitcnt lgkmcnt(0)
	v_mul_hi_u32 v0, s9, v8
	v_add_u32_e32 v0, v8, v0
	v_lshrrev_b32_e32 v0, s10, v0
	v_mul_lo_u32 v1, v0, s8
	v_sub_u32_e32 v1, v8, v1
	v_mul_lo_u32 v6, v1, s2
	v_mul_lo_u32 v13, v1, s3
	s_cbranch_scc1 .LBB55_1085
; %bb.1084:
	s_load_dwordx4 s[8:11], s[34:35], 0x10
	s_load_dwordx2 s[2:3], s[34:35], 0xcc
	s_waitcnt lgkmcnt(0)
	v_mul_hi_u32 v1, s9, v0
	v_add_u32_e32 v1, v0, v1
	v_lshrrev_b32_e32 v1, s10, v1
	v_mul_lo_u32 v1, v1, s8
	v_sub_u32_e32 v0, v0, v1
	v_mad_u64_u32 v[6:7], s[6:7], v0, s2, v[6:7]
	v_mad_u64_u32 v[13:14], s[2:3], v0, s3, v[13:14]
.LBB55_1085:
	s_and_b64 vcc, exec, s[0:1]
	v_add_u32_e32 v0, 0x80, v8
	s_cbranch_vccnz .LBB55_1091
; %bb.1086:
	s_cmp_lg_u32 s33, 0
	s_mov_b32 s36, 0
	s_cbranch_scc0 .LBB55_1092
; %bb.1087:
	s_min_u32 s37, s76, 15
	s_add_i32 s37, s37, 1
	s_cmp_eq_u32 s76, 2
	s_cbranch_scc1 .LBB55_1093
; %bb.1088:
	s_and_b32 s36, s37, 28
	s_add_u32 s2, s34, 0xc4
	s_addc_u32 s3, s35, 0
	v_mov_b32_e32 v11, 0
	s_mov_b32 s38, 0
	s_mov_b64 s[6:7], s[34:35]
	v_mov_b32_e32 v4, 0
	v_mov_b32_e32 v1, v0
.LBB55_1089:                            ; =>This Inner Loop Header: Depth=1
	s_load_dwordx8 s[16:23], s[6:7], 0x4
	s_load_dwordx4 s[24:27], s[6:7], 0x24
	s_load_dwordx8 s[8:15], s[2:3], 0x0
	s_add_u32 s6, s6, 48
	s_addc_u32 s7, s7, 0
	s_waitcnt lgkmcnt(0)
	v_mul_hi_u32 v2, s17, v1
	s_add_i32 s38, s38, 4
	s_add_u32 s2, s2, 32
	s_addc_u32 s3, s3, 0
	v_add_u32_e32 v2, v1, v2
	v_lshrrev_b32_e32 v2, s18, v2
	s_waitcnt vmcnt(0)
	v_mul_lo_u32 v3, v2, s16
	v_mul_hi_u32 v5, s20, v2
	s_cmp_lg_u32 s36, s38
	v_sub_u32_e32 v1, v1, v3
	v_add_u32_e32 v3, v2, v5
	v_mul_lo_u32 v5, v1, s8
	v_mul_lo_u32 v7, v1, s9
	v_lshrrev_b32_e32 v1, s21, v3
	v_mul_lo_u32 v3, v1, s19
	v_mul_hi_u32 v9, s23, v1
	v_sub_u32_e32 v2, v2, v3
	v_add_u32_e32 v3, v1, v9
	v_lshrrev_b32_e32 v3, s24, v3
	v_mul_hi_u32 v10, s26, v3
	v_mul_lo_u32 v12, v3, s22
	v_mul_lo_u32 v9, v2, s10
	;; [unrolled: 1-line block ×3, first 2 shown]
	v_sub_u32_e32 v12, v1, v12
	v_add_u32_e32 v1, v3, v10
	v_lshrrev_b32_e32 v1, s27, v1
	v_mul_lo_u32 v10, v1, s25
	v_mul_lo_u32 v14, v12, s12
	;; [unrolled: 1-line block ×3, first 2 shown]
	v_add3_u32 v4, v5, v4, v9
	v_sub_u32_e32 v3, v3, v10
	v_mul_lo_u32 v10, v3, s14
	v_mul_lo_u32 v3, v3, s15
	v_add3_u32 v2, v7, v11, v2
	v_add3_u32 v4, v14, v4, v10
	;; [unrolled: 1-line block ×3, first 2 shown]
	s_cbranch_scc1 .LBB55_1089
; %bb.1090:
	s_and_b32 s8, s37, 3
	s_cmp_eq_u32 s8, 0
	s_cbranch_scc0 .LBB55_1094
	s_branch .LBB55_1096
.LBB55_1091:
                                        ; implicit-def: $vgpr4
                                        ; implicit-def: $vgpr11
	s_branch .LBB55_1097
.LBB55_1092:
	v_mov_b32_e32 v4, 0
	v_mov_b32_e32 v11, 0
	s_branch .LBB55_1096
.LBB55_1093:
	v_mov_b32_e32 v4, 0
	v_mov_b32_e32 v11, 0
	;; [unrolled: 1-line block ×3, first 2 shown]
	s_and_b32 s8, s37, 3
	s_cmp_eq_u32 s8, 0
	s_cbranch_scc1 .LBB55_1096
.LBB55_1094:
	s_lshl_b32 s2, s36, 3
	s_add_u32 s2, s34, s2
	s_addc_u32 s3, s35, 0
	s_add_u32 s2, s2, 0xc4
	s_addc_u32 s3, s3, 0
	s_mul_i32 s6, s36, 12
	s_add_u32 s6, s34, s6
	s_addc_u32 s7, s35, 0
.LBB55_1095:                            ; =>This Inner Loop Header: Depth=1
	s_load_dwordx2 s[10:11], s[6:7], 0x4
	s_load_dword s9, s[6:7], 0xc
	s_load_dwordx2 s[12:13], s[2:3], 0x0
	s_add_u32 s6, s6, 12
	s_addc_u32 s7, s7, 0
	s_waitcnt lgkmcnt(0)
	v_mul_hi_u32 v2, s11, v1
	s_add_u32 s2, s2, 8
	s_addc_u32 s3, s3, 0
	s_add_i32 s8, s8, -1
	v_add_u32_e32 v2, v1, v2
	v_lshrrev_b32_e32 v2, s9, v2
	s_waitcnt vmcnt(0)
	v_mul_lo_u32 v3, v2, s10
	s_cmp_lg_u32 s8, 0
	v_sub_u32_e32 v1, v1, v3
	v_mad_u64_u32 v[4:5], s[10:11], v1, s12, v[4:5]
	v_mad_u64_u32 v[11:12], s[10:11], v1, s13, v[11:12]
	v_mov_b32_e32 v1, v2
	s_cbranch_scc1 .LBB55_1095
.LBB55_1096:
	s_cbranch_execnz .LBB55_1099
.LBB55_1097:
	s_load_dwordx4 s[8:11], s[34:35], 0x4
	s_load_dwordx2 s[2:3], s[34:35], 0xc4
	s_cmp_lt_u32 s33, 2
	s_waitcnt lgkmcnt(0)
	v_mul_hi_u32 v1, s9, v0
	v_add_u32_e32 v1, v0, v1
	v_lshrrev_b32_e32 v1, s10, v1
	v_mul_lo_u32 v2, v1, s8
	v_sub_u32_e32 v0, v0, v2
	v_mul_lo_u32 v4, v0, s2
	v_mul_lo_u32 v11, v0, s3
	s_cbranch_scc1 .LBB55_1099
; %bb.1098:
	s_load_dwordx4 s[8:11], s[34:35], 0x10
	s_load_dwordx2 s[2:3], s[34:35], 0xcc
	s_waitcnt lgkmcnt(0)
	v_mul_hi_u32 v0, s9, v1
	v_add_u32_e32 v0, v1, v0
	v_lshrrev_b32_e32 v0, s10, v0
	v_mul_lo_u32 v0, v0, s8
	v_sub_u32_e32 v0, v1, v0
	s_waitcnt vmcnt(0)
	v_mad_u64_u32 v[4:5], s[6:7], v0, s2, v[4:5]
	v_mad_u64_u32 v[11:12], s[2:3], v0, s3, v[11:12]
.LBB55_1099:
	s_and_b64 vcc, exec, s[0:1]
	v_add_u32_e32 v0, 0x100, v8
	s_cbranch_vccnz .LBB55_1105
; %bb.1100:
	s_cmp_lg_u32 s33, 0
	s_mov_b32 s36, 0
	s_cbranch_scc0 .LBB55_1106
; %bb.1101:
	s_min_u32 s37, s76, 15
	s_add_i32 s37, s37, 1
	s_cmp_eq_u32 s76, 2
	s_cbranch_scc1 .LBB55_1107
; %bb.1102:
	s_and_b32 s36, s37, 28
	s_add_u32 s2, s34, 0xc4
	s_addc_u32 s3, s35, 0
	v_mov_b32_e32 v9, 0
	s_mov_b32 s38, 0
	s_mov_b64 s[6:7], s[34:35]
	v_mov_b32_e32 v2, 0
	v_mov_b32_e32 v1, v0
.LBB55_1103:                            ; =>This Inner Loop Header: Depth=1
	s_load_dwordx8 s[16:23], s[6:7], 0x4
	s_load_dwordx4 s[24:27], s[6:7], 0x24
	s_load_dwordx8 s[8:15], s[2:3], 0x0
	s_add_u32 s6, s6, 48
	s_addc_u32 s7, s7, 0
	s_waitcnt vmcnt(0) lgkmcnt(0)
	v_mul_hi_u32 v3, s17, v1
	s_add_i32 s38, s38, 4
	s_add_u32 s2, s2, 32
	s_addc_u32 s3, s3, 0
	v_add_u32_e32 v3, v1, v3
	v_lshrrev_b32_e32 v3, s18, v3
	v_mul_lo_u32 v5, v3, s16
	v_mul_hi_u32 v7, s20, v3
	s_cmp_lg_u32 s36, s38
	v_sub_u32_e32 v1, v1, v5
	v_add_u32_e32 v5, v3, v7
	v_mul_lo_u32 v7, v1, s8
	v_mul_lo_u32 v8, v1, s9
	v_lshrrev_b32_e32 v1, s21, v5
	v_mul_lo_u32 v5, v1, s19
	v_mul_hi_u32 v10, s23, v1
	v_sub_u32_e32 v3, v3, v5
	v_add_u32_e32 v5, v1, v10
	v_lshrrev_b32_e32 v5, s24, v5
	v_mul_hi_u32 v12, s26, v5
	v_mul_lo_u32 v14, v5, s22
	v_mul_lo_u32 v10, v3, s10
	;; [unrolled: 1-line block ×3, first 2 shown]
	v_sub_u32_e32 v14, v1, v14
	v_add_u32_e32 v1, v5, v12
	v_lshrrev_b32_e32 v1, s27, v1
	v_mul_lo_u32 v12, v1, s25
	v_mul_lo_u32 v16, v14, s12
	;; [unrolled: 1-line block ×3, first 2 shown]
	v_add3_u32 v2, v7, v2, v10
	v_sub_u32_e32 v5, v5, v12
	v_mul_lo_u32 v12, v5, s14
	v_mul_lo_u32 v5, v5, s15
	v_add3_u32 v3, v8, v9, v3
	v_add3_u32 v2, v16, v2, v12
	;; [unrolled: 1-line block ×3, first 2 shown]
	s_cbranch_scc1 .LBB55_1103
; %bb.1104:
	s_and_b32 s8, s37, 3
	s_cmp_eq_u32 s8, 0
	s_cbranch_scc0 .LBB55_1108
	s_branch .LBB55_1110
.LBB55_1105:
                                        ; implicit-def: $vgpr2
                                        ; implicit-def: $vgpr9
	s_branch .LBB55_1111
.LBB55_1106:
	v_mov_b32_e32 v2, 0
	v_mov_b32_e32 v9, 0
	s_branch .LBB55_1110
.LBB55_1107:
	v_mov_b32_e32 v2, 0
	v_mov_b32_e32 v9, 0
	;; [unrolled: 1-line block ×3, first 2 shown]
	s_and_b32 s8, s37, 3
	s_cmp_eq_u32 s8, 0
	s_cbranch_scc1 .LBB55_1110
.LBB55_1108:
	s_lshl_b32 s2, s36, 3
	s_add_u32 s2, s34, s2
	s_addc_u32 s3, s35, 0
	s_add_u32 s2, s2, 0xc4
	s_addc_u32 s3, s3, 0
	s_mul_i32 s6, s36, 12
	s_add_u32 s6, s34, s6
	s_addc_u32 s7, s35, 0
.LBB55_1109:                            ; =>This Inner Loop Header: Depth=1
	s_load_dwordx2 s[10:11], s[6:7], 0x4
	s_load_dword s9, s[6:7], 0xc
	s_load_dwordx2 s[12:13], s[2:3], 0x0
	s_add_u32 s6, s6, 12
	s_addc_u32 s7, s7, 0
	s_waitcnt vmcnt(0) lgkmcnt(0)
	v_mul_hi_u32 v3, s11, v1
	s_add_u32 s2, s2, 8
	s_addc_u32 s3, s3, 0
	s_add_i32 s8, s8, -1
	v_add_u32_e32 v3, v1, v3
	v_lshrrev_b32_e32 v5, s9, v3
	v_mul_lo_u32 v3, v5, s10
	s_cmp_lg_u32 s8, 0
	v_sub_u32_e32 v1, v1, v3
	v_mad_u64_u32 v[2:3], s[10:11], v1, s12, v[2:3]
	v_mad_u64_u32 v[9:10], s[10:11], v1, s13, v[9:10]
	v_mov_b32_e32 v1, v5
	s_cbranch_scc1 .LBB55_1109
.LBB55_1110:
	s_cbranch_execnz .LBB55_1113
.LBB55_1111:
	s_load_dwordx4 s[8:11], s[34:35], 0x4
	s_load_dwordx2 s[2:3], s[34:35], 0xc4
	s_cmp_lt_u32 s33, 2
	s_waitcnt lgkmcnt(0)
	v_mul_hi_u32 v1, s9, v0
	v_add_u32_e32 v1, v0, v1
	v_lshrrev_b32_e32 v1, s10, v1
	v_mul_lo_u32 v2, v1, s8
	v_sub_u32_e32 v0, v0, v2
	v_mul_lo_u32 v2, v0, s2
	v_mul_lo_u32 v9, v0, s3
	s_cbranch_scc1 .LBB55_1113
; %bb.1112:
	s_load_dwordx4 s[8:11], s[34:35], 0x10
	s_load_dwordx2 s[2:3], s[34:35], 0xcc
	s_waitcnt lgkmcnt(0)
	v_mul_hi_u32 v0, s9, v1
	v_add_u32_e32 v0, v1, v0
	v_lshrrev_b32_e32 v0, s10, v0
	v_mul_lo_u32 v0, v0, s8
	v_sub_u32_e32 v0, v1, v0
	s_waitcnt vmcnt(0)
	v_mad_u64_u32 v[2:3], s[6:7], v0, s2, v[2:3]
	v_mad_u64_u32 v[9:10], s[2:3], v0, s3, v[9:10]
.LBB55_1113:
	s_and_b64 vcc, exec, s[0:1]
	s_cbranch_vccnz .LBB55_1119
; %bb.1114:
	s_cmp_lg_u32 s33, 0
	s_mov_b32 s26, 0
	s_cbranch_scc0 .LBB55_1120
; %bb.1115:
	s_min_u32 s27, s76, 15
	s_add_i32 s27, s27, 1
	s_cmp_eq_u32 s76, 2
	s_cbranch_scc1 .LBB55_1121
; %bb.1116:
	s_and_b32 s26, s27, 28
	s_add_u32 s6, s34, 0xc4
	s_addc_u32 s7, s35, 0
	v_mov_b32_e32 v7, 0
	s_mov_b32 s36, 0
	s_mov_b64 s[24:25], s[34:35]
	v_mov_b32_e32 v0, 0
	v_mov_b32_e32 v1, v15
.LBB55_1117:                            ; =>This Inner Loop Header: Depth=1
	s_load_dwordx8 s[16:23], s[24:25], 0x4
	s_load_dwordx4 s[0:3], s[24:25], 0x24
	s_load_dwordx8 s[8:15], s[6:7], 0x0
	s_add_u32 s24, s24, 48
	s_addc_u32 s25, s25, 0
	s_waitcnt vmcnt(0) lgkmcnt(0)
	v_mul_hi_u32 v3, s17, v1
	s_add_i32 s36, s36, 4
	s_add_u32 s6, s6, 32
	s_addc_u32 s7, s7, 0
	v_add_u32_e32 v3, v1, v3
	v_lshrrev_b32_e32 v3, s18, v3
	v_mul_lo_u32 v5, v3, s16
	v_mul_hi_u32 v8, s20, v3
	s_cmp_lg_u32 s26, s36
	v_sub_u32_e32 v1, v1, v5
	v_add_u32_e32 v5, v3, v8
	v_mul_lo_u32 v8, v1, s8
	v_mul_lo_u32 v10, v1, s9
	v_lshrrev_b32_e32 v1, s21, v5
	v_mul_lo_u32 v5, v1, s19
	v_mul_hi_u32 v12, s23, v1
	v_sub_u32_e32 v3, v3, v5
	v_add_u32_e32 v5, v1, v12
	v_lshrrev_b32_e32 v5, s0, v5
	v_mul_hi_u32 v14, s2, v5
	v_mul_lo_u32 v16, v5, s22
	v_mul_lo_u32 v12, v3, s10
	;; [unrolled: 1-line block ×3, first 2 shown]
	v_sub_u32_e32 v16, v1, v16
	v_add_u32_e32 v1, v5, v14
	v_lshrrev_b32_e32 v1, s3, v1
	v_mul_lo_u32 v14, v1, s1
	v_mul_lo_u32 v17, v16, s12
	v_mul_lo_u32 v16, v16, s13
	v_add3_u32 v0, v8, v0, v12
	v_sub_u32_e32 v5, v5, v14
	v_mul_lo_u32 v14, v5, s14
	v_mul_lo_u32 v5, v5, s15
	v_add3_u32 v3, v10, v7, v3
	v_add3_u32 v0, v17, v0, v14
	v_add3_u32 v7, v16, v3, v5
	s_cbranch_scc1 .LBB55_1117
; %bb.1118:
	s_and_b32 s6, s27, 3
	s_cmp_eq_u32 s6, 0
	s_cbranch_scc0 .LBB55_1122
	s_branch .LBB55_1124
.LBB55_1119:
                                        ; implicit-def: $vgpr0
                                        ; implicit-def: $vgpr7
	s_branch .LBB55_1125
.LBB55_1120:
	v_mov_b32_e32 v0, 0
	v_mov_b32_e32 v7, 0
	s_branch .LBB55_1124
.LBB55_1121:
	v_mov_b32_e32 v0, 0
	v_mov_b32_e32 v7, 0
	;; [unrolled: 1-line block ×3, first 2 shown]
	s_and_b32 s6, s27, 3
	s_cmp_eq_u32 s6, 0
	s_cbranch_scc1 .LBB55_1124
.LBB55_1122:
	s_lshl_b32 s0, s26, 3
	s_add_u32 s0, s34, s0
	s_addc_u32 s1, s35, 0
	s_add_u32 s0, s0, 0xc4
	s_addc_u32 s1, s1, 0
	s_mul_i32 s2, s26, 12
	s_add_u32 s2, s34, s2
	s_addc_u32 s3, s35, 0
.LBB55_1123:                            ; =>This Inner Loop Header: Depth=1
	s_load_dwordx2 s[8:9], s[2:3], 0x4
	s_load_dword s7, s[2:3], 0xc
	s_load_dwordx2 s[10:11], s[0:1], 0x0
	s_add_u32 s2, s2, 12
	s_addc_u32 s3, s3, 0
	s_waitcnt vmcnt(0) lgkmcnt(0)
	v_mul_hi_u32 v3, s9, v1
	s_add_u32 s0, s0, 8
	s_addc_u32 s1, s1, 0
	s_add_i32 s6, s6, -1
	v_add_u32_e32 v3, v1, v3
	v_lshrrev_b32_e32 v3, s7, v3
	v_mul_lo_u32 v5, v3, s8
	s_cmp_lg_u32 s6, 0
	v_sub_u32_e32 v5, v1, v5
	v_mad_u64_u32 v[0:1], s[8:9], v5, s10, v[0:1]
	v_mad_u64_u32 v[7:8], s[8:9], v5, s11, v[7:8]
	v_mov_b32_e32 v1, v3
	s_cbranch_scc1 .LBB55_1123
.LBB55_1124:
	s_cbranch_execnz .LBB55_1127
.LBB55_1125:
	s_load_dwordx4 s[0:3], s[34:35], 0x4
	s_load_dwordx2 s[6:7], s[34:35], 0xc4
	s_cmp_lt_u32 s33, 2
	s_waitcnt lgkmcnt(0)
	v_mul_hi_u32 v0, s1, v15
	v_add_u32_e32 v0, v15, v0
	v_lshrrev_b32_e32 v1, s2, v0
	v_mul_lo_u32 v0, v1, s0
	s_waitcnt vmcnt(0)
	v_sub_u32_e32 v3, v15, v0
	v_mul_lo_u32 v0, v3, s6
	v_mul_lo_u32 v7, v3, s7
	s_cbranch_scc1 .LBB55_1127
; %bb.1126:
	s_load_dwordx4 s[0:3], s[34:35], 0x10
	s_load_dwordx2 s[6:7], s[34:35], 0xcc
	s_waitcnt lgkmcnt(0)
	v_mul_hi_u32 v3, s1, v1
	v_add_u32_e32 v3, v1, v3
	v_lshrrev_b32_e32 v3, s2, v3
	v_mul_lo_u32 v3, v3, s0
	v_sub_u32_e32 v3, v1, v3
	v_mad_u64_u32 v[0:1], s[0:1], v3, s6, v[0:1]
	v_mad_u64_u32 v[7:8], s[0:1], v3, s7, v[7:8]
.LBB55_1127:
	s_load_dwordx4 s[8:11], s[34:35], 0x148
	s_load_dword s14, s[4:5], 0x16c
	s_waitcnt lgkmcnt(0)
	v_mov_b32_e32 v1, s11
	s_bfe_u32 s15, s14, 0x80008
	v_add_co_u32_e32 v12, vcc, s10, v13
	s_cmp_lt_i32 s15, 11
	v_addc_co_u32_e32 v13, vcc, 0, v1, vcc
	s_cbranch_scc1 .LBB55_1134
; %bb.1128:
	s_and_b32 s12, 0xffff, s15
	s_cmp_gt_i32 s12, 25
	s_mov_b64 s[2:3], 0
	s_cbranch_scc0 .LBB55_1136
; %bb.1129:
	s_cmp_gt_i32 s12, 28
	s_cbranch_scc0 .LBB55_1137
; %bb.1130:
	s_cmp_gt_i32 s12, 43
	s_cbranch_scc0 .LBB55_1138
; %bb.1131:
	s_cmp_gt_i32 s12, 45
	s_cbranch_scc0 .LBB55_1139
; %bb.1132:
	s_cmp_eq_u32 s12, 46
	s_mov_b64 s[6:7], 0
	s_cbranch_scc0 .LBB55_1142
; %bb.1133:
	global_load_dword v1, v[12:13], off
	s_mov_b64 s[0:1], 0
	s_mov_b64 s[4:5], -1
	s_waitcnt vmcnt(0)
	v_lshlrev_b32_e32 v1, 16, v1
	v_cvt_i32_f32_e32 v5, v1
	s_branch .LBB55_1143
.LBB55_1134:
	s_mov_b64 s[4:5], 0
                                        ; implicit-def: $vgpr5
	s_mov_b64 s[12:13], s[28:29]
	s_cbranch_execnz .LBB55_1201
.LBB55_1135:
	s_andn2_b64 vcc, exec, s[4:5]
	s_cbranch_vccz .LBB55_1246
	s_branch .LBB55_2055
.LBB55_1136:
	s_mov_b64 s[4:5], 0
	s_mov_b64 s[0:1], 0
                                        ; implicit-def: $vgpr5
	s_cbranch_execnz .LBB55_1168
	s_branch .LBB55_1197
.LBB55_1137:
	s_mov_b64 s[4:5], 0
	s_mov_b64 s[0:1], 0
                                        ; implicit-def: $vgpr5
	s_cbranch_execz .LBB55_1167
	s_branch .LBB55_1152
.LBB55_1138:
	s_mov_b64 s[4:5], 0
	s_mov_b64 s[0:1], 0
                                        ; implicit-def: $vgpr5
	s_cbranch_execnz .LBB55_1148
	s_branch .LBB55_1151
.LBB55_1139:
	s_mov_b64 s[6:7], -1
	s_mov_b64 s[4:5], 0
	s_mov_b64 s[0:1], 0
                                        ; implicit-def: $vgpr5
	s_branch .LBB55_1143
.LBB55_1140:
	s_andn2_saveexec_b64 s[16:17], s[16:17]
	s_cbranch_execz .LBB55_983
.LBB55_1141:
	s_mov_b32 s18, 0x46000000
	v_add_f32_e64 v2, |v0|, s18
	v_and_b32_e32 v2, 0xff, v2
	v_cmp_ne_u32_e32 vcc, 0, v2
	s_andn2_b64 s[12:13], s[12:13], exec
	s_and_b64 s[18:19], vcc, exec
	s_or_b64 s[12:13], s[12:13], s[18:19]
	s_or_b64 exec, exec, s[16:17]
	v_mov_b32_e32 v5, 0
	s_and_saveexec_b64 s[16:17], s[12:13]
	s_cbranch_execnz .LBB55_984
	s_branch .LBB55_985
.LBB55_1142:
	s_mov_b64 s[0:1], -1
                                        ; implicit-def: $vgpr5
	s_mov_b64 s[4:5], 0
.LBB55_1143:
	s_and_b64 vcc, exec, s[6:7]
	s_cbranch_vccz .LBB55_1146
; %bb.1144:
	s_cmp_eq_u32 s12, 44
	s_cbranch_scc0 .LBB55_1147
; %bb.1145:
	global_load_ubyte v1, v[12:13], off
	s_mov_b64 s[0:1], 0
	s_mov_b64 s[4:5], -1
	s_waitcnt vmcnt(0)
	v_lshlrev_b32_e32 v3, 23, v1
	v_cvt_i32_f32_e32 v3, v3
	v_cmp_ne_u32_e32 vcc, 0, v1
	v_cndmask_b32_e32 v5, 0, v3, vcc
.LBB55_1146:
	s_branch .LBB55_1151
.LBB55_1147:
	s_mov_b64 s[0:1], -1
                                        ; implicit-def: $vgpr5
	s_branch .LBB55_1151
.LBB55_1148:
	s_cmp_eq_u32 s12, 29
	s_cbranch_scc0 .LBB55_1150
; %bb.1149:
	global_load_dword v5, v[12:13], off
	s_mov_b64 s[0:1], 0
	s_mov_b64 s[4:5], -1
	s_branch .LBB55_1151
.LBB55_1150:
	s_mov_b64 s[0:1], -1
                                        ; implicit-def: $vgpr5
.LBB55_1151:
	s_branch .LBB55_1167
.LBB55_1152:
	s_cmp_lt_i32 s12, 27
	s_cbranch_scc1 .LBB55_1155
; %bb.1153:
	s_cmp_gt_i32 s12, 27
	s_cbranch_scc0 .LBB55_1156
; %bb.1154:
	global_load_dword v5, v[12:13], off
	s_mov_b64 s[4:5], 0
	s_branch .LBB55_1157
.LBB55_1155:
	s_mov_b64 s[4:5], -1
                                        ; implicit-def: $vgpr5
	s_branch .LBB55_1160
.LBB55_1156:
	s_mov_b64 s[4:5], -1
                                        ; implicit-def: $vgpr5
.LBB55_1157:
	s_andn2_b64 vcc, exec, s[4:5]
	s_cbranch_vccnz .LBB55_1159
; %bb.1158:
	global_load_ushort v5, v[12:13], off
.LBB55_1159:
	s_mov_b64 s[4:5], 0
.LBB55_1160:
	s_andn2_b64 vcc, exec, s[4:5]
	s_cbranch_vccnz .LBB55_1166
; %bb.1161:
	global_load_ubyte v1, v[12:13], off
	s_movk_i32 s4, 0x7f
	s_mov_b64 s[6:7], 0
	s_waitcnt vmcnt(0)
	v_cmp_lt_i16_e32 vcc, s4, v1
	s_and_saveexec_b64 s[4:5], vcc
	s_xor_b64 s[4:5], exec, s[4:5]
	s_cbranch_execz .LBB55_1177
; %bb.1162:
	s_movk_i32 s6, 0x80
	v_cmp_ne_u16_e32 vcc, s6, v1
	s_and_b64 s[6:7], vcc, exec
	s_andn2_saveexec_b64 s[4:5], s[4:5]
	s_cbranch_execnz .LBB55_1178
.LBB55_1163:
	s_or_b64 exec, exec, s[4:5]
	v_mov_b32_e32 v5, 0
	s_and_saveexec_b64 s[4:5], s[6:7]
	s_cbranch_execz .LBB55_1165
.LBB55_1164:
	v_lshlrev_b32_e32 v3, 24, v1
	v_and_b32_e32 v1, 0xffff, v1
	v_and_b32_e32 v5, 7, v1
	v_ffbh_u32_e32 v10, v5
	v_min_u32_e32 v10, 32, v10
	v_subrev_u32_e32 v14, 28, v10
	v_bfe_u32 v8, v1, 3, 4
	v_lshlrev_b32_e32 v1, v14, v1
	v_sub_u32_e32 v10, 29, v10
	v_and_b32_e32 v1, 7, v1
	v_cmp_eq_u32_e32 vcc, 0, v8
	v_cndmask_b32_e32 v8, v8, v10, vcc
	v_cndmask_b32_e32 v1, v5, v1, vcc
	v_mov_b32_e32 v5, 0x3b800000
	v_lshlrev_b32_e32 v1, 20, v1
	v_and_b32_e32 v3, 0x80000000, v3
	v_lshl_add_u32 v5, v8, 23, v5
	v_or3_b32 v1, v3, v5, v1
	v_cvt_i32_f32_e32 v5, v1
.LBB55_1165:
	s_or_b64 exec, exec, s[4:5]
.LBB55_1166:
	s_mov_b64 s[4:5], -1
.LBB55_1167:
	s_branch .LBB55_1197
.LBB55_1168:
	s_cmp_gt_i32 s12, 22
	s_cbranch_scc0 .LBB55_1176
; %bb.1169:
	s_cmp_lt_i32 s12, 24
	s_cbranch_scc1 .LBB55_1179
; %bb.1170:
	s_cmp_gt_i32 s12, 24
	s_cbranch_scc0 .LBB55_1180
; %bb.1171:
	global_load_ubyte v1, v[12:13], off
	s_movk_i32 s2, 0x7f
	s_mov_b64 s[4:5], 0
	s_waitcnt vmcnt(0)
	v_cmp_lt_i16_e32 vcc, s2, v1
	s_and_saveexec_b64 s[2:3], vcc
	s_xor_b64 s[2:3], exec, s[2:3]
	s_cbranch_execz .LBB55_1191
; %bb.1172:
	s_movk_i32 s4, 0x80
	v_cmp_ne_u16_e32 vcc, s4, v1
	s_and_b64 s[4:5], vcc, exec
	s_andn2_saveexec_b64 s[2:3], s[2:3]
	s_cbranch_execnz .LBB55_1192
.LBB55_1173:
	s_or_b64 exec, exec, s[2:3]
	v_mov_b32_e32 v5, 0
	s_and_saveexec_b64 s[2:3], s[4:5]
	s_cbranch_execz .LBB55_1175
.LBB55_1174:
	v_lshlrev_b32_e32 v3, 24, v1
	v_and_b32_e32 v1, 0xffff, v1
	v_and_b32_e32 v5, 3, v1
	v_ffbh_u32_e32 v10, v5
	v_min_u32_e32 v10, 32, v10
	v_subrev_u32_e32 v14, 29, v10
	v_bfe_u32 v8, v1, 2, 5
	v_lshlrev_b32_e32 v1, v14, v1
	v_sub_u32_e32 v10, 30, v10
	v_and_b32_e32 v1, 3, v1
	v_cmp_eq_u32_e32 vcc, 0, v8
	v_cndmask_b32_e32 v8, v8, v10, vcc
	v_cndmask_b32_e32 v1, v5, v1, vcc
	v_mov_b32_e32 v5, 0x37800000
	v_lshlrev_b32_e32 v1, 21, v1
	v_and_b32_e32 v3, 0x80000000, v3
	v_lshl_add_u32 v5, v8, 23, v5
	v_or3_b32 v1, v3, v5, v1
	v_cvt_i32_f32_e32 v5, v1
.LBB55_1175:
	s_or_b64 exec, exec, s[2:3]
	s_mov_b64 s[2:3], 0
	s_branch .LBB55_1181
.LBB55_1176:
                                        ; implicit-def: $vgpr5
	s_mov_b64 s[2:3], 0
	s_branch .LBB55_1187
.LBB55_1177:
	s_andn2_saveexec_b64 s[4:5], s[4:5]
	s_cbranch_execz .LBB55_1163
.LBB55_1178:
	v_cmp_ne_u16_e32 vcc, 0, v1
	s_andn2_b64 s[6:7], s[6:7], exec
	s_and_b64 s[16:17], vcc, exec
	s_or_b64 s[6:7], s[6:7], s[16:17]
	s_or_b64 exec, exec, s[4:5]
	v_mov_b32_e32 v5, 0
	s_and_saveexec_b64 s[4:5], s[6:7]
	s_cbranch_execnz .LBB55_1164
	s_branch .LBB55_1165
.LBB55_1179:
	s_mov_b64 s[2:3], -1
                                        ; implicit-def: $vgpr5
	s_branch .LBB55_1184
.LBB55_1180:
	s_mov_b64 s[2:3], -1
                                        ; implicit-def: $vgpr5
.LBB55_1181:
	s_and_b64 vcc, exec, s[2:3]
	s_cbranch_vccz .LBB55_1183
; %bb.1182:
	global_load_ubyte v1, v[12:13], off
	s_mov_b32 s2, 0x7f800000
	s_waitcnt vmcnt(0)
	v_lshlrev_b32_e32 v1, 24, v1
	v_and_b32_e32 v3, 0x7f000000, v1
	v_ffbh_u32_e32 v5, v3
	v_min_u32_e32 v5, 32, v5
	v_sub_u32_e64 v5, v5, 4 clamp
	v_lshlrev_b32_e32 v10, v5, v3
	v_lshlrev_b32_e32 v5, 23, v5
	v_lshrrev_b32_e32 v10, 4, v10
	v_add_u32_e32 v8, 0x1000000, v3
	v_sub_u32_e32 v5, v10, v5
	v_ashrrev_i32_e32 v8, 8, v8
	v_add_u32_e32 v5, 0x3c000000, v5
	v_and_or_b32 v5, v8, s2, v5
	v_cmp_ne_u32_e32 vcc, 0, v3
	v_cndmask_b32_e32 v3, 0, v5, vcc
	s_brev_b32 s2, 1
	v_and_or_b32 v1, v1, s2, v3
	v_cvt_i32_f32_e32 v5, v1
.LBB55_1183:
	s_mov_b64 s[2:3], 0
.LBB55_1184:
	s_andn2_b64 vcc, exec, s[2:3]
	s_cbranch_vccnz .LBB55_1186
; %bb.1185:
	global_load_ubyte v1, v[12:13], off
	s_movk_i32 s2, 0x7f00
	s_brev_b32 s3, 16
	s_waitcnt vmcnt(0)
	v_lshlrev_b16_e32 v3, 8, v1
	v_lshlrev_b32_e32 v1, 25, v1
	v_lshrrev_b32_e32 v5, 4, v1
	v_and_or_b32 v8, v3, s2, 0.5
	v_or_b32_e32 v5, 0x70000000, v5
	v_add_f32_e32 v8, -0.5, v8
	v_mul_f32_e32 v5, 0x7800000, v5
	v_cmp_gt_u32_e32 vcc, s3, v1
	v_bfe_i32 v3, v3, 0, 16
	v_cndmask_b32_e32 v1, v5, v8, vcc
	s_brev_b32 s2, 1
	v_and_or_b32 v1, v3, s2, v1
	v_cvt_i32_f32_e32 v5, v1
.LBB55_1186:
	s_mov_b64 s[4:5], -1
	s_mov_b64 s[2:3], 0
	s_cbranch_execnz .LBB55_1197
.LBB55_1187:
	s_cmp_gt_i32 s12, 14
	s_cbranch_scc0 .LBB55_1190
; %bb.1188:
	s_cmp_eq_u32 s12, 15
	s_cbranch_scc0 .LBB55_1193
; %bb.1189:
	global_load_ushort v1, v[12:13], off
	s_mov_b64 s[0:1], 0
	s_mov_b64 s[4:5], -1
	s_waitcnt vmcnt(0)
	v_lshlrev_b32_e32 v1, 16, v1
	v_cvt_i32_f32_e32 v5, v1
	s_branch .LBB55_1194
.LBB55_1190:
	s_mov_b64 s[6:7], -1
                                        ; implicit-def: $vgpr5
	s_branch .LBB55_1195
.LBB55_1191:
	s_andn2_saveexec_b64 s[2:3], s[2:3]
	s_cbranch_execz .LBB55_1173
.LBB55_1192:
	v_cmp_ne_u16_e32 vcc, 0, v1
	s_andn2_b64 s[4:5], s[4:5], exec
	s_and_b64 s[6:7], vcc, exec
	s_or_b64 s[4:5], s[4:5], s[6:7]
	s_or_b64 exec, exec, s[2:3]
	v_mov_b32_e32 v5, 0
	s_and_saveexec_b64 s[2:3], s[4:5]
	s_cbranch_execnz .LBB55_1174
	s_branch .LBB55_1175
.LBB55_1193:
	s_mov_b64 s[0:1], -1
                                        ; implicit-def: $vgpr5
.LBB55_1194:
	s_mov_b64 s[6:7], 0
.LBB55_1195:
	s_and_b64 vcc, exec, s[6:7]
	s_cbranch_vccz .LBB55_1197
; %bb.1196:
	s_cmp_lg_u32 s12, 11
	s_mov_b64 s[2:3], -1
	s_cselect_b64 s[0:1], -1, 0
.LBB55_1197:
	s_and_b64 vcc, exec, s[0:1]
	s_mov_b64 s[12:13], s[28:29]
	s_cbranch_vccnz .LBB55_1258
; %bb.1198:
	s_andn2_b64 vcc, exec, s[2:3]
	s_cbranch_vccnz .LBB55_1200
.LBB55_1199:
	global_load_ubyte v1, v[12:13], off
	s_mov_b64 s[4:5], -1
	s_waitcnt vmcnt(0)
	v_cmp_ne_u16_e32 vcc, 0, v1
	v_cndmask_b32_e64 v5, 0, 1, vcc
.LBB55_1200:
	s_branch .LBB55_1135
.LBB55_1201:
	s_and_b32 s2, 0xffff, s15
	s_cmp_lt_i32 s2, 5
	s_cbranch_scc1 .LBB55_1206
; %bb.1202:
	s_cmp_lt_i32 s2, 8
	s_cbranch_scc1 .LBB55_1207
; %bb.1203:
	;; [unrolled: 3-line block ×3, first 2 shown]
	s_cmp_gt_i32 s2, 9
	s_cbranch_scc0 .LBB55_1209
; %bb.1205:
	global_load_dwordx2 v[14:15], v[12:13], off
	s_mov_b64 s[0:1], 0
	s_waitcnt vmcnt(0)
	v_cvt_i32_f64_e32 v5, v[14:15]
	s_branch .LBB55_1210
.LBB55_1206:
                                        ; implicit-def: $vgpr5
	s_branch .LBB55_1227
.LBB55_1207:
                                        ; implicit-def: $vgpr5
	s_branch .LBB55_1216
.LBB55_1208:
	s_mov_b64 s[0:1], -1
                                        ; implicit-def: $vgpr5
	s_branch .LBB55_1213
.LBB55_1209:
	s_mov_b64 s[0:1], -1
                                        ; implicit-def: $vgpr5
.LBB55_1210:
	s_andn2_b64 vcc, exec, s[0:1]
	s_cbranch_vccnz .LBB55_1212
; %bb.1211:
	global_load_dword v1, v[12:13], off
	s_waitcnt vmcnt(0)
	v_cvt_i32_f32_e32 v5, v1
.LBB55_1212:
	s_mov_b64 s[0:1], 0
.LBB55_1213:
	s_andn2_b64 vcc, exec, s[0:1]
	s_cbranch_vccnz .LBB55_1215
; %bb.1214:
	global_load_dword v1, v[12:13], off
	s_waitcnt vmcnt(0)
	v_cvt_f32_f16_e32 v1, v1
	v_cvt_i32_f32_e32 v5, v1
.LBB55_1215:
	s_cbranch_execnz .LBB55_1226
.LBB55_1216:
	s_cmp_lt_i32 s2, 6
	s_cbranch_scc1 .LBB55_1219
; %bb.1217:
	s_cmp_gt_i32 s2, 6
	s_cbranch_scc0 .LBB55_1220
; %bb.1218:
	global_load_dwordx2 v[14:15], v[12:13], off
	s_mov_b64 s[0:1], 0
	s_waitcnt vmcnt(0)
	v_cvt_i32_f64_e32 v5, v[14:15]
	s_branch .LBB55_1221
.LBB55_1219:
	s_mov_b64 s[0:1], -1
                                        ; implicit-def: $vgpr5
	s_branch .LBB55_1224
.LBB55_1220:
	s_mov_b64 s[0:1], -1
                                        ; implicit-def: $vgpr5
.LBB55_1221:
	s_andn2_b64 vcc, exec, s[0:1]
	s_cbranch_vccnz .LBB55_1223
; %bb.1222:
	global_load_dword v1, v[12:13], off
	s_waitcnt vmcnt(0)
	v_cvt_i32_f32_e32 v5, v1
.LBB55_1223:
	s_mov_b64 s[0:1], 0
.LBB55_1224:
	s_andn2_b64 vcc, exec, s[0:1]
	s_cbranch_vccnz .LBB55_1226
; %bb.1225:
	global_load_ushort v1, v[12:13], off
	s_waitcnt vmcnt(0)
	v_cvt_f32_f16_e32 v1, v1
	v_cvt_i32_f32_e32 v5, v1
.LBB55_1226:
	s_cbranch_execnz .LBB55_1245
.LBB55_1227:
	s_cmp_lt_i32 s2, 2
	s_cbranch_scc1 .LBB55_1231
; %bb.1228:
	s_cmp_lt_i32 s2, 3
	s_cbranch_scc1 .LBB55_1232
; %bb.1229:
	s_cmp_gt_i32 s2, 3
	s_cbranch_scc0 .LBB55_1233
; %bb.1230:
	global_load_dword v5, v[12:13], off
	s_mov_b64 s[0:1], 0
	s_branch .LBB55_1234
.LBB55_1231:
                                        ; implicit-def: $vgpr5
	s_branch .LBB55_1240
.LBB55_1232:
	s_mov_b64 s[0:1], -1
                                        ; implicit-def: $vgpr5
	s_branch .LBB55_1237
.LBB55_1233:
	s_mov_b64 s[0:1], -1
                                        ; implicit-def: $vgpr5
.LBB55_1234:
	s_andn2_b64 vcc, exec, s[0:1]
	s_cbranch_vccnz .LBB55_1236
; %bb.1235:
	global_load_dword v5, v[12:13], off
.LBB55_1236:
	s_mov_b64 s[0:1], 0
.LBB55_1237:
	s_andn2_b64 vcc, exec, s[0:1]
	s_cbranch_vccnz .LBB55_1239
; %bb.1238:
	global_load_sshort v5, v[12:13], off
.LBB55_1239:
	s_cbranch_execnz .LBB55_1245
.LBB55_1240:
	s_cmp_gt_i32 s2, 0
	s_cbranch_scc0 .LBB55_1242
; %bb.1241:
	global_load_sbyte v5, v[12:13], off
	s_mov_b64 s[0:1], 0
	s_branch .LBB55_1243
.LBB55_1242:
	s_mov_b64 s[0:1], -1
                                        ; implicit-def: $vgpr5
.LBB55_1243:
	s_andn2_b64 vcc, exec, s[0:1]
	s_cbranch_vccnz .LBB55_1245
; %bb.1244:
	global_load_ubyte v5, v[12:13], off
.LBB55_1245:
.LBB55_1246:
	s_lshr_b32 s0, s14, 8
	v_mov_b32_e32 v1, s11
	s_and_b32 s14, s0, 0xff
	v_add_co_u32_e32 v10, vcc, s10, v11
	s_cmp_lt_i32 s14, 11
	v_addc_co_u32_e32 v11, vcc, 0, v1, vcc
	s_cbranch_scc1 .LBB55_1253
; %bb.1247:
	s_and_b32 s15, 0xffff, s14
	s_cmp_gt_i32 s15, 25
	s_mov_b64 s[2:3], 0
	s_cbranch_scc0 .LBB55_1255
; %bb.1248:
	s_cmp_gt_i32 s15, 28
	s_cbranch_scc0 .LBB55_1256
; %bb.1249:
	s_cmp_gt_i32 s15, 43
	;; [unrolled: 3-line block ×3, first 2 shown]
	s_cbranch_scc0 .LBB55_1259
; %bb.1251:
	s_cmp_eq_u32 s15, 46
	s_mov_b64 s[6:7], 0
	s_cbranch_scc0 .LBB55_1262
; %bb.1252:
	global_load_dword v1, v[10:11], off
	s_mov_b64 s[0:1], 0
	s_mov_b64 s[4:5], -1
	s_waitcnt vmcnt(0)
	v_lshlrev_b32_e32 v1, 16, v1
	v_cvt_i32_f32_e32 v3, v1
	s_branch .LBB55_1263
.LBB55_1253:
	s_mov_b64 s[4:5], 0
                                        ; implicit-def: $vgpr3
	s_cbranch_execnz .LBB55_1324
.LBB55_1254:
	s_andn2_b64 vcc, exec, s[4:5]
	s_cbranch_vccnz .LBB55_2055
	s_branch .LBB55_1371
.LBB55_1255:
	s_mov_b64 s[4:5], 0
	s_mov_b64 s[0:1], 0
                                        ; implicit-def: $vgpr3
	s_cbranch_execnz .LBB55_1290
	s_branch .LBB55_1320
.LBB55_1256:
	s_mov_b64 s[6:7], -1
	s_mov_b64 s[4:5], 0
	s_mov_b64 s[0:1], 0
                                        ; implicit-def: $vgpr3
	s_branch .LBB55_1273
.LBB55_1257:
	s_mov_b64 s[6:7], -1
	s_mov_b64 s[4:5], 0
	s_mov_b64 s[0:1], 0
                                        ; implicit-def: $vgpr3
	s_branch .LBB55_1268
.LBB55_1258:
	s_or_b64 s[12:13], s[28:29], exec
	s_trap 2
	s_cbranch_execz .LBB55_1199
	s_branch .LBB55_1200
.LBB55_1259:
	s_mov_b64 s[6:7], -1
	s_mov_b64 s[4:5], 0
	s_mov_b64 s[0:1], 0
                                        ; implicit-def: $vgpr3
	s_branch .LBB55_1263
.LBB55_1260:
	s_andn2_saveexec_b64 s[18:19], s[18:19]
	s_cbranch_execz .LBB55_995
.LBB55_1261:
	s_mov_b32 s21, 0x42800000
	v_add_f32_e64 v2, |v0|, s21
	v_and_b32_e32 v2, 0xff, v2
	v_cmp_ne_u32_e32 vcc, 0, v2
	s_andn2_b64 s[16:17], s[16:17], exec
	s_and_b64 s[24:25], vcc, exec
	s_or_b64 s[16:17], s[16:17], s[24:25]
	s_or_b64 exec, exec, s[18:19]
	v_mov_b32_e32 v5, 0
	s_and_saveexec_b64 s[18:19], s[16:17]
	s_cbranch_execnz .LBB55_996
	s_branch .LBB55_997
.LBB55_1262:
	s_mov_b64 s[0:1], -1
                                        ; implicit-def: $vgpr3
	s_mov_b64 s[4:5], 0
.LBB55_1263:
	s_and_b64 vcc, exec, s[6:7]
	s_cbranch_vccz .LBB55_1267
; %bb.1264:
	s_cmp_eq_u32 s15, 44
	s_cbranch_scc0 .LBB55_1266
; %bb.1265:
	global_load_ubyte v1, v[10:11], off
	s_mov_b64 s[0:1], 0
	s_mov_b64 s[4:5], -1
	s_waitcnt vmcnt(0)
	v_lshlrev_b32_e32 v3, 23, v1
	v_cvt_i32_f32_e32 v3, v3
	v_cmp_ne_u32_e32 vcc, 0, v1
	v_cndmask_b32_e32 v3, 0, v3, vcc
	s_branch .LBB55_1267
.LBB55_1266:
	s_mov_b64 s[0:1], -1
                                        ; implicit-def: $vgpr3
.LBB55_1267:
	s_mov_b64 s[6:7], 0
.LBB55_1268:
	s_and_b64 vcc, exec, s[6:7]
	s_cbranch_vccz .LBB55_1272
; %bb.1269:
	s_cmp_eq_u32 s15, 29
	s_cbranch_scc0 .LBB55_1271
; %bb.1270:
	global_load_dword v3, v[10:11], off
	s_mov_b64 s[0:1], 0
	s_mov_b64 s[4:5], -1
	s_branch .LBB55_1272
.LBB55_1271:
	s_mov_b64 s[0:1], -1
                                        ; implicit-def: $vgpr3
.LBB55_1272:
	s_mov_b64 s[6:7], 0
.LBB55_1273:
	s_and_b64 vcc, exec, s[6:7]
	s_cbranch_vccz .LBB55_1289
; %bb.1274:
	s_cmp_lt_i32 s15, 27
	s_cbranch_scc1 .LBB55_1277
; %bb.1275:
	s_cmp_gt_i32 s15, 27
	s_cbranch_scc0 .LBB55_1278
; %bb.1276:
	global_load_dword v3, v[10:11], off
	s_mov_b64 s[4:5], 0
	s_branch .LBB55_1279
.LBB55_1277:
	s_mov_b64 s[4:5], -1
                                        ; implicit-def: $vgpr3
	s_branch .LBB55_1282
.LBB55_1278:
	s_mov_b64 s[4:5], -1
                                        ; implicit-def: $vgpr3
.LBB55_1279:
	s_andn2_b64 vcc, exec, s[4:5]
	s_cbranch_vccnz .LBB55_1281
; %bb.1280:
	global_load_ushort v3, v[10:11], off
.LBB55_1281:
	s_mov_b64 s[4:5], 0
.LBB55_1282:
	s_andn2_b64 vcc, exec, s[4:5]
	s_cbranch_vccnz .LBB55_1288
; %bb.1283:
	global_load_ubyte v1, v[10:11], off
	s_movk_i32 s4, 0x7f
	s_mov_b64 s[6:7], 0
	s_waitcnt vmcnt(0)
	v_cmp_lt_i16_e32 vcc, s4, v1
	s_and_saveexec_b64 s[4:5], vcc
	s_xor_b64 s[4:5], exec, s[4:5]
	s_cbranch_execz .LBB55_1299
; %bb.1284:
	s_movk_i32 s6, 0x80
	v_cmp_ne_u16_e32 vcc, s6, v1
	s_and_b64 s[6:7], vcc, exec
	s_andn2_saveexec_b64 s[4:5], s[4:5]
	s_cbranch_execnz .LBB55_1300
.LBB55_1285:
	s_or_b64 exec, exec, s[4:5]
	v_mov_b32_e32 v3, 0
	s_and_saveexec_b64 s[4:5], s[6:7]
	s_cbranch_execz .LBB55_1287
.LBB55_1286:
	v_lshlrev_b32_e32 v3, 24, v1
	v_and_b32_e32 v1, 0xffff, v1
	v_and_b32_e32 v8, 7, v1
	v_ffbh_u32_e32 v13, v8
	v_min_u32_e32 v13, 32, v13
	v_subrev_u32_e32 v14, 28, v13
	v_bfe_u32 v12, v1, 3, 4
	v_lshlrev_b32_e32 v1, v14, v1
	v_sub_u32_e32 v13, 29, v13
	v_and_b32_e32 v1, 7, v1
	v_cmp_eq_u32_e32 vcc, 0, v12
	v_cndmask_b32_e32 v12, v12, v13, vcc
	v_cndmask_b32_e32 v1, v8, v1, vcc
	v_mov_b32_e32 v8, 0x3b800000
	v_lshlrev_b32_e32 v1, 20, v1
	v_and_b32_e32 v3, 0x80000000, v3
	v_lshl_add_u32 v8, v12, 23, v8
	v_or3_b32 v1, v3, v8, v1
	v_cvt_i32_f32_e32 v3, v1
.LBB55_1287:
	s_or_b64 exec, exec, s[4:5]
.LBB55_1288:
	s_mov_b64 s[4:5], -1
.LBB55_1289:
	s_branch .LBB55_1320
.LBB55_1290:
	s_cmp_gt_i32 s15, 22
	s_cbranch_scc0 .LBB55_1298
; %bb.1291:
	s_cmp_lt_i32 s15, 24
	s_cbranch_scc1 .LBB55_1301
; %bb.1292:
	s_cmp_gt_i32 s15, 24
	s_cbranch_scc0 .LBB55_1302
; %bb.1293:
	global_load_ubyte v1, v[10:11], off
	s_movk_i32 s2, 0x7f
	s_mov_b64 s[4:5], 0
	s_waitcnt vmcnt(0)
	v_cmp_lt_i16_e32 vcc, s2, v1
	s_and_saveexec_b64 s[2:3], vcc
	s_xor_b64 s[2:3], exec, s[2:3]
	s_cbranch_execz .LBB55_1314
; %bb.1294:
	s_movk_i32 s4, 0x80
	v_cmp_ne_u16_e32 vcc, s4, v1
	s_and_b64 s[4:5], vcc, exec
	s_andn2_saveexec_b64 s[2:3], s[2:3]
	s_cbranch_execnz .LBB55_1315
.LBB55_1295:
	s_or_b64 exec, exec, s[2:3]
	v_mov_b32_e32 v3, 0
	s_and_saveexec_b64 s[2:3], s[4:5]
	s_cbranch_execz .LBB55_1297
.LBB55_1296:
	v_lshlrev_b32_e32 v3, 24, v1
	v_and_b32_e32 v1, 0xffff, v1
	v_and_b32_e32 v8, 3, v1
	v_ffbh_u32_e32 v13, v8
	v_min_u32_e32 v13, 32, v13
	v_subrev_u32_e32 v14, 29, v13
	v_bfe_u32 v12, v1, 2, 5
	v_lshlrev_b32_e32 v1, v14, v1
	v_sub_u32_e32 v13, 30, v13
	v_and_b32_e32 v1, 3, v1
	v_cmp_eq_u32_e32 vcc, 0, v12
	v_cndmask_b32_e32 v12, v12, v13, vcc
	v_cndmask_b32_e32 v1, v8, v1, vcc
	v_mov_b32_e32 v8, 0x37800000
	v_lshlrev_b32_e32 v1, 21, v1
	v_and_b32_e32 v3, 0x80000000, v3
	v_lshl_add_u32 v8, v12, 23, v8
	v_or3_b32 v1, v3, v8, v1
	v_cvt_i32_f32_e32 v3, v1
.LBB55_1297:
	s_or_b64 exec, exec, s[2:3]
	s_mov_b64 s[2:3], 0
	s_branch .LBB55_1303
.LBB55_1298:
	s_mov_b64 s[2:3], -1
                                        ; implicit-def: $vgpr3
	s_branch .LBB55_1309
.LBB55_1299:
	s_andn2_saveexec_b64 s[4:5], s[4:5]
	s_cbranch_execz .LBB55_1285
.LBB55_1300:
	v_cmp_ne_u16_e32 vcc, 0, v1
	s_andn2_b64 s[6:7], s[6:7], exec
	s_and_b64 s[16:17], vcc, exec
	s_or_b64 s[6:7], s[6:7], s[16:17]
	s_or_b64 exec, exec, s[4:5]
	v_mov_b32_e32 v3, 0
	s_and_saveexec_b64 s[4:5], s[6:7]
	s_cbranch_execnz .LBB55_1286
	s_branch .LBB55_1287
.LBB55_1301:
	s_mov_b64 s[2:3], -1
                                        ; implicit-def: $vgpr3
	s_branch .LBB55_1306
.LBB55_1302:
	s_mov_b64 s[2:3], -1
                                        ; implicit-def: $vgpr3
.LBB55_1303:
	s_and_b64 vcc, exec, s[2:3]
	s_cbranch_vccz .LBB55_1305
; %bb.1304:
	global_load_ubyte v1, v[10:11], off
	s_mov_b32 s2, 0x7f800000
	s_waitcnt vmcnt(0)
	v_lshlrev_b32_e32 v1, 24, v1
	v_and_b32_e32 v3, 0x7f000000, v1
	v_ffbh_u32_e32 v8, v3
	v_min_u32_e32 v8, 32, v8
	v_sub_u32_e64 v8, v8, 4 clamp
	v_lshlrev_b32_e32 v13, v8, v3
	v_lshlrev_b32_e32 v8, 23, v8
	v_lshrrev_b32_e32 v13, 4, v13
	v_add_u32_e32 v12, 0x1000000, v3
	v_sub_u32_e32 v8, v13, v8
	v_ashrrev_i32_e32 v12, 8, v12
	v_add_u32_e32 v8, 0x3c000000, v8
	v_and_or_b32 v8, v12, s2, v8
	v_cmp_ne_u32_e32 vcc, 0, v3
	v_cndmask_b32_e32 v3, 0, v8, vcc
	s_brev_b32 s2, 1
	v_and_or_b32 v1, v1, s2, v3
	v_cvt_i32_f32_e32 v3, v1
.LBB55_1305:
	s_mov_b64 s[2:3], 0
.LBB55_1306:
	s_andn2_b64 vcc, exec, s[2:3]
	s_cbranch_vccnz .LBB55_1308
; %bb.1307:
	global_load_ubyte v1, v[10:11], off
	s_movk_i32 s2, 0x7f00
	s_brev_b32 s3, 16
	s_waitcnt vmcnt(0)
	v_lshlrev_b16_e32 v3, 8, v1
	v_lshlrev_b32_e32 v1, 25, v1
	v_lshrrev_b32_e32 v8, 4, v1
	v_and_or_b32 v12, v3, s2, 0.5
	v_or_b32_e32 v8, 0x70000000, v8
	v_add_f32_e32 v12, -0.5, v12
	v_mul_f32_e32 v8, 0x7800000, v8
	v_cmp_gt_u32_e32 vcc, s3, v1
	v_bfe_i32 v3, v3, 0, 16
	v_cndmask_b32_e32 v1, v8, v12, vcc
	s_brev_b32 s2, 1
	v_and_or_b32 v1, v3, s2, v1
	v_cvt_i32_f32_e32 v3, v1
.LBB55_1308:
	s_mov_b64 s[2:3], 0
	s_mov_b64 s[4:5], -1
.LBB55_1309:
	s_andn2_b64 vcc, exec, s[2:3]
	s_mov_b64 s[2:3], 0
	s_cbranch_vccnz .LBB55_1320
; %bb.1310:
	s_cmp_gt_i32 s15, 14
	s_cbranch_scc0 .LBB55_1313
; %bb.1311:
	s_cmp_eq_u32 s15, 15
	s_cbranch_scc0 .LBB55_1316
; %bb.1312:
	global_load_ushort v1, v[10:11], off
	s_mov_b64 s[0:1], 0
	s_mov_b64 s[4:5], -1
	s_waitcnt vmcnt(0)
	v_lshlrev_b32_e32 v1, 16, v1
	v_cvt_i32_f32_e32 v3, v1
	s_branch .LBB55_1317
.LBB55_1313:
	s_mov_b64 s[6:7], -1
                                        ; implicit-def: $vgpr3
	s_branch .LBB55_1318
.LBB55_1314:
	s_andn2_saveexec_b64 s[2:3], s[2:3]
	s_cbranch_execz .LBB55_1295
.LBB55_1315:
	v_cmp_ne_u16_e32 vcc, 0, v1
	s_andn2_b64 s[4:5], s[4:5], exec
	s_and_b64 s[6:7], vcc, exec
	s_or_b64 s[4:5], s[4:5], s[6:7]
	s_or_b64 exec, exec, s[2:3]
	v_mov_b32_e32 v3, 0
	s_and_saveexec_b64 s[2:3], s[4:5]
	s_cbranch_execnz .LBB55_1296
	s_branch .LBB55_1297
.LBB55_1316:
	s_mov_b64 s[0:1], -1
                                        ; implicit-def: $vgpr3
.LBB55_1317:
	s_mov_b64 s[6:7], 0
.LBB55_1318:
	s_and_b64 vcc, exec, s[6:7]
	s_cbranch_vccz .LBB55_1320
; %bb.1319:
	s_cmp_lg_u32 s15, 11
	s_mov_b64 s[2:3], -1
	s_cselect_b64 s[0:1], -1, 0
.LBB55_1320:
	s_and_b64 vcc, exec, s[0:1]
	s_cbranch_vccnz .LBB55_1383
; %bb.1321:
	s_andn2_b64 vcc, exec, s[2:3]
	s_cbranch_vccnz .LBB55_1323
.LBB55_1322:
	global_load_ubyte v1, v[10:11], off
	s_mov_b64 s[4:5], -1
	s_waitcnt vmcnt(0)
	v_cmp_ne_u16_e32 vcc, 0, v1
	v_cndmask_b32_e64 v3, 0, 1, vcc
.LBB55_1323:
	s_branch .LBB55_1254
.LBB55_1324:
	s_and_b32 s2, 0xffff, s14
	s_cmp_lt_i32 s2, 5
	s_cbranch_scc1 .LBB55_1329
; %bb.1325:
	s_cmp_lt_i32 s2, 8
	s_cbranch_scc1 .LBB55_1330
; %bb.1326:
	s_cmp_lt_i32 s2, 9
	s_cbranch_scc1 .LBB55_1331
; %bb.1327:
	s_cmp_gt_i32 s2, 9
	s_cbranch_scc0 .LBB55_1332
; %bb.1328:
	global_load_dwordx2 v[12:13], v[10:11], off
	s_mov_b64 s[0:1], 0
	s_waitcnt vmcnt(0)
	v_cvt_i32_f64_e32 v3, v[12:13]
	s_branch .LBB55_1333
.LBB55_1329:
                                        ; implicit-def: $vgpr3
	s_branch .LBB55_1351
.LBB55_1330:
	s_mov_b64 s[0:1], -1
                                        ; implicit-def: $vgpr3
	s_branch .LBB55_1339
.LBB55_1331:
	s_mov_b64 s[0:1], -1
                                        ; implicit-def: $vgpr3
	s_branch .LBB55_1336
.LBB55_1332:
	s_mov_b64 s[0:1], -1
                                        ; implicit-def: $vgpr3
.LBB55_1333:
	s_andn2_b64 vcc, exec, s[0:1]
	s_cbranch_vccnz .LBB55_1335
; %bb.1334:
	global_load_dword v1, v[10:11], off
	s_waitcnt vmcnt(0)
	v_cvt_i32_f32_e32 v3, v1
.LBB55_1335:
	s_mov_b64 s[0:1], 0
.LBB55_1336:
	s_andn2_b64 vcc, exec, s[0:1]
	s_cbranch_vccnz .LBB55_1338
; %bb.1337:
	global_load_dword v1, v[10:11], off
	s_waitcnt vmcnt(0)
	v_cvt_f32_f16_e32 v1, v1
	v_cvt_i32_f32_e32 v3, v1
.LBB55_1338:
	s_mov_b64 s[0:1], 0
.LBB55_1339:
	s_andn2_b64 vcc, exec, s[0:1]
	s_cbranch_vccnz .LBB55_1350
; %bb.1340:
	s_cmp_lt_i32 s2, 6
	s_cbranch_scc1 .LBB55_1343
; %bb.1341:
	s_cmp_gt_i32 s2, 6
	s_cbranch_scc0 .LBB55_1344
; %bb.1342:
	global_load_dwordx2 v[12:13], v[10:11], off
	s_mov_b64 s[0:1], 0
	s_waitcnt vmcnt(0)
	v_cvt_i32_f64_e32 v3, v[12:13]
	s_branch .LBB55_1345
.LBB55_1343:
	s_mov_b64 s[0:1], -1
                                        ; implicit-def: $vgpr3
	s_branch .LBB55_1348
.LBB55_1344:
	s_mov_b64 s[0:1], -1
                                        ; implicit-def: $vgpr3
.LBB55_1345:
	s_andn2_b64 vcc, exec, s[0:1]
	s_cbranch_vccnz .LBB55_1347
; %bb.1346:
	global_load_dword v1, v[10:11], off
	s_waitcnt vmcnt(0)
	v_cvt_i32_f32_e32 v3, v1
.LBB55_1347:
	s_mov_b64 s[0:1], 0
.LBB55_1348:
	s_andn2_b64 vcc, exec, s[0:1]
	s_cbranch_vccnz .LBB55_1350
; %bb.1349:
	global_load_ushort v1, v[10:11], off
	s_waitcnt vmcnt(0)
	v_cvt_f32_f16_e32 v1, v1
	v_cvt_i32_f32_e32 v3, v1
.LBB55_1350:
	s_cbranch_execnz .LBB55_1370
.LBB55_1351:
	s_cmp_lt_i32 s2, 2
	s_cbranch_scc1 .LBB55_1355
; %bb.1352:
	s_cmp_lt_i32 s2, 3
	s_cbranch_scc1 .LBB55_1356
; %bb.1353:
	s_cmp_gt_i32 s2, 3
	s_cbranch_scc0 .LBB55_1357
; %bb.1354:
	global_load_dword v3, v[10:11], off
	s_mov_b64 s[0:1], 0
	s_branch .LBB55_1358
.LBB55_1355:
	s_mov_b64 s[0:1], -1
                                        ; implicit-def: $vgpr3
	s_branch .LBB55_1364
.LBB55_1356:
	s_mov_b64 s[0:1], -1
                                        ; implicit-def: $vgpr3
	s_branch .LBB55_1361
.LBB55_1357:
	s_mov_b64 s[0:1], -1
                                        ; implicit-def: $vgpr3
.LBB55_1358:
	s_andn2_b64 vcc, exec, s[0:1]
	s_cbranch_vccnz .LBB55_1360
; %bb.1359:
	global_load_dword v3, v[10:11], off
.LBB55_1360:
	s_mov_b64 s[0:1], 0
.LBB55_1361:
	s_andn2_b64 vcc, exec, s[0:1]
	s_cbranch_vccnz .LBB55_1363
; %bb.1362:
	global_load_sshort v3, v[10:11], off
.LBB55_1363:
	s_mov_b64 s[0:1], 0
.LBB55_1364:
	s_andn2_b64 vcc, exec, s[0:1]
	s_cbranch_vccnz .LBB55_1370
; %bb.1365:
	s_cmp_gt_i32 s2, 0
	s_cbranch_scc0 .LBB55_1367
; %bb.1366:
	global_load_sbyte v3, v[10:11], off
	s_mov_b64 s[0:1], 0
	s_branch .LBB55_1368
.LBB55_1367:
	s_mov_b64 s[0:1], -1
                                        ; implicit-def: $vgpr3
.LBB55_1368:
	s_andn2_b64 vcc, exec, s[0:1]
	s_cbranch_vccnz .LBB55_1370
; %bb.1369:
	global_load_ubyte v3, v[10:11], off
.LBB55_1370:
.LBB55_1371:
	v_mov_b32_e32 v1, s11
	v_add_co_u32_e32 v8, vcc, s10, v9
	s_cmp_lt_i32 s14, 11
	v_addc_co_u32_e32 v9, vcc, 0, v1, vcc
	s_cbranch_scc1 .LBB55_1378
; %bb.1372:
	s_and_b32 s15, 0xffff, s14
	s_cmp_gt_i32 s15, 25
	s_mov_b64 s[2:3], 0
	s_cbranch_scc0 .LBB55_1380
; %bb.1373:
	s_cmp_gt_i32 s15, 28
	s_cbranch_scc0 .LBB55_1381
; %bb.1374:
	s_cmp_gt_i32 s15, 43
	;; [unrolled: 3-line block ×3, first 2 shown]
	s_cbranch_scc0 .LBB55_1384
; %bb.1376:
	s_cmp_eq_u32 s15, 46
	s_mov_b64 s[6:7], 0
	s_cbranch_scc0 .LBB55_1385
; %bb.1377:
	global_load_dword v1, v[8:9], off
	s_mov_b64 s[0:1], 0
	s_mov_b64 s[4:5], -1
	s_waitcnt vmcnt(0)
	v_lshlrev_b32_e32 v1, 16, v1
	v_cvt_i32_f32_e32 v1, v1
	s_branch .LBB55_1386
.LBB55_1378:
	s_mov_b64 s[4:5], 0
                                        ; implicit-def: $vgpr1
	s_cbranch_execnz .LBB55_1448
.LBB55_1379:
	s_andn2_b64 vcc, exec, s[4:5]
	s_cbranch_vccnz .LBB55_2055
	s_branch .LBB55_1496
.LBB55_1380:
	s_mov_b64 s[6:7], -1
	s_mov_b64 s[4:5], 0
	s_mov_b64 s[0:1], 0
                                        ; implicit-def: $vgpr1
	s_branch .LBB55_1413
.LBB55_1381:
	s_mov_b64 s[6:7], -1
	s_mov_b64 s[4:5], 0
	s_mov_b64 s[0:1], 0
                                        ; implicit-def: $vgpr1
	s_branch .LBB55_1396
.LBB55_1382:
	s_mov_b64 s[6:7], -1
	s_mov_b64 s[4:5], 0
	s_mov_b64 s[0:1], 0
                                        ; implicit-def: $vgpr1
	s_branch .LBB55_1391
.LBB55_1383:
	s_trap 2
	s_or_b64 s[12:13], s[12:13], exec
	s_cbranch_execz .LBB55_1322
	s_branch .LBB55_1323
.LBB55_1384:
	s_mov_b64 s[6:7], -1
	s_mov_b64 s[4:5], 0
	s_mov_b64 s[0:1], 0
                                        ; implicit-def: $vgpr1
	s_branch .LBB55_1386
.LBB55_1385:
	s_mov_b64 s[0:1], -1
                                        ; implicit-def: $vgpr1
	s_mov_b64 s[4:5], 0
.LBB55_1386:
	s_and_b64 vcc, exec, s[6:7]
	s_cbranch_vccz .LBB55_1390
; %bb.1387:
	s_cmp_eq_u32 s15, 44
	s_cbranch_scc0 .LBB55_1389
; %bb.1388:
	global_load_ubyte v1, v[8:9], off
	s_mov_b64 s[0:1], 0
	s_mov_b64 s[4:5], -1
	s_waitcnt vmcnt(0)
	v_lshlrev_b32_e32 v10, 23, v1
	v_cvt_i32_f32_e32 v10, v10
	v_cmp_ne_u32_e32 vcc, 0, v1
	v_cndmask_b32_e32 v1, 0, v10, vcc
	s_branch .LBB55_1390
.LBB55_1389:
	s_mov_b64 s[0:1], -1
                                        ; implicit-def: $vgpr1
.LBB55_1390:
	s_mov_b64 s[6:7], 0
.LBB55_1391:
	s_and_b64 vcc, exec, s[6:7]
	s_cbranch_vccz .LBB55_1395
; %bb.1392:
	s_cmp_eq_u32 s15, 29
	s_cbranch_scc0 .LBB55_1394
; %bb.1393:
	global_load_dword v1, v[8:9], off
	s_mov_b64 s[0:1], 0
	s_mov_b64 s[4:5], -1
	s_branch .LBB55_1395
.LBB55_1394:
	s_mov_b64 s[0:1], -1
                                        ; implicit-def: $vgpr1
.LBB55_1395:
	s_mov_b64 s[6:7], 0
.LBB55_1396:
	s_and_b64 vcc, exec, s[6:7]
	s_cbranch_vccz .LBB55_1412
; %bb.1397:
	s_cmp_lt_i32 s15, 27
	s_cbranch_scc1 .LBB55_1400
; %bb.1398:
	s_cmp_gt_i32 s15, 27
	s_cbranch_scc0 .LBB55_1401
; %bb.1399:
	global_load_dword v1, v[8:9], off
	s_mov_b64 s[4:5], 0
	s_branch .LBB55_1402
.LBB55_1400:
	s_mov_b64 s[4:5], -1
                                        ; implicit-def: $vgpr1
	s_branch .LBB55_1405
.LBB55_1401:
	s_mov_b64 s[4:5], -1
                                        ; implicit-def: $vgpr1
.LBB55_1402:
	s_andn2_b64 vcc, exec, s[4:5]
	s_cbranch_vccnz .LBB55_1404
; %bb.1403:
	global_load_ushort v1, v[8:9], off
.LBB55_1404:
	s_mov_b64 s[4:5], 0
.LBB55_1405:
	s_andn2_b64 vcc, exec, s[4:5]
	s_cbranch_vccnz .LBB55_1411
; %bb.1406:
	global_load_ubyte v10, v[8:9], off
	s_movk_i32 s4, 0x7f
	s_mov_b64 s[6:7], 0
	s_waitcnt vmcnt(0)
	v_cmp_lt_i16_e32 vcc, s4, v10
	s_and_saveexec_b64 s[4:5], vcc
	s_xor_b64 s[4:5], exec, s[4:5]
	s_cbranch_execz .LBB55_1423
; %bb.1407:
	s_movk_i32 s6, 0x80
	v_cmp_ne_u16_e32 vcc, s6, v10
	s_and_b64 s[6:7], vcc, exec
	s_andn2_saveexec_b64 s[4:5], s[4:5]
	s_cbranch_execnz .LBB55_1424
.LBB55_1408:
	s_or_b64 exec, exec, s[4:5]
	v_mov_b32_e32 v1, 0
	s_and_saveexec_b64 s[4:5], s[6:7]
	s_cbranch_execz .LBB55_1410
.LBB55_1409:
	v_lshlrev_b32_e32 v1, 24, v10
	v_and_b32_e32 v10, 0xffff, v10
	v_and_b32_e32 v11, 7, v10
	v_ffbh_u32_e32 v13, v11
	v_min_u32_e32 v13, 32, v13
	v_subrev_u32_e32 v14, 28, v13
	v_bfe_u32 v12, v10, 3, 4
	v_lshlrev_b32_e32 v10, v14, v10
	v_sub_u32_e32 v13, 29, v13
	v_and_b32_e32 v10, 7, v10
	v_cmp_eq_u32_e32 vcc, 0, v12
	v_cndmask_b32_e32 v12, v12, v13, vcc
	v_cndmask_b32_e32 v10, v11, v10, vcc
	v_mov_b32_e32 v11, 0x3b800000
	v_lshlrev_b32_e32 v10, 20, v10
	v_and_b32_e32 v1, 0x80000000, v1
	v_lshl_add_u32 v11, v12, 23, v11
	v_or3_b32 v1, v1, v11, v10
	v_cvt_i32_f32_e32 v1, v1
.LBB55_1410:
	s_or_b64 exec, exec, s[4:5]
.LBB55_1411:
	s_mov_b64 s[4:5], -1
.LBB55_1412:
	s_mov_b64 s[6:7], 0
.LBB55_1413:
	s_and_b64 vcc, exec, s[6:7]
	s_cbranch_vccz .LBB55_1444
; %bb.1414:
	s_cmp_gt_i32 s15, 22
	s_cbranch_scc0 .LBB55_1422
; %bb.1415:
	s_cmp_lt_i32 s15, 24
	s_cbranch_scc1 .LBB55_1425
; %bb.1416:
	s_cmp_gt_i32 s15, 24
	s_cbranch_scc0 .LBB55_1426
; %bb.1417:
	global_load_ubyte v10, v[8:9], off
	s_movk_i32 s2, 0x7f
	s_mov_b64 s[4:5], 0
	s_waitcnt vmcnt(0)
	v_cmp_lt_i16_e32 vcc, s2, v10
	s_and_saveexec_b64 s[2:3], vcc
	s_xor_b64 s[2:3], exec, s[2:3]
	s_cbranch_execz .LBB55_1438
; %bb.1418:
	s_movk_i32 s4, 0x80
	v_cmp_ne_u16_e32 vcc, s4, v10
	s_and_b64 s[4:5], vcc, exec
	s_andn2_saveexec_b64 s[2:3], s[2:3]
	s_cbranch_execnz .LBB55_1439
.LBB55_1419:
	s_or_b64 exec, exec, s[2:3]
	v_mov_b32_e32 v1, 0
	s_and_saveexec_b64 s[2:3], s[4:5]
	s_cbranch_execz .LBB55_1421
.LBB55_1420:
	v_lshlrev_b32_e32 v1, 24, v10
	v_and_b32_e32 v10, 0xffff, v10
	v_and_b32_e32 v11, 3, v10
	v_ffbh_u32_e32 v13, v11
	v_min_u32_e32 v13, 32, v13
	v_subrev_u32_e32 v14, 29, v13
	v_bfe_u32 v12, v10, 2, 5
	v_lshlrev_b32_e32 v10, v14, v10
	v_sub_u32_e32 v13, 30, v13
	v_and_b32_e32 v10, 3, v10
	v_cmp_eq_u32_e32 vcc, 0, v12
	v_cndmask_b32_e32 v12, v12, v13, vcc
	v_cndmask_b32_e32 v10, v11, v10, vcc
	v_mov_b32_e32 v11, 0x37800000
	v_lshlrev_b32_e32 v10, 21, v10
	v_and_b32_e32 v1, 0x80000000, v1
	v_lshl_add_u32 v11, v12, 23, v11
	v_or3_b32 v1, v1, v11, v10
	v_cvt_i32_f32_e32 v1, v1
.LBB55_1421:
	s_or_b64 exec, exec, s[2:3]
	s_mov_b64 s[2:3], 0
	s_branch .LBB55_1427
.LBB55_1422:
	s_mov_b64 s[2:3], -1
                                        ; implicit-def: $vgpr1
	s_branch .LBB55_1433
.LBB55_1423:
	s_andn2_saveexec_b64 s[4:5], s[4:5]
	s_cbranch_execz .LBB55_1408
.LBB55_1424:
	v_cmp_ne_u16_e32 vcc, 0, v10
	s_andn2_b64 s[6:7], s[6:7], exec
	s_and_b64 s[16:17], vcc, exec
	s_or_b64 s[6:7], s[6:7], s[16:17]
	s_or_b64 exec, exec, s[4:5]
	v_mov_b32_e32 v1, 0
	s_and_saveexec_b64 s[4:5], s[6:7]
	s_cbranch_execnz .LBB55_1409
	s_branch .LBB55_1410
.LBB55_1425:
	s_mov_b64 s[2:3], -1
                                        ; implicit-def: $vgpr1
	s_branch .LBB55_1430
.LBB55_1426:
	s_mov_b64 s[2:3], -1
                                        ; implicit-def: $vgpr1
.LBB55_1427:
	s_and_b64 vcc, exec, s[2:3]
	s_cbranch_vccz .LBB55_1429
; %bb.1428:
	global_load_ubyte v1, v[8:9], off
	s_mov_b32 s2, 0x7f800000
	s_waitcnt vmcnt(0)
	v_lshlrev_b32_e32 v1, 24, v1
	v_and_b32_e32 v10, 0x7f000000, v1
	v_ffbh_u32_e32 v11, v10
	v_min_u32_e32 v11, 32, v11
	v_sub_u32_e64 v11, v11, 4 clamp
	v_lshlrev_b32_e32 v13, v11, v10
	v_lshlrev_b32_e32 v11, 23, v11
	v_lshrrev_b32_e32 v13, 4, v13
	v_add_u32_e32 v12, 0x1000000, v10
	v_sub_u32_e32 v11, v13, v11
	v_ashrrev_i32_e32 v12, 8, v12
	v_add_u32_e32 v11, 0x3c000000, v11
	v_and_or_b32 v11, v12, s2, v11
	v_cmp_ne_u32_e32 vcc, 0, v10
	v_cndmask_b32_e32 v10, 0, v11, vcc
	s_brev_b32 s2, 1
	v_and_or_b32 v1, v1, s2, v10
	v_cvt_i32_f32_e32 v1, v1
.LBB55_1429:
	s_mov_b64 s[2:3], 0
.LBB55_1430:
	s_andn2_b64 vcc, exec, s[2:3]
	s_cbranch_vccnz .LBB55_1432
; %bb.1431:
	global_load_ubyte v1, v[8:9], off
	s_movk_i32 s2, 0x7f00
	s_brev_b32 s3, 16
	s_waitcnt vmcnt(0)
	v_lshlrev_b16_e32 v10, 8, v1
	v_lshlrev_b32_e32 v1, 25, v1
	v_lshrrev_b32_e32 v11, 4, v1
	v_and_or_b32 v12, v10, s2, 0.5
	v_or_b32_e32 v11, 0x70000000, v11
	v_add_f32_e32 v12, -0.5, v12
	v_mul_f32_e32 v11, 0x7800000, v11
	v_cmp_gt_u32_e32 vcc, s3, v1
	v_bfe_i32 v10, v10, 0, 16
	v_cndmask_b32_e32 v1, v11, v12, vcc
	s_brev_b32 s2, 1
	v_and_or_b32 v1, v10, s2, v1
	v_cvt_i32_f32_e32 v1, v1
.LBB55_1432:
	s_mov_b64 s[2:3], 0
	s_mov_b64 s[4:5], -1
.LBB55_1433:
	s_andn2_b64 vcc, exec, s[2:3]
	s_mov_b64 s[2:3], 0
	s_cbranch_vccnz .LBB55_1444
; %bb.1434:
	s_cmp_gt_i32 s15, 14
	s_cbranch_scc0 .LBB55_1437
; %bb.1435:
	s_cmp_eq_u32 s15, 15
	s_cbranch_scc0 .LBB55_1440
; %bb.1436:
	global_load_ushort v1, v[8:9], off
	s_mov_b64 s[0:1], 0
	s_mov_b64 s[4:5], -1
	s_waitcnt vmcnt(0)
	v_lshlrev_b32_e32 v1, 16, v1
	v_cvt_i32_f32_e32 v1, v1
	s_branch .LBB55_1441
.LBB55_1437:
	s_mov_b64 s[6:7], -1
                                        ; implicit-def: $vgpr1
	s_branch .LBB55_1442
.LBB55_1438:
	s_andn2_saveexec_b64 s[2:3], s[2:3]
	s_cbranch_execz .LBB55_1419
.LBB55_1439:
	v_cmp_ne_u16_e32 vcc, 0, v10
	s_andn2_b64 s[4:5], s[4:5], exec
	s_and_b64 s[6:7], vcc, exec
	s_or_b64 s[4:5], s[4:5], s[6:7]
	s_or_b64 exec, exec, s[2:3]
	v_mov_b32_e32 v1, 0
	s_and_saveexec_b64 s[2:3], s[4:5]
	s_cbranch_execnz .LBB55_1420
	s_branch .LBB55_1421
.LBB55_1440:
	s_mov_b64 s[0:1], -1
                                        ; implicit-def: $vgpr1
.LBB55_1441:
	s_mov_b64 s[6:7], 0
.LBB55_1442:
	s_and_b64 vcc, exec, s[6:7]
	s_cbranch_vccz .LBB55_1444
; %bb.1443:
	s_cmp_lg_u32 s15, 11
	s_mov_b64 s[2:3], -1
	s_cselect_b64 s[0:1], -1, 0
.LBB55_1444:
	s_and_b64 vcc, exec, s[0:1]
	s_cbranch_vccnz .LBB55_1507
; %bb.1445:
	s_andn2_b64 vcc, exec, s[2:3]
	s_cbranch_vccnz .LBB55_1447
.LBB55_1446:
	global_load_ubyte v1, v[8:9], off
	s_mov_b64 s[4:5], -1
	s_waitcnt vmcnt(0)
	v_cmp_ne_u16_e32 vcc, 0, v1
	v_cndmask_b32_e64 v1, 0, 1, vcc
.LBB55_1447:
	s_branch .LBB55_1379
.LBB55_1448:
	s_and_b32 s2, 0xffff, s14
	s_cmp_lt_i32 s2, 5
	s_cbranch_scc1 .LBB55_1453
; %bb.1449:
	s_cmp_lt_i32 s2, 8
	s_cbranch_scc1 .LBB55_1454
; %bb.1450:
	;; [unrolled: 3-line block ×3, first 2 shown]
	s_cmp_gt_i32 s2, 9
	s_cbranch_scc0 .LBB55_1456
; %bb.1452:
	global_load_dwordx2 v[10:11], v[8:9], off
	s_mov_b64 s[0:1], 0
	s_waitcnt vmcnt(0)
	v_cvt_i32_f64_e32 v1, v[10:11]
	s_branch .LBB55_1457
.LBB55_1453:
	s_mov_b64 s[0:1], -1
                                        ; implicit-def: $vgpr1
	s_branch .LBB55_1475
.LBB55_1454:
	s_mov_b64 s[0:1], -1
                                        ; implicit-def: $vgpr1
	s_branch .LBB55_1463
.LBB55_1455:
	s_mov_b64 s[0:1], -1
                                        ; implicit-def: $vgpr1
	s_branch .LBB55_1460
.LBB55_1456:
	s_mov_b64 s[0:1], -1
                                        ; implicit-def: $vgpr1
.LBB55_1457:
	s_andn2_b64 vcc, exec, s[0:1]
	s_cbranch_vccnz .LBB55_1459
; %bb.1458:
	global_load_dword v1, v[8:9], off
	s_waitcnt vmcnt(0)
	v_cvt_i32_f32_e32 v1, v1
.LBB55_1459:
	s_mov_b64 s[0:1], 0
.LBB55_1460:
	s_andn2_b64 vcc, exec, s[0:1]
	s_cbranch_vccnz .LBB55_1462
; %bb.1461:
	global_load_dword v1, v[8:9], off
	s_waitcnt vmcnt(0)
	v_cvt_f32_f16_e32 v1, v1
	v_cvt_i32_f32_e32 v1, v1
.LBB55_1462:
	s_mov_b64 s[0:1], 0
.LBB55_1463:
	s_andn2_b64 vcc, exec, s[0:1]
	s_cbranch_vccnz .LBB55_1474
; %bb.1464:
	s_cmp_lt_i32 s2, 6
	s_cbranch_scc1 .LBB55_1467
; %bb.1465:
	s_cmp_gt_i32 s2, 6
	s_cbranch_scc0 .LBB55_1468
; %bb.1466:
	global_load_dwordx2 v[10:11], v[8:9], off
	s_mov_b64 s[0:1], 0
	s_waitcnt vmcnt(0)
	v_cvt_i32_f64_e32 v1, v[10:11]
	s_branch .LBB55_1469
.LBB55_1467:
	s_mov_b64 s[0:1], -1
                                        ; implicit-def: $vgpr1
	s_branch .LBB55_1472
.LBB55_1468:
	s_mov_b64 s[0:1], -1
                                        ; implicit-def: $vgpr1
.LBB55_1469:
	s_andn2_b64 vcc, exec, s[0:1]
	s_cbranch_vccnz .LBB55_1471
; %bb.1470:
	global_load_dword v1, v[8:9], off
	s_waitcnt vmcnt(0)
	v_cvt_i32_f32_e32 v1, v1
.LBB55_1471:
	s_mov_b64 s[0:1], 0
.LBB55_1472:
	s_andn2_b64 vcc, exec, s[0:1]
	s_cbranch_vccnz .LBB55_1474
; %bb.1473:
	global_load_ushort v1, v[8:9], off
	s_waitcnt vmcnt(0)
	v_cvt_f32_f16_e32 v1, v1
	v_cvt_i32_f32_e32 v1, v1
.LBB55_1474:
	s_mov_b64 s[0:1], 0
.LBB55_1475:
	s_andn2_b64 vcc, exec, s[0:1]
	s_cbranch_vccnz .LBB55_1495
; %bb.1476:
	s_cmp_lt_i32 s2, 2
	s_cbranch_scc1 .LBB55_1480
; %bb.1477:
	s_cmp_lt_i32 s2, 3
	s_cbranch_scc1 .LBB55_1481
; %bb.1478:
	s_cmp_gt_i32 s2, 3
	s_cbranch_scc0 .LBB55_1482
; %bb.1479:
	global_load_dword v1, v[8:9], off
	s_mov_b64 s[0:1], 0
	s_branch .LBB55_1483
.LBB55_1480:
	s_mov_b64 s[0:1], -1
                                        ; implicit-def: $vgpr1
	s_branch .LBB55_1489
.LBB55_1481:
	s_mov_b64 s[0:1], -1
                                        ; implicit-def: $vgpr1
	s_branch .LBB55_1486
.LBB55_1482:
	s_mov_b64 s[0:1], -1
                                        ; implicit-def: $vgpr1
.LBB55_1483:
	s_andn2_b64 vcc, exec, s[0:1]
	s_cbranch_vccnz .LBB55_1485
; %bb.1484:
	global_load_dword v1, v[8:9], off
.LBB55_1485:
	s_mov_b64 s[0:1], 0
.LBB55_1486:
	s_andn2_b64 vcc, exec, s[0:1]
	s_cbranch_vccnz .LBB55_1488
; %bb.1487:
	global_load_sshort v1, v[8:9], off
.LBB55_1488:
	s_mov_b64 s[0:1], 0
.LBB55_1489:
	s_andn2_b64 vcc, exec, s[0:1]
	s_cbranch_vccnz .LBB55_1495
; %bb.1490:
	s_cmp_gt_i32 s2, 0
	s_cbranch_scc0 .LBB55_1492
; %bb.1491:
	global_load_sbyte v1, v[8:9], off
	s_mov_b64 s[0:1], 0
	s_branch .LBB55_1493
.LBB55_1492:
	s_mov_b64 s[0:1], -1
                                        ; implicit-def: $vgpr1
.LBB55_1493:
	s_andn2_b64 vcc, exec, s[0:1]
	s_cbranch_vccnz .LBB55_1495
; %bb.1494:
	global_load_ubyte v1, v[8:9], off
.LBB55_1495:
.LBB55_1496:
	v_mov_b32_e32 v8, s11
	v_add_co_u32_e32 v7, vcc, s10, v7
	s_cmp_lt_i32 s14, 11
	v_addc_co_u32_e32 v8, vcc, 0, v8, vcc
	s_cbranch_scc1 .LBB55_1503
; %bb.1497:
	s_and_b32 s10, 0xffff, s14
	s_cmp_gt_i32 s10, 25
	s_mov_b64 s[2:3], 0
	s_cbranch_scc0 .LBB55_1504
; %bb.1498:
	s_cmp_gt_i32 s10, 28
	s_cbranch_scc0 .LBB55_1505
; %bb.1499:
	s_cmp_gt_i32 s10, 43
	;; [unrolled: 3-line block ×3, first 2 shown]
	s_cbranch_scc0 .LBB55_1508
; %bb.1501:
	s_cmp_eq_u32 s10, 46
	s_mov_b64 s[6:7], 0
	s_cbranch_scc0 .LBB55_1509
; %bb.1502:
	global_load_dword v9, v[7:8], off
	s_mov_b64 s[0:1], 0
	s_mov_b64 s[4:5], -1
	s_waitcnt vmcnt(0)
	v_lshlrev_b32_e32 v9, 16, v9
	v_cvt_i32_f32_e32 v9, v9
	s_branch .LBB55_1510
.LBB55_1503:
	s_mov_b64 s[0:1], -1
	s_mov_b64 s[4:5], 0
                                        ; implicit-def: $vgpr9
	s_branch .LBB55_1572
.LBB55_1504:
	s_mov_b64 s[6:7], -1
	s_mov_b64 s[4:5], 0
	s_mov_b64 s[0:1], 0
                                        ; implicit-def: $vgpr9
	s_branch .LBB55_1537
.LBB55_1505:
	s_mov_b64 s[6:7], -1
	s_mov_b64 s[4:5], 0
	s_mov_b64 s[0:1], 0
                                        ; implicit-def: $vgpr9
	s_branch .LBB55_1520
.LBB55_1506:
	s_mov_b64 s[6:7], -1
	s_mov_b64 s[4:5], 0
	s_mov_b64 s[0:1], 0
                                        ; implicit-def: $vgpr9
	s_branch .LBB55_1515
.LBB55_1507:
	s_trap 2
	s_or_b64 s[12:13], s[12:13], exec
	s_cbranch_execz .LBB55_1446
	s_branch .LBB55_1447
.LBB55_1508:
	s_mov_b64 s[6:7], -1
	s_mov_b64 s[4:5], 0
	s_mov_b64 s[0:1], 0
                                        ; implicit-def: $vgpr9
	s_branch .LBB55_1510
.LBB55_1509:
	s_mov_b64 s[0:1], -1
                                        ; implicit-def: $vgpr9
	s_mov_b64 s[4:5], 0
.LBB55_1510:
	s_and_b64 vcc, exec, s[6:7]
	s_cbranch_vccz .LBB55_1514
; %bb.1511:
	s_cmp_eq_u32 s10, 44
	s_cbranch_scc0 .LBB55_1513
; %bb.1512:
	global_load_ubyte v9, v[7:8], off
	s_mov_b64 s[0:1], 0
	s_mov_b64 s[4:5], -1
	s_waitcnt vmcnt(0)
	v_lshlrev_b32_e32 v10, 23, v9
	v_cvt_i32_f32_e32 v10, v10
	v_cmp_ne_u32_e32 vcc, 0, v9
	v_cndmask_b32_e32 v9, 0, v10, vcc
	s_branch .LBB55_1514
.LBB55_1513:
	s_mov_b64 s[0:1], -1
                                        ; implicit-def: $vgpr9
.LBB55_1514:
	s_mov_b64 s[6:7], 0
.LBB55_1515:
	s_and_b64 vcc, exec, s[6:7]
	s_cbranch_vccz .LBB55_1519
; %bb.1516:
	s_cmp_eq_u32 s10, 29
	s_cbranch_scc0 .LBB55_1518
; %bb.1517:
	global_load_dword v9, v[7:8], off
	s_mov_b64 s[0:1], 0
	s_mov_b64 s[4:5], -1
	s_branch .LBB55_1519
.LBB55_1518:
	s_mov_b64 s[0:1], -1
                                        ; implicit-def: $vgpr9
.LBB55_1519:
	s_mov_b64 s[6:7], 0
.LBB55_1520:
	s_and_b64 vcc, exec, s[6:7]
	s_cbranch_vccz .LBB55_1536
; %bb.1521:
	s_cmp_lt_i32 s10, 27
	s_cbranch_scc1 .LBB55_1524
; %bb.1522:
	s_cmp_gt_i32 s10, 27
	s_cbranch_scc0 .LBB55_1525
; %bb.1523:
	global_load_dword v9, v[7:8], off
	s_mov_b64 s[4:5], 0
	s_branch .LBB55_1526
.LBB55_1524:
	s_mov_b64 s[4:5], -1
                                        ; implicit-def: $vgpr9
	s_branch .LBB55_1529
.LBB55_1525:
	s_mov_b64 s[4:5], -1
                                        ; implicit-def: $vgpr9
.LBB55_1526:
	s_andn2_b64 vcc, exec, s[4:5]
	s_cbranch_vccnz .LBB55_1528
; %bb.1527:
	global_load_ushort v9, v[7:8], off
.LBB55_1528:
	s_mov_b64 s[4:5], 0
.LBB55_1529:
	s_andn2_b64 vcc, exec, s[4:5]
	s_cbranch_vccnz .LBB55_1535
; %bb.1530:
	global_load_ubyte v10, v[7:8], off
	s_movk_i32 s4, 0x7f
	s_mov_b64 s[6:7], 0
	s_waitcnt vmcnt(0)
	v_cmp_lt_i16_e32 vcc, s4, v10
	s_and_saveexec_b64 s[4:5], vcc
	s_xor_b64 s[4:5], exec, s[4:5]
	s_cbranch_execz .LBB55_1547
; %bb.1531:
	s_movk_i32 s6, 0x80
	v_cmp_ne_u16_e32 vcc, s6, v10
	s_and_b64 s[6:7], vcc, exec
	s_andn2_saveexec_b64 s[4:5], s[4:5]
	s_cbranch_execnz .LBB55_1548
.LBB55_1532:
	s_or_b64 exec, exec, s[4:5]
	v_mov_b32_e32 v9, 0
	s_and_saveexec_b64 s[4:5], s[6:7]
	s_cbranch_execz .LBB55_1534
.LBB55_1533:
	v_lshlrev_b32_e32 v9, 24, v10
	v_and_b32_e32 v10, 0xffff, v10
	v_and_b32_e32 v11, 7, v10
	v_ffbh_u32_e32 v13, v11
	v_min_u32_e32 v13, 32, v13
	v_subrev_u32_e32 v14, 28, v13
	v_bfe_u32 v12, v10, 3, 4
	v_lshlrev_b32_e32 v10, v14, v10
	v_sub_u32_e32 v13, 29, v13
	v_and_b32_e32 v10, 7, v10
	v_cmp_eq_u32_e32 vcc, 0, v12
	v_cndmask_b32_e32 v12, v12, v13, vcc
	v_cndmask_b32_e32 v10, v11, v10, vcc
	v_mov_b32_e32 v11, 0x3b800000
	v_lshlrev_b32_e32 v10, 20, v10
	v_and_b32_e32 v9, 0x80000000, v9
	v_lshl_add_u32 v11, v12, 23, v11
	v_or3_b32 v9, v9, v11, v10
	v_cvt_i32_f32_e32 v9, v9
.LBB55_1534:
	s_or_b64 exec, exec, s[4:5]
.LBB55_1535:
	s_mov_b64 s[4:5], -1
.LBB55_1536:
	s_mov_b64 s[6:7], 0
.LBB55_1537:
	s_and_b64 vcc, exec, s[6:7]
	s_cbranch_vccz .LBB55_1568
; %bb.1538:
	s_cmp_gt_i32 s10, 22
	s_cbranch_scc0 .LBB55_1546
; %bb.1539:
	s_cmp_lt_i32 s10, 24
	s_cbranch_scc1 .LBB55_1549
; %bb.1540:
	s_cmp_gt_i32 s10, 24
	s_cbranch_scc0 .LBB55_1550
; %bb.1541:
	global_load_ubyte v10, v[7:8], off
	s_movk_i32 s2, 0x7f
	s_mov_b64 s[4:5], 0
	s_waitcnt vmcnt(0)
	v_cmp_lt_i16_e32 vcc, s2, v10
	s_and_saveexec_b64 s[2:3], vcc
	s_xor_b64 s[2:3], exec, s[2:3]
	s_cbranch_execz .LBB55_1562
; %bb.1542:
	s_movk_i32 s4, 0x80
	v_cmp_ne_u16_e32 vcc, s4, v10
	s_and_b64 s[4:5], vcc, exec
	s_andn2_saveexec_b64 s[2:3], s[2:3]
	s_cbranch_execnz .LBB55_1563
.LBB55_1543:
	s_or_b64 exec, exec, s[2:3]
	v_mov_b32_e32 v9, 0
	s_and_saveexec_b64 s[2:3], s[4:5]
	s_cbranch_execz .LBB55_1545
.LBB55_1544:
	v_lshlrev_b32_e32 v9, 24, v10
	v_and_b32_e32 v10, 0xffff, v10
	v_and_b32_e32 v11, 3, v10
	v_ffbh_u32_e32 v13, v11
	v_min_u32_e32 v13, 32, v13
	v_subrev_u32_e32 v14, 29, v13
	v_bfe_u32 v12, v10, 2, 5
	v_lshlrev_b32_e32 v10, v14, v10
	v_sub_u32_e32 v13, 30, v13
	v_and_b32_e32 v10, 3, v10
	v_cmp_eq_u32_e32 vcc, 0, v12
	v_cndmask_b32_e32 v12, v12, v13, vcc
	v_cndmask_b32_e32 v10, v11, v10, vcc
	v_mov_b32_e32 v11, 0x37800000
	v_lshlrev_b32_e32 v10, 21, v10
	v_and_b32_e32 v9, 0x80000000, v9
	v_lshl_add_u32 v11, v12, 23, v11
	v_or3_b32 v9, v9, v11, v10
	v_cvt_i32_f32_e32 v9, v9
.LBB55_1545:
	s_or_b64 exec, exec, s[2:3]
	s_mov_b64 s[2:3], 0
	s_branch .LBB55_1551
.LBB55_1546:
	s_mov_b64 s[2:3], -1
                                        ; implicit-def: $vgpr9
	s_branch .LBB55_1557
.LBB55_1547:
	s_andn2_saveexec_b64 s[4:5], s[4:5]
	s_cbranch_execz .LBB55_1532
.LBB55_1548:
	v_cmp_ne_u16_e32 vcc, 0, v10
	s_andn2_b64 s[6:7], s[6:7], exec
	s_and_b64 s[16:17], vcc, exec
	s_or_b64 s[6:7], s[6:7], s[16:17]
	s_or_b64 exec, exec, s[4:5]
	v_mov_b32_e32 v9, 0
	s_and_saveexec_b64 s[4:5], s[6:7]
	s_cbranch_execnz .LBB55_1533
	s_branch .LBB55_1534
.LBB55_1549:
	s_mov_b64 s[2:3], -1
                                        ; implicit-def: $vgpr9
	s_branch .LBB55_1554
.LBB55_1550:
	s_mov_b64 s[2:3], -1
                                        ; implicit-def: $vgpr9
.LBB55_1551:
	s_and_b64 vcc, exec, s[2:3]
	s_cbranch_vccz .LBB55_1553
; %bb.1552:
	global_load_ubyte v9, v[7:8], off
	s_mov_b32 s2, 0x7f800000
	s_waitcnt vmcnt(0)
	v_lshlrev_b32_e32 v9, 24, v9
	v_and_b32_e32 v10, 0x7f000000, v9
	v_ffbh_u32_e32 v11, v10
	v_min_u32_e32 v11, 32, v11
	v_sub_u32_e64 v11, v11, 4 clamp
	v_lshlrev_b32_e32 v13, v11, v10
	v_lshlrev_b32_e32 v11, 23, v11
	v_lshrrev_b32_e32 v13, 4, v13
	v_add_u32_e32 v12, 0x1000000, v10
	v_sub_u32_e32 v11, v13, v11
	v_ashrrev_i32_e32 v12, 8, v12
	v_add_u32_e32 v11, 0x3c000000, v11
	v_and_or_b32 v11, v12, s2, v11
	v_cmp_ne_u32_e32 vcc, 0, v10
	v_cndmask_b32_e32 v10, 0, v11, vcc
	s_brev_b32 s2, 1
	v_and_or_b32 v9, v9, s2, v10
	v_cvt_i32_f32_e32 v9, v9
.LBB55_1553:
	s_mov_b64 s[2:3], 0
.LBB55_1554:
	s_andn2_b64 vcc, exec, s[2:3]
	s_cbranch_vccnz .LBB55_1556
; %bb.1555:
	global_load_ubyte v9, v[7:8], off
	s_movk_i32 s2, 0x7f00
	s_brev_b32 s3, 16
	s_waitcnt vmcnt(0)
	v_lshlrev_b16_e32 v10, 8, v9
	v_lshlrev_b32_e32 v9, 25, v9
	v_lshrrev_b32_e32 v11, 4, v9
	v_and_or_b32 v12, v10, s2, 0.5
	v_or_b32_e32 v11, 0x70000000, v11
	v_add_f32_e32 v12, -0.5, v12
	v_mul_f32_e32 v11, 0x7800000, v11
	v_cmp_gt_u32_e32 vcc, s3, v9
	v_bfe_i32 v10, v10, 0, 16
	v_cndmask_b32_e32 v9, v11, v12, vcc
	s_brev_b32 s2, 1
	v_and_or_b32 v9, v10, s2, v9
	v_cvt_i32_f32_e32 v9, v9
.LBB55_1556:
	s_mov_b64 s[2:3], 0
	s_mov_b64 s[4:5], -1
.LBB55_1557:
	s_andn2_b64 vcc, exec, s[2:3]
	s_mov_b64 s[2:3], 0
	s_cbranch_vccnz .LBB55_1568
; %bb.1558:
	s_cmp_gt_i32 s10, 14
	s_cbranch_scc0 .LBB55_1561
; %bb.1559:
	s_cmp_eq_u32 s10, 15
	s_cbranch_scc0 .LBB55_1564
; %bb.1560:
	global_load_ushort v9, v[7:8], off
	s_mov_b64 s[0:1], 0
	s_mov_b64 s[4:5], -1
	s_waitcnt vmcnt(0)
	v_lshlrev_b32_e32 v9, 16, v9
	v_cvt_i32_f32_e32 v9, v9
	s_branch .LBB55_1565
.LBB55_1561:
	s_mov_b64 s[6:7], -1
                                        ; implicit-def: $vgpr9
	s_branch .LBB55_1566
.LBB55_1562:
	s_andn2_saveexec_b64 s[2:3], s[2:3]
	s_cbranch_execz .LBB55_1543
.LBB55_1563:
	v_cmp_ne_u16_e32 vcc, 0, v10
	s_andn2_b64 s[4:5], s[4:5], exec
	s_and_b64 s[6:7], vcc, exec
	s_or_b64 s[4:5], s[4:5], s[6:7]
	s_or_b64 exec, exec, s[2:3]
	v_mov_b32_e32 v9, 0
	s_and_saveexec_b64 s[2:3], s[4:5]
	s_cbranch_execnz .LBB55_1544
	s_branch .LBB55_1545
.LBB55_1564:
	s_mov_b64 s[0:1], -1
                                        ; implicit-def: $vgpr9
.LBB55_1565:
	s_mov_b64 s[6:7], 0
.LBB55_1566:
	s_and_b64 vcc, exec, s[6:7]
	s_cbranch_vccz .LBB55_1568
; %bb.1567:
	s_cmp_lg_u32 s10, 11
	s_mov_b64 s[2:3], -1
	s_cselect_b64 s[0:1], -1, 0
.LBB55_1568:
	s_and_b64 vcc, exec, s[0:1]
	s_cbranch_vccnz .LBB55_2101
; %bb.1569:
	s_andn2_b64 vcc, exec, s[2:3]
	s_cbranch_vccnz .LBB55_1571
.LBB55_1570:
	global_load_ubyte v9, v[7:8], off
	s_mov_b64 s[4:5], -1
	s_waitcnt vmcnt(0)
	v_cmp_ne_u16_e32 vcc, 0, v9
	v_cndmask_b32_e64 v9, 0, 1, vcc
.LBB55_1571:
	s_mov_b64 s[0:1], 0
.LBB55_1572:
	s_and_b64 vcc, exec, s[0:1]
	s_cbranch_vccz .LBB55_1621
; %bb.1573:
	s_and_b32 s2, 0xffff, s14
	s_cmp_lt_i32 s2, 5
	s_cbranch_scc1 .LBB55_1578
; %bb.1574:
	s_cmp_lt_i32 s2, 8
	s_cbranch_scc1 .LBB55_1579
; %bb.1575:
	;; [unrolled: 3-line block ×3, first 2 shown]
	s_cmp_gt_i32 s2, 9
	s_cbranch_scc0 .LBB55_1581
; %bb.1577:
	global_load_dwordx2 v[9:10], v[7:8], off
	s_mov_b64 s[0:1], 0
	s_waitcnt vmcnt(0)
	v_cvt_i32_f64_e32 v9, v[9:10]
	s_branch .LBB55_1582
.LBB55_1578:
	s_mov_b64 s[0:1], -1
                                        ; implicit-def: $vgpr9
	s_branch .LBB55_1600
.LBB55_1579:
	s_mov_b64 s[0:1], -1
                                        ; implicit-def: $vgpr9
	s_branch .LBB55_1588
.LBB55_1580:
	s_mov_b64 s[0:1], -1
                                        ; implicit-def: $vgpr9
	s_branch .LBB55_1585
.LBB55_1581:
	s_mov_b64 s[0:1], -1
                                        ; implicit-def: $vgpr9
.LBB55_1582:
	s_andn2_b64 vcc, exec, s[0:1]
	s_cbranch_vccnz .LBB55_1584
; %bb.1583:
	global_load_dword v9, v[7:8], off
	s_waitcnt vmcnt(0)
	v_cvt_i32_f32_e32 v9, v9
.LBB55_1584:
	s_mov_b64 s[0:1], 0
.LBB55_1585:
	s_andn2_b64 vcc, exec, s[0:1]
	s_cbranch_vccnz .LBB55_1587
; %bb.1586:
	global_load_dword v9, v[7:8], off
	s_waitcnt vmcnt(0)
	v_cvt_f32_f16_e32 v9, v9
	v_cvt_i32_f32_e32 v9, v9
.LBB55_1587:
	s_mov_b64 s[0:1], 0
.LBB55_1588:
	s_andn2_b64 vcc, exec, s[0:1]
	s_cbranch_vccnz .LBB55_1599
; %bb.1589:
	s_cmp_lt_i32 s2, 6
	s_cbranch_scc1 .LBB55_1592
; %bb.1590:
	s_cmp_gt_i32 s2, 6
	s_cbranch_scc0 .LBB55_1593
; %bb.1591:
	global_load_dwordx2 v[9:10], v[7:8], off
	s_mov_b64 s[0:1], 0
	s_waitcnt vmcnt(0)
	v_cvt_i32_f64_e32 v9, v[9:10]
	s_branch .LBB55_1594
.LBB55_1592:
	s_mov_b64 s[0:1], -1
                                        ; implicit-def: $vgpr9
	s_branch .LBB55_1597
.LBB55_1593:
	s_mov_b64 s[0:1], -1
                                        ; implicit-def: $vgpr9
.LBB55_1594:
	s_andn2_b64 vcc, exec, s[0:1]
	s_cbranch_vccnz .LBB55_1596
; %bb.1595:
	global_load_dword v9, v[7:8], off
	s_waitcnt vmcnt(0)
	v_cvt_i32_f32_e32 v9, v9
.LBB55_1596:
	s_mov_b64 s[0:1], 0
.LBB55_1597:
	s_andn2_b64 vcc, exec, s[0:1]
	s_cbranch_vccnz .LBB55_1599
; %bb.1598:
	global_load_ushort v9, v[7:8], off
	s_waitcnt vmcnt(0)
	v_cvt_f32_f16_e32 v9, v9
	v_cvt_i32_f32_e32 v9, v9
.LBB55_1599:
	s_mov_b64 s[0:1], 0
.LBB55_1600:
	s_andn2_b64 vcc, exec, s[0:1]
	s_cbranch_vccnz .LBB55_1620
; %bb.1601:
	s_cmp_lt_i32 s2, 2
	s_cbranch_scc1 .LBB55_1605
; %bb.1602:
	s_cmp_lt_i32 s2, 3
	s_cbranch_scc1 .LBB55_1606
; %bb.1603:
	s_cmp_gt_i32 s2, 3
	s_cbranch_scc0 .LBB55_1607
; %bb.1604:
	global_load_dword v9, v[7:8], off
	s_mov_b64 s[0:1], 0
	s_branch .LBB55_1608
.LBB55_1605:
	s_mov_b64 s[0:1], -1
                                        ; implicit-def: $vgpr9
	s_branch .LBB55_1614
.LBB55_1606:
	s_mov_b64 s[0:1], -1
                                        ; implicit-def: $vgpr9
	s_branch .LBB55_1611
.LBB55_1607:
	s_mov_b64 s[0:1], -1
                                        ; implicit-def: $vgpr9
.LBB55_1608:
	s_andn2_b64 vcc, exec, s[0:1]
	s_cbranch_vccnz .LBB55_1610
; %bb.1609:
	global_load_dword v9, v[7:8], off
.LBB55_1610:
	s_mov_b64 s[0:1], 0
.LBB55_1611:
	s_andn2_b64 vcc, exec, s[0:1]
	s_cbranch_vccnz .LBB55_1613
; %bb.1612:
	global_load_sshort v9, v[7:8], off
.LBB55_1613:
	s_mov_b64 s[0:1], 0
.LBB55_1614:
	s_andn2_b64 vcc, exec, s[0:1]
	s_cbranch_vccnz .LBB55_1620
; %bb.1615:
	s_cmp_gt_i32 s2, 0
	s_cbranch_scc0 .LBB55_1617
; %bb.1616:
	global_load_sbyte v9, v[7:8], off
	s_mov_b64 s[0:1], 0
	s_branch .LBB55_1618
.LBB55_1617:
	s_mov_b64 s[0:1], -1
                                        ; implicit-def: $vgpr9
.LBB55_1618:
	s_andn2_b64 vcc, exec, s[0:1]
	s_cbranch_vccnz .LBB55_1620
; %bb.1619:
	global_load_ubyte v9, v[7:8], off
.LBB55_1620:
	s_mov_b64 s[4:5], -1
.LBB55_1621:
	s_andn2_b64 vcc, exec, s[4:5]
	s_cbranch_vccnz .LBB55_2055
; %bb.1622:
	s_load_dwordx4 s[4:7], s[34:35], 0x158
	s_load_dword s2, s[34:35], 0x164
	v_mov_b32_e32 v8, s9
	s_waitcnt lgkmcnt(0)
	s_cmp_gt_i32 s6, s4
	v_mov_b32_e32 v7, s5
	s_cselect_b64 s[0:1], -1, 0
	s_and_b32 s18, s2, 0xff
	s_waitcnt vmcnt(0)
	v_cndmask_b32_e64 v5, v7, v5, s[0:1]
	v_add_co_u32_e32 v7, vcc, s8, v6
	s_cmp_lt_i32 s18, 11
	v_addc_co_u32_e32 v8, vcc, 0, v8, vcc
	s_cbranch_scc1 .LBB55_1700
; %bb.1623:
	s_and_b32 s4, 0xffff, s18
	s_mov_b64 s[14:15], -1
	s_mov_b64 s[6:7], 0
	s_cmp_gt_i32 s4, 25
	s_mov_b64 s[10:11], 0
	s_mov_b64 s[2:3], 0
	s_cbranch_scc0 .LBB55_1656
; %bb.1624:
	s_cmp_gt_i32 s4, 28
	s_cbranch_scc0 .LBB55_1639
; %bb.1625:
	s_cmp_gt_i32 s4, 43
	;; [unrolled: 3-line block ×3, first 2 shown]
	s_cbranch_scc0 .LBB55_1629
; %bb.1627:
	s_mov_b64 s[2:3], -1
	s_mov_b64 s[14:15], 0
	s_cmp_eq_u32 s4, 46
	s_cbranch_scc0 .LBB55_1629
; %bb.1628:
	v_cvt_f32_i32_e32 v6, v5
	s_movk_i32 s10, 0x7fff
	s_mov_b64 s[2:3], 0
	v_bfe_u32 v10, v6, 16, 1
	v_add3_u32 v6, v6, v10, s10
	v_lshrrev_b32_e32 v6, 16, v6
	global_store_dword v[7:8], v6, off
	s_mov_b64 s[10:11], -1
.LBB55_1629:
	s_and_b64 vcc, exec, s[14:15]
	s_cbranch_vccz .LBB55_1634
; %bb.1630:
	s_cmp_eq_u32 s4, 44
	s_mov_b64 s[2:3], -1
	s_cbranch_scc0 .LBB55_1634
; %bb.1631:
	v_cvt_f32_i32_e32 v6, v5
	s_movk_i32 s2, 0xff
	v_mov_b32_e32 v11, 0xff
	v_bfe_u32 v10, v6, 23, 8
	v_cmp_ne_u32_e32 vcc, s2, v10
	s_and_saveexec_b64 s[10:11], vcc
; %bb.1632:
	s_mov_b32 s2, 0x3fffff
	v_lshrrev_b32_e32 v11, 23, v6
	v_and_b32_e32 v12, 0x400000, v6
	v_and_or_b32 v6, v6, s2, v10
	v_cmp_ne_u32_e32 vcc, 0, v12
	v_cmp_ne_u32_e64 s[2:3], 0, v6
	s_and_b64 s[2:3], vcc, s[2:3]
	v_cndmask_b32_e64 v6, 0, 1, s[2:3]
	v_add_u32_e32 v11, v11, v6
; %bb.1633:
	s_or_b64 exec, exec, s[10:11]
	s_mov_b64 s[2:3], 0
	s_mov_b64 s[10:11], -1
	global_store_byte v[7:8], v11, off
.LBB55_1634:
	s_mov_b64 s[14:15], 0
.LBB55_1635:
	s_and_b64 vcc, exec, s[14:15]
	s_cbranch_vccz .LBB55_1638
; %bb.1636:
	s_cmp_eq_u32 s4, 29
	s_mov_b64 s[2:3], -1
	s_cbranch_scc0 .LBB55_1638
; %bb.1637:
	v_ashrrev_i32_e32 v6, 31, v5
	global_store_dwordx2 v[7:8], v[5:6], off
	s_mov_b64 s[2:3], 0
	s_mov_b64 s[10:11], -1
.LBB55_1638:
	s_mov_b64 s[14:15], 0
.LBB55_1639:
	s_and_b64 vcc, exec, s[14:15]
	s_cbranch_vccz .LBB55_1655
; %bb.1640:
	s_cmp_lt_i32 s4, 27
	s_mov_b64 s[10:11], -1
	s_cbranch_scc1 .LBB55_1646
; %bb.1641:
	s_cmp_gt_i32 s4, 27
	s_cbranch_scc0 .LBB55_1643
; %bb.1642:
	s_mov_b64 s[10:11], 0
	global_store_dword v[7:8], v5, off
.LBB55_1643:
	s_andn2_b64 vcc, exec, s[10:11]
	s_cbranch_vccnz .LBB55_1645
; %bb.1644:
	global_store_short v[7:8], v5, off
.LBB55_1645:
	s_mov_b64 s[10:11], 0
.LBB55_1646:
	s_andn2_b64 vcc, exec, s[10:11]
	s_cbranch_vccnz .LBB55_1654
; %bb.1647:
	v_cvt_f32_i32_e32 v6, v5
	s_mov_b32 s10, 0x43800000
	v_mov_b32_e32 v11, 0x80
	v_and_b32_e32 v10, 0x7fffffff, v6
	v_cmp_gt_u32_e32 vcc, s10, v10
	s_and_saveexec_b64 s[10:11], vcc
	s_cbranch_execz .LBB55_1653
; %bb.1648:
	s_mov_b32 s14, 0x3bffffff
	v_cmp_lt_u32_e32 vcc, s14, v10
	s_mov_b64 s[14:15], 0
                                        ; implicit-def: $vgpr10
	s_and_saveexec_b64 s[16:17], vcc
	s_xor_b64 s[16:17], exec, s[16:17]
	s_cbranch_execz .LBB55_2102
; %bb.1649:
	v_bfe_u32 v10, v6, 20, 1
	s_mov_b32 s19, 0x487ffff
	v_add3_u32 v10, v6, v10, s19
	s_mov_b64 s[14:15], exec
	v_lshrrev_b32_e32 v10, 20, v10
	s_andn2_saveexec_b64 s[16:17], s[16:17]
	s_cbranch_execnz .LBB55_2103
.LBB55_1650:
	s_or_b64 exec, exec, s[16:17]
	v_mov_b32_e32 v11, 0
	s_and_saveexec_b64 s[16:17], s[14:15]
.LBB55_1651:
	v_lshrrev_b32_e32 v6, 24, v6
	s_movk_i32 s14, 0x80
	v_and_or_b32 v11, v6, s14, v10
.LBB55_1652:
	s_or_b64 exec, exec, s[16:17]
.LBB55_1653:
	s_or_b64 exec, exec, s[10:11]
	global_store_byte v[7:8], v11, off
.LBB55_1654:
	s_mov_b64 s[10:11], -1
.LBB55_1655:
	s_mov_b64 s[14:15], 0
.LBB55_1656:
	s_and_b64 vcc, exec, s[14:15]
	s_cbranch_vccz .LBB55_1696
; %bb.1657:
	s_cmp_gt_i32 s4, 22
	s_mov_b64 s[6:7], -1
	s_cbranch_scc0 .LBB55_1689
; %bb.1658:
	s_cmp_lt_i32 s4, 24
	s_cbranch_scc1 .LBB55_1678
; %bb.1659:
	s_cmp_gt_i32 s4, 24
	s_cbranch_scc0 .LBB55_1667
; %bb.1660:
	v_cvt_f32_i32_e32 v6, v5
	s_mov_b32 s6, 0x47800000
	v_mov_b32_e32 v11, 0x80
	v_and_b32_e32 v10, 0x7fffffff, v6
	v_cmp_gt_u32_e32 vcc, s6, v10
	s_and_saveexec_b64 s[6:7], vcc
	s_cbranch_execz .LBB55_1666
; %bb.1661:
	s_mov_b32 s10, 0x37ffffff
	v_cmp_lt_u32_e32 vcc, s10, v10
	s_mov_b64 s[10:11], 0
                                        ; implicit-def: $vgpr10
	s_and_saveexec_b64 s[14:15], vcc
	s_xor_b64 s[14:15], exec, s[14:15]
	s_cbranch_execz .LBB55_2105
; %bb.1662:
	v_bfe_u32 v10, v6, 21, 1
	s_mov_b32 s16, 0x88fffff
	v_add3_u32 v10, v6, v10, s16
	s_mov_b64 s[10:11], exec
	v_lshrrev_b32_e32 v10, 21, v10
	s_andn2_saveexec_b64 s[14:15], s[14:15]
	s_cbranch_execnz .LBB55_2106
.LBB55_1663:
	s_or_b64 exec, exec, s[14:15]
	v_mov_b32_e32 v11, 0
	s_and_saveexec_b64 s[14:15], s[10:11]
.LBB55_1664:
	v_lshrrev_b32_e32 v6, 24, v6
	s_movk_i32 s10, 0x80
	v_and_or_b32 v11, v6, s10, v10
.LBB55_1665:
	s_or_b64 exec, exec, s[14:15]
.LBB55_1666:
	s_or_b64 exec, exec, s[6:7]
	s_mov_b64 s[6:7], 0
	global_store_byte v[7:8], v11, off
.LBB55_1667:
	s_and_b64 vcc, exec, s[6:7]
	s_cbranch_vccz .LBB55_1677
; %bb.1668:
	v_cvt_f32_i32_e32 v6, v5
	s_mov_b32 s6, 0x43f00000
                                        ; implicit-def: $vgpr10
	v_and_b32_e32 v11, 0x7fffffff, v6
	v_cmp_gt_u32_e32 vcc, s6, v11
	s_and_saveexec_b64 s[6:7], vcc
	s_xor_b64 s[6:7], exec, s[6:7]
	s_cbranch_execz .LBB55_1674
; %bb.1669:
	s_mov_b32 s10, 0x3c7fffff
	v_cmp_lt_u32_e32 vcc, s10, v11
                                        ; implicit-def: $vgpr10
	s_and_saveexec_b64 s[10:11], vcc
	s_xor_b64 s[10:11], exec, s[10:11]
; %bb.1670:
	v_bfe_u32 v10, v6, 20, 1
	s_mov_b32 s14, 0x407ffff
	v_add3_u32 v10, v6, v10, s14
	v_lshrrev_b32_e32 v11, 20, v10
	v_and_b32_e32 v10, 0xff00000, v10
	s_mov_b32 s14, 0x7f00000
	v_mov_b32_e32 v12, 0x7e
	v_cmp_ne_u32_e32 vcc, s14, v10
	v_cndmask_b32_e32 v10, v12, v11, vcc
; %bb.1671:
	s_andn2_saveexec_b64 s[10:11], s[10:11]
; %bb.1672:
	s_mov_b32 s14, 0x46800000
	v_add_f32_e64 v10, |v6|, s14
; %bb.1673:
	s_or_b64 exec, exec, s[10:11]
                                        ; implicit-def: $vgpr11
.LBB55_1674:
	s_andn2_saveexec_b64 s[6:7], s[6:7]
; %bb.1675:
	s_mov_b32 s10, 0x7f800000
	v_mov_b32_e32 v10, 0x7e
	v_mov_b32_e32 v12, 0x7f
	v_cmp_lt_u32_e32 vcc, s10, v11
	v_cndmask_b32_e32 v10, v10, v12, vcc
; %bb.1676:
	s_or_b64 exec, exec, s[6:7]
	v_lshrrev_b32_e32 v6, 24, v6
	s_movk_i32 s6, 0x80
	v_and_or_b32 v6, v6, s6, v10
	global_store_byte v[7:8], v6, off
.LBB55_1677:
	s_mov_b64 s[6:7], 0
.LBB55_1678:
	s_andn2_b64 vcc, exec, s[6:7]
	s_cbranch_vccnz .LBB55_1688
; %bb.1679:
	v_cvt_f32_i32_e32 v6, v5
	s_mov_b32 s6, 0x47800000
                                        ; implicit-def: $vgpr10
	v_and_b32_e32 v11, 0x7fffffff, v6
	v_cmp_gt_u32_e32 vcc, s6, v11
	s_and_saveexec_b64 s[6:7], vcc
	s_xor_b64 s[6:7], exec, s[6:7]
	s_cbranch_execz .LBB55_1685
; %bb.1680:
	s_mov_b32 s10, 0x387fffff
	v_cmp_lt_u32_e32 vcc, s10, v11
                                        ; implicit-def: $vgpr10
	s_and_saveexec_b64 s[10:11], vcc
	s_xor_b64 s[10:11], exec, s[10:11]
; %bb.1681:
	v_bfe_u32 v10, v6, 21, 1
	s_mov_b32 s14, 0x80fffff
	v_add3_u32 v10, v6, v10, s14
	v_lshrrev_b32_e32 v10, 21, v10
; %bb.1682:
	s_andn2_saveexec_b64 s[10:11], s[10:11]
; %bb.1683:
	s_mov_b32 s14, 0x43000000
	v_add_f32_e64 v10, |v6|, s14
; %bb.1684:
	s_or_b64 exec, exec, s[10:11]
                                        ; implicit-def: $vgpr11
.LBB55_1685:
	s_andn2_saveexec_b64 s[6:7], s[6:7]
; %bb.1686:
	s_mov_b32 s10, 0x7f800000
	v_mov_b32_e32 v10, 0x7c
	v_mov_b32_e32 v12, 0x7f
	v_cmp_lt_u32_e32 vcc, s10, v11
	v_cndmask_b32_e32 v10, v10, v12, vcc
; %bb.1687:
	s_or_b64 exec, exec, s[6:7]
	v_lshrrev_b32_e32 v6, 24, v6
	s_movk_i32 s6, 0x80
	v_and_or_b32 v6, v6, s6, v10
	global_store_byte v[7:8], v6, off
.LBB55_1688:
	s_mov_b64 s[6:7], 0
	s_mov_b64 s[10:11], -1
.LBB55_1689:
	s_andn2_b64 vcc, exec, s[6:7]
	s_mov_b64 s[6:7], 0
	s_cbranch_vccnz .LBB55_1696
; %bb.1690:
	s_cmp_gt_i32 s4, 14
	s_mov_b64 s[14:15], -1
	s_cbranch_scc0 .LBB55_1694
; %bb.1691:
	s_cmp_eq_u32 s4, 15
	s_mov_b64 s[2:3], -1
	s_cbranch_scc0 .LBB55_1693
; %bb.1692:
	v_cvt_f32_i32_e32 v6, v5
	s_movk_i32 s6, 0x7fff
	s_mov_b64 s[2:3], 0
	s_mov_b64 s[10:11], -1
	v_bfe_u32 v10, v6, 16, 1
	v_add3_u32 v6, v6, v10, s6
	global_store_short_d16_hi v[7:8], v6, off
.LBB55_1693:
	s_mov_b64 s[14:15], 0
.LBB55_1694:
	s_mov_b64 s[6:7], 0
	s_and_b64 vcc, exec, s[14:15]
	s_cbranch_vccz .LBB55_1696
; %bb.1695:
	s_cmp_lg_u32 s4, 11
	s_mov_b64 s[6:7], -1
	s_cselect_b64 s[2:3], -1, 0
.LBB55_1696:
	s_and_b64 vcc, exec, s[2:3]
	s_cbranch_vccnz .LBB55_2104
; %bb.1697:
	s_andn2_b64 vcc, exec, s[6:7]
	s_cbranch_vccnz .LBB55_1699
.LBB55_1698:
	v_cmp_ne_u32_e32 vcc, 0, v5
	v_cndmask_b32_e64 v6, 0, 1, vcc
	s_mov_b64 s[10:11], -1
	global_store_byte v[7:8], v6, off
.LBB55_1699:
	s_mov_b64 s[2:3], 0
	s_branch .LBB55_1701
.LBB55_1700:
	s_mov_b64 s[2:3], -1
	s_mov_b64 s[10:11], 0
.LBB55_1701:
	s_and_b64 vcc, exec, s[2:3]
	s_cbranch_vccz .LBB55_1740
; %bb.1702:
	s_and_b32 s4, 0xffff, s18
	s_cmp_lt_i32 s4, 5
	s_mov_b64 s[2:3], -1
	s_cbranch_scc1 .LBB55_1723
; %bb.1703:
	s_cmp_lt_i32 s4, 8
	s_cbranch_scc1 .LBB55_1713
; %bb.1704:
	s_cmp_lt_i32 s4, 9
	s_cbranch_scc1 .LBB55_1710
; %bb.1705:
	s_cmp_gt_i32 s4, 9
	s_cbranch_scc0 .LBB55_1707
; %bb.1706:
	v_cvt_f64_i32_e32 v[10:11], v5
	v_mov_b32_e32 v12, 0
	v_mov_b32_e32 v13, v12
	s_mov_b64 s[2:3], 0
	global_store_dwordx4 v[7:8], v[10:13], off
.LBB55_1707:
	s_andn2_b64 vcc, exec, s[2:3]
	s_cbranch_vccnz .LBB55_1709
; %bb.1708:
	v_cvt_f32_i32_e32 v10, v5
	v_mov_b32_e32 v11, 0
	global_store_dwordx2 v[7:8], v[10:11], off
.LBB55_1709:
	s_mov_b64 s[2:3], 0
.LBB55_1710:
	s_andn2_b64 vcc, exec, s[2:3]
	s_cbranch_vccnz .LBB55_1712
; %bb.1711:
	v_cvt_f32_i32_e32 v6, v5
	v_cvt_f16_f32_e32 v6, v6
	global_store_dword v[7:8], v6, off
.LBB55_1712:
	s_mov_b64 s[2:3], 0
.LBB55_1713:
	s_andn2_b64 vcc, exec, s[2:3]
	s_cbranch_vccnz .LBB55_1722
; %bb.1714:
	s_cmp_lt_i32 s4, 6
	s_mov_b64 s[2:3], -1
	s_cbranch_scc1 .LBB55_1720
; %bb.1715:
	s_cmp_gt_i32 s4, 6
	s_cbranch_scc0 .LBB55_1717
; %bb.1716:
	v_cvt_f64_i32_e32 v[10:11], v5
	s_mov_b64 s[2:3], 0
	global_store_dwordx2 v[7:8], v[10:11], off
.LBB55_1717:
	s_andn2_b64 vcc, exec, s[2:3]
	s_cbranch_vccnz .LBB55_1719
; %bb.1718:
	v_cvt_f32_i32_e32 v6, v5
	global_store_dword v[7:8], v6, off
.LBB55_1719:
	s_mov_b64 s[2:3], 0
.LBB55_1720:
	s_andn2_b64 vcc, exec, s[2:3]
	s_cbranch_vccnz .LBB55_1722
; %bb.1721:
	v_cvt_f32_i32_e32 v6, v5
	v_cvt_f16_f32_e32 v6, v6
	global_store_short v[7:8], v6, off
.LBB55_1722:
	s_mov_b64 s[2:3], 0
.LBB55_1723:
	s_andn2_b64 vcc, exec, s[2:3]
	s_cbranch_vccnz .LBB55_1739
; %bb.1724:
	s_cmp_lt_i32 s4, 2
	s_mov_b64 s[2:3], -1
	s_cbranch_scc1 .LBB55_1734
; %bb.1725:
	s_cmp_lt_i32 s4, 3
	s_cbranch_scc1 .LBB55_1731
; %bb.1726:
	s_cmp_gt_i32 s4, 3
	s_cbranch_scc0 .LBB55_1728
; %bb.1727:
	v_ashrrev_i32_e32 v6, 31, v5
	global_store_dwordx2 v[7:8], v[5:6], off
	s_mov_b64 s[2:3], 0
.LBB55_1728:
	s_andn2_b64 vcc, exec, s[2:3]
	s_cbranch_vccnz .LBB55_1730
; %bb.1729:
	global_store_dword v[7:8], v5, off
.LBB55_1730:
	s_mov_b64 s[2:3], 0
.LBB55_1731:
	s_andn2_b64 vcc, exec, s[2:3]
	s_cbranch_vccnz .LBB55_1733
; %bb.1732:
	global_store_short v[7:8], v5, off
.LBB55_1733:
	s_mov_b64 s[2:3], 0
.LBB55_1734:
	s_andn2_b64 vcc, exec, s[2:3]
	s_cbranch_vccnz .LBB55_1739
; %bb.1735:
	s_cmp_gt_i32 s4, 0
	s_mov_b64 s[2:3], -1
	s_cbranch_scc0 .LBB55_1737
; %bb.1736:
	global_store_byte v[7:8], v5, off
	s_mov_b64 s[2:3], 0
.LBB55_1737:
	s_andn2_b64 vcc, exec, s[2:3]
	s_cbranch_vccnz .LBB55_1739
; %bb.1738:
	global_store_byte v[7:8], v5, off
.LBB55_1739:
	s_mov_b64 s[10:11], -1
.LBB55_1740:
	s_andn2_b64 vcc, exec, s[10:11]
	s_cbranch_vccnz .LBB55_2055
; %bb.1741:
	v_mov_b32_e32 v5, s5
	v_cndmask_b32_e64 v3, v5, v3, s[0:1]
	v_mov_b32_e32 v6, s9
	s_and_b32 s19, 0xffff, s18
	v_add_co_u32_e32 v5, vcc, s8, v4
	s_cmp_lt_i32 s19, 11
	v_addc_co_u32_e32 v6, vcc, 0, v6, vcc
	s_cbranch_scc1 .LBB55_1819
; %bb.1742:
	s_mov_b64 s[14:15], -1
	s_mov_b64 s[6:7], 0
	s_cmp_gt_i32 s19, 25
	s_mov_b64 s[10:11], 0
	s_mov_b64 s[2:3], 0
	s_cbranch_scc0 .LBB55_1775
; %bb.1743:
	s_cmp_gt_i32 s19, 28
	s_cbranch_scc0 .LBB55_1758
; %bb.1744:
	s_cmp_gt_i32 s19, 43
	s_cbranch_scc0 .LBB55_1754
; %bb.1745:
	s_cmp_gt_i32 s19, 45
	s_cbranch_scc0 .LBB55_1748
; %bb.1746:
	s_mov_b64 s[2:3], -1
	s_mov_b64 s[14:15], 0
	s_cmp_eq_u32 s19, 46
	s_cbranch_scc0 .LBB55_1748
; %bb.1747:
	v_cvt_f32_i32_e32 v4, v3
	s_movk_i32 s4, 0x7fff
	s_mov_b64 s[2:3], 0
	s_mov_b64 s[10:11], -1
	v_bfe_u32 v7, v4, 16, 1
	v_add3_u32 v4, v4, v7, s4
	v_lshrrev_b32_e32 v4, 16, v4
	global_store_dword v[5:6], v4, off
.LBB55_1748:
	s_and_b64 vcc, exec, s[14:15]
	s_cbranch_vccz .LBB55_1753
; %bb.1749:
	s_cmp_eq_u32 s19, 44
	s_mov_b64 s[2:3], -1
	s_cbranch_scc0 .LBB55_1753
; %bb.1750:
	v_cvt_f32_i32_e32 v4, v3
	s_movk_i32 s2, 0xff
	v_mov_b32_e32 v8, 0xff
	v_bfe_u32 v7, v4, 23, 8
	v_cmp_ne_u32_e32 vcc, s2, v7
	s_and_saveexec_b64 s[10:11], vcc
; %bb.1751:
	s_mov_b32 s2, 0x3fffff
	v_lshrrev_b32_e32 v8, 23, v4
	v_and_b32_e32 v10, 0x400000, v4
	v_and_or_b32 v4, v4, s2, v7
	v_cmp_ne_u32_e32 vcc, 0, v10
	v_cmp_ne_u32_e64 s[2:3], 0, v4
	s_and_b64 s[2:3], vcc, s[2:3]
	v_cndmask_b32_e64 v4, 0, 1, s[2:3]
	v_add_u32_e32 v8, v8, v4
; %bb.1752:
	s_or_b64 exec, exec, s[10:11]
	s_mov_b64 s[2:3], 0
	s_mov_b64 s[10:11], -1
	global_store_byte v[5:6], v8, off
.LBB55_1753:
	s_mov_b64 s[14:15], 0
.LBB55_1754:
	s_and_b64 vcc, exec, s[14:15]
	s_cbranch_vccz .LBB55_1757
; %bb.1755:
	s_cmp_eq_u32 s19, 29
	s_mov_b64 s[2:3], -1
	s_cbranch_scc0 .LBB55_1757
; %bb.1756:
	v_ashrrev_i32_e32 v4, 31, v3
	global_store_dwordx2 v[5:6], v[3:4], off
	s_mov_b64 s[2:3], 0
	s_mov_b64 s[10:11], -1
.LBB55_1757:
	s_mov_b64 s[14:15], 0
.LBB55_1758:
	s_and_b64 vcc, exec, s[14:15]
	s_cbranch_vccz .LBB55_1774
; %bb.1759:
	s_cmp_lt_i32 s19, 27
	s_mov_b64 s[10:11], -1
	s_cbranch_scc1 .LBB55_1765
; %bb.1760:
	s_cmp_gt_i32 s19, 27
	s_cbranch_scc0 .LBB55_1762
; %bb.1761:
	s_mov_b64 s[10:11], 0
	global_store_dword v[5:6], v3, off
.LBB55_1762:
	s_andn2_b64 vcc, exec, s[10:11]
	s_cbranch_vccnz .LBB55_1764
; %bb.1763:
	global_store_short v[5:6], v3, off
.LBB55_1764:
	s_mov_b64 s[10:11], 0
.LBB55_1765:
	s_andn2_b64 vcc, exec, s[10:11]
	s_cbranch_vccnz .LBB55_1773
; %bb.1766:
	v_cvt_f32_i32_e32 v4, v3
	s_mov_b32 s4, 0x43800000
	v_mov_b32_e32 v8, 0x80
	v_and_b32_e32 v7, 0x7fffffff, v4
	v_cmp_gt_u32_e32 vcc, s4, v7
	s_and_saveexec_b64 s[10:11], vcc
	s_cbranch_execz .LBB55_1772
; %bb.1767:
	s_mov_b32 s4, 0x3bffffff
	v_cmp_lt_u32_e32 vcc, s4, v7
	s_mov_b64 s[14:15], 0
                                        ; implicit-def: $vgpr7
	s_and_saveexec_b64 s[16:17], vcc
	s_xor_b64 s[16:17], exec, s[16:17]
	s_cbranch_execz .LBB55_2107
; %bb.1768:
	v_bfe_u32 v7, v4, 20, 1
	s_mov_b32 s4, 0x487ffff
	v_add3_u32 v7, v4, v7, s4
	s_mov_b64 s[14:15], exec
	v_lshrrev_b32_e32 v7, 20, v7
	s_andn2_saveexec_b64 s[16:17], s[16:17]
	s_cbranch_execnz .LBB55_2108
.LBB55_1769:
	s_or_b64 exec, exec, s[16:17]
	v_mov_b32_e32 v8, 0
	s_and_saveexec_b64 s[16:17], s[14:15]
.LBB55_1770:
	v_lshrrev_b32_e32 v4, 24, v4
	s_movk_i32 s4, 0x80
	v_and_or_b32 v8, v4, s4, v7
.LBB55_1771:
	s_or_b64 exec, exec, s[16:17]
.LBB55_1772:
	s_or_b64 exec, exec, s[10:11]
	global_store_byte v[5:6], v8, off
.LBB55_1773:
	s_mov_b64 s[10:11], -1
.LBB55_1774:
	s_mov_b64 s[14:15], 0
.LBB55_1775:
	s_and_b64 vcc, exec, s[14:15]
	s_cbranch_vccz .LBB55_1815
; %bb.1776:
	s_cmp_gt_i32 s19, 22
	s_mov_b64 s[6:7], -1
	s_cbranch_scc0 .LBB55_1808
; %bb.1777:
	s_cmp_lt_i32 s19, 24
	s_cbranch_scc1 .LBB55_1797
; %bb.1778:
	s_cmp_gt_i32 s19, 24
	s_cbranch_scc0 .LBB55_1786
; %bb.1779:
	v_cvt_f32_i32_e32 v4, v3
	s_mov_b32 s4, 0x47800000
	v_mov_b32_e32 v8, 0x80
	v_and_b32_e32 v7, 0x7fffffff, v4
	v_cmp_gt_u32_e32 vcc, s4, v7
	s_and_saveexec_b64 s[6:7], vcc
	s_cbranch_execz .LBB55_1785
; %bb.1780:
	s_mov_b32 s4, 0x37ffffff
	v_cmp_lt_u32_e32 vcc, s4, v7
	s_mov_b64 s[10:11], 0
                                        ; implicit-def: $vgpr7
	s_and_saveexec_b64 s[14:15], vcc
	s_xor_b64 s[14:15], exec, s[14:15]
	s_cbranch_execz .LBB55_2110
; %bb.1781:
	v_bfe_u32 v7, v4, 21, 1
	s_mov_b32 s4, 0x88fffff
	v_add3_u32 v7, v4, v7, s4
	s_mov_b64 s[10:11], exec
	v_lshrrev_b32_e32 v7, 21, v7
	s_andn2_saveexec_b64 s[14:15], s[14:15]
	s_cbranch_execnz .LBB55_2111
.LBB55_1782:
	s_or_b64 exec, exec, s[14:15]
	v_mov_b32_e32 v8, 0
	s_and_saveexec_b64 s[14:15], s[10:11]
.LBB55_1783:
	v_lshrrev_b32_e32 v4, 24, v4
	s_movk_i32 s4, 0x80
	v_and_or_b32 v8, v4, s4, v7
.LBB55_1784:
	s_or_b64 exec, exec, s[14:15]
.LBB55_1785:
	s_or_b64 exec, exec, s[6:7]
	s_mov_b64 s[6:7], 0
	global_store_byte v[5:6], v8, off
.LBB55_1786:
	s_and_b64 vcc, exec, s[6:7]
	s_cbranch_vccz .LBB55_1796
; %bb.1787:
	v_cvt_f32_i32_e32 v4, v3
	s_mov_b32 s4, 0x43f00000
                                        ; implicit-def: $vgpr7
	v_and_b32_e32 v8, 0x7fffffff, v4
	v_cmp_gt_u32_e32 vcc, s4, v8
	s_and_saveexec_b64 s[6:7], vcc
	s_xor_b64 s[6:7], exec, s[6:7]
	s_cbranch_execz .LBB55_1793
; %bb.1788:
	s_mov_b32 s4, 0x3c7fffff
	v_cmp_lt_u32_e32 vcc, s4, v8
                                        ; implicit-def: $vgpr7
	s_and_saveexec_b64 s[10:11], vcc
	s_xor_b64 s[10:11], exec, s[10:11]
; %bb.1789:
	v_bfe_u32 v7, v4, 20, 1
	s_mov_b32 s4, 0x407ffff
	v_add3_u32 v7, v4, v7, s4
	v_lshrrev_b32_e32 v8, 20, v7
	v_and_b32_e32 v7, 0xff00000, v7
	s_mov_b32 s4, 0x7f00000
	v_mov_b32_e32 v10, 0x7e
	v_cmp_ne_u32_e32 vcc, s4, v7
	v_cndmask_b32_e32 v7, v10, v8, vcc
; %bb.1790:
	s_andn2_saveexec_b64 s[10:11], s[10:11]
; %bb.1791:
	s_mov_b32 s4, 0x46800000
	v_add_f32_e64 v7, |v4|, s4
; %bb.1792:
	s_or_b64 exec, exec, s[10:11]
                                        ; implicit-def: $vgpr8
.LBB55_1793:
	s_andn2_saveexec_b64 s[6:7], s[6:7]
; %bb.1794:
	s_mov_b32 s4, 0x7f800000
	v_mov_b32_e32 v7, 0x7e
	v_mov_b32_e32 v10, 0x7f
	v_cmp_lt_u32_e32 vcc, s4, v8
	v_cndmask_b32_e32 v7, v7, v10, vcc
; %bb.1795:
	s_or_b64 exec, exec, s[6:7]
	v_lshrrev_b32_e32 v4, 24, v4
	s_movk_i32 s4, 0x80
	v_and_or_b32 v4, v4, s4, v7
	global_store_byte v[5:6], v4, off
.LBB55_1796:
	s_mov_b64 s[6:7], 0
.LBB55_1797:
	s_andn2_b64 vcc, exec, s[6:7]
	s_cbranch_vccnz .LBB55_1807
; %bb.1798:
	v_cvt_f32_i32_e32 v4, v3
	s_mov_b32 s4, 0x47800000
                                        ; implicit-def: $vgpr7
	v_and_b32_e32 v8, 0x7fffffff, v4
	v_cmp_gt_u32_e32 vcc, s4, v8
	s_and_saveexec_b64 s[6:7], vcc
	s_xor_b64 s[6:7], exec, s[6:7]
	s_cbranch_execz .LBB55_1804
; %bb.1799:
	s_mov_b32 s4, 0x387fffff
	v_cmp_lt_u32_e32 vcc, s4, v8
                                        ; implicit-def: $vgpr7
	s_and_saveexec_b64 s[10:11], vcc
	s_xor_b64 s[10:11], exec, s[10:11]
; %bb.1800:
	v_bfe_u32 v7, v4, 21, 1
	s_mov_b32 s4, 0x80fffff
	v_add3_u32 v7, v4, v7, s4
	v_lshrrev_b32_e32 v7, 21, v7
; %bb.1801:
	s_andn2_saveexec_b64 s[10:11], s[10:11]
; %bb.1802:
	s_mov_b32 s4, 0x43000000
	v_add_f32_e64 v7, |v4|, s4
; %bb.1803:
	s_or_b64 exec, exec, s[10:11]
                                        ; implicit-def: $vgpr8
.LBB55_1804:
	s_andn2_saveexec_b64 s[6:7], s[6:7]
; %bb.1805:
	s_mov_b32 s4, 0x7f800000
	v_mov_b32_e32 v7, 0x7c
	v_mov_b32_e32 v10, 0x7f
	v_cmp_lt_u32_e32 vcc, s4, v8
	v_cndmask_b32_e32 v7, v7, v10, vcc
; %bb.1806:
	s_or_b64 exec, exec, s[6:7]
	v_lshrrev_b32_e32 v4, 24, v4
	s_movk_i32 s4, 0x80
	v_and_or_b32 v4, v4, s4, v7
	global_store_byte v[5:6], v4, off
.LBB55_1807:
	s_mov_b64 s[6:7], 0
	s_mov_b64 s[10:11], -1
.LBB55_1808:
	s_andn2_b64 vcc, exec, s[6:7]
	s_mov_b64 s[6:7], 0
	s_cbranch_vccnz .LBB55_1815
; %bb.1809:
	s_cmp_gt_i32 s19, 14
	s_mov_b64 s[14:15], -1
	s_cbranch_scc0 .LBB55_1813
; %bb.1810:
	s_cmp_eq_u32 s19, 15
	s_mov_b64 s[2:3], -1
	s_cbranch_scc0 .LBB55_1812
; %bb.1811:
	v_cvt_f32_i32_e32 v4, v3
	s_movk_i32 s4, 0x7fff
	s_mov_b64 s[2:3], 0
	s_mov_b64 s[10:11], -1
	v_bfe_u32 v7, v4, 16, 1
	v_add3_u32 v4, v4, v7, s4
	global_store_short_d16_hi v[5:6], v4, off
.LBB55_1812:
	s_mov_b64 s[14:15], 0
.LBB55_1813:
	s_and_b64 vcc, exec, s[14:15]
	s_cbranch_vccz .LBB55_1815
; %bb.1814:
	s_cmp_lg_u32 s19, 11
	s_mov_b64 s[6:7], -1
	s_cselect_b64 s[2:3], -1, 0
.LBB55_1815:
	s_and_b64 vcc, exec, s[2:3]
	s_cbranch_vccnz .LBB55_2109
; %bb.1816:
	s_andn2_b64 vcc, exec, s[6:7]
	s_cbranch_vccnz .LBB55_1818
.LBB55_1817:
	v_cmp_ne_u32_e32 vcc, 0, v3
	v_cndmask_b32_e64 v4, 0, 1, vcc
	s_mov_b64 s[10:11], -1
	global_store_byte v[5:6], v4, off
.LBB55_1818:
	s_mov_b64 s[2:3], 0
	s_branch .LBB55_1820
.LBB55_1819:
	s_mov_b64 s[2:3], -1
	s_mov_b64 s[10:11], 0
.LBB55_1820:
	s_and_b64 vcc, exec, s[2:3]
	s_cbranch_vccz .LBB55_1859
; %bb.1821:
	s_cmp_lt_i32 s19, 5
	s_mov_b64 s[2:3], -1
	s_cbranch_scc1 .LBB55_1842
; %bb.1822:
	s_cmp_lt_i32 s19, 8
	s_cbranch_scc1 .LBB55_1832
; %bb.1823:
	s_cmp_lt_i32 s19, 9
	s_cbranch_scc1 .LBB55_1829
; %bb.1824:
	s_cmp_gt_i32 s19, 9
	s_cbranch_scc0 .LBB55_1826
; %bb.1825:
	v_cvt_f64_i32_e32 v[10:11], v3
	v_mov_b32_e32 v12, 0
	v_mov_b32_e32 v13, v12
	s_mov_b64 s[2:3], 0
	global_store_dwordx4 v[5:6], v[10:13], off
.LBB55_1826:
	s_andn2_b64 vcc, exec, s[2:3]
	s_cbranch_vccnz .LBB55_1828
; %bb.1827:
	v_cvt_f32_i32_e32 v7, v3
	v_mov_b32_e32 v8, 0
	global_store_dwordx2 v[5:6], v[7:8], off
.LBB55_1828:
	s_mov_b64 s[2:3], 0
.LBB55_1829:
	s_andn2_b64 vcc, exec, s[2:3]
	s_cbranch_vccnz .LBB55_1831
; %bb.1830:
	v_cvt_f32_i32_e32 v4, v3
	v_cvt_f16_f32_e32 v4, v4
	global_store_dword v[5:6], v4, off
.LBB55_1831:
	s_mov_b64 s[2:3], 0
.LBB55_1832:
	s_andn2_b64 vcc, exec, s[2:3]
	s_cbranch_vccnz .LBB55_1841
; %bb.1833:
	s_cmp_lt_i32 s19, 6
	s_mov_b64 s[2:3], -1
	s_cbranch_scc1 .LBB55_1839
; %bb.1834:
	s_cmp_gt_i32 s19, 6
	s_cbranch_scc0 .LBB55_1836
; %bb.1835:
	v_cvt_f64_i32_e32 v[7:8], v3
	s_mov_b64 s[2:3], 0
	global_store_dwordx2 v[5:6], v[7:8], off
.LBB55_1836:
	s_andn2_b64 vcc, exec, s[2:3]
	s_cbranch_vccnz .LBB55_1838
; %bb.1837:
	v_cvt_f32_i32_e32 v4, v3
	global_store_dword v[5:6], v4, off
.LBB55_1838:
	s_mov_b64 s[2:3], 0
.LBB55_1839:
	s_andn2_b64 vcc, exec, s[2:3]
	s_cbranch_vccnz .LBB55_1841
; %bb.1840:
	v_cvt_f32_i32_e32 v4, v3
	v_cvt_f16_f32_e32 v4, v4
	global_store_short v[5:6], v4, off
.LBB55_1841:
	s_mov_b64 s[2:3], 0
.LBB55_1842:
	s_andn2_b64 vcc, exec, s[2:3]
	s_cbranch_vccnz .LBB55_1858
; %bb.1843:
	s_cmp_lt_i32 s19, 2
	s_mov_b64 s[2:3], -1
	s_cbranch_scc1 .LBB55_1853
; %bb.1844:
	s_cmp_lt_i32 s19, 3
	s_cbranch_scc1 .LBB55_1850
; %bb.1845:
	s_cmp_gt_i32 s19, 3
	s_cbranch_scc0 .LBB55_1847
; %bb.1846:
	v_ashrrev_i32_e32 v4, 31, v3
	global_store_dwordx2 v[5:6], v[3:4], off
	s_mov_b64 s[2:3], 0
.LBB55_1847:
	s_andn2_b64 vcc, exec, s[2:3]
	s_cbranch_vccnz .LBB55_1849
; %bb.1848:
	global_store_dword v[5:6], v3, off
.LBB55_1849:
	s_mov_b64 s[2:3], 0
.LBB55_1850:
	s_andn2_b64 vcc, exec, s[2:3]
	s_cbranch_vccnz .LBB55_1852
; %bb.1851:
	global_store_short v[5:6], v3, off
.LBB55_1852:
	s_mov_b64 s[2:3], 0
.LBB55_1853:
	s_andn2_b64 vcc, exec, s[2:3]
	s_cbranch_vccnz .LBB55_1858
; %bb.1854:
	s_cmp_gt_i32 s19, 0
	s_mov_b64 s[2:3], -1
	s_cbranch_scc0 .LBB55_1856
; %bb.1855:
	global_store_byte v[5:6], v3, off
	s_mov_b64 s[2:3], 0
.LBB55_1856:
	s_andn2_b64 vcc, exec, s[2:3]
	s_cbranch_vccnz .LBB55_1858
; %bb.1857:
	global_store_byte v[5:6], v3, off
.LBB55_1858:
	s_mov_b64 s[10:11], -1
.LBB55_1859:
	s_andn2_b64 vcc, exec, s[10:11]
	s_cbranch_vccnz .LBB55_2055
; %bb.1860:
	v_mov_b32_e32 v3, s5
	v_cndmask_b32_e64 v1, v3, v1, s[0:1]
	v_mov_b32_e32 v4, s9
	v_add_co_u32_e32 v3, vcc, s8, v2
	s_cmp_lt_i32 s19, 11
	v_addc_co_u32_e32 v4, vcc, 0, v4, vcc
	s_cbranch_scc1 .LBB55_1938
; %bb.1861:
	s_mov_b64 s[14:15], -1
	s_mov_b64 s[6:7], 0
	s_cmp_gt_i32 s19, 25
	s_mov_b64 s[10:11], 0
	s_mov_b64 s[2:3], 0
	s_cbranch_scc0 .LBB55_1894
; %bb.1862:
	s_cmp_gt_i32 s19, 28
	s_cbranch_scc0 .LBB55_1877
; %bb.1863:
	s_cmp_gt_i32 s19, 43
	;; [unrolled: 3-line block ×3, first 2 shown]
	s_cbranch_scc0 .LBB55_1867
; %bb.1865:
	s_mov_b64 s[2:3], -1
	s_mov_b64 s[14:15], 0
	s_cmp_eq_u32 s19, 46
	s_cbranch_scc0 .LBB55_1867
; %bb.1866:
	v_cvt_f32_i32_e32 v2, v1
	s_movk_i32 s4, 0x7fff
	s_mov_b64 s[2:3], 0
	s_mov_b64 s[10:11], -1
	v_bfe_u32 v5, v2, 16, 1
	v_add3_u32 v2, v2, v5, s4
	v_lshrrev_b32_e32 v2, 16, v2
	global_store_dword v[3:4], v2, off
.LBB55_1867:
	s_and_b64 vcc, exec, s[14:15]
	s_cbranch_vccz .LBB55_1872
; %bb.1868:
	s_cmp_eq_u32 s19, 44
	s_mov_b64 s[2:3], -1
	s_cbranch_scc0 .LBB55_1872
; %bb.1869:
	v_cvt_f32_i32_e32 v2, v1
	s_movk_i32 s2, 0xff
	v_mov_b32_e32 v6, 0xff
	v_bfe_u32 v5, v2, 23, 8
	v_cmp_ne_u32_e32 vcc, s2, v5
	s_and_saveexec_b64 s[10:11], vcc
; %bb.1870:
	s_mov_b32 s2, 0x3fffff
	v_lshrrev_b32_e32 v6, 23, v2
	v_and_b32_e32 v7, 0x400000, v2
	v_and_or_b32 v2, v2, s2, v5
	v_cmp_ne_u32_e32 vcc, 0, v7
	v_cmp_ne_u32_e64 s[2:3], 0, v2
	s_and_b64 s[2:3], vcc, s[2:3]
	v_cndmask_b32_e64 v2, 0, 1, s[2:3]
	v_add_u32_e32 v6, v6, v2
; %bb.1871:
	s_or_b64 exec, exec, s[10:11]
	s_mov_b64 s[2:3], 0
	s_mov_b64 s[10:11], -1
	global_store_byte v[3:4], v6, off
.LBB55_1872:
	s_mov_b64 s[14:15], 0
.LBB55_1873:
	s_and_b64 vcc, exec, s[14:15]
	s_cbranch_vccz .LBB55_1876
; %bb.1874:
	s_cmp_eq_u32 s19, 29
	s_mov_b64 s[2:3], -1
	s_cbranch_scc0 .LBB55_1876
; %bb.1875:
	v_ashrrev_i32_e32 v2, 31, v1
	global_store_dwordx2 v[3:4], v[1:2], off
	s_mov_b64 s[2:3], 0
	s_mov_b64 s[10:11], -1
.LBB55_1876:
	s_mov_b64 s[14:15], 0
.LBB55_1877:
	s_and_b64 vcc, exec, s[14:15]
	s_cbranch_vccz .LBB55_1893
; %bb.1878:
	s_cmp_lt_i32 s19, 27
	s_mov_b64 s[10:11], -1
	s_cbranch_scc1 .LBB55_1884
; %bb.1879:
	s_cmp_gt_i32 s19, 27
	s_cbranch_scc0 .LBB55_1881
; %bb.1880:
	s_mov_b64 s[10:11], 0
	global_store_dword v[3:4], v1, off
.LBB55_1881:
	s_andn2_b64 vcc, exec, s[10:11]
	s_cbranch_vccnz .LBB55_1883
; %bb.1882:
	global_store_short v[3:4], v1, off
.LBB55_1883:
	s_mov_b64 s[10:11], 0
.LBB55_1884:
	s_andn2_b64 vcc, exec, s[10:11]
	s_cbranch_vccnz .LBB55_1892
; %bb.1885:
	v_cvt_f32_i32_e32 v2, v1
	s_mov_b32 s4, 0x43800000
	v_mov_b32_e32 v6, 0x80
	v_and_b32_e32 v5, 0x7fffffff, v2
	v_cmp_gt_u32_e32 vcc, s4, v5
	s_and_saveexec_b64 s[10:11], vcc
	s_cbranch_execz .LBB55_1891
; %bb.1886:
	s_mov_b32 s4, 0x3bffffff
	v_cmp_lt_u32_e32 vcc, s4, v5
	s_mov_b64 s[14:15], 0
                                        ; implicit-def: $vgpr5
	s_and_saveexec_b64 s[16:17], vcc
	s_xor_b64 s[16:17], exec, s[16:17]
	s_cbranch_execz .LBB55_2112
; %bb.1887:
	v_bfe_u32 v5, v2, 20, 1
	s_mov_b32 s4, 0x487ffff
	v_add3_u32 v5, v2, v5, s4
	s_mov_b64 s[14:15], exec
	v_lshrrev_b32_e32 v5, 20, v5
	s_andn2_saveexec_b64 s[16:17], s[16:17]
	s_cbranch_execnz .LBB55_2113
.LBB55_1888:
	s_or_b64 exec, exec, s[16:17]
	v_mov_b32_e32 v6, 0
	s_and_saveexec_b64 s[16:17], s[14:15]
.LBB55_1889:
	v_lshrrev_b32_e32 v2, 24, v2
	s_movk_i32 s4, 0x80
	v_and_or_b32 v6, v2, s4, v5
.LBB55_1890:
	s_or_b64 exec, exec, s[16:17]
.LBB55_1891:
	s_or_b64 exec, exec, s[10:11]
	global_store_byte v[3:4], v6, off
.LBB55_1892:
	s_mov_b64 s[10:11], -1
.LBB55_1893:
	s_mov_b64 s[14:15], 0
.LBB55_1894:
	s_and_b64 vcc, exec, s[14:15]
	s_cbranch_vccz .LBB55_1934
; %bb.1895:
	s_cmp_gt_i32 s19, 22
	s_mov_b64 s[6:7], -1
	s_cbranch_scc0 .LBB55_1927
; %bb.1896:
	s_cmp_lt_i32 s19, 24
	s_cbranch_scc1 .LBB55_1916
; %bb.1897:
	s_cmp_gt_i32 s19, 24
	s_cbranch_scc0 .LBB55_1905
; %bb.1898:
	v_cvt_f32_i32_e32 v2, v1
	s_mov_b32 s4, 0x47800000
	v_mov_b32_e32 v6, 0x80
	v_and_b32_e32 v5, 0x7fffffff, v2
	v_cmp_gt_u32_e32 vcc, s4, v5
	s_and_saveexec_b64 s[6:7], vcc
	s_cbranch_execz .LBB55_1904
; %bb.1899:
	s_mov_b32 s4, 0x37ffffff
	v_cmp_lt_u32_e32 vcc, s4, v5
	s_mov_b64 s[10:11], 0
                                        ; implicit-def: $vgpr5
	s_and_saveexec_b64 s[14:15], vcc
	s_xor_b64 s[14:15], exec, s[14:15]
	s_cbranch_execz .LBB55_2115
; %bb.1900:
	v_bfe_u32 v5, v2, 21, 1
	s_mov_b32 s4, 0x88fffff
	v_add3_u32 v5, v2, v5, s4
	s_mov_b64 s[10:11], exec
	v_lshrrev_b32_e32 v5, 21, v5
	s_andn2_saveexec_b64 s[14:15], s[14:15]
	s_cbranch_execnz .LBB55_2116
.LBB55_1901:
	s_or_b64 exec, exec, s[14:15]
	v_mov_b32_e32 v6, 0
	s_and_saveexec_b64 s[14:15], s[10:11]
.LBB55_1902:
	v_lshrrev_b32_e32 v2, 24, v2
	s_movk_i32 s4, 0x80
	v_and_or_b32 v6, v2, s4, v5
.LBB55_1903:
	s_or_b64 exec, exec, s[14:15]
.LBB55_1904:
	s_or_b64 exec, exec, s[6:7]
	s_mov_b64 s[6:7], 0
	global_store_byte v[3:4], v6, off
.LBB55_1905:
	s_and_b64 vcc, exec, s[6:7]
	s_cbranch_vccz .LBB55_1915
; %bb.1906:
	v_cvt_f32_i32_e32 v2, v1
	s_mov_b32 s4, 0x43f00000
                                        ; implicit-def: $vgpr5
	v_and_b32_e32 v6, 0x7fffffff, v2
	v_cmp_gt_u32_e32 vcc, s4, v6
	s_and_saveexec_b64 s[6:7], vcc
	s_xor_b64 s[6:7], exec, s[6:7]
	s_cbranch_execz .LBB55_1912
; %bb.1907:
	s_mov_b32 s4, 0x3c7fffff
	v_cmp_lt_u32_e32 vcc, s4, v6
                                        ; implicit-def: $vgpr5
	s_and_saveexec_b64 s[10:11], vcc
	s_xor_b64 s[10:11], exec, s[10:11]
; %bb.1908:
	v_bfe_u32 v5, v2, 20, 1
	s_mov_b32 s4, 0x407ffff
	v_add3_u32 v5, v2, v5, s4
	v_lshrrev_b32_e32 v6, 20, v5
	v_and_b32_e32 v5, 0xff00000, v5
	s_mov_b32 s4, 0x7f00000
	v_mov_b32_e32 v7, 0x7e
	v_cmp_ne_u32_e32 vcc, s4, v5
	v_cndmask_b32_e32 v5, v7, v6, vcc
; %bb.1909:
	s_andn2_saveexec_b64 s[10:11], s[10:11]
; %bb.1910:
	s_mov_b32 s4, 0x46800000
	v_add_f32_e64 v5, |v2|, s4
; %bb.1911:
	s_or_b64 exec, exec, s[10:11]
                                        ; implicit-def: $vgpr6
.LBB55_1912:
	s_andn2_saveexec_b64 s[6:7], s[6:7]
; %bb.1913:
	s_mov_b32 s4, 0x7f800000
	v_mov_b32_e32 v5, 0x7e
	v_mov_b32_e32 v7, 0x7f
	v_cmp_lt_u32_e32 vcc, s4, v6
	v_cndmask_b32_e32 v5, v5, v7, vcc
; %bb.1914:
	s_or_b64 exec, exec, s[6:7]
	v_lshrrev_b32_e32 v2, 24, v2
	s_movk_i32 s4, 0x80
	v_and_or_b32 v2, v2, s4, v5
	global_store_byte v[3:4], v2, off
.LBB55_1915:
	s_mov_b64 s[6:7], 0
.LBB55_1916:
	s_andn2_b64 vcc, exec, s[6:7]
	s_cbranch_vccnz .LBB55_1926
; %bb.1917:
	v_cvt_f32_i32_e32 v2, v1
	s_mov_b32 s4, 0x47800000
                                        ; implicit-def: $vgpr5
	v_and_b32_e32 v6, 0x7fffffff, v2
	v_cmp_gt_u32_e32 vcc, s4, v6
	s_and_saveexec_b64 s[6:7], vcc
	s_xor_b64 s[6:7], exec, s[6:7]
	s_cbranch_execz .LBB55_1923
; %bb.1918:
	s_mov_b32 s4, 0x387fffff
	v_cmp_lt_u32_e32 vcc, s4, v6
                                        ; implicit-def: $vgpr5
	s_and_saveexec_b64 s[10:11], vcc
	s_xor_b64 s[10:11], exec, s[10:11]
; %bb.1919:
	v_bfe_u32 v5, v2, 21, 1
	s_mov_b32 s4, 0x80fffff
	v_add3_u32 v5, v2, v5, s4
	v_lshrrev_b32_e32 v5, 21, v5
; %bb.1920:
	s_andn2_saveexec_b64 s[10:11], s[10:11]
; %bb.1921:
	s_mov_b32 s4, 0x43000000
	v_add_f32_e64 v5, |v2|, s4
; %bb.1922:
	s_or_b64 exec, exec, s[10:11]
                                        ; implicit-def: $vgpr6
.LBB55_1923:
	s_andn2_saveexec_b64 s[6:7], s[6:7]
; %bb.1924:
	s_mov_b32 s4, 0x7f800000
	v_mov_b32_e32 v5, 0x7c
	v_mov_b32_e32 v7, 0x7f
	v_cmp_lt_u32_e32 vcc, s4, v6
	v_cndmask_b32_e32 v5, v5, v7, vcc
; %bb.1925:
	s_or_b64 exec, exec, s[6:7]
	v_lshrrev_b32_e32 v2, 24, v2
	s_movk_i32 s4, 0x80
	v_and_or_b32 v2, v2, s4, v5
	global_store_byte v[3:4], v2, off
.LBB55_1926:
	s_mov_b64 s[6:7], 0
	s_mov_b64 s[10:11], -1
.LBB55_1927:
	s_andn2_b64 vcc, exec, s[6:7]
	s_mov_b64 s[6:7], 0
	s_cbranch_vccnz .LBB55_1934
; %bb.1928:
	s_cmp_gt_i32 s19, 14
	s_mov_b64 s[14:15], -1
	s_cbranch_scc0 .LBB55_1932
; %bb.1929:
	s_cmp_eq_u32 s19, 15
	s_mov_b64 s[2:3], -1
	s_cbranch_scc0 .LBB55_1931
; %bb.1930:
	v_cvt_f32_i32_e32 v2, v1
	s_movk_i32 s4, 0x7fff
	s_mov_b64 s[2:3], 0
	s_mov_b64 s[10:11], -1
	v_bfe_u32 v5, v2, 16, 1
	v_add3_u32 v2, v2, v5, s4
	global_store_short_d16_hi v[3:4], v2, off
.LBB55_1931:
	s_mov_b64 s[14:15], 0
.LBB55_1932:
	s_and_b64 vcc, exec, s[14:15]
	s_cbranch_vccz .LBB55_1934
; %bb.1933:
	s_cmp_lg_u32 s19, 11
	s_mov_b64 s[6:7], -1
	s_cselect_b64 s[2:3], -1, 0
.LBB55_1934:
	s_and_b64 vcc, exec, s[2:3]
	s_cbranch_vccnz .LBB55_2114
; %bb.1935:
	s_andn2_b64 vcc, exec, s[6:7]
	s_cbranch_vccnz .LBB55_1937
.LBB55_1936:
	v_cmp_ne_u32_e32 vcc, 0, v1
	v_cndmask_b32_e64 v2, 0, 1, vcc
	s_mov_b64 s[10:11], -1
	global_store_byte v[3:4], v2, off
.LBB55_1937:
	s_mov_b64 s[2:3], 0
	s_branch .LBB55_1939
.LBB55_1938:
	s_mov_b64 s[2:3], -1
	s_mov_b64 s[10:11], 0
.LBB55_1939:
	s_and_b64 vcc, exec, s[2:3]
	s_cbranch_vccz .LBB55_1978
; %bb.1940:
	s_cmp_lt_i32 s19, 5
	s_mov_b64 s[2:3], -1
	s_cbranch_scc1 .LBB55_1961
; %bb.1941:
	s_cmp_lt_i32 s19, 8
	s_cbranch_scc1 .LBB55_1951
; %bb.1942:
	s_cmp_lt_i32 s19, 9
	s_cbranch_scc1 .LBB55_1948
; %bb.1943:
	s_cmp_gt_i32 s19, 9
	s_cbranch_scc0 .LBB55_1945
; %bb.1944:
	v_cvt_f64_i32_e32 v[5:6], v1
	v_mov_b32_e32 v7, 0
	v_mov_b32_e32 v8, v7
	s_mov_b64 s[2:3], 0
	global_store_dwordx4 v[3:4], v[5:8], off
.LBB55_1945:
	s_andn2_b64 vcc, exec, s[2:3]
	s_cbranch_vccnz .LBB55_1947
; %bb.1946:
	v_cvt_f32_i32_e32 v5, v1
	v_mov_b32_e32 v6, 0
	global_store_dwordx2 v[3:4], v[5:6], off
.LBB55_1947:
	s_mov_b64 s[2:3], 0
.LBB55_1948:
	s_andn2_b64 vcc, exec, s[2:3]
	s_cbranch_vccnz .LBB55_1950
; %bb.1949:
	v_cvt_f32_i32_e32 v2, v1
	v_cvt_f16_f32_e32 v2, v2
	global_store_dword v[3:4], v2, off
.LBB55_1950:
	s_mov_b64 s[2:3], 0
.LBB55_1951:
	s_andn2_b64 vcc, exec, s[2:3]
	s_cbranch_vccnz .LBB55_1960
; %bb.1952:
	s_cmp_lt_i32 s19, 6
	s_mov_b64 s[2:3], -1
	s_cbranch_scc1 .LBB55_1958
; %bb.1953:
	s_cmp_gt_i32 s19, 6
	s_cbranch_scc0 .LBB55_1955
; %bb.1954:
	v_cvt_f64_i32_e32 v[5:6], v1
	s_mov_b64 s[2:3], 0
	global_store_dwordx2 v[3:4], v[5:6], off
.LBB55_1955:
	s_andn2_b64 vcc, exec, s[2:3]
	s_cbranch_vccnz .LBB55_1957
; %bb.1956:
	v_cvt_f32_i32_e32 v2, v1
	global_store_dword v[3:4], v2, off
.LBB55_1957:
	s_mov_b64 s[2:3], 0
.LBB55_1958:
	s_andn2_b64 vcc, exec, s[2:3]
	s_cbranch_vccnz .LBB55_1960
; %bb.1959:
	v_cvt_f32_i32_e32 v2, v1
	v_cvt_f16_f32_e32 v2, v2
	global_store_short v[3:4], v2, off
.LBB55_1960:
	s_mov_b64 s[2:3], 0
.LBB55_1961:
	s_andn2_b64 vcc, exec, s[2:3]
	s_cbranch_vccnz .LBB55_1977
; %bb.1962:
	s_cmp_lt_i32 s19, 2
	s_mov_b64 s[2:3], -1
	s_cbranch_scc1 .LBB55_1972
; %bb.1963:
	s_cmp_lt_i32 s19, 3
	s_cbranch_scc1 .LBB55_1969
; %bb.1964:
	s_cmp_gt_i32 s19, 3
	s_cbranch_scc0 .LBB55_1966
; %bb.1965:
	v_ashrrev_i32_e32 v2, 31, v1
	global_store_dwordx2 v[3:4], v[1:2], off
	s_mov_b64 s[2:3], 0
.LBB55_1966:
	s_andn2_b64 vcc, exec, s[2:3]
	s_cbranch_vccnz .LBB55_1968
; %bb.1967:
	global_store_dword v[3:4], v1, off
.LBB55_1968:
	s_mov_b64 s[2:3], 0
.LBB55_1969:
	s_andn2_b64 vcc, exec, s[2:3]
	s_cbranch_vccnz .LBB55_1971
; %bb.1970:
	global_store_short v[3:4], v1, off
.LBB55_1971:
	s_mov_b64 s[2:3], 0
.LBB55_1972:
	s_andn2_b64 vcc, exec, s[2:3]
	s_cbranch_vccnz .LBB55_1977
; %bb.1973:
	s_cmp_gt_i32 s19, 0
	s_mov_b64 s[2:3], -1
	s_cbranch_scc0 .LBB55_1975
; %bb.1974:
	global_store_byte v[3:4], v1, off
	s_mov_b64 s[2:3], 0
.LBB55_1975:
	s_andn2_b64 vcc, exec, s[2:3]
	s_cbranch_vccnz .LBB55_1977
; %bb.1976:
	global_store_byte v[3:4], v1, off
.LBB55_1977:
	s_mov_b64 s[10:11], -1
.LBB55_1978:
	s_andn2_b64 vcc, exec, s[10:11]
	s_cbranch_vccnz .LBB55_2055
; %bb.1979:
	v_mov_b32_e32 v1, s5
	v_cndmask_b32_e64 v2, v1, v9, s[0:1]
	v_mov_b32_e32 v1, s9
	v_add_co_u32_e32 v0, vcc, s8, v0
	s_cmp_lt_i32 s19, 11
	v_addc_co_u32_e32 v1, vcc, 0, v1, vcc
	s_cbranch_scc1 .LBB55_2100
; %bb.1980:
	s_mov_b64 s[4:5], -1
	s_mov_b64 s[2:3], 0
	s_cmp_gt_i32 s19, 25
	s_mov_b64 s[0:1], 0
	s_cbranch_scc0 .LBB55_2013
; %bb.1981:
	s_cmp_gt_i32 s19, 28
	s_cbranch_scc0 .LBB55_1997
; %bb.1982:
	s_cmp_gt_i32 s19, 43
	;; [unrolled: 3-line block ×3, first 2 shown]
	s_cbranch_scc0 .LBB55_1987
; %bb.1984:
	s_cmp_eq_u32 s19, 46
	s_mov_b64 s[0:1], -1
	s_cbranch_scc0 .LBB55_1986
; %bb.1985:
	v_cvt_f32_i32_e32 v3, v2
	s_movk_i32 s0, 0x7fff
	v_bfe_u32 v4, v3, 16, 1
	v_add3_u32 v3, v3, v4, s0
	v_lshrrev_b32_e32 v3, 16, v3
	global_store_dword v[0:1], v3, off
	s_mov_b64 s[0:1], 0
.LBB55_1986:
	s_mov_b64 s[4:5], 0
.LBB55_1987:
	s_and_b64 vcc, exec, s[4:5]
	s_cbranch_vccz .LBB55_1992
; %bb.1988:
	s_cmp_eq_u32 s19, 44
	s_mov_b64 s[0:1], -1
	s_cbranch_scc0 .LBB55_1992
; %bb.1989:
	v_cvt_f32_i32_e32 v3, v2
	s_movk_i32 s0, 0xff
	v_mov_b32_e32 v5, 0xff
	v_bfe_u32 v4, v3, 23, 8
	v_cmp_ne_u32_e32 vcc, s0, v4
	s_and_saveexec_b64 s[4:5], vcc
; %bb.1990:
	s_mov_b32 s0, 0x3fffff
	v_lshrrev_b32_e32 v5, 23, v3
	v_and_b32_e32 v6, 0x400000, v3
	v_and_or_b32 v3, v3, s0, v4
	v_cmp_ne_u32_e32 vcc, 0, v6
	v_cmp_ne_u32_e64 s[0:1], 0, v3
	s_and_b64 s[0:1], vcc, s[0:1]
	v_cndmask_b32_e64 v3, 0, 1, s[0:1]
	v_add_u32_e32 v5, v5, v3
; %bb.1991:
	s_or_b64 exec, exec, s[4:5]
	s_mov_b64 s[0:1], 0
	global_store_byte v[0:1], v5, off
.LBB55_1992:
	s_mov_b64 s[4:5], 0
.LBB55_1993:
	s_and_b64 vcc, exec, s[4:5]
	s_cbranch_vccz .LBB55_1996
; %bb.1994:
	s_cmp_eq_u32 s19, 29
	s_mov_b64 s[0:1], -1
	s_cbranch_scc0 .LBB55_1996
; %bb.1995:
	v_ashrrev_i32_e32 v3, 31, v2
	global_store_dwordx2 v[0:1], v[2:3], off
	s_mov_b64 s[0:1], 0
.LBB55_1996:
	s_mov_b64 s[4:5], 0
.LBB55_1997:
	s_and_b64 vcc, exec, s[4:5]
	s_cbranch_vccz .LBB55_2012
; %bb.1998:
	s_cmp_lt_i32 s19, 27
	s_mov_b64 s[4:5], -1
	s_cbranch_scc1 .LBB55_2004
; %bb.1999:
	s_cmp_gt_i32 s19, 27
	s_cbranch_scc0 .LBB55_2001
; %bb.2000:
	global_store_dword v[0:1], v2, off
	s_mov_b64 s[4:5], 0
.LBB55_2001:
	s_andn2_b64 vcc, exec, s[4:5]
	s_cbranch_vccnz .LBB55_2003
; %bb.2002:
	global_store_short v[0:1], v2, off
.LBB55_2003:
	s_mov_b64 s[4:5], 0
.LBB55_2004:
	s_andn2_b64 vcc, exec, s[4:5]
	s_cbranch_vccnz .LBB55_2012
; %bb.2005:
	v_cvt_f32_i32_e32 v3, v2
	s_mov_b32 s4, 0x43800000
	v_mov_b32_e32 v5, 0x80
	v_and_b32_e32 v4, 0x7fffffff, v3
	v_cmp_gt_u32_e32 vcc, s4, v4
	s_and_saveexec_b64 s[4:5], vcc
	s_cbranch_execz .LBB55_2011
; %bb.2006:
	s_mov_b32 s6, 0x3bffffff
	v_cmp_lt_u32_e32 vcc, s6, v4
	s_mov_b64 s[6:7], 0
                                        ; implicit-def: $vgpr4
	s_and_saveexec_b64 s[8:9], vcc
	s_xor_b64 s[8:9], exec, s[8:9]
	s_cbranch_execz .LBB55_2117
; %bb.2007:
	v_bfe_u32 v4, v3, 20, 1
	s_mov_b32 s10, 0x487ffff
	v_add3_u32 v4, v3, v4, s10
	s_mov_b64 s[6:7], exec
	v_lshrrev_b32_e32 v4, 20, v4
	s_andn2_saveexec_b64 s[8:9], s[8:9]
	s_cbranch_execnz .LBB55_2118
.LBB55_2008:
	s_or_b64 exec, exec, s[8:9]
	v_mov_b32_e32 v5, 0
	s_and_saveexec_b64 s[8:9], s[6:7]
.LBB55_2009:
	v_lshrrev_b32_e32 v3, 24, v3
	s_movk_i32 s6, 0x80
	v_and_or_b32 v5, v3, s6, v4
.LBB55_2010:
	s_or_b64 exec, exec, s[8:9]
.LBB55_2011:
	s_or_b64 exec, exec, s[4:5]
	global_store_byte v[0:1], v5, off
.LBB55_2012:
	s_mov_b64 s[4:5], 0
.LBB55_2013:
	s_and_b64 vcc, exec, s[4:5]
	s_cbranch_vccz .LBB55_2053
; %bb.2014:
	s_cmp_gt_i32 s19, 22
	s_mov_b64 s[2:3], -1
	s_cbranch_scc0 .LBB55_2046
; %bb.2015:
	s_cmp_lt_i32 s19, 24
	s_cbranch_scc1 .LBB55_2035
; %bb.2016:
	s_cmp_gt_i32 s19, 24
	s_cbranch_scc0 .LBB55_2024
; %bb.2017:
	v_cvt_f32_i32_e32 v3, v2
	s_mov_b32 s2, 0x47800000
	v_mov_b32_e32 v5, 0x80
	v_and_b32_e32 v4, 0x7fffffff, v3
	v_cmp_gt_u32_e32 vcc, s2, v4
	s_and_saveexec_b64 s[2:3], vcc
	s_cbranch_execz .LBB55_2023
; %bb.2018:
	s_mov_b32 s4, 0x37ffffff
	v_cmp_lt_u32_e32 vcc, s4, v4
	s_mov_b64 s[4:5], 0
                                        ; implicit-def: $vgpr4
	s_and_saveexec_b64 s[6:7], vcc
	s_xor_b64 s[6:7], exec, s[6:7]
	s_cbranch_execz .LBB55_2120
; %bb.2019:
	v_bfe_u32 v4, v3, 21, 1
	s_mov_b32 s8, 0x88fffff
	v_add3_u32 v4, v3, v4, s8
	s_mov_b64 s[4:5], exec
	v_lshrrev_b32_e32 v4, 21, v4
	s_andn2_saveexec_b64 s[6:7], s[6:7]
	s_cbranch_execnz .LBB55_2121
.LBB55_2020:
	s_or_b64 exec, exec, s[6:7]
	v_mov_b32_e32 v5, 0
	s_and_saveexec_b64 s[6:7], s[4:5]
.LBB55_2021:
	v_lshrrev_b32_e32 v3, 24, v3
	s_movk_i32 s4, 0x80
	v_and_or_b32 v5, v3, s4, v4
.LBB55_2022:
	s_or_b64 exec, exec, s[6:7]
.LBB55_2023:
	s_or_b64 exec, exec, s[2:3]
	s_mov_b64 s[2:3], 0
	global_store_byte v[0:1], v5, off
.LBB55_2024:
	s_and_b64 vcc, exec, s[2:3]
	s_cbranch_vccz .LBB55_2034
; %bb.2025:
	v_cvt_f32_i32_e32 v3, v2
	s_mov_b32 s2, 0x43f00000
                                        ; implicit-def: $vgpr4
	v_and_b32_e32 v5, 0x7fffffff, v3
	v_cmp_gt_u32_e32 vcc, s2, v5
	s_and_saveexec_b64 s[2:3], vcc
	s_xor_b64 s[2:3], exec, s[2:3]
	s_cbranch_execz .LBB55_2031
; %bb.2026:
	s_mov_b32 s4, 0x3c7fffff
	v_cmp_lt_u32_e32 vcc, s4, v5
                                        ; implicit-def: $vgpr4
	s_and_saveexec_b64 s[4:5], vcc
	s_xor_b64 s[4:5], exec, s[4:5]
; %bb.2027:
	v_bfe_u32 v4, v3, 20, 1
	s_mov_b32 s6, 0x407ffff
	v_add3_u32 v4, v3, v4, s6
	v_lshrrev_b32_e32 v5, 20, v4
	v_and_b32_e32 v4, 0xff00000, v4
	s_mov_b32 s6, 0x7f00000
	v_mov_b32_e32 v6, 0x7e
	v_cmp_ne_u32_e32 vcc, s6, v4
	v_cndmask_b32_e32 v4, v6, v5, vcc
; %bb.2028:
	s_andn2_saveexec_b64 s[4:5], s[4:5]
; %bb.2029:
	s_mov_b32 s6, 0x46800000
	v_add_f32_e64 v4, |v3|, s6
; %bb.2030:
	s_or_b64 exec, exec, s[4:5]
                                        ; implicit-def: $vgpr5
.LBB55_2031:
	s_andn2_saveexec_b64 s[2:3], s[2:3]
; %bb.2032:
	s_mov_b32 s4, 0x7f800000
	v_mov_b32_e32 v4, 0x7e
	v_mov_b32_e32 v6, 0x7f
	v_cmp_lt_u32_e32 vcc, s4, v5
	v_cndmask_b32_e32 v4, v4, v6, vcc
; %bb.2033:
	s_or_b64 exec, exec, s[2:3]
	v_lshrrev_b32_e32 v3, 24, v3
	s_movk_i32 s2, 0x80
	v_and_or_b32 v3, v3, s2, v4
	global_store_byte v[0:1], v3, off
.LBB55_2034:
	s_mov_b64 s[2:3], 0
.LBB55_2035:
	s_andn2_b64 vcc, exec, s[2:3]
	s_cbranch_vccnz .LBB55_2045
; %bb.2036:
	v_cvt_f32_i32_e32 v3, v2
	s_mov_b32 s2, 0x47800000
                                        ; implicit-def: $vgpr4
	v_and_b32_e32 v5, 0x7fffffff, v3
	v_cmp_gt_u32_e32 vcc, s2, v5
	s_and_saveexec_b64 s[2:3], vcc
	s_xor_b64 s[2:3], exec, s[2:3]
	s_cbranch_execz .LBB55_2042
; %bb.2037:
	s_mov_b32 s4, 0x387fffff
	v_cmp_lt_u32_e32 vcc, s4, v5
                                        ; implicit-def: $vgpr4
	s_and_saveexec_b64 s[4:5], vcc
	s_xor_b64 s[4:5], exec, s[4:5]
; %bb.2038:
	v_bfe_u32 v4, v3, 21, 1
	s_mov_b32 s6, 0x80fffff
	v_add3_u32 v4, v3, v4, s6
	v_lshrrev_b32_e32 v4, 21, v4
; %bb.2039:
	s_andn2_saveexec_b64 s[4:5], s[4:5]
; %bb.2040:
	s_mov_b32 s6, 0x43000000
	v_add_f32_e64 v4, |v3|, s6
; %bb.2041:
	s_or_b64 exec, exec, s[4:5]
                                        ; implicit-def: $vgpr5
.LBB55_2042:
	s_andn2_saveexec_b64 s[2:3], s[2:3]
; %bb.2043:
	s_mov_b32 s4, 0x7f800000
	v_mov_b32_e32 v4, 0x7c
	v_mov_b32_e32 v6, 0x7f
	v_cmp_lt_u32_e32 vcc, s4, v5
	v_cndmask_b32_e32 v4, v4, v6, vcc
; %bb.2044:
	s_or_b64 exec, exec, s[2:3]
	v_lshrrev_b32_e32 v3, 24, v3
	s_movk_i32 s2, 0x80
	v_and_or_b32 v3, v3, s2, v4
	global_store_byte v[0:1], v3, off
.LBB55_2045:
	s_mov_b64 s[2:3], 0
.LBB55_2046:
	s_andn2_b64 vcc, exec, s[2:3]
	s_mov_b64 s[2:3], 0
	s_cbranch_vccnz .LBB55_2053
; %bb.2047:
	s_cmp_gt_i32 s19, 14
	s_mov_b64 s[4:5], -1
	s_cbranch_scc0 .LBB55_2051
; %bb.2048:
	s_cmp_eq_u32 s19, 15
	s_mov_b64 s[0:1], -1
	s_cbranch_scc0 .LBB55_2050
; %bb.2049:
	v_cvt_f32_i32_e32 v3, v2
	s_movk_i32 s0, 0x7fff
	v_bfe_u32 v4, v3, 16, 1
	v_add3_u32 v3, v3, v4, s0
	global_store_short_d16_hi v[0:1], v3, off
	s_mov_b64 s[0:1], 0
.LBB55_2050:
	s_mov_b64 s[4:5], 0
.LBB55_2051:
	s_and_b64 vcc, exec, s[4:5]
	s_cbranch_vccz .LBB55_2053
; %bb.2052:
	s_cmp_lg_u32 s19, 11
	s_mov_b64 s[2:3], -1
	s_cselect_b64 s[0:1], -1, 0
.LBB55_2053:
	s_and_b64 vcc, exec, s[0:1]
	s_cbranch_vccnz .LBB55_2119
.LBB55_2054:
	s_mov_b64 s[0:1], 0
	s_branch .LBB55_2056
.LBB55_2055:
	s_mov_b64 s[0:1], 0
	s_mov_b64 s[2:3], 0
                                        ; implicit-def: $vgpr0_vgpr1
                                        ; implicit-def: $sgpr18
                                        ; implicit-def: $vgpr2
.LBB55_2056:
	s_and_b64 s[6:7], s[2:3], exec
	s_andn2_b64 s[2:3], s[28:29], exec
	s_and_b64 s[4:5], s[12:13], exec
	s_and_b64 s[0:1], s[0:1], exec
	s_or_b64 s[28:29], s[2:3], s[4:5]
.LBB55_2057:
	s_or_b64 exec, exec, s[30:31]
	s_and_saveexec_b64 s[2:3], s[28:29]
	s_cbranch_execz .LBB55_2060
; %bb.2058:
	; divergent unreachable
	s_or_b64 exec, exec, s[2:3]
	s_and_saveexec_b64 s[2:3], s[6:7]
	s_xor_b64 s[2:3], exec, s[2:3]
	s_cbranch_execnz .LBB55_2061
.LBB55_2059:
	s_or_b64 exec, exec, s[2:3]
	s_and_saveexec_b64 s[2:3], s[0:1]
	s_cbranch_execnz .LBB55_2062
	s_branch .LBB55_2099
.LBB55_2060:
	s_or_b64 exec, exec, s[2:3]
	s_and_saveexec_b64 s[2:3], s[6:7]
	s_xor_b64 s[2:3], exec, s[2:3]
	s_cbranch_execz .LBB55_2059
.LBB55_2061:
	v_cmp_ne_u32_e32 vcc, 0, v2
	s_waitcnt vmcnt(0)
	v_cndmask_b32_e64 v3, 0, 1, vcc
	global_store_byte v[0:1], v3, off
	s_or_b64 exec, exec, s[2:3]
	s_and_saveexec_b64 s[2:3], s[0:1]
	s_cbranch_execz .LBB55_2099
.LBB55_2062:
	s_sext_i32_i16 s2, s18
	s_cmp_lt_i32 s2, 5
	s_mov_b64 s[0:1], -1
	s_cbranch_scc1 .LBB55_2083
; %bb.2063:
	s_cmp_lt_i32 s2, 8
	s_cbranch_scc1 .LBB55_2073
; %bb.2064:
	s_cmp_lt_i32 s2, 9
	s_cbranch_scc1 .LBB55_2070
; %bb.2065:
	s_cmp_gt_i32 s2, 9
	s_cbranch_scc0 .LBB55_2067
; %bb.2066:
	s_waitcnt vmcnt(0)
	v_cvt_f64_i32_e32 v[3:4], v2
	v_mov_b32_e32 v5, 0
	v_mov_b32_e32 v6, v5
	s_mov_b64 s[0:1], 0
	global_store_dwordx4 v[0:1], v[3:6], off
.LBB55_2067:
	s_andn2_b64 vcc, exec, s[0:1]
	s_cbranch_vccnz .LBB55_2069
; %bb.2068:
	s_waitcnt vmcnt(0)
	v_cvt_f32_i32_e32 v3, v2
	v_mov_b32_e32 v4, 0
	global_store_dwordx2 v[0:1], v[3:4], off
.LBB55_2069:
	s_mov_b64 s[0:1], 0
.LBB55_2070:
	s_andn2_b64 vcc, exec, s[0:1]
	s_cbranch_vccnz .LBB55_2072
; %bb.2071:
	s_waitcnt vmcnt(0)
	v_cvt_f32_i32_e32 v3, v2
	v_cvt_f16_f32_e32 v3, v3
	global_store_dword v[0:1], v3, off
.LBB55_2072:
	s_mov_b64 s[0:1], 0
.LBB55_2073:
	s_andn2_b64 vcc, exec, s[0:1]
	s_cbranch_vccnz .LBB55_2082
; %bb.2074:
	s_sext_i32_i16 s2, s18
	s_cmp_lt_i32 s2, 6
	s_mov_b64 s[0:1], -1
	s_cbranch_scc1 .LBB55_2080
; %bb.2075:
	s_cmp_gt_i32 s2, 6
	s_cbranch_scc0 .LBB55_2077
; %bb.2076:
	s_waitcnt vmcnt(0)
	v_cvt_f64_i32_e32 v[3:4], v2
	s_mov_b64 s[0:1], 0
	global_store_dwordx2 v[0:1], v[3:4], off
.LBB55_2077:
	s_andn2_b64 vcc, exec, s[0:1]
	s_cbranch_vccnz .LBB55_2079
; %bb.2078:
	s_waitcnt vmcnt(0)
	v_cvt_f32_i32_e32 v3, v2
	global_store_dword v[0:1], v3, off
.LBB55_2079:
	s_mov_b64 s[0:1], 0
.LBB55_2080:
	s_andn2_b64 vcc, exec, s[0:1]
	s_cbranch_vccnz .LBB55_2082
; %bb.2081:
	s_waitcnt vmcnt(0)
	v_cvt_f32_i32_e32 v3, v2
	v_cvt_f16_f32_e32 v3, v3
	global_store_short v[0:1], v3, off
.LBB55_2082:
	s_mov_b64 s[0:1], 0
.LBB55_2083:
	s_andn2_b64 vcc, exec, s[0:1]
	s_cbranch_vccnz .LBB55_2099
; %bb.2084:
	s_sext_i32_i16 s2, s18
	s_cmp_lt_i32 s2, 2
	s_mov_b64 s[0:1], -1
	s_cbranch_scc1 .LBB55_2094
; %bb.2085:
	s_cmp_lt_i32 s2, 3
	s_cbranch_scc1 .LBB55_2091
; %bb.2086:
	s_cmp_gt_i32 s2, 3
	s_cbranch_scc0 .LBB55_2088
; %bb.2087:
	s_waitcnt vmcnt(0)
	v_ashrrev_i32_e32 v3, 31, v2
	global_store_dwordx2 v[0:1], v[2:3], off
	s_mov_b64 s[0:1], 0
.LBB55_2088:
	s_andn2_b64 vcc, exec, s[0:1]
	s_cbranch_vccnz .LBB55_2090
; %bb.2089:
	s_waitcnt vmcnt(0)
	global_store_dword v[0:1], v2, off
.LBB55_2090:
	s_mov_b64 s[0:1], 0
.LBB55_2091:
	s_andn2_b64 vcc, exec, s[0:1]
	s_cbranch_vccnz .LBB55_2093
; %bb.2092:
	s_waitcnt vmcnt(0)
	global_store_short v[0:1], v2, off
.LBB55_2093:
	s_mov_b64 s[0:1], 0
.LBB55_2094:
	s_andn2_b64 vcc, exec, s[0:1]
	s_cbranch_vccnz .LBB55_2099
; %bb.2095:
	s_sext_i32_i16 s0, s18
	s_cmp_gt_i32 s0, 0
	s_mov_b64 s[0:1], -1
	s_cbranch_scc0 .LBB55_2097
; %bb.2096:
	s_waitcnt vmcnt(0)
	global_store_byte v[0:1], v2, off
	s_mov_b64 s[0:1], 0
.LBB55_2097:
	s_andn2_b64 vcc, exec, s[0:1]
	s_cbranch_vccnz .LBB55_2099
; %bb.2098:
	s_waitcnt vmcnt(0)
	global_store_byte v[0:1], v2, off
	s_endpgm
.LBB55_2099:
	s_endpgm
.LBB55_2100:
	s_mov_b64 s[2:3], 0
	s_mov_b64 s[0:1], -1
	s_branch .LBB55_2056
.LBB55_2101:
	s_trap 2
	s_or_b64 s[12:13], s[12:13], exec
	s_cbranch_execz .LBB55_1570
	s_branch .LBB55_1571
.LBB55_2102:
	s_andn2_saveexec_b64 s[16:17], s[16:17]
	s_cbranch_execz .LBB55_1650
.LBB55_2103:
	s_mov_b32 s19, 0x46000000
	v_add_f32_e64 v10, |v6|, s19
	v_and_b32_e32 v10, 0xff, v10
	v_cmp_ne_u32_e32 vcc, 0, v10
	s_andn2_b64 s[14:15], s[14:15], exec
	s_and_b64 s[20:21], vcc, exec
	s_or_b64 s[14:15], s[14:15], s[20:21]
	s_or_b64 exec, exec, s[16:17]
	v_mov_b32_e32 v11, 0
	s_and_saveexec_b64 s[16:17], s[14:15]
	s_cbranch_execnz .LBB55_1651
	s_branch .LBB55_1652
.LBB55_2104:
	s_trap 2
	s_or_b64 s[12:13], s[12:13], exec
	s_cbranch_execz .LBB55_1698
	s_branch .LBB55_1699
.LBB55_2105:
	s_andn2_saveexec_b64 s[14:15], s[14:15]
	s_cbranch_execz .LBB55_1663
.LBB55_2106:
	s_mov_b32 s16, 0x42800000
	v_add_f32_e64 v10, |v6|, s16
	v_and_b32_e32 v10, 0xff, v10
	v_cmp_ne_u32_e32 vcc, 0, v10
	s_andn2_b64 s[10:11], s[10:11], exec
	s_and_b64 s[16:17], vcc, exec
	s_or_b64 s[10:11], s[10:11], s[16:17]
	s_or_b64 exec, exec, s[14:15]
	v_mov_b32_e32 v11, 0
	s_and_saveexec_b64 s[14:15], s[10:11]
	s_cbranch_execnz .LBB55_1664
	s_branch .LBB55_1665
.LBB55_2107:
	s_andn2_saveexec_b64 s[16:17], s[16:17]
	s_cbranch_execz .LBB55_1769
.LBB55_2108:
	s_mov_b32 s4, 0x46000000
	v_add_f32_e64 v7, |v4|, s4
	v_and_b32_e32 v7, 0xff, v7
	v_cmp_ne_u32_e32 vcc, 0, v7
	s_andn2_b64 s[14:15], s[14:15], exec
	s_and_b64 s[20:21], vcc, exec
	s_or_b64 s[14:15], s[14:15], s[20:21]
	s_or_b64 exec, exec, s[16:17]
	v_mov_b32_e32 v8, 0
	s_and_saveexec_b64 s[16:17], s[14:15]
	s_cbranch_execnz .LBB55_1770
	s_branch .LBB55_1771
.LBB55_2109:
	s_trap 2
	s_or_b64 s[12:13], s[12:13], exec
	s_cbranch_execz .LBB55_1817
	s_branch .LBB55_1818
.LBB55_2110:
	s_andn2_saveexec_b64 s[14:15], s[14:15]
	s_cbranch_execz .LBB55_1782
.LBB55_2111:
	s_mov_b32 s4, 0x42800000
	v_add_f32_e64 v7, |v4|, s4
	v_and_b32_e32 v7, 0xff, v7
	v_cmp_ne_u32_e32 vcc, 0, v7
	s_andn2_b64 s[10:11], s[10:11], exec
	s_and_b64 s[16:17], vcc, exec
	s_or_b64 s[10:11], s[10:11], s[16:17]
	s_or_b64 exec, exec, s[14:15]
	v_mov_b32_e32 v8, 0
	s_and_saveexec_b64 s[14:15], s[10:11]
	s_cbranch_execnz .LBB55_1783
	s_branch .LBB55_1784
.LBB55_2112:
	s_andn2_saveexec_b64 s[16:17], s[16:17]
	s_cbranch_execz .LBB55_1888
.LBB55_2113:
	s_mov_b32 s4, 0x46000000
	v_add_f32_e64 v5, |v2|, s4
	v_and_b32_e32 v5, 0xff, v5
	v_cmp_ne_u32_e32 vcc, 0, v5
	s_andn2_b64 s[14:15], s[14:15], exec
	s_and_b64 s[20:21], vcc, exec
	s_or_b64 s[14:15], s[14:15], s[20:21]
	s_or_b64 exec, exec, s[16:17]
	v_mov_b32_e32 v6, 0
	s_and_saveexec_b64 s[16:17], s[14:15]
	s_cbranch_execnz .LBB55_1889
	s_branch .LBB55_1890
.LBB55_2114:
	s_trap 2
	s_or_b64 s[12:13], s[12:13], exec
	s_cbranch_execz .LBB55_1936
	s_branch .LBB55_1937
.LBB55_2115:
	s_andn2_saveexec_b64 s[14:15], s[14:15]
	s_cbranch_execz .LBB55_1901
.LBB55_2116:
	s_mov_b32 s4, 0x42800000
	v_add_f32_e64 v5, |v2|, s4
	v_and_b32_e32 v5, 0xff, v5
	v_cmp_ne_u32_e32 vcc, 0, v5
	s_andn2_b64 s[10:11], s[10:11], exec
	s_and_b64 s[16:17], vcc, exec
	s_or_b64 s[10:11], s[10:11], s[16:17]
	s_or_b64 exec, exec, s[14:15]
	v_mov_b32_e32 v6, 0
	s_and_saveexec_b64 s[14:15], s[10:11]
	s_cbranch_execnz .LBB55_1902
	s_branch .LBB55_1903
.LBB55_2117:
	s_andn2_saveexec_b64 s[8:9], s[8:9]
	s_cbranch_execz .LBB55_2008
.LBB55_2118:
	s_mov_b32 s10, 0x46000000
	v_add_f32_e64 v4, |v3|, s10
	v_and_b32_e32 v4, 0xff, v4
	v_cmp_ne_u32_e32 vcc, 0, v4
	s_andn2_b64 s[6:7], s[6:7], exec
	s_and_b64 s[10:11], vcc, exec
	s_or_b64 s[6:7], s[6:7], s[10:11]
	s_or_b64 exec, exec, s[8:9]
	v_mov_b32_e32 v5, 0
	s_and_saveexec_b64 s[8:9], s[6:7]
	s_cbranch_execnz .LBB55_2009
	s_branch .LBB55_2010
.LBB55_2119:
	s_mov_b64 s[2:3], 0
	s_or_b64 s[12:13], s[12:13], exec
	s_trap 2
	s_branch .LBB55_2054
.LBB55_2120:
	s_andn2_saveexec_b64 s[6:7], s[6:7]
	s_cbranch_execz .LBB55_2020
.LBB55_2121:
	s_mov_b32 s8, 0x42800000
	v_add_f32_e64 v4, |v3|, s8
	v_and_b32_e32 v4, 0xff, v4
	v_cmp_ne_u32_e32 vcc, 0, v4
	s_andn2_b64 s[4:5], s[4:5], exec
	s_and_b64 s[8:9], vcc, exec
	s_or_b64 s[4:5], s[4:5], s[8:9]
	s_or_b64 exec, exec, s[6:7]
	v_mov_b32_e32 v5, 0
	s_and_saveexec_b64 s[6:7], s[4:5]
	s_cbranch_execnz .LBB55_2021
	s_branch .LBB55_2022
	.section	.rodata,"a",@progbits
	.p2align	6, 0x0
	.amdhsa_kernel _ZN2at6native32elementwise_kernel_manual_unrollILi128ELi4EZNS0_15gpu_kernel_implINS0_13AUnaryFunctorIiiiZNS0_12_GLOBAL__N_121threshold_kernel_implIiEEvRNS_18TensorIteratorBaseET_S8_EUliiE_EEEEvS7_RKS8_EUlibE0_EEviT1_
		.amdhsa_group_segment_fixed_size 0
		.amdhsa_private_segment_fixed_size 0
		.amdhsa_kernarg_size 368
		.amdhsa_user_sgpr_count 6
		.amdhsa_user_sgpr_private_segment_buffer 1
		.amdhsa_user_sgpr_dispatch_ptr 0
		.amdhsa_user_sgpr_queue_ptr 0
		.amdhsa_user_sgpr_kernarg_segment_ptr 1
		.amdhsa_user_sgpr_dispatch_id 0
		.amdhsa_user_sgpr_flat_scratch_init 0
		.amdhsa_user_sgpr_private_segment_size 0
		.amdhsa_uses_dynamic_stack 0
		.amdhsa_system_sgpr_private_segment_wavefront_offset 0
		.amdhsa_system_sgpr_workgroup_id_x 1
		.amdhsa_system_sgpr_workgroup_id_y 0
		.amdhsa_system_sgpr_workgroup_id_z 0
		.amdhsa_system_sgpr_workgroup_info 0
		.amdhsa_system_vgpr_workitem_id 0
		.amdhsa_next_free_vgpr 18
		.amdhsa_next_free_sgpr 81
		.amdhsa_reserve_vcc 1
		.amdhsa_reserve_flat_scratch 0
		.amdhsa_float_round_mode_32 0
		.amdhsa_float_round_mode_16_64 0
		.amdhsa_float_denorm_mode_32 3
		.amdhsa_float_denorm_mode_16_64 3
		.amdhsa_dx10_clamp 1
		.amdhsa_ieee_mode 1
		.amdhsa_fp16_overflow 0
		.amdhsa_exception_fp_ieee_invalid_op 0
		.amdhsa_exception_fp_denorm_src 0
		.amdhsa_exception_fp_ieee_div_zero 0
		.amdhsa_exception_fp_ieee_overflow 0
		.amdhsa_exception_fp_ieee_underflow 0
		.amdhsa_exception_fp_ieee_inexact 0
		.amdhsa_exception_int_div_zero 0
	.end_amdhsa_kernel
	.section	.text._ZN2at6native32elementwise_kernel_manual_unrollILi128ELi4EZNS0_15gpu_kernel_implINS0_13AUnaryFunctorIiiiZNS0_12_GLOBAL__N_121threshold_kernel_implIiEEvRNS_18TensorIteratorBaseET_S8_EUliiE_EEEEvS7_RKS8_EUlibE0_EEviT1_,"axG",@progbits,_ZN2at6native32elementwise_kernel_manual_unrollILi128ELi4EZNS0_15gpu_kernel_implINS0_13AUnaryFunctorIiiiZNS0_12_GLOBAL__N_121threshold_kernel_implIiEEvRNS_18TensorIteratorBaseET_S8_EUliiE_EEEEvS7_RKS8_EUlibE0_EEviT1_,comdat
.Lfunc_end55:
	.size	_ZN2at6native32elementwise_kernel_manual_unrollILi128ELi4EZNS0_15gpu_kernel_implINS0_13AUnaryFunctorIiiiZNS0_12_GLOBAL__N_121threshold_kernel_implIiEEvRNS_18TensorIteratorBaseET_S8_EUliiE_EEEEvS7_RKS8_EUlibE0_EEviT1_, .Lfunc_end55-_ZN2at6native32elementwise_kernel_manual_unrollILi128ELi4EZNS0_15gpu_kernel_implINS0_13AUnaryFunctorIiiiZNS0_12_GLOBAL__N_121threshold_kernel_implIiEEvRNS_18TensorIteratorBaseET_S8_EUliiE_EEEEvS7_RKS8_EUlibE0_EEviT1_
                                        ; -- End function
	.set _ZN2at6native32elementwise_kernel_manual_unrollILi128ELi4EZNS0_15gpu_kernel_implINS0_13AUnaryFunctorIiiiZNS0_12_GLOBAL__N_121threshold_kernel_implIiEEvRNS_18TensorIteratorBaseET_S8_EUliiE_EEEEvS7_RKS8_EUlibE0_EEviT1_.num_vgpr, 18
	.set _ZN2at6native32elementwise_kernel_manual_unrollILi128ELi4EZNS0_15gpu_kernel_implINS0_13AUnaryFunctorIiiiZNS0_12_GLOBAL__N_121threshold_kernel_implIiEEvRNS_18TensorIteratorBaseET_S8_EUliiE_EEEEvS7_RKS8_EUlibE0_EEviT1_.num_agpr, 0
	.set _ZN2at6native32elementwise_kernel_manual_unrollILi128ELi4EZNS0_15gpu_kernel_implINS0_13AUnaryFunctorIiiiZNS0_12_GLOBAL__N_121threshold_kernel_implIiEEvRNS_18TensorIteratorBaseET_S8_EUliiE_EEEEvS7_RKS8_EUlibE0_EEviT1_.numbered_sgpr, 81
	.set _ZN2at6native32elementwise_kernel_manual_unrollILi128ELi4EZNS0_15gpu_kernel_implINS0_13AUnaryFunctorIiiiZNS0_12_GLOBAL__N_121threshold_kernel_implIiEEvRNS_18TensorIteratorBaseET_S8_EUliiE_EEEEvS7_RKS8_EUlibE0_EEviT1_.num_named_barrier, 0
	.set _ZN2at6native32elementwise_kernel_manual_unrollILi128ELi4EZNS0_15gpu_kernel_implINS0_13AUnaryFunctorIiiiZNS0_12_GLOBAL__N_121threshold_kernel_implIiEEvRNS_18TensorIteratorBaseET_S8_EUliiE_EEEEvS7_RKS8_EUlibE0_EEviT1_.private_seg_size, 0
	.set _ZN2at6native32elementwise_kernel_manual_unrollILi128ELi4EZNS0_15gpu_kernel_implINS0_13AUnaryFunctorIiiiZNS0_12_GLOBAL__N_121threshold_kernel_implIiEEvRNS_18TensorIteratorBaseET_S8_EUliiE_EEEEvS7_RKS8_EUlibE0_EEviT1_.uses_vcc, 1
	.set _ZN2at6native32elementwise_kernel_manual_unrollILi128ELi4EZNS0_15gpu_kernel_implINS0_13AUnaryFunctorIiiiZNS0_12_GLOBAL__N_121threshold_kernel_implIiEEvRNS_18TensorIteratorBaseET_S8_EUliiE_EEEEvS7_RKS8_EUlibE0_EEviT1_.uses_flat_scratch, 0
	.set _ZN2at6native32elementwise_kernel_manual_unrollILi128ELi4EZNS0_15gpu_kernel_implINS0_13AUnaryFunctorIiiiZNS0_12_GLOBAL__N_121threshold_kernel_implIiEEvRNS_18TensorIteratorBaseET_S8_EUliiE_EEEEvS7_RKS8_EUlibE0_EEviT1_.has_dyn_sized_stack, 0
	.set _ZN2at6native32elementwise_kernel_manual_unrollILi128ELi4EZNS0_15gpu_kernel_implINS0_13AUnaryFunctorIiiiZNS0_12_GLOBAL__N_121threshold_kernel_implIiEEvRNS_18TensorIteratorBaseET_S8_EUliiE_EEEEvS7_RKS8_EUlibE0_EEviT1_.has_recursion, 0
	.set _ZN2at6native32elementwise_kernel_manual_unrollILi128ELi4EZNS0_15gpu_kernel_implINS0_13AUnaryFunctorIiiiZNS0_12_GLOBAL__N_121threshold_kernel_implIiEEvRNS_18TensorIteratorBaseET_S8_EUliiE_EEEEvS7_RKS8_EUlibE0_EEviT1_.has_indirect_call, 0
	.section	.AMDGPU.csdata,"",@progbits
; Kernel info:
; codeLenInByte = 34672
; TotalNumSgprs: 85
; NumVgprs: 18
; ScratchSize: 0
; MemoryBound: 1
; FloatMode: 240
; IeeeMode: 1
; LDSByteSize: 0 bytes/workgroup (compile time only)
; SGPRBlocks: 10
; VGPRBlocks: 4
; NumSGPRsForWavesPerEU: 85
; NumVGPRsForWavesPerEU: 18
; Occupancy: 9
; WaveLimiterHint : 1
; COMPUTE_PGM_RSRC2:SCRATCH_EN: 0
; COMPUTE_PGM_RSRC2:USER_SGPR: 6
; COMPUTE_PGM_RSRC2:TRAP_HANDLER: 0
; COMPUTE_PGM_RSRC2:TGID_X_EN: 1
; COMPUTE_PGM_RSRC2:TGID_Y_EN: 0
; COMPUTE_PGM_RSRC2:TGID_Z_EN: 0
; COMPUTE_PGM_RSRC2:TIDIG_COMP_CNT: 0
	.section	.text._ZN2at6native29vectorized_elementwise_kernelILi16ENS0_13BUnaryFunctorIiiiZNS0_12_GLOBAL__N_121threshold_kernel_implIiEEvRNS_18TensorIteratorBaseET_S7_EUliiE_EESt5arrayIPcLm2EEEEviT0_T1_,"axG",@progbits,_ZN2at6native29vectorized_elementwise_kernelILi16ENS0_13BUnaryFunctorIiiiZNS0_12_GLOBAL__N_121threshold_kernel_implIiEEvRNS_18TensorIteratorBaseET_S7_EUliiE_EESt5arrayIPcLm2EEEEviT0_T1_,comdat
	.globl	_ZN2at6native29vectorized_elementwise_kernelILi16ENS0_13BUnaryFunctorIiiiZNS0_12_GLOBAL__N_121threshold_kernel_implIiEEvRNS_18TensorIteratorBaseET_S7_EUliiE_EESt5arrayIPcLm2EEEEviT0_T1_ ; -- Begin function _ZN2at6native29vectorized_elementwise_kernelILi16ENS0_13BUnaryFunctorIiiiZNS0_12_GLOBAL__N_121threshold_kernel_implIiEEvRNS_18TensorIteratorBaseET_S7_EUliiE_EESt5arrayIPcLm2EEEEviT0_T1_
	.p2align	8
	.type	_ZN2at6native29vectorized_elementwise_kernelILi16ENS0_13BUnaryFunctorIiiiZNS0_12_GLOBAL__N_121threshold_kernel_implIiEEvRNS_18TensorIteratorBaseET_S7_EUliiE_EESt5arrayIPcLm2EEEEviT0_T1_,@function
_ZN2at6native29vectorized_elementwise_kernelILi16ENS0_13BUnaryFunctorIiiiZNS0_12_GLOBAL__N_121threshold_kernel_implIiEEvRNS_18TensorIteratorBaseET_S7_EUliiE_EESt5arrayIPcLm2EEEEviT0_T1_: ; @_ZN2at6native29vectorized_elementwise_kernelILi16ENS0_13BUnaryFunctorIiiiZNS0_12_GLOBAL__N_121threshold_kernel_implIiEEvRNS_18TensorIteratorBaseET_S7_EUliiE_EESt5arrayIPcLm2EEEEviT0_T1_
; %bb.0:
	s_load_dwordx8 s[8:15], s[4:5], 0x0
	s_lshl_b32 s2, s6, 10
	s_mov_b64 s[0:1], -1
	s_waitcnt lgkmcnt(0)
	s_sub_i32 s8, s8, s2
	s_cmpk_gt_i32 s8, 0x3ff
	s_cbranch_scc0 .LBB56_2
; %bb.1:
	s_ashr_i32 s3, s2, 31
	s_lshl_b64 s[0:1], s[2:3], 2
	s_add_u32 s4, s14, s0
	s_addc_u32 s5, s15, s1
	v_lshlrev_b32_e32 v5, 4, v0
	global_load_dwordx4 v[1:4], v5, s[4:5]
	v_mov_b32_e32 v6, s10
	v_mov_b32_e32 v7, s11
	s_add_u32 s0, s12, s0
	s_addc_u32 s1, s13, s1
	s_waitcnt vmcnt(0)
	v_cmp_lt_i32_e32 vcc, s9, v1
	v_cndmask_b32_e32 v1, v6, v7, vcc
	v_cmp_lt_i32_e32 vcc, s9, v2
	v_cndmask_b32_e32 v2, v6, v7, vcc
	;; [unrolled: 2-line block ×4, first 2 shown]
	global_store_dwordx4 v5, v[1:4], s[0:1]
	s_mov_b64 s[0:1], 0
.LBB56_2:
	s_andn2_b64 vcc, exec, s[0:1]
	s_cbranch_vccnz .LBB56_16
; %bb.3:
	v_cmp_gt_i32_e32 vcc, s8, v0
	v_or_b32_e32 v6, 0x100, v0
	v_mov_b32_e32 v8, 0
	v_or_b32_e32 v1, s2, v0
	v_mov_b32_e32 v3, 0
	v_mov_b32_e32 v2, 0
	;; [unrolled: 1-line block ×3, first 2 shown]
	s_and_saveexec_b64 s[4:5], vcc
	s_cbranch_execz .LBB56_11
; %bb.4:
	v_mov_b32_e32 v2, 0
	v_lshlrev_b64 v[3:4], 2, v[1:2]
	v_mov_b32_e32 v5, s15
	v_add_co_u32_e64 v3, s[0:1], s14, v3
	v_addc_co_u32_e64 v4, s[0:1], v5, v4, s[0:1]
	global_load_dword v7, v[3:4], off
	v_cmp_gt_u32_e64 s[0:1], s8, v6
	v_mov_b32_e32 v3, v2
	v_mov_b32_e32 v8, v2
	s_and_saveexec_b64 s[6:7], s[0:1]
	s_cbranch_execz .LBB56_10
; %bb.5:
	v_add_u32_e32 v2, s2, v0
	v_mov_b32_e32 v3, 0
	v_lshlrev_b64 v[4:5], 2, v[2:3]
	v_mov_b32_e32 v2, s15
	v_add_co_u32_e64 v4, s[0:1], s14, v4
	v_addc_co_u32_e64 v5, s[0:1], v2, v5, s[0:1]
	global_load_dword v2, v[4:5], off offset:1024
	v_or_b32_e32 v8, 0x200, v0
	v_cmp_gt_u32_e64 s[0:1], s8, v8
	v_mov_b32_e32 v8, v3
	s_and_saveexec_b64 s[14:15], s[0:1]
	s_cbranch_execz .LBB56_9
; %bb.6:
	global_load_dword v3, v[4:5], off offset:2048
	v_or_b32_e32 v8, 0x300, v0
	v_cmp_gt_u32_e64 s[0:1], s8, v8
	v_mov_b32_e32 v8, 0
	s_and_saveexec_b64 s[16:17], s[0:1]
	s_cbranch_execz .LBB56_8
; %bb.7:
	global_load_dword v8, v[4:5], off offset:3072
.LBB56_8:
	s_or_b64 exec, exec, s[16:17]
.LBB56_9:
	s_or_b64 exec, exec, s[14:15]
.LBB56_10:
	s_or_b64 exec, exec, s[6:7]
.LBB56_11:
	s_or_b64 exec, exec, s[4:5]
	v_mov_b32_e32 v9, s10
	v_mov_b32_e32 v10, s11
	s_waitcnt vmcnt(0)
	v_cmp_lt_i32_e64 s[0:1], s9, v7
	v_cndmask_b32_e64 v4, v9, v10, s[0:1]
	v_cmp_lt_i32_e64 s[0:1], s9, v2
	v_cndmask_b32_e64 v2, v9, v10, s[0:1]
	v_cmp_gt_i32_e64 s[0:1], s8, v6
	v_cndmask_b32_e64 v5, 0, v2, s[0:1]
	v_or_b32_e32 v2, 0x200, v0
	v_cmp_lt_i32_e64 s[0:1], s9, v3
	v_cndmask_b32_e64 v3, v9, v10, s[0:1]
	v_cmp_gt_i32_e64 s[0:1], s8, v2
	v_cndmask_b32_e32 v7, 0, v4, vcc
	v_cndmask_b32_e64 v4, 0, v3, s[0:1]
	v_or_b32_e32 v2, 0x300, v0
	v_cmp_lt_i32_e64 s[0:1], s9, v8
	v_cndmask_b32_e64 v3, v9, v10, s[0:1]
	v_cmp_gt_i32_e64 s[0:1], s8, v2
	v_cndmask_b32_e64 v3, 0, v3, s[0:1]
	s_and_saveexec_b64 s[0:1], vcc
	s_cbranch_execnz .LBB56_17
; %bb.12:
	s_or_b64 exec, exec, s[0:1]
	v_cmp_gt_i32_e32 vcc, s8, v0
	s_and_saveexec_b64 s[0:1], vcc
	s_cbranch_execnz .LBB56_18
.LBB56_13:
	s_or_b64 exec, exec, s[0:1]
	v_cmp_gt_i32_e32 vcc, s8, v0
	s_and_saveexec_b64 s[0:1], vcc
	s_cbranch_execnz .LBB56_19
.LBB56_14:
	s_or_b64 exec, exec, s[0:1]
	v_cmp_gt_i32_e32 vcc, s8, v0
	s_and_saveexec_b64 s[0:1], vcc
	s_cbranch_execz .LBB56_16
.LBB56_15:
	v_add_u32_e32 v0, s2, v0
	v_mov_b32_e32 v1, 0
	v_lshlrev_b64 v[0:1], 2, v[0:1]
	v_mov_b32_e32 v2, s13
	v_add_co_u32_e32 v0, vcc, s12, v0
	v_addc_co_u32_e32 v1, vcc, v2, v1, vcc
	global_store_dword v[0:1], v3, off
.LBB56_16:
	s_endpgm
.LBB56_17:
	v_mov_b32_e32 v2, 0
	v_lshlrev_b64 v[0:1], 2, v[1:2]
	v_mov_b32_e32 v2, s13
	v_add_co_u32_e32 v0, vcc, s12, v0
	v_addc_co_u32_e32 v1, vcc, v2, v1, vcc
	global_store_dword v[0:1], v7, off
	v_mov_b32_e32 v0, v6
	s_or_b64 exec, exec, s[0:1]
	v_cmp_gt_i32_e32 vcc, s8, v0
	s_and_saveexec_b64 s[0:1], vcc
	s_cbranch_execz .LBB56_13
.LBB56_18:
	v_add_u32_e32 v1, s2, v0
	v_mov_b32_e32 v2, 0
	v_lshlrev_b64 v[1:2], 2, v[1:2]
	v_mov_b32_e32 v6, s13
	v_add_co_u32_e32 v1, vcc, s12, v1
	v_addc_co_u32_e32 v2, vcc, v6, v2, vcc
	v_add_u32_e32 v0, 0x100, v0
	global_store_dword v[1:2], v5, off
	s_or_b64 exec, exec, s[0:1]
	v_cmp_gt_i32_e32 vcc, s8, v0
	s_and_saveexec_b64 s[0:1], vcc
	s_cbranch_execz .LBB56_14
.LBB56_19:
	v_add_u32_e32 v1, s2, v0
	v_mov_b32_e32 v2, 0
	v_lshlrev_b64 v[1:2], 2, v[1:2]
	v_mov_b32_e32 v5, s13
	v_add_co_u32_e32 v1, vcc, s12, v1
	v_addc_co_u32_e32 v2, vcc, v5, v2, vcc
	v_add_u32_e32 v0, 0x100, v0
	global_store_dword v[1:2], v4, off
	s_or_b64 exec, exec, s[0:1]
	v_cmp_gt_i32_e32 vcc, s8, v0
	s_and_saveexec_b64 s[0:1], vcc
	s_cbranch_execnz .LBB56_15
	s_branch .LBB56_16
	.section	.rodata,"a",@progbits
	.p2align	6, 0x0
	.amdhsa_kernel _ZN2at6native29vectorized_elementwise_kernelILi16ENS0_13BUnaryFunctorIiiiZNS0_12_GLOBAL__N_121threshold_kernel_implIiEEvRNS_18TensorIteratorBaseET_S7_EUliiE_EESt5arrayIPcLm2EEEEviT0_T1_
		.amdhsa_group_segment_fixed_size 0
		.amdhsa_private_segment_fixed_size 0
		.amdhsa_kernarg_size 32
		.amdhsa_user_sgpr_count 6
		.amdhsa_user_sgpr_private_segment_buffer 1
		.amdhsa_user_sgpr_dispatch_ptr 0
		.amdhsa_user_sgpr_queue_ptr 0
		.amdhsa_user_sgpr_kernarg_segment_ptr 1
		.amdhsa_user_sgpr_dispatch_id 0
		.amdhsa_user_sgpr_flat_scratch_init 0
		.amdhsa_user_sgpr_private_segment_size 0
		.amdhsa_uses_dynamic_stack 0
		.amdhsa_system_sgpr_private_segment_wavefront_offset 0
		.amdhsa_system_sgpr_workgroup_id_x 1
		.amdhsa_system_sgpr_workgroup_id_y 0
		.amdhsa_system_sgpr_workgroup_id_z 0
		.amdhsa_system_sgpr_workgroup_info 0
		.amdhsa_system_vgpr_workitem_id 0
		.amdhsa_next_free_vgpr 11
		.amdhsa_next_free_sgpr 18
		.amdhsa_reserve_vcc 1
		.amdhsa_reserve_flat_scratch 0
		.amdhsa_float_round_mode_32 0
		.amdhsa_float_round_mode_16_64 0
		.amdhsa_float_denorm_mode_32 3
		.amdhsa_float_denorm_mode_16_64 3
		.amdhsa_dx10_clamp 1
		.amdhsa_ieee_mode 1
		.amdhsa_fp16_overflow 0
		.amdhsa_exception_fp_ieee_invalid_op 0
		.amdhsa_exception_fp_denorm_src 0
		.amdhsa_exception_fp_ieee_div_zero 0
		.amdhsa_exception_fp_ieee_overflow 0
		.amdhsa_exception_fp_ieee_underflow 0
		.amdhsa_exception_fp_ieee_inexact 0
		.amdhsa_exception_int_div_zero 0
	.end_amdhsa_kernel
	.section	.text._ZN2at6native29vectorized_elementwise_kernelILi16ENS0_13BUnaryFunctorIiiiZNS0_12_GLOBAL__N_121threshold_kernel_implIiEEvRNS_18TensorIteratorBaseET_S7_EUliiE_EESt5arrayIPcLm2EEEEviT0_T1_,"axG",@progbits,_ZN2at6native29vectorized_elementwise_kernelILi16ENS0_13BUnaryFunctorIiiiZNS0_12_GLOBAL__N_121threshold_kernel_implIiEEvRNS_18TensorIteratorBaseET_S7_EUliiE_EESt5arrayIPcLm2EEEEviT0_T1_,comdat
.Lfunc_end56:
	.size	_ZN2at6native29vectorized_elementwise_kernelILi16ENS0_13BUnaryFunctorIiiiZNS0_12_GLOBAL__N_121threshold_kernel_implIiEEvRNS_18TensorIteratorBaseET_S7_EUliiE_EESt5arrayIPcLm2EEEEviT0_T1_, .Lfunc_end56-_ZN2at6native29vectorized_elementwise_kernelILi16ENS0_13BUnaryFunctorIiiiZNS0_12_GLOBAL__N_121threshold_kernel_implIiEEvRNS_18TensorIteratorBaseET_S7_EUliiE_EESt5arrayIPcLm2EEEEviT0_T1_
                                        ; -- End function
	.set _ZN2at6native29vectorized_elementwise_kernelILi16ENS0_13BUnaryFunctorIiiiZNS0_12_GLOBAL__N_121threshold_kernel_implIiEEvRNS_18TensorIteratorBaseET_S7_EUliiE_EESt5arrayIPcLm2EEEEviT0_T1_.num_vgpr, 11
	.set _ZN2at6native29vectorized_elementwise_kernelILi16ENS0_13BUnaryFunctorIiiiZNS0_12_GLOBAL__N_121threshold_kernel_implIiEEvRNS_18TensorIteratorBaseET_S7_EUliiE_EESt5arrayIPcLm2EEEEviT0_T1_.num_agpr, 0
	.set _ZN2at6native29vectorized_elementwise_kernelILi16ENS0_13BUnaryFunctorIiiiZNS0_12_GLOBAL__N_121threshold_kernel_implIiEEvRNS_18TensorIteratorBaseET_S7_EUliiE_EESt5arrayIPcLm2EEEEviT0_T1_.numbered_sgpr, 18
	.set _ZN2at6native29vectorized_elementwise_kernelILi16ENS0_13BUnaryFunctorIiiiZNS0_12_GLOBAL__N_121threshold_kernel_implIiEEvRNS_18TensorIteratorBaseET_S7_EUliiE_EESt5arrayIPcLm2EEEEviT0_T1_.num_named_barrier, 0
	.set _ZN2at6native29vectorized_elementwise_kernelILi16ENS0_13BUnaryFunctorIiiiZNS0_12_GLOBAL__N_121threshold_kernel_implIiEEvRNS_18TensorIteratorBaseET_S7_EUliiE_EESt5arrayIPcLm2EEEEviT0_T1_.private_seg_size, 0
	.set _ZN2at6native29vectorized_elementwise_kernelILi16ENS0_13BUnaryFunctorIiiiZNS0_12_GLOBAL__N_121threshold_kernel_implIiEEvRNS_18TensorIteratorBaseET_S7_EUliiE_EESt5arrayIPcLm2EEEEviT0_T1_.uses_vcc, 1
	.set _ZN2at6native29vectorized_elementwise_kernelILi16ENS0_13BUnaryFunctorIiiiZNS0_12_GLOBAL__N_121threshold_kernel_implIiEEvRNS_18TensorIteratorBaseET_S7_EUliiE_EESt5arrayIPcLm2EEEEviT0_T1_.uses_flat_scratch, 0
	.set _ZN2at6native29vectorized_elementwise_kernelILi16ENS0_13BUnaryFunctorIiiiZNS0_12_GLOBAL__N_121threshold_kernel_implIiEEvRNS_18TensorIteratorBaseET_S7_EUliiE_EESt5arrayIPcLm2EEEEviT0_T1_.has_dyn_sized_stack, 0
	.set _ZN2at6native29vectorized_elementwise_kernelILi16ENS0_13BUnaryFunctorIiiiZNS0_12_GLOBAL__N_121threshold_kernel_implIiEEvRNS_18TensorIteratorBaseET_S7_EUliiE_EESt5arrayIPcLm2EEEEviT0_T1_.has_recursion, 0
	.set _ZN2at6native29vectorized_elementwise_kernelILi16ENS0_13BUnaryFunctorIiiiZNS0_12_GLOBAL__N_121threshold_kernel_implIiEEvRNS_18TensorIteratorBaseET_S7_EUliiE_EESt5arrayIPcLm2EEEEviT0_T1_.has_indirect_call, 0
	.section	.AMDGPU.csdata,"",@progbits
; Kernel info:
; codeLenInByte = 784
; TotalNumSgprs: 22
; NumVgprs: 11
; ScratchSize: 0
; MemoryBound: 0
; FloatMode: 240
; IeeeMode: 1
; LDSByteSize: 0 bytes/workgroup (compile time only)
; SGPRBlocks: 2
; VGPRBlocks: 2
; NumSGPRsForWavesPerEU: 22
; NumVGPRsForWavesPerEU: 11
; Occupancy: 10
; WaveLimiterHint : 0
; COMPUTE_PGM_RSRC2:SCRATCH_EN: 0
; COMPUTE_PGM_RSRC2:USER_SGPR: 6
; COMPUTE_PGM_RSRC2:TRAP_HANDLER: 0
; COMPUTE_PGM_RSRC2:TGID_X_EN: 1
; COMPUTE_PGM_RSRC2:TGID_Y_EN: 0
; COMPUTE_PGM_RSRC2:TGID_Z_EN: 0
; COMPUTE_PGM_RSRC2:TIDIG_COMP_CNT: 0
	.section	.text._ZN2at6native29vectorized_elementwise_kernelILi8ENS0_13BUnaryFunctorIiiiZNS0_12_GLOBAL__N_121threshold_kernel_implIiEEvRNS_18TensorIteratorBaseET_S7_EUliiE_EESt5arrayIPcLm2EEEEviT0_T1_,"axG",@progbits,_ZN2at6native29vectorized_elementwise_kernelILi8ENS0_13BUnaryFunctorIiiiZNS0_12_GLOBAL__N_121threshold_kernel_implIiEEvRNS_18TensorIteratorBaseET_S7_EUliiE_EESt5arrayIPcLm2EEEEviT0_T1_,comdat
	.globl	_ZN2at6native29vectorized_elementwise_kernelILi8ENS0_13BUnaryFunctorIiiiZNS0_12_GLOBAL__N_121threshold_kernel_implIiEEvRNS_18TensorIteratorBaseET_S7_EUliiE_EESt5arrayIPcLm2EEEEviT0_T1_ ; -- Begin function _ZN2at6native29vectorized_elementwise_kernelILi8ENS0_13BUnaryFunctorIiiiZNS0_12_GLOBAL__N_121threshold_kernel_implIiEEvRNS_18TensorIteratorBaseET_S7_EUliiE_EESt5arrayIPcLm2EEEEviT0_T1_
	.p2align	8
	.type	_ZN2at6native29vectorized_elementwise_kernelILi8ENS0_13BUnaryFunctorIiiiZNS0_12_GLOBAL__N_121threshold_kernel_implIiEEvRNS_18TensorIteratorBaseET_S7_EUliiE_EESt5arrayIPcLm2EEEEviT0_T1_,@function
_ZN2at6native29vectorized_elementwise_kernelILi8ENS0_13BUnaryFunctorIiiiZNS0_12_GLOBAL__N_121threshold_kernel_implIiEEvRNS_18TensorIteratorBaseET_S7_EUliiE_EESt5arrayIPcLm2EEEEviT0_T1_: ; @_ZN2at6native29vectorized_elementwise_kernelILi8ENS0_13BUnaryFunctorIiiiZNS0_12_GLOBAL__N_121threshold_kernel_implIiEEvRNS_18TensorIteratorBaseET_S7_EUliiE_EESt5arrayIPcLm2EEEEviT0_T1_
; %bb.0:
	s_load_dwordx8 s[8:15], s[4:5], 0x0
	s_lshl_b32 s2, s6, 10
	s_mov_b64 s[0:1], -1
	s_waitcnt lgkmcnt(0)
	s_sub_i32 s8, s8, s2
	s_cmpk_gt_i32 s8, 0x3ff
	s_cbranch_scc0 .LBB57_2
; %bb.1:
	s_ashr_i32 s3, s2, 31
	s_lshl_b64 s[0:1], s[2:3], 2
	s_add_u32 s4, s14, s0
	s_addc_u32 s5, s15, s1
	v_lshlrev_b32_e32 v5, 4, v0
	global_load_dwordx4 v[1:4], v5, s[4:5]
	v_mov_b32_e32 v6, s10
	v_mov_b32_e32 v7, s11
	s_add_u32 s0, s12, s0
	s_addc_u32 s1, s13, s1
	s_waitcnt vmcnt(0)
	v_cmp_lt_i32_e32 vcc, s9, v1
	v_cndmask_b32_e32 v1, v6, v7, vcc
	v_cmp_lt_i32_e32 vcc, s9, v2
	v_cndmask_b32_e32 v2, v6, v7, vcc
	;; [unrolled: 2-line block ×4, first 2 shown]
	global_store_dwordx4 v5, v[1:4], s[0:1]
	s_mov_b64 s[0:1], 0
.LBB57_2:
	s_andn2_b64 vcc, exec, s[0:1]
	s_cbranch_vccnz .LBB57_16
; %bb.3:
	v_cmp_gt_i32_e32 vcc, s8, v0
	v_or_b32_e32 v6, 0x100, v0
	v_mov_b32_e32 v8, 0
	v_or_b32_e32 v1, s2, v0
	v_mov_b32_e32 v3, 0
	v_mov_b32_e32 v2, 0
	;; [unrolled: 1-line block ×3, first 2 shown]
	s_and_saveexec_b64 s[4:5], vcc
	s_cbranch_execz .LBB57_11
; %bb.4:
	v_mov_b32_e32 v2, 0
	v_lshlrev_b64 v[3:4], 2, v[1:2]
	v_mov_b32_e32 v5, s15
	v_add_co_u32_e64 v3, s[0:1], s14, v3
	v_addc_co_u32_e64 v4, s[0:1], v5, v4, s[0:1]
	global_load_dword v7, v[3:4], off
	v_cmp_gt_u32_e64 s[0:1], s8, v6
	v_mov_b32_e32 v3, v2
	v_mov_b32_e32 v8, v2
	s_and_saveexec_b64 s[6:7], s[0:1]
	s_cbranch_execz .LBB57_10
; %bb.5:
	v_add_u32_e32 v2, s2, v0
	v_mov_b32_e32 v3, 0
	v_lshlrev_b64 v[4:5], 2, v[2:3]
	v_mov_b32_e32 v2, s15
	v_add_co_u32_e64 v4, s[0:1], s14, v4
	v_addc_co_u32_e64 v5, s[0:1], v2, v5, s[0:1]
	global_load_dword v2, v[4:5], off offset:1024
	v_or_b32_e32 v8, 0x200, v0
	v_cmp_gt_u32_e64 s[0:1], s8, v8
	v_mov_b32_e32 v8, v3
	s_and_saveexec_b64 s[14:15], s[0:1]
	s_cbranch_execz .LBB57_9
; %bb.6:
	global_load_dword v3, v[4:5], off offset:2048
	v_or_b32_e32 v8, 0x300, v0
	v_cmp_gt_u32_e64 s[0:1], s8, v8
	v_mov_b32_e32 v8, 0
	s_and_saveexec_b64 s[16:17], s[0:1]
	s_cbranch_execz .LBB57_8
; %bb.7:
	global_load_dword v8, v[4:5], off offset:3072
.LBB57_8:
	s_or_b64 exec, exec, s[16:17]
.LBB57_9:
	s_or_b64 exec, exec, s[14:15]
.LBB57_10:
	s_or_b64 exec, exec, s[6:7]
.LBB57_11:
	s_or_b64 exec, exec, s[4:5]
	v_mov_b32_e32 v9, s10
	v_mov_b32_e32 v10, s11
	s_waitcnt vmcnt(0)
	v_cmp_lt_i32_e64 s[0:1], s9, v7
	v_cndmask_b32_e64 v4, v9, v10, s[0:1]
	v_cmp_lt_i32_e64 s[0:1], s9, v2
	v_cndmask_b32_e64 v2, v9, v10, s[0:1]
	v_cmp_gt_i32_e64 s[0:1], s8, v6
	v_cndmask_b32_e64 v5, 0, v2, s[0:1]
	v_or_b32_e32 v2, 0x200, v0
	v_cmp_lt_i32_e64 s[0:1], s9, v3
	v_cndmask_b32_e64 v3, v9, v10, s[0:1]
	v_cmp_gt_i32_e64 s[0:1], s8, v2
	v_cndmask_b32_e32 v7, 0, v4, vcc
	v_cndmask_b32_e64 v4, 0, v3, s[0:1]
	v_or_b32_e32 v2, 0x300, v0
	v_cmp_lt_i32_e64 s[0:1], s9, v8
	v_cndmask_b32_e64 v3, v9, v10, s[0:1]
	v_cmp_gt_i32_e64 s[0:1], s8, v2
	v_cndmask_b32_e64 v3, 0, v3, s[0:1]
	s_and_saveexec_b64 s[0:1], vcc
	s_cbranch_execnz .LBB57_17
; %bb.12:
	s_or_b64 exec, exec, s[0:1]
	v_cmp_gt_i32_e32 vcc, s8, v0
	s_and_saveexec_b64 s[0:1], vcc
	s_cbranch_execnz .LBB57_18
.LBB57_13:
	s_or_b64 exec, exec, s[0:1]
	v_cmp_gt_i32_e32 vcc, s8, v0
	s_and_saveexec_b64 s[0:1], vcc
	s_cbranch_execnz .LBB57_19
.LBB57_14:
	s_or_b64 exec, exec, s[0:1]
	v_cmp_gt_i32_e32 vcc, s8, v0
	s_and_saveexec_b64 s[0:1], vcc
	s_cbranch_execz .LBB57_16
.LBB57_15:
	v_add_u32_e32 v0, s2, v0
	v_mov_b32_e32 v1, 0
	v_lshlrev_b64 v[0:1], 2, v[0:1]
	v_mov_b32_e32 v2, s13
	v_add_co_u32_e32 v0, vcc, s12, v0
	v_addc_co_u32_e32 v1, vcc, v2, v1, vcc
	global_store_dword v[0:1], v3, off
.LBB57_16:
	s_endpgm
.LBB57_17:
	v_mov_b32_e32 v2, 0
	v_lshlrev_b64 v[0:1], 2, v[1:2]
	v_mov_b32_e32 v2, s13
	v_add_co_u32_e32 v0, vcc, s12, v0
	v_addc_co_u32_e32 v1, vcc, v2, v1, vcc
	global_store_dword v[0:1], v7, off
	v_mov_b32_e32 v0, v6
	s_or_b64 exec, exec, s[0:1]
	v_cmp_gt_i32_e32 vcc, s8, v0
	s_and_saveexec_b64 s[0:1], vcc
	s_cbranch_execz .LBB57_13
.LBB57_18:
	v_add_u32_e32 v1, s2, v0
	v_mov_b32_e32 v2, 0
	v_lshlrev_b64 v[1:2], 2, v[1:2]
	v_mov_b32_e32 v6, s13
	v_add_co_u32_e32 v1, vcc, s12, v1
	v_addc_co_u32_e32 v2, vcc, v6, v2, vcc
	v_add_u32_e32 v0, 0x100, v0
	global_store_dword v[1:2], v5, off
	s_or_b64 exec, exec, s[0:1]
	v_cmp_gt_i32_e32 vcc, s8, v0
	s_and_saveexec_b64 s[0:1], vcc
	s_cbranch_execz .LBB57_14
.LBB57_19:
	v_add_u32_e32 v1, s2, v0
	v_mov_b32_e32 v2, 0
	v_lshlrev_b64 v[1:2], 2, v[1:2]
	v_mov_b32_e32 v5, s13
	v_add_co_u32_e32 v1, vcc, s12, v1
	v_addc_co_u32_e32 v2, vcc, v5, v2, vcc
	v_add_u32_e32 v0, 0x100, v0
	global_store_dword v[1:2], v4, off
	s_or_b64 exec, exec, s[0:1]
	v_cmp_gt_i32_e32 vcc, s8, v0
	s_and_saveexec_b64 s[0:1], vcc
	s_cbranch_execnz .LBB57_15
	s_branch .LBB57_16
	.section	.rodata,"a",@progbits
	.p2align	6, 0x0
	.amdhsa_kernel _ZN2at6native29vectorized_elementwise_kernelILi8ENS0_13BUnaryFunctorIiiiZNS0_12_GLOBAL__N_121threshold_kernel_implIiEEvRNS_18TensorIteratorBaseET_S7_EUliiE_EESt5arrayIPcLm2EEEEviT0_T1_
		.amdhsa_group_segment_fixed_size 0
		.amdhsa_private_segment_fixed_size 0
		.amdhsa_kernarg_size 32
		.amdhsa_user_sgpr_count 6
		.amdhsa_user_sgpr_private_segment_buffer 1
		.amdhsa_user_sgpr_dispatch_ptr 0
		.amdhsa_user_sgpr_queue_ptr 0
		.amdhsa_user_sgpr_kernarg_segment_ptr 1
		.amdhsa_user_sgpr_dispatch_id 0
		.amdhsa_user_sgpr_flat_scratch_init 0
		.amdhsa_user_sgpr_private_segment_size 0
		.amdhsa_uses_dynamic_stack 0
		.amdhsa_system_sgpr_private_segment_wavefront_offset 0
		.amdhsa_system_sgpr_workgroup_id_x 1
		.amdhsa_system_sgpr_workgroup_id_y 0
		.amdhsa_system_sgpr_workgroup_id_z 0
		.amdhsa_system_sgpr_workgroup_info 0
		.amdhsa_system_vgpr_workitem_id 0
		.amdhsa_next_free_vgpr 11
		.amdhsa_next_free_sgpr 18
		.amdhsa_reserve_vcc 1
		.amdhsa_reserve_flat_scratch 0
		.amdhsa_float_round_mode_32 0
		.amdhsa_float_round_mode_16_64 0
		.amdhsa_float_denorm_mode_32 3
		.amdhsa_float_denorm_mode_16_64 3
		.amdhsa_dx10_clamp 1
		.amdhsa_ieee_mode 1
		.amdhsa_fp16_overflow 0
		.amdhsa_exception_fp_ieee_invalid_op 0
		.amdhsa_exception_fp_denorm_src 0
		.amdhsa_exception_fp_ieee_div_zero 0
		.amdhsa_exception_fp_ieee_overflow 0
		.amdhsa_exception_fp_ieee_underflow 0
		.amdhsa_exception_fp_ieee_inexact 0
		.amdhsa_exception_int_div_zero 0
	.end_amdhsa_kernel
	.section	.text._ZN2at6native29vectorized_elementwise_kernelILi8ENS0_13BUnaryFunctorIiiiZNS0_12_GLOBAL__N_121threshold_kernel_implIiEEvRNS_18TensorIteratorBaseET_S7_EUliiE_EESt5arrayIPcLm2EEEEviT0_T1_,"axG",@progbits,_ZN2at6native29vectorized_elementwise_kernelILi8ENS0_13BUnaryFunctorIiiiZNS0_12_GLOBAL__N_121threshold_kernel_implIiEEvRNS_18TensorIteratorBaseET_S7_EUliiE_EESt5arrayIPcLm2EEEEviT0_T1_,comdat
.Lfunc_end57:
	.size	_ZN2at6native29vectorized_elementwise_kernelILi8ENS0_13BUnaryFunctorIiiiZNS0_12_GLOBAL__N_121threshold_kernel_implIiEEvRNS_18TensorIteratorBaseET_S7_EUliiE_EESt5arrayIPcLm2EEEEviT0_T1_, .Lfunc_end57-_ZN2at6native29vectorized_elementwise_kernelILi8ENS0_13BUnaryFunctorIiiiZNS0_12_GLOBAL__N_121threshold_kernel_implIiEEvRNS_18TensorIteratorBaseET_S7_EUliiE_EESt5arrayIPcLm2EEEEviT0_T1_
                                        ; -- End function
	.set _ZN2at6native29vectorized_elementwise_kernelILi8ENS0_13BUnaryFunctorIiiiZNS0_12_GLOBAL__N_121threshold_kernel_implIiEEvRNS_18TensorIteratorBaseET_S7_EUliiE_EESt5arrayIPcLm2EEEEviT0_T1_.num_vgpr, 11
	.set _ZN2at6native29vectorized_elementwise_kernelILi8ENS0_13BUnaryFunctorIiiiZNS0_12_GLOBAL__N_121threshold_kernel_implIiEEvRNS_18TensorIteratorBaseET_S7_EUliiE_EESt5arrayIPcLm2EEEEviT0_T1_.num_agpr, 0
	.set _ZN2at6native29vectorized_elementwise_kernelILi8ENS0_13BUnaryFunctorIiiiZNS0_12_GLOBAL__N_121threshold_kernel_implIiEEvRNS_18TensorIteratorBaseET_S7_EUliiE_EESt5arrayIPcLm2EEEEviT0_T1_.numbered_sgpr, 18
	.set _ZN2at6native29vectorized_elementwise_kernelILi8ENS0_13BUnaryFunctorIiiiZNS0_12_GLOBAL__N_121threshold_kernel_implIiEEvRNS_18TensorIteratorBaseET_S7_EUliiE_EESt5arrayIPcLm2EEEEviT0_T1_.num_named_barrier, 0
	.set _ZN2at6native29vectorized_elementwise_kernelILi8ENS0_13BUnaryFunctorIiiiZNS0_12_GLOBAL__N_121threshold_kernel_implIiEEvRNS_18TensorIteratorBaseET_S7_EUliiE_EESt5arrayIPcLm2EEEEviT0_T1_.private_seg_size, 0
	.set _ZN2at6native29vectorized_elementwise_kernelILi8ENS0_13BUnaryFunctorIiiiZNS0_12_GLOBAL__N_121threshold_kernel_implIiEEvRNS_18TensorIteratorBaseET_S7_EUliiE_EESt5arrayIPcLm2EEEEviT0_T1_.uses_vcc, 1
	.set _ZN2at6native29vectorized_elementwise_kernelILi8ENS0_13BUnaryFunctorIiiiZNS0_12_GLOBAL__N_121threshold_kernel_implIiEEvRNS_18TensorIteratorBaseET_S7_EUliiE_EESt5arrayIPcLm2EEEEviT0_T1_.uses_flat_scratch, 0
	.set _ZN2at6native29vectorized_elementwise_kernelILi8ENS0_13BUnaryFunctorIiiiZNS0_12_GLOBAL__N_121threshold_kernel_implIiEEvRNS_18TensorIteratorBaseET_S7_EUliiE_EESt5arrayIPcLm2EEEEviT0_T1_.has_dyn_sized_stack, 0
	.set _ZN2at6native29vectorized_elementwise_kernelILi8ENS0_13BUnaryFunctorIiiiZNS0_12_GLOBAL__N_121threshold_kernel_implIiEEvRNS_18TensorIteratorBaseET_S7_EUliiE_EESt5arrayIPcLm2EEEEviT0_T1_.has_recursion, 0
	.set _ZN2at6native29vectorized_elementwise_kernelILi8ENS0_13BUnaryFunctorIiiiZNS0_12_GLOBAL__N_121threshold_kernel_implIiEEvRNS_18TensorIteratorBaseET_S7_EUliiE_EESt5arrayIPcLm2EEEEviT0_T1_.has_indirect_call, 0
	.section	.AMDGPU.csdata,"",@progbits
; Kernel info:
; codeLenInByte = 784
; TotalNumSgprs: 22
; NumVgprs: 11
; ScratchSize: 0
; MemoryBound: 0
; FloatMode: 240
; IeeeMode: 1
; LDSByteSize: 0 bytes/workgroup (compile time only)
; SGPRBlocks: 2
; VGPRBlocks: 2
; NumSGPRsForWavesPerEU: 22
; NumVGPRsForWavesPerEU: 11
; Occupancy: 10
; WaveLimiterHint : 0
; COMPUTE_PGM_RSRC2:SCRATCH_EN: 0
; COMPUTE_PGM_RSRC2:USER_SGPR: 6
; COMPUTE_PGM_RSRC2:TRAP_HANDLER: 0
; COMPUTE_PGM_RSRC2:TGID_X_EN: 1
; COMPUTE_PGM_RSRC2:TGID_Y_EN: 0
; COMPUTE_PGM_RSRC2:TGID_Z_EN: 0
; COMPUTE_PGM_RSRC2:TIDIG_COMP_CNT: 0
	.section	.text._ZN2at6native29vectorized_elementwise_kernelILi4ENS0_13BUnaryFunctorIiiiZNS0_12_GLOBAL__N_121threshold_kernel_implIiEEvRNS_18TensorIteratorBaseET_S7_EUliiE_EESt5arrayIPcLm2EEEEviT0_T1_,"axG",@progbits,_ZN2at6native29vectorized_elementwise_kernelILi4ENS0_13BUnaryFunctorIiiiZNS0_12_GLOBAL__N_121threshold_kernel_implIiEEvRNS_18TensorIteratorBaseET_S7_EUliiE_EESt5arrayIPcLm2EEEEviT0_T1_,comdat
	.globl	_ZN2at6native29vectorized_elementwise_kernelILi4ENS0_13BUnaryFunctorIiiiZNS0_12_GLOBAL__N_121threshold_kernel_implIiEEvRNS_18TensorIteratorBaseET_S7_EUliiE_EESt5arrayIPcLm2EEEEviT0_T1_ ; -- Begin function _ZN2at6native29vectorized_elementwise_kernelILi4ENS0_13BUnaryFunctorIiiiZNS0_12_GLOBAL__N_121threshold_kernel_implIiEEvRNS_18TensorIteratorBaseET_S7_EUliiE_EESt5arrayIPcLm2EEEEviT0_T1_
	.p2align	8
	.type	_ZN2at6native29vectorized_elementwise_kernelILi4ENS0_13BUnaryFunctorIiiiZNS0_12_GLOBAL__N_121threshold_kernel_implIiEEvRNS_18TensorIteratorBaseET_S7_EUliiE_EESt5arrayIPcLm2EEEEviT0_T1_,@function
_ZN2at6native29vectorized_elementwise_kernelILi4ENS0_13BUnaryFunctorIiiiZNS0_12_GLOBAL__N_121threshold_kernel_implIiEEvRNS_18TensorIteratorBaseET_S7_EUliiE_EESt5arrayIPcLm2EEEEviT0_T1_: ; @_ZN2at6native29vectorized_elementwise_kernelILi4ENS0_13BUnaryFunctorIiiiZNS0_12_GLOBAL__N_121threshold_kernel_implIiEEvRNS_18TensorIteratorBaseET_S7_EUliiE_EESt5arrayIPcLm2EEEEviT0_T1_
; %bb.0:
	s_load_dwordx8 s[8:15], s[4:5], 0x0
	s_lshl_b32 s2, s6, 10
	s_mov_b64 s[0:1], -1
	s_waitcnt lgkmcnt(0)
	s_sub_i32 s8, s8, s2
	s_cmpk_gt_i32 s8, 0x3ff
	s_cbranch_scc0 .LBB58_2
; %bb.1:
	s_ashr_i32 s3, s2, 31
	s_lshl_b64 s[0:1], s[2:3], 2
	s_add_u32 s4, s14, s0
	s_addc_u32 s5, s15, s1
	v_lshlrev_b32_e32 v5, 4, v0
	global_load_dwordx4 v[1:4], v5, s[4:5]
	v_mov_b32_e32 v6, s10
	v_mov_b32_e32 v7, s11
	s_add_u32 s0, s12, s0
	s_addc_u32 s1, s13, s1
	s_waitcnt vmcnt(0)
	v_cmp_lt_i32_e32 vcc, s9, v1
	v_cndmask_b32_e32 v1, v6, v7, vcc
	v_cmp_lt_i32_e32 vcc, s9, v2
	v_cndmask_b32_e32 v2, v6, v7, vcc
	;; [unrolled: 2-line block ×4, first 2 shown]
	global_store_dwordx4 v5, v[1:4], s[0:1]
	s_mov_b64 s[0:1], 0
.LBB58_2:
	s_andn2_b64 vcc, exec, s[0:1]
	s_cbranch_vccnz .LBB58_16
; %bb.3:
	v_cmp_gt_i32_e32 vcc, s8, v0
	v_or_b32_e32 v6, 0x100, v0
	v_mov_b32_e32 v8, 0
	v_or_b32_e32 v1, s2, v0
	v_mov_b32_e32 v3, 0
	v_mov_b32_e32 v2, 0
	;; [unrolled: 1-line block ×3, first 2 shown]
	s_and_saveexec_b64 s[4:5], vcc
	s_cbranch_execz .LBB58_11
; %bb.4:
	v_mov_b32_e32 v2, 0
	v_lshlrev_b64 v[3:4], 2, v[1:2]
	v_mov_b32_e32 v5, s15
	v_add_co_u32_e64 v3, s[0:1], s14, v3
	v_addc_co_u32_e64 v4, s[0:1], v5, v4, s[0:1]
	global_load_dword v7, v[3:4], off
	v_cmp_gt_u32_e64 s[0:1], s8, v6
	v_mov_b32_e32 v3, v2
	v_mov_b32_e32 v8, v2
	s_and_saveexec_b64 s[6:7], s[0:1]
	s_cbranch_execz .LBB58_10
; %bb.5:
	v_add_u32_e32 v2, s2, v0
	v_mov_b32_e32 v3, 0
	v_lshlrev_b64 v[4:5], 2, v[2:3]
	v_mov_b32_e32 v2, s15
	v_add_co_u32_e64 v4, s[0:1], s14, v4
	v_addc_co_u32_e64 v5, s[0:1], v2, v5, s[0:1]
	global_load_dword v2, v[4:5], off offset:1024
	v_or_b32_e32 v8, 0x200, v0
	v_cmp_gt_u32_e64 s[0:1], s8, v8
	v_mov_b32_e32 v8, v3
	s_and_saveexec_b64 s[14:15], s[0:1]
	s_cbranch_execz .LBB58_9
; %bb.6:
	global_load_dword v3, v[4:5], off offset:2048
	v_or_b32_e32 v8, 0x300, v0
	v_cmp_gt_u32_e64 s[0:1], s8, v8
	v_mov_b32_e32 v8, 0
	s_and_saveexec_b64 s[16:17], s[0:1]
	s_cbranch_execz .LBB58_8
; %bb.7:
	global_load_dword v8, v[4:5], off offset:3072
.LBB58_8:
	s_or_b64 exec, exec, s[16:17]
.LBB58_9:
	s_or_b64 exec, exec, s[14:15]
.LBB58_10:
	s_or_b64 exec, exec, s[6:7]
.LBB58_11:
	s_or_b64 exec, exec, s[4:5]
	v_mov_b32_e32 v9, s10
	v_mov_b32_e32 v10, s11
	s_waitcnt vmcnt(0)
	v_cmp_lt_i32_e64 s[0:1], s9, v7
	v_cndmask_b32_e64 v4, v9, v10, s[0:1]
	v_cmp_lt_i32_e64 s[0:1], s9, v2
	v_cndmask_b32_e64 v2, v9, v10, s[0:1]
	v_cmp_gt_i32_e64 s[0:1], s8, v6
	v_cndmask_b32_e64 v5, 0, v2, s[0:1]
	v_or_b32_e32 v2, 0x200, v0
	v_cmp_lt_i32_e64 s[0:1], s9, v3
	v_cndmask_b32_e64 v3, v9, v10, s[0:1]
	v_cmp_gt_i32_e64 s[0:1], s8, v2
	v_cndmask_b32_e32 v7, 0, v4, vcc
	v_cndmask_b32_e64 v4, 0, v3, s[0:1]
	v_or_b32_e32 v2, 0x300, v0
	v_cmp_lt_i32_e64 s[0:1], s9, v8
	v_cndmask_b32_e64 v3, v9, v10, s[0:1]
	v_cmp_gt_i32_e64 s[0:1], s8, v2
	v_cndmask_b32_e64 v3, 0, v3, s[0:1]
	s_and_saveexec_b64 s[0:1], vcc
	s_cbranch_execnz .LBB58_17
; %bb.12:
	s_or_b64 exec, exec, s[0:1]
	v_cmp_gt_i32_e32 vcc, s8, v0
	s_and_saveexec_b64 s[0:1], vcc
	s_cbranch_execnz .LBB58_18
.LBB58_13:
	s_or_b64 exec, exec, s[0:1]
	v_cmp_gt_i32_e32 vcc, s8, v0
	s_and_saveexec_b64 s[0:1], vcc
	s_cbranch_execnz .LBB58_19
.LBB58_14:
	s_or_b64 exec, exec, s[0:1]
	v_cmp_gt_i32_e32 vcc, s8, v0
	s_and_saveexec_b64 s[0:1], vcc
	s_cbranch_execz .LBB58_16
.LBB58_15:
	v_add_u32_e32 v0, s2, v0
	v_mov_b32_e32 v1, 0
	v_lshlrev_b64 v[0:1], 2, v[0:1]
	v_mov_b32_e32 v2, s13
	v_add_co_u32_e32 v0, vcc, s12, v0
	v_addc_co_u32_e32 v1, vcc, v2, v1, vcc
	global_store_dword v[0:1], v3, off
.LBB58_16:
	s_endpgm
.LBB58_17:
	v_mov_b32_e32 v2, 0
	v_lshlrev_b64 v[0:1], 2, v[1:2]
	v_mov_b32_e32 v2, s13
	v_add_co_u32_e32 v0, vcc, s12, v0
	v_addc_co_u32_e32 v1, vcc, v2, v1, vcc
	global_store_dword v[0:1], v7, off
	v_mov_b32_e32 v0, v6
	s_or_b64 exec, exec, s[0:1]
	v_cmp_gt_i32_e32 vcc, s8, v0
	s_and_saveexec_b64 s[0:1], vcc
	s_cbranch_execz .LBB58_13
.LBB58_18:
	v_add_u32_e32 v1, s2, v0
	v_mov_b32_e32 v2, 0
	v_lshlrev_b64 v[1:2], 2, v[1:2]
	v_mov_b32_e32 v6, s13
	v_add_co_u32_e32 v1, vcc, s12, v1
	v_addc_co_u32_e32 v2, vcc, v6, v2, vcc
	v_add_u32_e32 v0, 0x100, v0
	global_store_dword v[1:2], v5, off
	s_or_b64 exec, exec, s[0:1]
	v_cmp_gt_i32_e32 vcc, s8, v0
	s_and_saveexec_b64 s[0:1], vcc
	s_cbranch_execz .LBB58_14
.LBB58_19:
	v_add_u32_e32 v1, s2, v0
	v_mov_b32_e32 v2, 0
	v_lshlrev_b64 v[1:2], 2, v[1:2]
	v_mov_b32_e32 v5, s13
	v_add_co_u32_e32 v1, vcc, s12, v1
	v_addc_co_u32_e32 v2, vcc, v5, v2, vcc
	v_add_u32_e32 v0, 0x100, v0
	global_store_dword v[1:2], v4, off
	s_or_b64 exec, exec, s[0:1]
	v_cmp_gt_i32_e32 vcc, s8, v0
	s_and_saveexec_b64 s[0:1], vcc
	s_cbranch_execnz .LBB58_15
	s_branch .LBB58_16
	.section	.rodata,"a",@progbits
	.p2align	6, 0x0
	.amdhsa_kernel _ZN2at6native29vectorized_elementwise_kernelILi4ENS0_13BUnaryFunctorIiiiZNS0_12_GLOBAL__N_121threshold_kernel_implIiEEvRNS_18TensorIteratorBaseET_S7_EUliiE_EESt5arrayIPcLm2EEEEviT0_T1_
		.amdhsa_group_segment_fixed_size 0
		.amdhsa_private_segment_fixed_size 0
		.amdhsa_kernarg_size 32
		.amdhsa_user_sgpr_count 6
		.amdhsa_user_sgpr_private_segment_buffer 1
		.amdhsa_user_sgpr_dispatch_ptr 0
		.amdhsa_user_sgpr_queue_ptr 0
		.amdhsa_user_sgpr_kernarg_segment_ptr 1
		.amdhsa_user_sgpr_dispatch_id 0
		.amdhsa_user_sgpr_flat_scratch_init 0
		.amdhsa_user_sgpr_private_segment_size 0
		.amdhsa_uses_dynamic_stack 0
		.amdhsa_system_sgpr_private_segment_wavefront_offset 0
		.amdhsa_system_sgpr_workgroup_id_x 1
		.amdhsa_system_sgpr_workgroup_id_y 0
		.amdhsa_system_sgpr_workgroup_id_z 0
		.amdhsa_system_sgpr_workgroup_info 0
		.amdhsa_system_vgpr_workitem_id 0
		.amdhsa_next_free_vgpr 11
		.amdhsa_next_free_sgpr 18
		.amdhsa_reserve_vcc 1
		.amdhsa_reserve_flat_scratch 0
		.amdhsa_float_round_mode_32 0
		.amdhsa_float_round_mode_16_64 0
		.amdhsa_float_denorm_mode_32 3
		.amdhsa_float_denorm_mode_16_64 3
		.amdhsa_dx10_clamp 1
		.amdhsa_ieee_mode 1
		.amdhsa_fp16_overflow 0
		.amdhsa_exception_fp_ieee_invalid_op 0
		.amdhsa_exception_fp_denorm_src 0
		.amdhsa_exception_fp_ieee_div_zero 0
		.amdhsa_exception_fp_ieee_overflow 0
		.amdhsa_exception_fp_ieee_underflow 0
		.amdhsa_exception_fp_ieee_inexact 0
		.amdhsa_exception_int_div_zero 0
	.end_amdhsa_kernel
	.section	.text._ZN2at6native29vectorized_elementwise_kernelILi4ENS0_13BUnaryFunctorIiiiZNS0_12_GLOBAL__N_121threshold_kernel_implIiEEvRNS_18TensorIteratorBaseET_S7_EUliiE_EESt5arrayIPcLm2EEEEviT0_T1_,"axG",@progbits,_ZN2at6native29vectorized_elementwise_kernelILi4ENS0_13BUnaryFunctorIiiiZNS0_12_GLOBAL__N_121threshold_kernel_implIiEEvRNS_18TensorIteratorBaseET_S7_EUliiE_EESt5arrayIPcLm2EEEEviT0_T1_,comdat
.Lfunc_end58:
	.size	_ZN2at6native29vectorized_elementwise_kernelILi4ENS0_13BUnaryFunctorIiiiZNS0_12_GLOBAL__N_121threshold_kernel_implIiEEvRNS_18TensorIteratorBaseET_S7_EUliiE_EESt5arrayIPcLm2EEEEviT0_T1_, .Lfunc_end58-_ZN2at6native29vectorized_elementwise_kernelILi4ENS0_13BUnaryFunctorIiiiZNS0_12_GLOBAL__N_121threshold_kernel_implIiEEvRNS_18TensorIteratorBaseET_S7_EUliiE_EESt5arrayIPcLm2EEEEviT0_T1_
                                        ; -- End function
	.set _ZN2at6native29vectorized_elementwise_kernelILi4ENS0_13BUnaryFunctorIiiiZNS0_12_GLOBAL__N_121threshold_kernel_implIiEEvRNS_18TensorIteratorBaseET_S7_EUliiE_EESt5arrayIPcLm2EEEEviT0_T1_.num_vgpr, 11
	.set _ZN2at6native29vectorized_elementwise_kernelILi4ENS0_13BUnaryFunctorIiiiZNS0_12_GLOBAL__N_121threshold_kernel_implIiEEvRNS_18TensorIteratorBaseET_S7_EUliiE_EESt5arrayIPcLm2EEEEviT0_T1_.num_agpr, 0
	.set _ZN2at6native29vectorized_elementwise_kernelILi4ENS0_13BUnaryFunctorIiiiZNS0_12_GLOBAL__N_121threshold_kernel_implIiEEvRNS_18TensorIteratorBaseET_S7_EUliiE_EESt5arrayIPcLm2EEEEviT0_T1_.numbered_sgpr, 18
	.set _ZN2at6native29vectorized_elementwise_kernelILi4ENS0_13BUnaryFunctorIiiiZNS0_12_GLOBAL__N_121threshold_kernel_implIiEEvRNS_18TensorIteratorBaseET_S7_EUliiE_EESt5arrayIPcLm2EEEEviT0_T1_.num_named_barrier, 0
	.set _ZN2at6native29vectorized_elementwise_kernelILi4ENS0_13BUnaryFunctorIiiiZNS0_12_GLOBAL__N_121threshold_kernel_implIiEEvRNS_18TensorIteratorBaseET_S7_EUliiE_EESt5arrayIPcLm2EEEEviT0_T1_.private_seg_size, 0
	.set _ZN2at6native29vectorized_elementwise_kernelILi4ENS0_13BUnaryFunctorIiiiZNS0_12_GLOBAL__N_121threshold_kernel_implIiEEvRNS_18TensorIteratorBaseET_S7_EUliiE_EESt5arrayIPcLm2EEEEviT0_T1_.uses_vcc, 1
	.set _ZN2at6native29vectorized_elementwise_kernelILi4ENS0_13BUnaryFunctorIiiiZNS0_12_GLOBAL__N_121threshold_kernel_implIiEEvRNS_18TensorIteratorBaseET_S7_EUliiE_EESt5arrayIPcLm2EEEEviT0_T1_.uses_flat_scratch, 0
	.set _ZN2at6native29vectorized_elementwise_kernelILi4ENS0_13BUnaryFunctorIiiiZNS0_12_GLOBAL__N_121threshold_kernel_implIiEEvRNS_18TensorIteratorBaseET_S7_EUliiE_EESt5arrayIPcLm2EEEEviT0_T1_.has_dyn_sized_stack, 0
	.set _ZN2at6native29vectorized_elementwise_kernelILi4ENS0_13BUnaryFunctorIiiiZNS0_12_GLOBAL__N_121threshold_kernel_implIiEEvRNS_18TensorIteratorBaseET_S7_EUliiE_EESt5arrayIPcLm2EEEEviT0_T1_.has_recursion, 0
	.set _ZN2at6native29vectorized_elementwise_kernelILi4ENS0_13BUnaryFunctorIiiiZNS0_12_GLOBAL__N_121threshold_kernel_implIiEEvRNS_18TensorIteratorBaseET_S7_EUliiE_EESt5arrayIPcLm2EEEEviT0_T1_.has_indirect_call, 0
	.section	.AMDGPU.csdata,"",@progbits
; Kernel info:
; codeLenInByte = 784
; TotalNumSgprs: 22
; NumVgprs: 11
; ScratchSize: 0
; MemoryBound: 0
; FloatMode: 240
; IeeeMode: 1
; LDSByteSize: 0 bytes/workgroup (compile time only)
; SGPRBlocks: 2
; VGPRBlocks: 2
; NumSGPRsForWavesPerEU: 22
; NumVGPRsForWavesPerEU: 11
; Occupancy: 10
; WaveLimiterHint : 0
; COMPUTE_PGM_RSRC2:SCRATCH_EN: 0
; COMPUTE_PGM_RSRC2:USER_SGPR: 6
; COMPUTE_PGM_RSRC2:TRAP_HANDLER: 0
; COMPUTE_PGM_RSRC2:TGID_X_EN: 1
; COMPUTE_PGM_RSRC2:TGID_Y_EN: 0
; COMPUTE_PGM_RSRC2:TGID_Z_EN: 0
; COMPUTE_PGM_RSRC2:TIDIG_COMP_CNT: 0
	.section	.text._ZN2at6native29vectorized_elementwise_kernelILi2ENS0_13BUnaryFunctorIiiiZNS0_12_GLOBAL__N_121threshold_kernel_implIiEEvRNS_18TensorIteratorBaseET_S7_EUliiE_EESt5arrayIPcLm2EEEEviT0_T1_,"axG",@progbits,_ZN2at6native29vectorized_elementwise_kernelILi2ENS0_13BUnaryFunctorIiiiZNS0_12_GLOBAL__N_121threshold_kernel_implIiEEvRNS_18TensorIteratorBaseET_S7_EUliiE_EESt5arrayIPcLm2EEEEviT0_T1_,comdat
	.globl	_ZN2at6native29vectorized_elementwise_kernelILi2ENS0_13BUnaryFunctorIiiiZNS0_12_GLOBAL__N_121threshold_kernel_implIiEEvRNS_18TensorIteratorBaseET_S7_EUliiE_EESt5arrayIPcLm2EEEEviT0_T1_ ; -- Begin function _ZN2at6native29vectorized_elementwise_kernelILi2ENS0_13BUnaryFunctorIiiiZNS0_12_GLOBAL__N_121threshold_kernel_implIiEEvRNS_18TensorIteratorBaseET_S7_EUliiE_EESt5arrayIPcLm2EEEEviT0_T1_
	.p2align	8
	.type	_ZN2at6native29vectorized_elementwise_kernelILi2ENS0_13BUnaryFunctorIiiiZNS0_12_GLOBAL__N_121threshold_kernel_implIiEEvRNS_18TensorIteratorBaseET_S7_EUliiE_EESt5arrayIPcLm2EEEEviT0_T1_,@function
_ZN2at6native29vectorized_elementwise_kernelILi2ENS0_13BUnaryFunctorIiiiZNS0_12_GLOBAL__N_121threshold_kernel_implIiEEvRNS_18TensorIteratorBaseET_S7_EUliiE_EESt5arrayIPcLm2EEEEviT0_T1_: ; @_ZN2at6native29vectorized_elementwise_kernelILi2ENS0_13BUnaryFunctorIiiiZNS0_12_GLOBAL__N_121threshold_kernel_implIiEEvRNS_18TensorIteratorBaseET_S7_EUliiE_EESt5arrayIPcLm2EEEEviT0_T1_
; %bb.0:
	s_load_dwordx8 s[8:15], s[4:5], 0x0
	s_lshl_b32 s2, s6, 10
	s_mov_b64 s[0:1], -1
	s_waitcnt lgkmcnt(0)
	s_sub_i32 s8, s8, s2
	s_cmpk_gt_i32 s8, 0x3ff
	s_cbranch_scc0 .LBB59_2
; %bb.1:
	s_ashr_i32 s3, s2, 31
	s_lshl_b64 s[0:1], s[2:3], 2
	s_add_u32 s4, s14, s0
	s_addc_u32 s5, s15, s1
	v_lshlrev_b32_e32 v5, 3, v0
	global_load_dwordx2 v[1:2], v5, s[4:5]
	global_load_dwordx2 v[3:4], v5, s[4:5] offset:2048
	v_mov_b32_e32 v6, s10
	v_mov_b32_e32 v7, s11
	s_add_u32 s0, s12, s0
	s_addc_u32 s1, s13, s1
	s_waitcnt vmcnt(1)
	v_cmp_lt_i32_e32 vcc, s9, v1
	v_cndmask_b32_e32 v1, v6, v7, vcc
	v_cmp_lt_i32_e32 vcc, s9, v2
	v_cndmask_b32_e32 v2, v6, v7, vcc
	s_waitcnt vmcnt(0)
	v_cmp_lt_i32_e32 vcc, s9, v3
	v_cndmask_b32_e32 v3, v6, v7, vcc
	v_cmp_lt_i32_e32 vcc, s9, v4
	v_cndmask_b32_e32 v4, v6, v7, vcc
	global_store_dwordx2 v5, v[1:2], s[0:1]
	global_store_dwordx2 v5, v[3:4], s[0:1] offset:2048
	s_mov_b64 s[0:1], 0
.LBB59_2:
	s_andn2_b64 vcc, exec, s[0:1]
	s_cbranch_vccnz .LBB59_16
; %bb.3:
	v_cmp_gt_i32_e32 vcc, s8, v0
	v_or_b32_e32 v6, 0x100, v0
	v_mov_b32_e32 v8, 0
	v_or_b32_e32 v1, s2, v0
	v_mov_b32_e32 v3, 0
	v_mov_b32_e32 v2, 0
	;; [unrolled: 1-line block ×3, first 2 shown]
	s_and_saveexec_b64 s[4:5], vcc
	s_cbranch_execz .LBB59_11
; %bb.4:
	v_mov_b32_e32 v2, 0
	v_lshlrev_b64 v[3:4], 2, v[1:2]
	v_mov_b32_e32 v5, s15
	v_add_co_u32_e64 v3, s[0:1], s14, v3
	v_addc_co_u32_e64 v4, s[0:1], v5, v4, s[0:1]
	global_load_dword v7, v[3:4], off
	v_cmp_gt_u32_e64 s[0:1], s8, v6
	v_mov_b32_e32 v3, v2
	v_mov_b32_e32 v8, v2
	s_and_saveexec_b64 s[6:7], s[0:1]
	s_cbranch_execz .LBB59_10
; %bb.5:
	v_add_u32_e32 v2, s2, v0
	v_mov_b32_e32 v3, 0
	v_lshlrev_b64 v[4:5], 2, v[2:3]
	v_mov_b32_e32 v2, s15
	v_add_co_u32_e64 v4, s[0:1], s14, v4
	v_addc_co_u32_e64 v5, s[0:1], v2, v5, s[0:1]
	global_load_dword v2, v[4:5], off offset:1024
	v_or_b32_e32 v8, 0x200, v0
	v_cmp_gt_u32_e64 s[0:1], s8, v8
	v_mov_b32_e32 v8, v3
	s_and_saveexec_b64 s[14:15], s[0:1]
	s_cbranch_execz .LBB59_9
; %bb.6:
	global_load_dword v3, v[4:5], off offset:2048
	v_or_b32_e32 v8, 0x300, v0
	v_cmp_gt_u32_e64 s[0:1], s8, v8
	v_mov_b32_e32 v8, 0
	s_and_saveexec_b64 s[16:17], s[0:1]
	s_cbranch_execz .LBB59_8
; %bb.7:
	global_load_dword v8, v[4:5], off offset:3072
.LBB59_8:
	s_or_b64 exec, exec, s[16:17]
.LBB59_9:
	s_or_b64 exec, exec, s[14:15]
.LBB59_10:
	s_or_b64 exec, exec, s[6:7]
.LBB59_11:
	s_or_b64 exec, exec, s[4:5]
	v_mov_b32_e32 v9, s10
	v_mov_b32_e32 v10, s11
	s_waitcnt vmcnt(0)
	v_cmp_lt_i32_e64 s[0:1], s9, v7
	v_cndmask_b32_e64 v4, v9, v10, s[0:1]
	v_cmp_lt_i32_e64 s[0:1], s9, v2
	v_cndmask_b32_e64 v2, v9, v10, s[0:1]
	v_cmp_gt_i32_e64 s[0:1], s8, v6
	v_cndmask_b32_e64 v5, 0, v2, s[0:1]
	v_or_b32_e32 v2, 0x200, v0
	v_cmp_lt_i32_e64 s[0:1], s9, v3
	v_cndmask_b32_e64 v3, v9, v10, s[0:1]
	v_cmp_gt_i32_e64 s[0:1], s8, v2
	v_cndmask_b32_e32 v7, 0, v4, vcc
	v_cndmask_b32_e64 v4, 0, v3, s[0:1]
	v_or_b32_e32 v2, 0x300, v0
	v_cmp_lt_i32_e64 s[0:1], s9, v8
	v_cndmask_b32_e64 v3, v9, v10, s[0:1]
	v_cmp_gt_i32_e64 s[0:1], s8, v2
	v_cndmask_b32_e64 v3, 0, v3, s[0:1]
	s_and_saveexec_b64 s[0:1], vcc
	s_cbranch_execnz .LBB59_17
; %bb.12:
	s_or_b64 exec, exec, s[0:1]
	v_cmp_gt_i32_e32 vcc, s8, v0
	s_and_saveexec_b64 s[0:1], vcc
	s_cbranch_execnz .LBB59_18
.LBB59_13:
	s_or_b64 exec, exec, s[0:1]
	v_cmp_gt_i32_e32 vcc, s8, v0
	s_and_saveexec_b64 s[0:1], vcc
	s_cbranch_execnz .LBB59_19
.LBB59_14:
	s_or_b64 exec, exec, s[0:1]
	v_cmp_gt_i32_e32 vcc, s8, v0
	s_and_saveexec_b64 s[0:1], vcc
	s_cbranch_execz .LBB59_16
.LBB59_15:
	v_add_u32_e32 v0, s2, v0
	v_mov_b32_e32 v1, 0
	v_lshlrev_b64 v[0:1], 2, v[0:1]
	v_mov_b32_e32 v2, s13
	v_add_co_u32_e32 v0, vcc, s12, v0
	v_addc_co_u32_e32 v1, vcc, v2, v1, vcc
	global_store_dword v[0:1], v3, off
.LBB59_16:
	s_endpgm
.LBB59_17:
	v_mov_b32_e32 v2, 0
	v_lshlrev_b64 v[0:1], 2, v[1:2]
	v_mov_b32_e32 v2, s13
	v_add_co_u32_e32 v0, vcc, s12, v0
	v_addc_co_u32_e32 v1, vcc, v2, v1, vcc
	global_store_dword v[0:1], v7, off
	v_mov_b32_e32 v0, v6
	s_or_b64 exec, exec, s[0:1]
	v_cmp_gt_i32_e32 vcc, s8, v0
	s_and_saveexec_b64 s[0:1], vcc
	s_cbranch_execz .LBB59_13
.LBB59_18:
	v_add_u32_e32 v1, s2, v0
	v_mov_b32_e32 v2, 0
	v_lshlrev_b64 v[1:2], 2, v[1:2]
	v_mov_b32_e32 v6, s13
	v_add_co_u32_e32 v1, vcc, s12, v1
	v_addc_co_u32_e32 v2, vcc, v6, v2, vcc
	v_add_u32_e32 v0, 0x100, v0
	global_store_dword v[1:2], v5, off
	s_or_b64 exec, exec, s[0:1]
	v_cmp_gt_i32_e32 vcc, s8, v0
	s_and_saveexec_b64 s[0:1], vcc
	s_cbranch_execz .LBB59_14
.LBB59_19:
	v_add_u32_e32 v1, s2, v0
	v_mov_b32_e32 v2, 0
	v_lshlrev_b64 v[1:2], 2, v[1:2]
	v_mov_b32_e32 v5, s13
	v_add_co_u32_e32 v1, vcc, s12, v1
	v_addc_co_u32_e32 v2, vcc, v5, v2, vcc
	v_add_u32_e32 v0, 0x100, v0
	global_store_dword v[1:2], v4, off
	s_or_b64 exec, exec, s[0:1]
	v_cmp_gt_i32_e32 vcc, s8, v0
	s_and_saveexec_b64 s[0:1], vcc
	s_cbranch_execnz .LBB59_15
	s_branch .LBB59_16
	.section	.rodata,"a",@progbits
	.p2align	6, 0x0
	.amdhsa_kernel _ZN2at6native29vectorized_elementwise_kernelILi2ENS0_13BUnaryFunctorIiiiZNS0_12_GLOBAL__N_121threshold_kernel_implIiEEvRNS_18TensorIteratorBaseET_S7_EUliiE_EESt5arrayIPcLm2EEEEviT0_T1_
		.amdhsa_group_segment_fixed_size 0
		.amdhsa_private_segment_fixed_size 0
		.amdhsa_kernarg_size 32
		.amdhsa_user_sgpr_count 6
		.amdhsa_user_sgpr_private_segment_buffer 1
		.amdhsa_user_sgpr_dispatch_ptr 0
		.amdhsa_user_sgpr_queue_ptr 0
		.amdhsa_user_sgpr_kernarg_segment_ptr 1
		.amdhsa_user_sgpr_dispatch_id 0
		.amdhsa_user_sgpr_flat_scratch_init 0
		.amdhsa_user_sgpr_private_segment_size 0
		.amdhsa_uses_dynamic_stack 0
		.amdhsa_system_sgpr_private_segment_wavefront_offset 0
		.amdhsa_system_sgpr_workgroup_id_x 1
		.amdhsa_system_sgpr_workgroup_id_y 0
		.amdhsa_system_sgpr_workgroup_id_z 0
		.amdhsa_system_sgpr_workgroup_info 0
		.amdhsa_system_vgpr_workitem_id 0
		.amdhsa_next_free_vgpr 11
		.amdhsa_next_free_sgpr 18
		.amdhsa_reserve_vcc 1
		.amdhsa_reserve_flat_scratch 0
		.amdhsa_float_round_mode_32 0
		.amdhsa_float_round_mode_16_64 0
		.amdhsa_float_denorm_mode_32 3
		.amdhsa_float_denorm_mode_16_64 3
		.amdhsa_dx10_clamp 1
		.amdhsa_ieee_mode 1
		.amdhsa_fp16_overflow 0
		.amdhsa_exception_fp_ieee_invalid_op 0
		.amdhsa_exception_fp_denorm_src 0
		.amdhsa_exception_fp_ieee_div_zero 0
		.amdhsa_exception_fp_ieee_overflow 0
		.amdhsa_exception_fp_ieee_underflow 0
		.amdhsa_exception_fp_ieee_inexact 0
		.amdhsa_exception_int_div_zero 0
	.end_amdhsa_kernel
	.section	.text._ZN2at6native29vectorized_elementwise_kernelILi2ENS0_13BUnaryFunctorIiiiZNS0_12_GLOBAL__N_121threshold_kernel_implIiEEvRNS_18TensorIteratorBaseET_S7_EUliiE_EESt5arrayIPcLm2EEEEviT0_T1_,"axG",@progbits,_ZN2at6native29vectorized_elementwise_kernelILi2ENS0_13BUnaryFunctorIiiiZNS0_12_GLOBAL__N_121threshold_kernel_implIiEEvRNS_18TensorIteratorBaseET_S7_EUliiE_EESt5arrayIPcLm2EEEEviT0_T1_,comdat
.Lfunc_end59:
	.size	_ZN2at6native29vectorized_elementwise_kernelILi2ENS0_13BUnaryFunctorIiiiZNS0_12_GLOBAL__N_121threshold_kernel_implIiEEvRNS_18TensorIteratorBaseET_S7_EUliiE_EESt5arrayIPcLm2EEEEviT0_T1_, .Lfunc_end59-_ZN2at6native29vectorized_elementwise_kernelILi2ENS0_13BUnaryFunctorIiiiZNS0_12_GLOBAL__N_121threshold_kernel_implIiEEvRNS_18TensorIteratorBaseET_S7_EUliiE_EESt5arrayIPcLm2EEEEviT0_T1_
                                        ; -- End function
	.set _ZN2at6native29vectorized_elementwise_kernelILi2ENS0_13BUnaryFunctorIiiiZNS0_12_GLOBAL__N_121threshold_kernel_implIiEEvRNS_18TensorIteratorBaseET_S7_EUliiE_EESt5arrayIPcLm2EEEEviT0_T1_.num_vgpr, 11
	.set _ZN2at6native29vectorized_elementwise_kernelILi2ENS0_13BUnaryFunctorIiiiZNS0_12_GLOBAL__N_121threshold_kernel_implIiEEvRNS_18TensorIteratorBaseET_S7_EUliiE_EESt5arrayIPcLm2EEEEviT0_T1_.num_agpr, 0
	.set _ZN2at6native29vectorized_elementwise_kernelILi2ENS0_13BUnaryFunctorIiiiZNS0_12_GLOBAL__N_121threshold_kernel_implIiEEvRNS_18TensorIteratorBaseET_S7_EUliiE_EESt5arrayIPcLm2EEEEviT0_T1_.numbered_sgpr, 18
	.set _ZN2at6native29vectorized_elementwise_kernelILi2ENS0_13BUnaryFunctorIiiiZNS0_12_GLOBAL__N_121threshold_kernel_implIiEEvRNS_18TensorIteratorBaseET_S7_EUliiE_EESt5arrayIPcLm2EEEEviT0_T1_.num_named_barrier, 0
	.set _ZN2at6native29vectorized_elementwise_kernelILi2ENS0_13BUnaryFunctorIiiiZNS0_12_GLOBAL__N_121threshold_kernel_implIiEEvRNS_18TensorIteratorBaseET_S7_EUliiE_EESt5arrayIPcLm2EEEEviT0_T1_.private_seg_size, 0
	.set _ZN2at6native29vectorized_elementwise_kernelILi2ENS0_13BUnaryFunctorIiiiZNS0_12_GLOBAL__N_121threshold_kernel_implIiEEvRNS_18TensorIteratorBaseET_S7_EUliiE_EESt5arrayIPcLm2EEEEviT0_T1_.uses_vcc, 1
	.set _ZN2at6native29vectorized_elementwise_kernelILi2ENS0_13BUnaryFunctorIiiiZNS0_12_GLOBAL__N_121threshold_kernel_implIiEEvRNS_18TensorIteratorBaseET_S7_EUliiE_EESt5arrayIPcLm2EEEEviT0_T1_.uses_flat_scratch, 0
	.set _ZN2at6native29vectorized_elementwise_kernelILi2ENS0_13BUnaryFunctorIiiiZNS0_12_GLOBAL__N_121threshold_kernel_implIiEEvRNS_18TensorIteratorBaseET_S7_EUliiE_EESt5arrayIPcLm2EEEEviT0_T1_.has_dyn_sized_stack, 0
	.set _ZN2at6native29vectorized_elementwise_kernelILi2ENS0_13BUnaryFunctorIiiiZNS0_12_GLOBAL__N_121threshold_kernel_implIiEEvRNS_18TensorIteratorBaseET_S7_EUliiE_EESt5arrayIPcLm2EEEEviT0_T1_.has_recursion, 0
	.set _ZN2at6native29vectorized_elementwise_kernelILi2ENS0_13BUnaryFunctorIiiiZNS0_12_GLOBAL__N_121threshold_kernel_implIiEEvRNS_18TensorIteratorBaseET_S7_EUliiE_EESt5arrayIPcLm2EEEEviT0_T1_.has_indirect_call, 0
	.section	.AMDGPU.csdata,"",@progbits
; Kernel info:
; codeLenInByte = 804
; TotalNumSgprs: 22
; NumVgprs: 11
; ScratchSize: 0
; MemoryBound: 0
; FloatMode: 240
; IeeeMode: 1
; LDSByteSize: 0 bytes/workgroup (compile time only)
; SGPRBlocks: 2
; VGPRBlocks: 2
; NumSGPRsForWavesPerEU: 22
; NumVGPRsForWavesPerEU: 11
; Occupancy: 10
; WaveLimiterHint : 1
; COMPUTE_PGM_RSRC2:SCRATCH_EN: 0
; COMPUTE_PGM_RSRC2:USER_SGPR: 6
; COMPUTE_PGM_RSRC2:TRAP_HANDLER: 0
; COMPUTE_PGM_RSRC2:TGID_X_EN: 1
; COMPUTE_PGM_RSRC2:TGID_Y_EN: 0
; COMPUTE_PGM_RSRC2:TGID_Z_EN: 0
; COMPUTE_PGM_RSRC2:TIDIG_COMP_CNT: 0
	.section	.text._ZN2at6native27unrolled_elementwise_kernelINS0_13BUnaryFunctorIiiiZNS0_12_GLOBAL__N_121threshold_kernel_implIiEEvRNS_18TensorIteratorBaseET_S7_EUliiE_EESt5arrayIPcLm2EELi4E23TrivialOffsetCalculatorILi1EjESE_NS0_6memory15LoadWithoutCastENSF_16StoreWithoutCastEEEviS7_T0_T2_T3_T4_T5_,"axG",@progbits,_ZN2at6native27unrolled_elementwise_kernelINS0_13BUnaryFunctorIiiiZNS0_12_GLOBAL__N_121threshold_kernel_implIiEEvRNS_18TensorIteratorBaseET_S7_EUliiE_EESt5arrayIPcLm2EELi4E23TrivialOffsetCalculatorILi1EjESE_NS0_6memory15LoadWithoutCastENSF_16StoreWithoutCastEEEviS7_T0_T2_T3_T4_T5_,comdat
	.globl	_ZN2at6native27unrolled_elementwise_kernelINS0_13BUnaryFunctorIiiiZNS0_12_GLOBAL__N_121threshold_kernel_implIiEEvRNS_18TensorIteratorBaseET_S7_EUliiE_EESt5arrayIPcLm2EELi4E23TrivialOffsetCalculatorILi1EjESE_NS0_6memory15LoadWithoutCastENSF_16StoreWithoutCastEEEviS7_T0_T2_T3_T4_T5_ ; -- Begin function _ZN2at6native27unrolled_elementwise_kernelINS0_13BUnaryFunctorIiiiZNS0_12_GLOBAL__N_121threshold_kernel_implIiEEvRNS_18TensorIteratorBaseET_S7_EUliiE_EESt5arrayIPcLm2EELi4E23TrivialOffsetCalculatorILi1EjESE_NS0_6memory15LoadWithoutCastENSF_16StoreWithoutCastEEEviS7_T0_T2_T3_T4_T5_
	.p2align	8
	.type	_ZN2at6native27unrolled_elementwise_kernelINS0_13BUnaryFunctorIiiiZNS0_12_GLOBAL__N_121threshold_kernel_implIiEEvRNS_18TensorIteratorBaseET_S7_EUliiE_EESt5arrayIPcLm2EELi4E23TrivialOffsetCalculatorILi1EjESE_NS0_6memory15LoadWithoutCastENSF_16StoreWithoutCastEEEviS7_T0_T2_T3_T4_T5_,@function
_ZN2at6native27unrolled_elementwise_kernelINS0_13BUnaryFunctorIiiiZNS0_12_GLOBAL__N_121threshold_kernel_implIiEEvRNS_18TensorIteratorBaseET_S7_EUliiE_EESt5arrayIPcLm2EELi4E23TrivialOffsetCalculatorILi1EjESE_NS0_6memory15LoadWithoutCastENSF_16StoreWithoutCastEEEviS7_T0_T2_T3_T4_T5_: ; @_ZN2at6native27unrolled_elementwise_kernelINS0_13BUnaryFunctorIiiiZNS0_12_GLOBAL__N_121threshold_kernel_implIiEEvRNS_18TensorIteratorBaseET_S7_EUliiE_EESt5arrayIPcLm2EELi4E23TrivialOffsetCalculatorILi1EjESE_NS0_6memory15LoadWithoutCastENSF_16StoreWithoutCastEEEviS7_T0_T2_T3_T4_T5_
; %bb.0:
	s_load_dwordx8 s[8:15], s[4:5], 0x0
	s_lshl_b32 s18, s6, 10
	v_mov_b32_e32 v4, 0
	v_or_b32_e32 v5, 0x100, v0
	v_or_b32_e32 v1, s18, v0
	s_waitcnt lgkmcnt(0)
	s_sub_i32 s8, s8, s18
	v_cmp_gt_i32_e32 vcc, s8, v0
	v_mov_b32_e32 v3, 0
	v_mov_b32_e32 v2, v4
	;; [unrolled: 1-line block ×3, first 2 shown]
	s_and_saveexec_b64 s[2:3], vcc
	s_cbranch_execz .LBB60_8
; %bb.1:
	v_mov_b32_e32 v2, 0
	v_lshlrev_b64 v[3:4], 2, v[1:2]
	v_mov_b32_e32 v6, s15
	v_add_co_u32_e64 v3, s[0:1], s14, v3
	v_addc_co_u32_e64 v4, s[0:1], v6, v4, s[0:1]
	global_load_dword v6, v[3:4], off
	v_cmp_gt_u32_e64 s[0:1], s8, v5
	v_mov_b32_e32 v3, v2
	v_mov_b32_e32 v4, v2
	s_and_saveexec_b64 s[4:5], s[0:1]
	s_cbranch_execz .LBB60_7
; %bb.2:
	v_add_u32_e32 v2, s18, v5
	v_mov_b32_e32 v3, 0
	v_lshlrev_b64 v[7:8], 2, v[2:3]
	v_mov_b32_e32 v2, s15
	v_add_co_u32_e64 v7, s[0:1], s14, v7
	v_addc_co_u32_e64 v8, s[0:1], v2, v8, s[0:1]
	global_load_dword v2, v[7:8], off
	v_or_b32_e32 v7, 0x200, v0
	v_cmp_gt_u32_e64 s[0:1], s8, v7
	v_mov_b32_e32 v4, v3
	s_and_saveexec_b64 s[6:7], s[0:1]
	s_cbranch_execz .LBB60_6
; %bb.3:
	v_add_u32_e32 v3, s18, v7
	v_mov_b32_e32 v4, 0
	v_lshlrev_b64 v[7:8], 2, v[3:4]
	v_mov_b32_e32 v3, s15
	v_add_co_u32_e64 v7, s[0:1], s14, v7
	v_addc_co_u32_e64 v8, s[0:1], v3, v8, s[0:1]
	global_load_dword v3, v[7:8], off
	v_or_b32_e32 v7, 0x300, v0
	v_cmp_gt_u32_e64 s[0:1], s8, v7
	s_and_saveexec_b64 s[16:17], s[0:1]
	s_cbranch_execz .LBB60_5
; %bb.4:
	v_add_u32_e32 v7, s18, v7
	v_mov_b32_e32 v8, 0
	v_lshlrev_b64 v[7:8], 2, v[7:8]
	v_mov_b32_e32 v4, s15
	v_add_co_u32_e64 v7, s[0:1], s14, v7
	v_addc_co_u32_e64 v8, s[0:1], v4, v8, s[0:1]
	global_load_dword v4, v[7:8], off
.LBB60_5:
	s_or_b64 exec, exec, s[16:17]
.LBB60_6:
	s_or_b64 exec, exec, s[6:7]
.LBB60_7:
	s_or_b64 exec, exec, s[4:5]
.LBB60_8:
	s_or_b64 exec, exec, s[2:3]
	v_mov_b32_e32 v9, s10
	v_mov_b32_e32 v10, s11
	s_waitcnt vmcnt(0)
	v_cmp_lt_i32_e64 s[0:1], s9, v6
	v_cndmask_b32_e64 v6, v9, v10, s[0:1]
	v_cmp_lt_i32_e64 s[0:1], s9, v2
	v_cndmask_b32_e64 v2, v9, v10, s[0:1]
	v_cmp_gt_i32_e64 s[0:1], s8, v5
	v_cndmask_b32_e64 v7, 0, v2, s[0:1]
	v_or_b32_e32 v2, 0x200, v0
	v_cmp_lt_i32_e64 s[0:1], s9, v3
	v_cndmask_b32_e64 v3, v9, v10, s[0:1]
	v_cmp_gt_i32_e64 s[0:1], s8, v2
	v_cndmask_b32_e32 v8, 0, v6, vcc
	v_cndmask_b32_e64 v6, 0, v3, s[0:1]
	v_or_b32_e32 v2, 0x300, v0
	v_cmp_lt_i32_e64 s[0:1], s9, v4
	v_cndmask_b32_e64 v3, v9, v10, s[0:1]
	v_cmp_gt_i32_e64 s[0:1], s8, v2
	v_cndmask_b32_e64 v3, 0, v3, s[0:1]
	s_and_saveexec_b64 s[0:1], vcc
	s_cbranch_execnz .LBB60_13
; %bb.9:
	s_or_b64 exec, exec, s[0:1]
	v_cmp_gt_i32_e32 vcc, s8, v0
	s_and_saveexec_b64 s[0:1], vcc
	s_cbranch_execnz .LBB60_14
.LBB60_10:
	s_or_b64 exec, exec, s[0:1]
	v_cmp_gt_i32_e32 vcc, s8, v0
	s_and_saveexec_b64 s[0:1], vcc
	s_cbranch_execnz .LBB60_15
.LBB60_11:
	s_or_b64 exec, exec, s[0:1]
	v_cmp_gt_i32_e32 vcc, s8, v0
	s_and_saveexec_b64 s[0:1], vcc
	s_cbranch_execnz .LBB60_16
.LBB60_12:
	s_endpgm
.LBB60_13:
	v_mov_b32_e32 v2, 0
	v_lshlrev_b64 v[0:1], 2, v[1:2]
	v_mov_b32_e32 v2, s13
	v_add_co_u32_e32 v0, vcc, s12, v0
	v_addc_co_u32_e32 v1, vcc, v2, v1, vcc
	global_store_dword v[0:1], v8, off
	v_mov_b32_e32 v0, v5
	s_or_b64 exec, exec, s[0:1]
	v_cmp_gt_i32_e32 vcc, s8, v0
	s_and_saveexec_b64 s[0:1], vcc
	s_cbranch_execz .LBB60_10
.LBB60_14:
	v_add_u32_e32 v2, 0x100, v0
	v_add_u32_e32 v0, s18, v0
	v_mov_b32_e32 v1, 0
	v_lshlrev_b64 v[0:1], 2, v[0:1]
	v_mov_b32_e32 v4, s13
	v_add_co_u32_e32 v0, vcc, s12, v0
	v_addc_co_u32_e32 v1, vcc, v4, v1, vcc
	global_store_dword v[0:1], v7, off
	v_mov_b32_e32 v0, v2
	s_or_b64 exec, exec, s[0:1]
	v_cmp_gt_i32_e32 vcc, s8, v0
	s_and_saveexec_b64 s[0:1], vcc
	s_cbranch_execz .LBB60_11
.LBB60_15:
	v_add_u32_e32 v2, 0x100, v0
	v_add_u32_e32 v0, s18, v0
	v_mov_b32_e32 v1, 0
	v_lshlrev_b64 v[0:1], 2, v[0:1]
	v_mov_b32_e32 v4, s13
	v_add_co_u32_e32 v0, vcc, s12, v0
	v_addc_co_u32_e32 v1, vcc, v4, v1, vcc
	global_store_dword v[0:1], v6, off
	v_mov_b32_e32 v0, v2
	s_or_b64 exec, exec, s[0:1]
	v_cmp_gt_i32_e32 vcc, s8, v0
	s_and_saveexec_b64 s[0:1], vcc
	s_cbranch_execz .LBB60_12
.LBB60_16:
	v_add_u32_e32 v0, s18, v0
	v_mov_b32_e32 v1, 0
	v_lshlrev_b64 v[0:1], 2, v[0:1]
	v_mov_b32_e32 v2, s13
	v_add_co_u32_e32 v0, vcc, s12, v0
	v_addc_co_u32_e32 v1, vcc, v2, v1, vcc
	global_store_dword v[0:1], v3, off
	s_endpgm
	.section	.rodata,"a",@progbits
	.p2align	6, 0x0
	.amdhsa_kernel _ZN2at6native27unrolled_elementwise_kernelINS0_13BUnaryFunctorIiiiZNS0_12_GLOBAL__N_121threshold_kernel_implIiEEvRNS_18TensorIteratorBaseET_S7_EUliiE_EESt5arrayIPcLm2EELi4E23TrivialOffsetCalculatorILi1EjESE_NS0_6memory15LoadWithoutCastENSF_16StoreWithoutCastEEEviS7_T0_T2_T3_T4_T5_
		.amdhsa_group_segment_fixed_size 0
		.amdhsa_private_segment_fixed_size 0
		.amdhsa_kernarg_size 36
		.amdhsa_user_sgpr_count 6
		.amdhsa_user_sgpr_private_segment_buffer 1
		.amdhsa_user_sgpr_dispatch_ptr 0
		.amdhsa_user_sgpr_queue_ptr 0
		.amdhsa_user_sgpr_kernarg_segment_ptr 1
		.amdhsa_user_sgpr_dispatch_id 0
		.amdhsa_user_sgpr_flat_scratch_init 0
		.amdhsa_user_sgpr_private_segment_size 0
		.amdhsa_uses_dynamic_stack 0
		.amdhsa_system_sgpr_private_segment_wavefront_offset 0
		.amdhsa_system_sgpr_workgroup_id_x 1
		.amdhsa_system_sgpr_workgroup_id_y 0
		.amdhsa_system_sgpr_workgroup_id_z 0
		.amdhsa_system_sgpr_workgroup_info 0
		.amdhsa_system_vgpr_workitem_id 0
		.amdhsa_next_free_vgpr 11
		.amdhsa_next_free_sgpr 19
		.amdhsa_reserve_vcc 1
		.amdhsa_reserve_flat_scratch 0
		.amdhsa_float_round_mode_32 0
		.amdhsa_float_round_mode_16_64 0
		.amdhsa_float_denorm_mode_32 3
		.amdhsa_float_denorm_mode_16_64 3
		.amdhsa_dx10_clamp 1
		.amdhsa_ieee_mode 1
		.amdhsa_fp16_overflow 0
		.amdhsa_exception_fp_ieee_invalid_op 0
		.amdhsa_exception_fp_denorm_src 0
		.amdhsa_exception_fp_ieee_div_zero 0
		.amdhsa_exception_fp_ieee_overflow 0
		.amdhsa_exception_fp_ieee_underflow 0
		.amdhsa_exception_fp_ieee_inexact 0
		.amdhsa_exception_int_div_zero 0
	.end_amdhsa_kernel
	.section	.text._ZN2at6native27unrolled_elementwise_kernelINS0_13BUnaryFunctorIiiiZNS0_12_GLOBAL__N_121threshold_kernel_implIiEEvRNS_18TensorIteratorBaseET_S7_EUliiE_EESt5arrayIPcLm2EELi4E23TrivialOffsetCalculatorILi1EjESE_NS0_6memory15LoadWithoutCastENSF_16StoreWithoutCastEEEviS7_T0_T2_T3_T4_T5_,"axG",@progbits,_ZN2at6native27unrolled_elementwise_kernelINS0_13BUnaryFunctorIiiiZNS0_12_GLOBAL__N_121threshold_kernel_implIiEEvRNS_18TensorIteratorBaseET_S7_EUliiE_EESt5arrayIPcLm2EELi4E23TrivialOffsetCalculatorILi1EjESE_NS0_6memory15LoadWithoutCastENSF_16StoreWithoutCastEEEviS7_T0_T2_T3_T4_T5_,comdat
.Lfunc_end60:
	.size	_ZN2at6native27unrolled_elementwise_kernelINS0_13BUnaryFunctorIiiiZNS0_12_GLOBAL__N_121threshold_kernel_implIiEEvRNS_18TensorIteratorBaseET_S7_EUliiE_EESt5arrayIPcLm2EELi4E23TrivialOffsetCalculatorILi1EjESE_NS0_6memory15LoadWithoutCastENSF_16StoreWithoutCastEEEviS7_T0_T2_T3_T4_T5_, .Lfunc_end60-_ZN2at6native27unrolled_elementwise_kernelINS0_13BUnaryFunctorIiiiZNS0_12_GLOBAL__N_121threshold_kernel_implIiEEvRNS_18TensorIteratorBaseET_S7_EUliiE_EESt5arrayIPcLm2EELi4E23TrivialOffsetCalculatorILi1EjESE_NS0_6memory15LoadWithoutCastENSF_16StoreWithoutCastEEEviS7_T0_T2_T3_T4_T5_
                                        ; -- End function
	.set _ZN2at6native27unrolled_elementwise_kernelINS0_13BUnaryFunctorIiiiZNS0_12_GLOBAL__N_121threshold_kernel_implIiEEvRNS_18TensorIteratorBaseET_S7_EUliiE_EESt5arrayIPcLm2EELi4E23TrivialOffsetCalculatorILi1EjESE_NS0_6memory15LoadWithoutCastENSF_16StoreWithoutCastEEEviS7_T0_T2_T3_T4_T5_.num_vgpr, 11
	.set _ZN2at6native27unrolled_elementwise_kernelINS0_13BUnaryFunctorIiiiZNS0_12_GLOBAL__N_121threshold_kernel_implIiEEvRNS_18TensorIteratorBaseET_S7_EUliiE_EESt5arrayIPcLm2EELi4E23TrivialOffsetCalculatorILi1EjESE_NS0_6memory15LoadWithoutCastENSF_16StoreWithoutCastEEEviS7_T0_T2_T3_T4_T5_.num_agpr, 0
	.set _ZN2at6native27unrolled_elementwise_kernelINS0_13BUnaryFunctorIiiiZNS0_12_GLOBAL__N_121threshold_kernel_implIiEEvRNS_18TensorIteratorBaseET_S7_EUliiE_EESt5arrayIPcLm2EELi4E23TrivialOffsetCalculatorILi1EjESE_NS0_6memory15LoadWithoutCastENSF_16StoreWithoutCastEEEviS7_T0_T2_T3_T4_T5_.numbered_sgpr, 19
	.set _ZN2at6native27unrolled_elementwise_kernelINS0_13BUnaryFunctorIiiiZNS0_12_GLOBAL__N_121threshold_kernel_implIiEEvRNS_18TensorIteratorBaseET_S7_EUliiE_EESt5arrayIPcLm2EELi4E23TrivialOffsetCalculatorILi1EjESE_NS0_6memory15LoadWithoutCastENSF_16StoreWithoutCastEEEviS7_T0_T2_T3_T4_T5_.num_named_barrier, 0
	.set _ZN2at6native27unrolled_elementwise_kernelINS0_13BUnaryFunctorIiiiZNS0_12_GLOBAL__N_121threshold_kernel_implIiEEvRNS_18TensorIteratorBaseET_S7_EUliiE_EESt5arrayIPcLm2EELi4E23TrivialOffsetCalculatorILi1EjESE_NS0_6memory15LoadWithoutCastENSF_16StoreWithoutCastEEEviS7_T0_T2_T3_T4_T5_.private_seg_size, 0
	.set _ZN2at6native27unrolled_elementwise_kernelINS0_13BUnaryFunctorIiiiZNS0_12_GLOBAL__N_121threshold_kernel_implIiEEvRNS_18TensorIteratorBaseET_S7_EUliiE_EESt5arrayIPcLm2EELi4E23TrivialOffsetCalculatorILi1EjESE_NS0_6memory15LoadWithoutCastENSF_16StoreWithoutCastEEEviS7_T0_T2_T3_T4_T5_.uses_vcc, 1
	.set _ZN2at6native27unrolled_elementwise_kernelINS0_13BUnaryFunctorIiiiZNS0_12_GLOBAL__N_121threshold_kernel_implIiEEvRNS_18TensorIteratorBaseET_S7_EUliiE_EESt5arrayIPcLm2EELi4E23TrivialOffsetCalculatorILi1EjESE_NS0_6memory15LoadWithoutCastENSF_16StoreWithoutCastEEEviS7_T0_T2_T3_T4_T5_.uses_flat_scratch, 0
	.set _ZN2at6native27unrolled_elementwise_kernelINS0_13BUnaryFunctorIiiiZNS0_12_GLOBAL__N_121threshold_kernel_implIiEEvRNS_18TensorIteratorBaseET_S7_EUliiE_EESt5arrayIPcLm2EELi4E23TrivialOffsetCalculatorILi1EjESE_NS0_6memory15LoadWithoutCastENSF_16StoreWithoutCastEEEviS7_T0_T2_T3_T4_T5_.has_dyn_sized_stack, 0
	.set _ZN2at6native27unrolled_elementwise_kernelINS0_13BUnaryFunctorIiiiZNS0_12_GLOBAL__N_121threshold_kernel_implIiEEvRNS_18TensorIteratorBaseET_S7_EUliiE_EESt5arrayIPcLm2EELi4E23TrivialOffsetCalculatorILi1EjESE_NS0_6memory15LoadWithoutCastENSF_16StoreWithoutCastEEEviS7_T0_T2_T3_T4_T5_.has_recursion, 0
	.set _ZN2at6native27unrolled_elementwise_kernelINS0_13BUnaryFunctorIiiiZNS0_12_GLOBAL__N_121threshold_kernel_implIiEEvRNS_18TensorIteratorBaseET_S7_EUliiE_EESt5arrayIPcLm2EELi4E23TrivialOffsetCalculatorILi1EjESE_NS0_6memory15LoadWithoutCastENSF_16StoreWithoutCastEEEviS7_T0_T2_T3_T4_T5_.has_indirect_call, 0
	.section	.AMDGPU.csdata,"",@progbits
; Kernel info:
; codeLenInByte = 748
; TotalNumSgprs: 23
; NumVgprs: 11
; ScratchSize: 0
; MemoryBound: 0
; FloatMode: 240
; IeeeMode: 1
; LDSByteSize: 0 bytes/workgroup (compile time only)
; SGPRBlocks: 2
; VGPRBlocks: 2
; NumSGPRsForWavesPerEU: 23
; NumVGPRsForWavesPerEU: 11
; Occupancy: 10
; WaveLimiterHint : 0
; COMPUTE_PGM_RSRC2:SCRATCH_EN: 0
; COMPUTE_PGM_RSRC2:USER_SGPR: 6
; COMPUTE_PGM_RSRC2:TRAP_HANDLER: 0
; COMPUTE_PGM_RSRC2:TGID_X_EN: 1
; COMPUTE_PGM_RSRC2:TGID_Y_EN: 0
; COMPUTE_PGM_RSRC2:TGID_Z_EN: 0
; COMPUTE_PGM_RSRC2:TIDIG_COMP_CNT: 0
	.section	.text._ZN2at6native32elementwise_kernel_manual_unrollILi128ELi4EZNS0_22gpu_kernel_impl_nocastINS0_13BUnaryFunctorIiiiZNS0_12_GLOBAL__N_121threshold_kernel_implIiEEvRNS_18TensorIteratorBaseET_S8_EUliiE_EEEEvS7_RKS8_EUlibE_EEviT1_,"axG",@progbits,_ZN2at6native32elementwise_kernel_manual_unrollILi128ELi4EZNS0_22gpu_kernel_impl_nocastINS0_13BUnaryFunctorIiiiZNS0_12_GLOBAL__N_121threshold_kernel_implIiEEvRNS_18TensorIteratorBaseET_S8_EUliiE_EEEEvS7_RKS8_EUlibE_EEviT1_,comdat
	.globl	_ZN2at6native32elementwise_kernel_manual_unrollILi128ELi4EZNS0_22gpu_kernel_impl_nocastINS0_13BUnaryFunctorIiiiZNS0_12_GLOBAL__N_121threshold_kernel_implIiEEvRNS_18TensorIteratorBaseET_S8_EUliiE_EEEEvS7_RKS8_EUlibE_EEviT1_ ; -- Begin function _ZN2at6native32elementwise_kernel_manual_unrollILi128ELi4EZNS0_22gpu_kernel_impl_nocastINS0_13BUnaryFunctorIiiiZNS0_12_GLOBAL__N_121threshold_kernel_implIiEEvRNS_18TensorIteratorBaseET_S8_EUliiE_EEEEvS7_RKS8_EUlibE_EEviT1_
	.p2align	8
	.type	_ZN2at6native32elementwise_kernel_manual_unrollILi128ELi4EZNS0_22gpu_kernel_impl_nocastINS0_13BUnaryFunctorIiiiZNS0_12_GLOBAL__N_121threshold_kernel_implIiEEvRNS_18TensorIteratorBaseET_S8_EUliiE_EEEEvS7_RKS8_EUlibE_EEviT1_,@function
_ZN2at6native32elementwise_kernel_manual_unrollILi128ELi4EZNS0_22gpu_kernel_impl_nocastINS0_13BUnaryFunctorIiiiZNS0_12_GLOBAL__N_121threshold_kernel_implIiEEvRNS_18TensorIteratorBaseET_S8_EUliiE_EEEEvS7_RKS8_EUlibE_EEviT1_: ; @_ZN2at6native32elementwise_kernel_manual_unrollILi128ELi4EZNS0_22gpu_kernel_impl_nocastINS0_13BUnaryFunctorIiiiZNS0_12_GLOBAL__N_121threshold_kernel_implIiEEvRNS_18TensorIteratorBaseET_S8_EUliiE_EEEEvS7_RKS8_EUlibE_EEviT1_
; %bb.0:
	s_load_dword s59, s[4:5], 0x0
	s_load_dword s33, s[4:5], 0x8
	s_add_u32 s34, s4, 8
	s_addc_u32 s35, s5, 0
	v_lshl_or_b32 v7, s6, 9, v0
	v_or_b32_e32 v13, 0x180, v7
	s_waitcnt lgkmcnt(0)
	s_add_i32 s58, s33, -1
	s_cmp_gt_u32 s58, 1
	v_cmp_le_i32_e32 vcc, s59, v13
	s_cselect_b64 s[40:41], -1, 0
	s_and_saveexec_b64 s[0:1], vcc
	s_xor_b64 s[42:43], exec, s[0:1]
	s_cbranch_execz .LBB61_7
; %bb.1:
	s_load_dwordx4 s[28:31], s[34:35], 0x4
	s_load_dwordx2 s[44:45], s[34:35], 0x14
	s_load_dwordx4 s[24:27], s[34:35], 0xc4
	s_load_dwordx8 s[0:7], s[34:35], 0x148
	s_cmp_lg_u32 s33, 0
	s_cselect_b64 s[50:51], -1, 0
	s_add_u32 s48, s34, 0xc4
	s_addc_u32 s49, s35, 0
	s_waitcnt lgkmcnt(0)
	s_min_u32 s7, s58, 15
	s_cmp_gt_u32 s33, 1
	s_cselect_b64 s[46:47], -1, 0
	v_cmp_gt_i32_e32 vcc, s59, v7
	s_and_saveexec_b64 s[52:53], vcc
	s_cbranch_execz .LBB61_14
; %bb.2:
	s_andn2_b64 vcc, exec, s[40:41]
	s_cbranch_vccnz .LBB61_21
; %bb.3:
	s_andn2_b64 vcc, exec, s[50:51]
	s_cbranch_vccnz .LBB61_73
; %bb.4:
	s_add_i32 s61, s7, 1
	s_cmp_eq_u32 s58, 2
	s_cbranch_scc1 .LBB61_75
; %bb.5:
	s_and_b32 s60, s61, 28
	v_mov_b32_e32 v2, 0
	s_mov_b32 s62, 0
	s_mov_b64 s[54:55], s[34:35]
	s_mov_b64 s[56:57], s[48:49]
	v_mov_b32_e32 v0, 0
	v_mov_b32_e32 v1, v7
.LBB61_6:                               ; =>This Inner Loop Header: Depth=1
	s_load_dwordx8 s[16:23], s[54:55], 0x4
	s_load_dwordx4 s[36:39], s[54:55], 0x24
	s_load_dwordx8 s[8:15], s[56:57], 0x0
	s_add_u32 s54, s54, 48
	s_addc_u32 s55, s55, 0
	s_waitcnt lgkmcnt(0)
	v_mul_hi_u32 v3, s17, v1
	s_add_i32 s62, s62, 4
	s_add_u32 s56, s56, 32
	s_addc_u32 s57, s57, 0
	v_add_u32_e32 v3, v1, v3
	v_lshrrev_b32_e32 v3, s18, v3
	v_mul_lo_u32 v4, v3, s16
	v_mul_hi_u32 v5, s20, v3
	s_cmp_lg_u32 s60, s62
	v_sub_u32_e32 v1, v1, v4
	v_add_u32_e32 v4, v3, v5
	v_mul_lo_u32 v5, v1, s8
	v_mul_lo_u32 v6, v1, s9
	v_lshrrev_b32_e32 v1, s21, v4
	v_mul_lo_u32 v4, v1, s19
	v_mul_hi_u32 v8, s23, v1
	v_sub_u32_e32 v3, v3, v4
	v_add_u32_e32 v4, v1, v8
	v_lshrrev_b32_e32 v4, s36, v4
	v_mul_hi_u32 v9, s38, v4
	v_mul_lo_u32 v10, v4, s22
	v_mul_lo_u32 v8, v3, s10
	;; [unrolled: 1-line block ×3, first 2 shown]
	v_sub_u32_e32 v10, v1, v10
	v_add_u32_e32 v1, v4, v9
	v_lshrrev_b32_e32 v1, s39, v1
	v_mul_lo_u32 v9, v1, s37
	v_mul_lo_u32 v11, v10, s12
	;; [unrolled: 1-line block ×3, first 2 shown]
	v_add3_u32 v0, v5, v0, v8
	v_sub_u32_e32 v4, v4, v9
	v_mul_lo_u32 v9, v4, s14
	v_mul_lo_u32 v4, v4, s15
	v_add3_u32 v2, v6, v2, v3
	v_add3_u32 v0, v11, v0, v9
	;; [unrolled: 1-line block ×3, first 2 shown]
	s_cbranch_scc1 .LBB61_6
	s_branch .LBB61_76
.LBB61_7:
	s_andn2_saveexec_b64 s[0:1], s[42:43]
	s_cbranch_execz .LBB61_101
.LBB61_8:
	v_cndmask_b32_e64 v0, 0, 1, s[40:41]
	v_cmp_ne_u32_e64 s[0:1], 1, v0
	s_andn2_b64 vcc, exec, s[40:41]
	s_cbranch_vccnz .LBB61_20
; %bb.9:
	s_cmp_lg_u32 s33, 0
	s_mov_b32 s26, 0
	s_cbranch_scc0 .LBB61_23
; %bb.10:
	s_min_u32 s27, s58, 15
	s_add_i32 s27, s27, 1
	s_cmp_eq_u32 s58, 2
	s_cbranch_scc1 .LBB61_24
; %bb.11:
	s_and_b32 s26, s27, 28
	s_add_u32 s2, s34, 0xc4
	s_addc_u32 s3, s35, 0
	v_mov_b32_e32 v2, 0
	s_mov_b32 s28, 0
	s_mov_b64 s[24:25], s[34:35]
	v_mov_b32_e32 v0, 0
	v_mov_b32_e32 v1, v7
.LBB61_12:                              ; =>This Inner Loop Header: Depth=1
	s_load_dwordx8 s[12:19], s[24:25], 0x4
	s_load_dwordx4 s[20:23], s[24:25], 0x24
	s_load_dwordx8 s[4:11], s[2:3], 0x0
	s_add_u32 s24, s24, 48
	s_addc_u32 s25, s25, 0
	s_waitcnt lgkmcnt(0)
	v_mul_hi_u32 v3, s13, v1
	s_add_i32 s28, s28, 4
	s_add_u32 s2, s2, 32
	s_addc_u32 s3, s3, 0
	v_add_u32_e32 v3, v1, v3
	v_lshrrev_b32_e32 v3, s14, v3
	v_mul_lo_u32 v4, v3, s12
	v_mul_hi_u32 v5, s16, v3
	s_cmp_lg_u32 s26, s28
	v_sub_u32_e32 v1, v1, v4
	v_add_u32_e32 v4, v3, v5
	v_mul_lo_u32 v5, v1, s4
	v_mul_lo_u32 v6, v1, s5
	v_lshrrev_b32_e32 v1, s17, v4
	v_mul_lo_u32 v4, v1, s15
	v_mul_hi_u32 v8, s19, v1
	v_sub_u32_e32 v3, v3, v4
	v_add_u32_e32 v4, v1, v8
	v_lshrrev_b32_e32 v4, s20, v4
	v_mul_hi_u32 v9, s22, v4
	v_mul_lo_u32 v10, v4, s18
	v_mul_lo_u32 v8, v3, s6
	;; [unrolled: 1-line block ×3, first 2 shown]
	v_sub_u32_e32 v10, v1, v10
	v_add_u32_e32 v1, v4, v9
	v_lshrrev_b32_e32 v1, s23, v1
	v_mul_lo_u32 v9, v1, s21
	v_mul_lo_u32 v11, v10, s8
	;; [unrolled: 1-line block ×3, first 2 shown]
	v_add3_u32 v0, v5, v0, v8
	v_sub_u32_e32 v4, v4, v9
	v_mul_lo_u32 v9, v4, s10
	v_mul_lo_u32 v4, v4, s11
	v_add3_u32 v2, v6, v2, v3
	v_add3_u32 v0, v11, v0, v9
	;; [unrolled: 1-line block ×3, first 2 shown]
	s_cbranch_scc1 .LBB61_12
; %bb.13:
	s_and_b32 s6, s27, 3
	s_cmp_eq_u32 s6, 0
	s_cbranch_scc0 .LBB61_25
	s_branch .LBB61_27
.LBB61_14:
	s_or_b64 exec, exec, s[52:53]
	v_cmp_gt_i32_e32 vcc, s59, v7
	s_and_saveexec_b64 s[52:53], vcc
	s_cbranch_execz .LBB61_83
.LBB61_15:
	s_andn2_b64 vcc, exec, s[40:41]
	s_cbranch_vccnz .LBB61_22
; %bb.16:
	s_andn2_b64 vcc, exec, s[50:51]
	s_cbranch_vccnz .LBB61_74
; %bb.17:
	s_add_i32 s61, s7, 1
	s_cmp_eq_u32 s58, 2
	s_cbranch_scc1 .LBB61_91
; %bb.18:
	s_and_b32 s60, s61, 28
	v_mov_b32_e32 v2, 0
	s_mov_b32 s62, 0
	s_mov_b64 s[54:55], s[34:35]
	s_mov_b64 s[56:57], s[48:49]
	v_mov_b32_e32 v0, 0
	v_mov_b32_e32 v1, v7
.LBB61_19:                              ; =>This Inner Loop Header: Depth=1
	s_load_dwordx8 s[16:23], s[54:55], 0x4
	s_load_dwordx4 s[36:39], s[54:55], 0x24
	s_load_dwordx8 s[8:15], s[56:57], 0x0
	s_add_u32 s54, s54, 48
	s_addc_u32 s55, s55, 0
	s_waitcnt lgkmcnt(0)
	v_mul_hi_u32 v3, s17, v1
	s_add_i32 s62, s62, 4
	s_add_u32 s56, s56, 32
	s_addc_u32 s57, s57, 0
	v_add_u32_e32 v3, v1, v3
	v_lshrrev_b32_e32 v3, s18, v3
	v_mul_lo_u32 v4, v3, s16
	v_mul_hi_u32 v5, s20, v3
	s_cmp_eq_u32 s60, s62
	v_sub_u32_e32 v1, v1, v4
	v_add_u32_e32 v4, v3, v5
	v_mul_lo_u32 v5, v1, s8
	v_mul_lo_u32 v6, v1, s9
	v_lshrrev_b32_e32 v1, s21, v4
	v_mul_lo_u32 v4, v1, s19
	v_mul_hi_u32 v8, s23, v1
	v_sub_u32_e32 v3, v3, v4
	v_add_u32_e32 v4, v1, v8
	v_lshrrev_b32_e32 v4, s36, v4
	v_mul_hi_u32 v9, s38, v4
	v_mul_lo_u32 v10, v4, s22
	v_mul_lo_u32 v8, v3, s10
	;; [unrolled: 1-line block ×3, first 2 shown]
	v_sub_u32_e32 v10, v1, v10
	v_add_u32_e32 v1, v4, v9
	v_lshrrev_b32_e32 v1, s39, v1
	v_mul_lo_u32 v9, v1, s37
	v_mul_lo_u32 v11, v10, s12
	;; [unrolled: 1-line block ×3, first 2 shown]
	v_add3_u32 v0, v5, v0, v8
	v_sub_u32_e32 v4, v4, v9
	v_mul_lo_u32 v9, v4, s14
	v_mul_lo_u32 v4, v4, s15
	v_add3_u32 v2, v6, v2, v3
	v_add3_u32 v0, v11, v0, v9
	;; [unrolled: 1-line block ×3, first 2 shown]
	s_cbranch_scc0 .LBB61_19
	s_branch .LBB61_92
.LBB61_20:
                                        ; implicit-def: $vgpr0
                                        ; implicit-def: $vgpr2
	s_branch .LBB61_28
.LBB61_21:
                                        ; implicit-def: $vgpr0
                                        ; implicit-def: $vgpr2
	s_branch .LBB61_80
.LBB61_22:
                                        ; implicit-def: $vgpr0
                                        ; implicit-def: $vgpr2
	s_branch .LBB61_96
.LBB61_23:
	v_mov_b32_e32 v0, 0
	v_mov_b32_e32 v2, 0
	s_branch .LBB61_27
.LBB61_24:
	v_mov_b32_e32 v0, 0
	v_mov_b32_e32 v2, 0
	;; [unrolled: 1-line block ×3, first 2 shown]
	s_and_b32 s6, s27, 3
	s_cmp_eq_u32 s6, 0
	s_cbranch_scc1 .LBB61_27
.LBB61_25:
	s_lshl_b32 s2, s26, 3
	s_add_u32 s2, s34, s2
	s_addc_u32 s3, s35, 0
	s_add_u32 s2, s2, 0xc4
	s_addc_u32 s3, s3, 0
	s_mul_i32 s4, s26, 12
	s_add_u32 s4, s34, s4
	s_addc_u32 s5, s35, 0
.LBB61_26:                              ; =>This Inner Loop Header: Depth=1
	s_load_dwordx2 s[8:9], s[4:5], 0x4
	s_load_dword s7, s[4:5], 0xc
	s_load_dwordx2 s[10:11], s[2:3], 0x0
	s_add_u32 s4, s4, 12
	s_addc_u32 s5, s5, 0
	s_waitcnt lgkmcnt(0)
	v_mul_hi_u32 v4, s9, v1
	s_add_u32 s2, s2, 8
	s_addc_u32 s3, s3, 0
	s_add_i32 s6, s6, -1
	v_add_u32_e32 v4, v1, v4
	v_lshrrev_b32_e32 v4, s7, v4
	v_mul_lo_u32 v5, v4, s8
	s_cmp_lg_u32 s6, 0
	v_sub_u32_e32 v5, v1, v5
	v_mad_u64_u32 v[0:1], s[8:9], v5, s10, v[0:1]
	v_mad_u64_u32 v[2:3], s[8:9], v5, s11, v[2:3]
	v_mov_b32_e32 v1, v4
	s_cbranch_scc1 .LBB61_26
.LBB61_27:
	s_cbranch_execnz .LBB61_30
.LBB61_28:
	s_load_dwordx4 s[4:7], s[34:35], 0x4
	s_load_dwordx2 s[2:3], s[34:35], 0xc4
	s_cmp_lt_u32 s33, 2
	s_waitcnt lgkmcnt(0)
	v_mul_hi_u32 v0, s5, v7
	v_add_u32_e32 v0, v7, v0
	v_lshrrev_b32_e32 v1, s6, v0
	v_mul_lo_u32 v0, v1, s4
	v_sub_u32_e32 v2, v7, v0
	v_mul_lo_u32 v0, v2, s2
	v_mul_lo_u32 v2, v2, s3
	s_cbranch_scc1 .LBB61_30
; %bb.29:
	s_load_dwordx4 s[4:7], s[34:35], 0x10
	s_load_dwordx2 s[2:3], s[34:35], 0xcc
	s_waitcnt lgkmcnt(0)
	v_mul_hi_u32 v3, s5, v1
	v_add_u32_e32 v3, v1, v3
	v_lshrrev_b32_e32 v3, s6, v3
	v_mul_lo_u32 v3, v3, s4
	v_sub_u32_e32 v3, v1, v3
	v_mad_u64_u32 v[0:1], s[4:5], v3, s2, v[0:1]
	v_mad_u64_u32 v[2:3], s[2:3], v3, s3, v[2:3]
.LBB61_30:
	s_and_b64 vcc, exec, s[0:1]
	v_add_u32_e32 v1, 0x80, v7
	s_cbranch_vccnz .LBB61_36
; %bb.31:
	s_cmp_lg_u32 s33, 0
	s_mov_b32 s26, 0
	s_cbranch_scc0 .LBB61_37
; %bb.32:
	s_min_u32 s27, s58, 15
	s_add_i32 s27, s27, 1
	s_cmp_eq_u32 s58, 2
	s_cbranch_scc1 .LBB61_38
; %bb.33:
	s_and_b32 s26, s27, 28
	s_add_u32 s2, s34, 0xc4
	s_addc_u32 s3, s35, 0
	v_mov_b32_e32 v5, 0
	s_mov_b32 s28, 0
	s_mov_b64 s[24:25], s[34:35]
	v_mov_b32_e32 v3, 0
	v_mov_b32_e32 v4, v1
.LBB61_34:                              ; =>This Inner Loop Header: Depth=1
	s_load_dwordx8 s[12:19], s[24:25], 0x4
	s_load_dwordx4 s[20:23], s[24:25], 0x24
	s_load_dwordx8 s[4:11], s[2:3], 0x0
	s_add_u32 s24, s24, 48
	s_addc_u32 s25, s25, 0
	s_waitcnt lgkmcnt(0)
	v_mul_hi_u32 v6, s13, v4
	s_add_i32 s28, s28, 4
	s_add_u32 s2, s2, 32
	s_addc_u32 s3, s3, 0
	v_add_u32_e32 v6, v4, v6
	v_lshrrev_b32_e32 v6, s14, v6
	v_mul_lo_u32 v8, v6, s12
	v_mul_hi_u32 v9, s16, v6
	s_cmp_lg_u32 s26, s28
	v_sub_u32_e32 v4, v4, v8
	v_add_u32_e32 v8, v6, v9
	v_mul_lo_u32 v9, v4, s4
	v_mul_lo_u32 v10, v4, s5
	v_lshrrev_b32_e32 v4, s17, v8
	v_mul_lo_u32 v8, v4, s15
	v_mul_hi_u32 v11, s19, v4
	v_sub_u32_e32 v6, v6, v8
	v_add_u32_e32 v8, v4, v11
	v_lshrrev_b32_e32 v8, s20, v8
	v_mul_hi_u32 v12, s22, v8
	v_mul_lo_u32 v14, v8, s18
	v_mul_lo_u32 v11, v6, s6
	;; [unrolled: 1-line block ×3, first 2 shown]
	v_sub_u32_e32 v14, v4, v14
	v_add_u32_e32 v4, v8, v12
	v_lshrrev_b32_e32 v4, s23, v4
	v_mul_lo_u32 v12, v4, s21
	v_mul_lo_u32 v15, v14, s8
	;; [unrolled: 1-line block ×3, first 2 shown]
	v_add3_u32 v3, v9, v3, v11
	v_sub_u32_e32 v8, v8, v12
	v_mul_lo_u32 v12, v8, s10
	v_mul_lo_u32 v8, v8, s11
	v_add3_u32 v5, v10, v5, v6
	v_add3_u32 v3, v15, v3, v12
	;; [unrolled: 1-line block ×3, first 2 shown]
	s_cbranch_scc1 .LBB61_34
; %bb.35:
	s_and_b32 s6, s27, 3
	s_cmp_eq_u32 s6, 0
	s_cbranch_scc0 .LBB61_39
	s_branch .LBB61_41
.LBB61_36:
                                        ; implicit-def: $vgpr3
                                        ; implicit-def: $vgpr5
	s_branch .LBB61_42
.LBB61_37:
	v_mov_b32_e32 v3, 0
	v_mov_b32_e32 v5, 0
	s_branch .LBB61_41
.LBB61_38:
	v_mov_b32_e32 v3, 0
	v_mov_b32_e32 v5, 0
	;; [unrolled: 1-line block ×3, first 2 shown]
	s_and_b32 s6, s27, 3
	s_cmp_eq_u32 s6, 0
	s_cbranch_scc1 .LBB61_41
.LBB61_39:
	s_lshl_b32 s2, s26, 3
	s_add_u32 s2, s34, s2
	s_addc_u32 s3, s35, 0
	s_add_u32 s2, s2, 0xc4
	s_addc_u32 s3, s3, 0
	s_mul_i32 s4, s26, 12
	s_add_u32 s4, s34, s4
	s_addc_u32 s5, s35, 0
.LBB61_40:                              ; =>This Inner Loop Header: Depth=1
	s_load_dwordx2 s[8:9], s[4:5], 0x4
	s_load_dword s7, s[4:5], 0xc
	s_load_dwordx2 s[10:11], s[2:3], 0x0
	s_add_u32 s4, s4, 12
	s_addc_u32 s5, s5, 0
	s_waitcnt lgkmcnt(0)
	v_mul_hi_u32 v8, s9, v4
	s_add_u32 s2, s2, 8
	s_addc_u32 s3, s3, 0
	s_add_i32 s6, s6, -1
	v_add_u32_e32 v8, v4, v8
	v_lshrrev_b32_e32 v8, s7, v8
	v_mul_lo_u32 v9, v8, s8
	s_cmp_lg_u32 s6, 0
	v_sub_u32_e32 v9, v4, v9
	v_mad_u64_u32 v[3:4], s[8:9], v9, s10, v[3:4]
	v_mad_u64_u32 v[5:6], s[8:9], v9, s11, v[5:6]
	v_mov_b32_e32 v4, v8
	s_cbranch_scc1 .LBB61_40
.LBB61_41:
	s_cbranch_execnz .LBB61_44
.LBB61_42:
	s_load_dwordx4 s[4:7], s[34:35], 0x4
	s_load_dwordx2 s[2:3], s[34:35], 0xc4
	s_cmp_lt_u32 s33, 2
	s_waitcnt lgkmcnt(0)
	v_mul_hi_u32 v3, s5, v1
	v_add_u32_e32 v3, v1, v3
	v_lshrrev_b32_e32 v4, s6, v3
	v_mul_lo_u32 v3, v4, s4
	v_sub_u32_e32 v1, v1, v3
	v_mul_lo_u32 v3, v1, s2
	v_mul_lo_u32 v5, v1, s3
	s_cbranch_scc1 .LBB61_44
; %bb.43:
	s_load_dwordx4 s[4:7], s[34:35], 0x10
	s_load_dwordx2 s[2:3], s[34:35], 0xcc
	s_waitcnt lgkmcnt(0)
	v_mul_hi_u32 v1, s5, v4
	v_add_u32_e32 v1, v4, v1
	v_lshrrev_b32_e32 v1, s6, v1
	v_mul_lo_u32 v1, v1, s4
	v_sub_u32_e32 v1, v4, v1
	v_mad_u64_u32 v[3:4], s[4:5], v1, s2, v[3:4]
	v_mad_u64_u32 v[5:6], s[2:3], v1, s3, v[5:6]
.LBB61_44:
	s_and_b64 vcc, exec, s[0:1]
	v_add_u32_e32 v1, 0x100, v7
	s_cbranch_vccnz .LBB61_50
; %bb.45:
	s_cmp_lg_u32 s33, 0
	s_mov_b32 s26, 0
	s_cbranch_scc0 .LBB61_51
; %bb.46:
	s_min_u32 s27, s58, 15
	s_add_i32 s27, s27, 1
	s_cmp_eq_u32 s58, 2
	s_cbranch_scc1 .LBB61_52
; %bb.47:
	s_and_b32 s26, s27, 28
	s_add_u32 s2, s34, 0xc4
	s_addc_u32 s3, s35, 0
	v_mov_b32_e32 v8, 0
	s_mov_b32 s28, 0
	s_mov_b64 s[24:25], s[34:35]
	v_mov_b32_e32 v6, 0
	v_mov_b32_e32 v4, v1
.LBB61_48:                              ; =>This Inner Loop Header: Depth=1
	s_load_dwordx8 s[12:19], s[24:25], 0x4
	s_load_dwordx4 s[20:23], s[24:25], 0x24
	s_load_dwordx8 s[4:11], s[2:3], 0x0
	s_add_u32 s24, s24, 48
	s_addc_u32 s25, s25, 0
	s_waitcnt lgkmcnt(0)
	v_mul_hi_u32 v7, s13, v4
	s_add_i32 s28, s28, 4
	s_add_u32 s2, s2, 32
	s_addc_u32 s3, s3, 0
	v_add_u32_e32 v7, v4, v7
	v_lshrrev_b32_e32 v7, s14, v7
	v_mul_lo_u32 v9, v7, s12
	v_mul_hi_u32 v10, s16, v7
	s_cmp_lg_u32 s26, s28
	v_sub_u32_e32 v4, v4, v9
	v_add_u32_e32 v9, v7, v10
	v_mul_lo_u32 v10, v4, s4
	v_mul_lo_u32 v11, v4, s5
	v_lshrrev_b32_e32 v4, s17, v9
	v_mul_lo_u32 v9, v4, s15
	v_mul_hi_u32 v12, s19, v4
	v_sub_u32_e32 v7, v7, v9
	v_add_u32_e32 v9, v4, v12
	v_lshrrev_b32_e32 v9, s20, v9
	v_mul_hi_u32 v14, s22, v9
	v_mul_lo_u32 v15, v9, s18
	v_mul_lo_u32 v12, v7, s6
	;; [unrolled: 1-line block ×3, first 2 shown]
	v_sub_u32_e32 v15, v4, v15
	v_add_u32_e32 v4, v9, v14
	v_lshrrev_b32_e32 v4, s23, v4
	v_mul_lo_u32 v14, v4, s21
	v_mul_lo_u32 v16, v15, s8
	;; [unrolled: 1-line block ×3, first 2 shown]
	v_add3_u32 v6, v10, v6, v12
	v_sub_u32_e32 v9, v9, v14
	v_mul_lo_u32 v14, v9, s10
	v_mul_lo_u32 v9, v9, s11
	v_add3_u32 v7, v11, v8, v7
	v_add3_u32 v6, v16, v6, v14
	;; [unrolled: 1-line block ×3, first 2 shown]
	s_cbranch_scc1 .LBB61_48
; %bb.49:
	s_and_b32 s6, s27, 3
	s_cmp_eq_u32 s6, 0
	s_cbranch_scc0 .LBB61_53
	s_branch .LBB61_55
.LBB61_50:
                                        ; implicit-def: $vgpr6
                                        ; implicit-def: $vgpr8
	s_branch .LBB61_56
.LBB61_51:
	v_mov_b32_e32 v6, 0
	v_mov_b32_e32 v8, 0
	s_branch .LBB61_55
.LBB61_52:
	v_mov_b32_e32 v6, 0
	v_mov_b32_e32 v8, 0
	v_mov_b32_e32 v4, v1
	s_and_b32 s6, s27, 3
	s_cmp_eq_u32 s6, 0
	s_cbranch_scc1 .LBB61_55
.LBB61_53:
	s_lshl_b32 s2, s26, 3
	s_add_u32 s2, s34, s2
	s_addc_u32 s3, s35, 0
	s_add_u32 s2, s2, 0xc4
	s_addc_u32 s3, s3, 0
	s_mul_i32 s4, s26, 12
	s_add_u32 s4, s34, s4
	s_addc_u32 s5, s35, 0
.LBB61_54:                              ; =>This Inner Loop Header: Depth=1
	s_load_dwordx2 s[8:9], s[4:5], 0x4
	s_load_dword s7, s[4:5], 0xc
	s_load_dwordx2 s[10:11], s[2:3], 0x0
	s_add_u32 s4, s4, 12
	s_addc_u32 s5, s5, 0
	s_waitcnt lgkmcnt(0)
	v_mul_hi_u32 v7, s9, v4
	s_add_u32 s2, s2, 8
	s_addc_u32 s3, s3, 0
	s_add_i32 s6, s6, -1
	v_add_u32_e32 v7, v4, v7
	v_lshrrev_b32_e32 v10, s7, v7
	v_mul_lo_u32 v7, v10, s8
	s_cmp_lg_u32 s6, 0
	v_sub_u32_e32 v4, v4, v7
	v_mad_u64_u32 v[6:7], s[8:9], v4, s10, v[6:7]
	v_mad_u64_u32 v[8:9], s[8:9], v4, s11, v[8:9]
	v_mov_b32_e32 v4, v10
	s_cbranch_scc1 .LBB61_54
.LBB61_55:
	s_cbranch_execnz .LBB61_58
.LBB61_56:
	s_load_dwordx4 s[4:7], s[34:35], 0x4
	s_load_dwordx2 s[2:3], s[34:35], 0xc4
	s_cmp_lt_u32 s33, 2
	s_waitcnt lgkmcnt(0)
	v_mul_hi_u32 v4, s5, v1
	v_add_u32_e32 v4, v1, v4
	v_lshrrev_b32_e32 v4, s6, v4
	v_mul_lo_u32 v6, v4, s4
	v_sub_u32_e32 v1, v1, v6
	v_mul_lo_u32 v6, v1, s2
	v_mul_lo_u32 v8, v1, s3
	s_cbranch_scc1 .LBB61_58
; %bb.57:
	s_load_dwordx4 s[4:7], s[34:35], 0x10
	s_load_dwordx2 s[2:3], s[34:35], 0xcc
	s_waitcnt lgkmcnt(0)
	v_mul_hi_u32 v1, s5, v4
	v_add_u32_e32 v1, v4, v1
	v_lshrrev_b32_e32 v1, s6, v1
	v_mul_lo_u32 v1, v1, s4
	v_sub_u32_e32 v1, v4, v1
	v_mad_u64_u32 v[6:7], s[4:5], v1, s2, v[6:7]
	v_mad_u64_u32 v[8:9], s[2:3], v1, s3, v[8:9]
.LBB61_58:
	s_and_b64 vcc, exec, s[0:1]
	s_cbranch_vccnz .LBB61_64
; %bb.59:
	s_cmp_lg_u32 s33, 0
	s_mov_b32 s24, 0
	s_cbranch_scc0 .LBB61_65
; %bb.60:
	s_min_u32 s25, s58, 15
	s_add_i32 s25, s25, 1
	s_cmp_eq_u32 s58, 2
	s_cbranch_scc1 .LBB61_66
; %bb.61:
	s_and_b32 s24, s25, 28
	s_add_u32 s20, s34, 0xc4
	s_addc_u32 s21, s35, 0
	v_mov_b32_e32 v11, 0
	s_mov_b32 s26, 0
	s_mov_b64 s[22:23], s[34:35]
	v_mov_b32_e32 v9, 0
	v_mov_b32_e32 v1, v13
.LBB61_62:                              ; =>This Inner Loop Header: Depth=1
	s_load_dwordx8 s[8:15], s[22:23], 0x4
	s_load_dwordx4 s[16:19], s[22:23], 0x24
	s_load_dwordx8 s[0:7], s[20:21], 0x0
	s_add_u32 s22, s22, 48
	s_addc_u32 s23, s23, 0
	s_waitcnt lgkmcnt(0)
	v_mul_hi_u32 v4, s9, v1
	s_add_i32 s26, s26, 4
	s_add_u32 s20, s20, 32
	s_addc_u32 s21, s21, 0
	v_add_u32_e32 v4, v1, v4
	v_lshrrev_b32_e32 v4, s10, v4
	v_mul_lo_u32 v7, v4, s8
	v_mul_hi_u32 v10, s12, v4
	s_cmp_lg_u32 s24, s26
	v_sub_u32_e32 v1, v1, v7
	v_add_u32_e32 v7, v4, v10
	v_mul_lo_u32 v10, v1, s0
	v_mul_lo_u32 v12, v1, s1
	v_lshrrev_b32_e32 v1, s13, v7
	v_mul_lo_u32 v7, v1, s11
	v_mul_hi_u32 v14, s15, v1
	v_sub_u32_e32 v4, v4, v7
	v_add_u32_e32 v7, v1, v14
	v_lshrrev_b32_e32 v7, s16, v7
	v_mul_hi_u32 v15, s18, v7
	v_mul_lo_u32 v16, v7, s14
	v_mul_lo_u32 v14, v4, s2
	;; [unrolled: 1-line block ×3, first 2 shown]
	v_sub_u32_e32 v16, v1, v16
	v_add_u32_e32 v1, v7, v15
	v_lshrrev_b32_e32 v1, s19, v1
	v_mul_lo_u32 v15, v1, s17
	v_mul_lo_u32 v17, v16, s4
	v_mul_lo_u32 v16, v16, s5
	v_add3_u32 v9, v10, v9, v14
	v_sub_u32_e32 v7, v7, v15
	v_mul_lo_u32 v15, v7, s6
	v_mul_lo_u32 v7, v7, s7
	v_add3_u32 v4, v12, v11, v4
	v_add3_u32 v9, v17, v9, v15
	;; [unrolled: 1-line block ×3, first 2 shown]
	s_cbranch_scc1 .LBB61_62
; %bb.63:
	s_and_b32 s4, s25, 3
	s_cmp_eq_u32 s4, 0
	s_cbranch_scc0 .LBB61_67
	s_branch .LBB61_69
.LBB61_64:
                                        ; implicit-def: $vgpr9
                                        ; implicit-def: $vgpr11
	s_branch .LBB61_70
.LBB61_65:
	v_mov_b32_e32 v9, 0
	v_mov_b32_e32 v11, 0
	s_branch .LBB61_69
.LBB61_66:
	v_mov_b32_e32 v9, 0
	v_mov_b32_e32 v11, 0
	;; [unrolled: 1-line block ×3, first 2 shown]
	s_and_b32 s4, s25, 3
	s_cmp_eq_u32 s4, 0
	s_cbranch_scc1 .LBB61_69
.LBB61_67:
	s_lshl_b32 s0, s24, 3
	s_add_u32 s0, s34, s0
	s_addc_u32 s1, s35, 0
	s_add_u32 s0, s0, 0xc4
	s_addc_u32 s1, s1, 0
	s_mul_i32 s2, s24, 12
	s_add_u32 s2, s34, s2
	s_addc_u32 s3, s35, 0
.LBB61_68:                              ; =>This Inner Loop Header: Depth=1
	s_load_dwordx2 s[6:7], s[2:3], 0x4
	s_load_dword s5, s[2:3], 0xc
	s_load_dwordx2 s[8:9], s[0:1], 0x0
	s_add_u32 s2, s2, 12
	s_addc_u32 s3, s3, 0
	s_waitcnt lgkmcnt(0)
	v_mul_hi_u32 v4, s7, v1
	s_add_u32 s0, s0, 8
	s_addc_u32 s1, s1, 0
	s_add_i32 s4, s4, -1
	v_add_u32_e32 v4, v1, v4
	v_lshrrev_b32_e32 v4, s5, v4
	v_mul_lo_u32 v7, v4, s6
	s_cmp_lg_u32 s4, 0
	v_sub_u32_e32 v1, v1, v7
	v_mad_u64_u32 v[9:10], s[6:7], v1, s8, v[9:10]
	v_mad_u64_u32 v[11:12], s[6:7], v1, s9, v[11:12]
	v_mov_b32_e32 v1, v4
	s_cbranch_scc1 .LBB61_68
.LBB61_69:
	s_cbranch_execnz .LBB61_72
.LBB61_70:
	s_load_dwordx4 s[0:3], s[34:35], 0x4
	s_load_dwordx2 s[4:5], s[34:35], 0xc4
	s_cmp_lt_u32 s33, 2
	s_waitcnt lgkmcnt(0)
	v_mul_hi_u32 v1, s1, v13
	v_add_u32_e32 v1, v13, v1
	v_lshrrev_b32_e32 v1, s2, v1
	v_mul_lo_u32 v4, v1, s0
	v_sub_u32_e32 v4, v13, v4
	v_mul_lo_u32 v9, v4, s4
	v_mul_lo_u32 v11, v4, s5
	s_cbranch_scc1 .LBB61_72
; %bb.71:
	s_load_dwordx4 s[0:3], s[34:35], 0x10
	s_load_dwordx2 s[4:5], s[34:35], 0xcc
	s_waitcnt lgkmcnt(0)
	v_mul_hi_u32 v4, s1, v1
	v_add_u32_e32 v4, v1, v4
	v_lshrrev_b32_e32 v4, s2, v4
	v_mul_lo_u32 v4, v4, s0
	v_sub_u32_e32 v1, v1, v4
	v_mad_u64_u32 v[9:10], s[0:1], v1, s4, v[9:10]
	v_mad_u64_u32 v[11:12], s[0:1], v1, s5, v[11:12]
.LBB61_72:
	s_load_dwordx8 s[0:7], s[34:35], 0x148
	s_waitcnt lgkmcnt(0)
	global_load_dword v1, v2, s[2:3]
	global_load_dword v4, v5, s[2:3]
	;; [unrolled: 1-line block ×4, first 2 shown]
	v_mov_b32_e32 v2, s5
	v_mov_b32_e32 v5, s6
	s_waitcnt vmcnt(3)
	v_cmp_lt_i32_e32 vcc, s4, v1
	v_cndmask_b32_e32 v1, v2, v5, vcc
	s_waitcnt vmcnt(2)
	v_cmp_lt_i32_e32 vcc, s4, v4
	v_cndmask_b32_e32 v4, v2, v5, vcc
	;; [unrolled: 3-line block ×4, first 2 shown]
	global_store_dword v0, v1, s[0:1]
	global_store_dword v3, v4, s[0:1]
	;; [unrolled: 1-line block ×4, first 2 shown]
	s_endpgm
.LBB61_73:
	v_mov_b32_e32 v0, 0
	v_mov_b32_e32 v2, 0
	s_branch .LBB61_79
.LBB61_74:
	v_mov_b32_e32 v0, 0
	v_mov_b32_e32 v2, 0
	s_branch .LBB61_95
.LBB61_75:
	s_mov_b32 s60, 0
	v_mov_b32_e32 v0, 0
	v_mov_b32_e32 v2, 0
	v_mov_b32_e32 v1, v7
.LBB61_76:
	s_and_b32 s12, s61, 3
	s_cmp_eq_u32 s12, 0
	s_cbranch_scc1 .LBB61_79
; %bb.77:
	s_lshl_b32 s8, s60, 3
	s_add_u32 s8, s34, s8
	s_addc_u32 s9, s35, 0
	s_add_u32 s8, s8, 0xc4
	s_addc_u32 s9, s9, 0
	s_mul_i32 s10, s60, 12
	s_add_u32 s10, s34, s10
	s_addc_u32 s11, s35, 0
.LBB61_78:                              ; =>This Inner Loop Header: Depth=1
	s_load_dwordx2 s[14:15], s[10:11], 0x4
	s_load_dword s13, s[10:11], 0xc
	s_load_dwordx2 s[16:17], s[8:9], 0x0
	s_add_u32 s10, s10, 12
	s_addc_u32 s11, s11, 0
	s_waitcnt lgkmcnt(0)
	v_mul_hi_u32 v3, s15, v1
	s_add_u32 s8, s8, 8
	s_addc_u32 s9, s9, 0
	s_add_i32 s12, s12, -1
	v_add_u32_e32 v3, v1, v3
	v_lshrrev_b32_e32 v4, s13, v3
	v_mul_lo_u32 v3, v4, s14
	s_cmp_lg_u32 s12, 0
	v_sub_u32_e32 v3, v1, v3
	v_mad_u64_u32 v[0:1], s[14:15], v3, s16, v[0:1]
	v_mad_u64_u32 v[2:3], s[14:15], v3, s17, v[2:3]
	v_mov_b32_e32 v1, v4
	s_cbranch_scc1 .LBB61_78
.LBB61_79:
	s_cbranch_execnz .LBB61_82
.LBB61_80:
	v_mul_hi_u32 v0, s29, v7
	s_andn2_b64 vcc, exec, s[46:47]
	v_add_u32_e32 v0, v7, v0
	v_lshrrev_b32_e32 v1, s30, v0
	v_mul_lo_u32 v0, v1, s28
	v_sub_u32_e32 v2, v7, v0
	v_mul_lo_u32 v0, v2, s24
	v_mul_lo_u32 v2, v2, s25
	s_cbranch_vccnz .LBB61_82
; %bb.81:
	v_mul_hi_u32 v3, s44, v1
	v_add_u32_e32 v3, v1, v3
	v_lshrrev_b32_e32 v3, s45, v3
	v_mul_lo_u32 v3, v3, s31
	v_sub_u32_e32 v3, v1, v3
	v_mad_u64_u32 v[0:1], s[8:9], v3, s26, v[0:1]
	v_mad_u64_u32 v[2:3], s[8:9], v3, s27, v[2:3]
.LBB61_82:
	global_load_dword v1, v2, s[2:3]
	v_mov_b32_e32 v2, s5
	v_mov_b32_e32 v3, s6
	v_add_u32_e32 v7, 0x80, v7
	s_waitcnt vmcnt(0)
	v_cmp_lt_i32_e32 vcc, s4, v1
	v_cndmask_b32_e32 v1, v2, v3, vcc
	global_store_dword v0, v1, s[0:1]
	s_or_b64 exec, exec, s[52:53]
	v_cmp_gt_i32_e32 vcc, s59, v7
	s_and_saveexec_b64 s[52:53], vcc
	s_cbranch_execnz .LBB61_15
.LBB61_83:
	s_or_b64 exec, exec, s[52:53]
	v_cmp_gt_i32_e32 vcc, s59, v7
	s_and_saveexec_b64 s[52:53], vcc
	s_cbranch_execz .LBB61_99
.LBB61_84:
	s_andn2_b64 vcc, exec, s[40:41]
	s_cbranch_vccnz .LBB61_89
; %bb.85:
	s_andn2_b64 vcc, exec, s[50:51]
	s_cbranch_vccnz .LBB61_90
; %bb.86:
	s_add_i32 s61, s7, 1
	s_cmp_eq_u32 s58, 2
	s_cbranch_scc1 .LBB61_102
; %bb.87:
	s_and_b32 s60, s61, 28
	v_mov_b32_e32 v2, 0
	s_mov_b32 s62, 0
	s_mov_b64 s[54:55], s[34:35]
	s_mov_b64 s[56:57], s[48:49]
	v_mov_b32_e32 v0, 0
	v_mov_b32_e32 v1, v7
.LBB61_88:                              ; =>This Inner Loop Header: Depth=1
	s_load_dwordx8 s[16:23], s[54:55], 0x4
	s_load_dwordx4 s[36:39], s[54:55], 0x24
	s_load_dwordx8 s[8:15], s[56:57], 0x0
	s_add_u32 s54, s54, 48
	s_addc_u32 s55, s55, 0
	s_waitcnt lgkmcnt(0)
	v_mul_hi_u32 v3, s17, v1
	s_add_i32 s62, s62, 4
	s_add_u32 s56, s56, 32
	s_addc_u32 s57, s57, 0
	v_add_u32_e32 v3, v1, v3
	v_lshrrev_b32_e32 v3, s18, v3
	v_mul_lo_u32 v4, v3, s16
	v_mul_hi_u32 v5, s20, v3
	s_cmp_eq_u32 s60, s62
	v_sub_u32_e32 v1, v1, v4
	v_add_u32_e32 v4, v3, v5
	v_mul_lo_u32 v5, v1, s8
	v_mul_lo_u32 v6, v1, s9
	v_lshrrev_b32_e32 v1, s21, v4
	v_mul_lo_u32 v4, v1, s19
	v_mul_hi_u32 v8, s23, v1
	v_sub_u32_e32 v3, v3, v4
	v_add_u32_e32 v4, v1, v8
	v_lshrrev_b32_e32 v4, s36, v4
	v_mul_hi_u32 v9, s38, v4
	v_mul_lo_u32 v10, v4, s22
	v_mul_lo_u32 v8, v3, s10
	;; [unrolled: 1-line block ×3, first 2 shown]
	v_sub_u32_e32 v10, v1, v10
	v_add_u32_e32 v1, v4, v9
	v_lshrrev_b32_e32 v1, s39, v1
	v_mul_lo_u32 v9, v1, s37
	v_mul_lo_u32 v11, v10, s12
	;; [unrolled: 1-line block ×3, first 2 shown]
	v_add3_u32 v0, v5, v0, v8
	v_sub_u32_e32 v4, v4, v9
	v_mul_lo_u32 v9, v4, s14
	v_mul_lo_u32 v4, v4, s15
	v_add3_u32 v2, v6, v2, v3
	v_add3_u32 v0, v11, v0, v9
	;; [unrolled: 1-line block ×3, first 2 shown]
	s_cbranch_scc0 .LBB61_88
	s_branch .LBB61_103
.LBB61_89:
                                        ; implicit-def: $vgpr0
                                        ; implicit-def: $vgpr2
	s_branch .LBB61_107
.LBB61_90:
	v_mov_b32_e32 v0, 0
	v_mov_b32_e32 v2, 0
	s_branch .LBB61_106
.LBB61_91:
	s_mov_b32 s60, 0
	v_mov_b32_e32 v0, 0
	v_mov_b32_e32 v2, 0
	;; [unrolled: 1-line block ×3, first 2 shown]
.LBB61_92:
	s_and_b32 s12, s61, 3
	s_cmp_eq_u32 s12, 0
	s_cbranch_scc1 .LBB61_95
; %bb.93:
	s_lshl_b32 s8, s60, 3
	s_add_u32 s8, s34, s8
	s_addc_u32 s9, s35, 0
	s_add_u32 s8, s8, 0xc4
	s_addc_u32 s9, s9, 0
	s_mul_i32 s10, s60, 12
	s_add_u32 s10, s34, s10
	s_addc_u32 s11, s35, 0
.LBB61_94:                              ; =>This Inner Loop Header: Depth=1
	s_load_dwordx2 s[14:15], s[10:11], 0x4
	s_load_dword s13, s[10:11], 0xc
	s_load_dwordx2 s[16:17], s[8:9], 0x0
	s_add_u32 s10, s10, 12
	s_addc_u32 s11, s11, 0
	s_waitcnt lgkmcnt(0)
	v_mul_hi_u32 v3, s15, v1
	s_add_u32 s8, s8, 8
	s_addc_u32 s9, s9, 0
	s_add_i32 s12, s12, -1
	v_add_u32_e32 v3, v1, v3
	v_lshrrev_b32_e32 v4, s13, v3
	v_mul_lo_u32 v3, v4, s14
	s_cmp_lg_u32 s12, 0
	v_sub_u32_e32 v3, v1, v3
	v_mad_u64_u32 v[0:1], s[14:15], v3, s16, v[0:1]
	v_mad_u64_u32 v[2:3], s[14:15], v3, s17, v[2:3]
	v_mov_b32_e32 v1, v4
	s_cbranch_scc1 .LBB61_94
.LBB61_95:
	s_cbranch_execnz .LBB61_98
.LBB61_96:
	v_mul_hi_u32 v0, s29, v7
	s_andn2_b64 vcc, exec, s[46:47]
	v_add_u32_e32 v0, v7, v0
	v_lshrrev_b32_e32 v1, s30, v0
	v_mul_lo_u32 v0, v1, s28
	v_sub_u32_e32 v2, v7, v0
	v_mul_lo_u32 v0, v2, s24
	v_mul_lo_u32 v2, v2, s25
	s_cbranch_vccnz .LBB61_98
; %bb.97:
	v_mul_hi_u32 v3, s44, v1
	v_add_u32_e32 v3, v1, v3
	v_lshrrev_b32_e32 v3, s45, v3
	v_mul_lo_u32 v3, v3, s31
	v_sub_u32_e32 v3, v1, v3
	v_mad_u64_u32 v[0:1], s[8:9], v3, s26, v[0:1]
	v_mad_u64_u32 v[2:3], s[8:9], v3, s27, v[2:3]
.LBB61_98:
	global_load_dword v1, v2, s[2:3]
	v_mov_b32_e32 v2, s5
	v_mov_b32_e32 v3, s6
	v_add_u32_e32 v7, 0x80, v7
	s_waitcnt vmcnt(0)
	v_cmp_lt_i32_e32 vcc, s4, v1
	v_cndmask_b32_e32 v1, v2, v3, vcc
	global_store_dword v0, v1, s[0:1]
	s_or_b64 exec, exec, s[52:53]
	v_cmp_gt_i32_e32 vcc, s59, v7
	s_and_saveexec_b64 s[52:53], vcc
	s_cbranch_execnz .LBB61_84
.LBB61_99:
	s_or_b64 exec, exec, s[52:53]
	v_cmp_gt_i32_e32 vcc, s59, v7
	s_and_saveexec_b64 s[52:53], vcc
	s_cbranch_execnz .LBB61_110
.LBB61_100:
	s_or_b64 exec, exec, s[52:53]
                                        ; implicit-def: $vgpr13
                                        ; implicit-def: $vgpr7
	s_andn2_saveexec_b64 s[0:1], s[42:43]
	s_cbranch_execnz .LBB61_8
.LBB61_101:
	s_endpgm
.LBB61_102:
	s_mov_b32 s60, 0
	v_mov_b32_e32 v0, 0
	v_mov_b32_e32 v2, 0
	;; [unrolled: 1-line block ×3, first 2 shown]
.LBB61_103:
	s_and_b32 s12, s61, 3
	s_cmp_eq_u32 s12, 0
	s_cbranch_scc1 .LBB61_106
; %bb.104:
	s_lshl_b32 s8, s60, 3
	s_add_u32 s8, s34, s8
	s_addc_u32 s9, s35, 0
	s_add_u32 s8, s8, 0xc4
	s_addc_u32 s9, s9, 0
	s_mul_i32 s10, s60, 12
	s_add_u32 s10, s34, s10
	s_addc_u32 s11, s35, 0
.LBB61_105:                             ; =>This Inner Loop Header: Depth=1
	s_load_dwordx2 s[14:15], s[10:11], 0x4
	s_load_dword s13, s[10:11], 0xc
	s_load_dwordx2 s[16:17], s[8:9], 0x0
	s_add_u32 s10, s10, 12
	s_addc_u32 s11, s11, 0
	s_waitcnt lgkmcnt(0)
	v_mul_hi_u32 v3, s15, v1
	s_add_u32 s8, s8, 8
	s_addc_u32 s9, s9, 0
	s_add_i32 s12, s12, -1
	v_add_u32_e32 v3, v1, v3
	v_lshrrev_b32_e32 v4, s13, v3
	v_mul_lo_u32 v3, v4, s14
	s_cmp_lg_u32 s12, 0
	v_sub_u32_e32 v3, v1, v3
	v_mad_u64_u32 v[0:1], s[14:15], v3, s16, v[0:1]
	v_mad_u64_u32 v[2:3], s[14:15], v3, s17, v[2:3]
	v_mov_b32_e32 v1, v4
	s_cbranch_scc1 .LBB61_105
.LBB61_106:
	s_cbranch_execnz .LBB61_109
.LBB61_107:
	v_mul_hi_u32 v0, s29, v7
	s_andn2_b64 vcc, exec, s[46:47]
	v_add_u32_e32 v0, v7, v0
	v_lshrrev_b32_e32 v1, s30, v0
	v_mul_lo_u32 v0, v1, s28
	v_sub_u32_e32 v2, v7, v0
	v_mul_lo_u32 v0, v2, s24
	v_mul_lo_u32 v2, v2, s25
	s_cbranch_vccnz .LBB61_109
; %bb.108:
	v_mul_hi_u32 v3, s44, v1
	v_add_u32_e32 v3, v1, v3
	v_lshrrev_b32_e32 v3, s45, v3
	v_mul_lo_u32 v3, v3, s31
	v_sub_u32_e32 v3, v1, v3
	v_mad_u64_u32 v[0:1], s[8:9], v3, s26, v[0:1]
	v_mad_u64_u32 v[2:3], s[8:9], v3, s27, v[2:3]
.LBB61_109:
	global_load_dword v1, v2, s[2:3]
	v_mov_b32_e32 v2, s5
	v_mov_b32_e32 v3, s6
	v_add_u32_e32 v7, 0x80, v7
	s_waitcnt vmcnt(0)
	v_cmp_lt_i32_e32 vcc, s4, v1
	v_cndmask_b32_e32 v1, v2, v3, vcc
	global_store_dword v0, v1, s[0:1]
	s_or_b64 exec, exec, s[52:53]
	v_cmp_gt_i32_e32 vcc, s59, v7
	s_and_saveexec_b64 s[52:53], vcc
	s_cbranch_execz .LBB61_100
.LBB61_110:
	s_andn2_b64 vcc, exec, s[40:41]
	s_cbranch_vccnz .LBB61_115
; %bb.111:
	s_andn2_b64 vcc, exec, s[50:51]
	s_cbranch_vccnz .LBB61_116
; %bb.112:
	s_add_i32 s54, s7, 1
	s_cmp_eq_u32 s58, 2
	s_cbranch_scc1 .LBB61_117
; %bb.113:
	s_and_b32 s7, s54, 28
	v_mov_b32_e32 v2, 0
	s_mov_b32 s55, 0
	s_mov_b64 s[50:51], s[34:35]
	v_mov_b32_e32 v0, 0
	v_mov_b32_e32 v1, v7
.LBB61_114:                             ; =>This Inner Loop Header: Depth=1
	s_load_dwordx8 s[16:23], s[50:51], 0x4
	s_load_dwordx4 s[36:39], s[50:51], 0x24
	s_load_dwordx8 s[8:15], s[48:49], 0x0
	s_add_u32 s50, s50, 48
	s_addc_u32 s51, s51, 0
	s_waitcnt lgkmcnt(0)
	v_mul_hi_u32 v3, s17, v1
	s_add_i32 s55, s55, 4
	s_add_u32 s48, s48, 32
	s_addc_u32 s49, s49, 0
	v_add_u32_e32 v3, v1, v3
	v_lshrrev_b32_e32 v3, s18, v3
	v_mul_lo_u32 v4, v3, s16
	v_mul_hi_u32 v5, s20, v3
	s_cmp_eq_u32 s7, s55
	v_sub_u32_e32 v1, v1, v4
	v_add_u32_e32 v4, v3, v5
	v_mul_lo_u32 v5, v1, s8
	v_mul_lo_u32 v6, v1, s9
	v_lshrrev_b32_e32 v1, s21, v4
	v_mul_lo_u32 v4, v1, s19
	v_mul_hi_u32 v8, s23, v1
	v_sub_u32_e32 v3, v3, v4
	v_add_u32_e32 v4, v1, v8
	v_lshrrev_b32_e32 v4, s36, v4
	v_mul_hi_u32 v9, s38, v4
	v_mul_lo_u32 v10, v4, s22
	v_mul_lo_u32 v8, v3, s10
	;; [unrolled: 1-line block ×3, first 2 shown]
	v_sub_u32_e32 v10, v1, v10
	v_add_u32_e32 v1, v4, v9
	v_lshrrev_b32_e32 v1, s39, v1
	v_mul_lo_u32 v9, v1, s37
	v_mul_lo_u32 v11, v10, s12
	;; [unrolled: 1-line block ×3, first 2 shown]
	v_add3_u32 v0, v5, v0, v8
	v_sub_u32_e32 v4, v4, v9
	v_mul_lo_u32 v9, v4, s14
	v_mul_lo_u32 v4, v4, s15
	v_add3_u32 v2, v6, v2, v3
	v_add3_u32 v0, v11, v0, v9
	;; [unrolled: 1-line block ×3, first 2 shown]
	s_cbranch_scc0 .LBB61_114
	s_branch .LBB61_118
.LBB61_115:
                                        ; implicit-def: $vgpr0
                                        ; implicit-def: $vgpr2
	s_branch .LBB61_122
.LBB61_116:
	v_mov_b32_e32 v0, 0
	v_mov_b32_e32 v2, 0
	s_branch .LBB61_121
.LBB61_117:
	s_mov_b32 s7, 0
	v_mov_b32_e32 v0, 0
	v_mov_b32_e32 v2, 0
	;; [unrolled: 1-line block ×3, first 2 shown]
.LBB61_118:
	s_and_b32 s12, s54, 3
	s_cmp_eq_u32 s12, 0
	s_cbranch_scc1 .LBB61_121
; %bb.119:
	s_lshl_b32 s8, s7, 3
	s_add_u32 s8, s34, s8
	s_addc_u32 s9, s35, 0
	s_add_u32 s8, s8, 0xc4
	s_addc_u32 s9, s9, 0
	s_mul_i32 s7, s7, 12
	s_add_u32 s10, s34, s7
	s_addc_u32 s11, s35, 0
.LBB61_120:                             ; =>This Inner Loop Header: Depth=1
	s_load_dwordx2 s[14:15], s[10:11], 0x4
	s_load_dword s7, s[10:11], 0xc
	s_load_dwordx2 s[16:17], s[8:9], 0x0
	s_add_u32 s10, s10, 12
	s_addc_u32 s11, s11, 0
	s_waitcnt lgkmcnt(0)
	v_mul_hi_u32 v3, s15, v1
	s_add_u32 s8, s8, 8
	s_addc_u32 s9, s9, 0
	s_add_i32 s12, s12, -1
	v_add_u32_e32 v3, v1, v3
	v_lshrrev_b32_e32 v4, s7, v3
	v_mul_lo_u32 v3, v4, s14
	s_cmp_lg_u32 s12, 0
	v_sub_u32_e32 v3, v1, v3
	v_mad_u64_u32 v[0:1], s[14:15], v3, s16, v[0:1]
	v_mad_u64_u32 v[2:3], s[14:15], v3, s17, v[2:3]
	v_mov_b32_e32 v1, v4
	s_cbranch_scc1 .LBB61_120
.LBB61_121:
	s_cbranch_execnz .LBB61_124
.LBB61_122:
	v_mul_hi_u32 v0, s29, v7
	s_andn2_b64 vcc, exec, s[46:47]
	v_add_u32_e32 v0, v7, v0
	v_lshrrev_b32_e32 v1, s30, v0
	v_mul_lo_u32 v0, v1, s28
	v_sub_u32_e32 v2, v7, v0
	v_mul_lo_u32 v0, v2, s24
	v_mul_lo_u32 v2, v2, s25
	s_cbranch_vccnz .LBB61_124
; %bb.123:
	v_mul_hi_u32 v3, s44, v1
	v_add_u32_e32 v3, v1, v3
	v_lshrrev_b32_e32 v3, s45, v3
	v_mul_lo_u32 v3, v3, s31
	v_sub_u32_e32 v3, v1, v3
	v_mad_u64_u32 v[0:1], s[8:9], v3, s26, v[0:1]
	v_mad_u64_u32 v[2:3], s[8:9], v3, s27, v[2:3]
.LBB61_124:
	global_load_dword v1, v2, s[2:3]
	v_mov_b32_e32 v2, s5
	v_mov_b32_e32 v3, s6
	s_waitcnt vmcnt(0)
	v_cmp_lt_i32_e32 vcc, s4, v1
	v_cndmask_b32_e32 v1, v2, v3, vcc
	global_store_dword v0, v1, s[0:1]
	s_or_b64 exec, exec, s[52:53]
                                        ; implicit-def: $vgpr13
                                        ; implicit-def: $vgpr7
	s_andn2_saveexec_b64 s[0:1], s[42:43]
	s_cbranch_execz .LBB61_101
	s_branch .LBB61_8
	.section	.rodata,"a",@progbits
	.p2align	6, 0x0
	.amdhsa_kernel _ZN2at6native32elementwise_kernel_manual_unrollILi128ELi4EZNS0_22gpu_kernel_impl_nocastINS0_13BUnaryFunctorIiiiZNS0_12_GLOBAL__N_121threshold_kernel_implIiEEvRNS_18TensorIteratorBaseET_S8_EUliiE_EEEEvS7_RKS8_EUlibE_EEviT1_
		.amdhsa_group_segment_fixed_size 0
		.amdhsa_private_segment_fixed_size 0
		.amdhsa_kernarg_size 368
		.amdhsa_user_sgpr_count 6
		.amdhsa_user_sgpr_private_segment_buffer 1
		.amdhsa_user_sgpr_dispatch_ptr 0
		.amdhsa_user_sgpr_queue_ptr 0
		.amdhsa_user_sgpr_kernarg_segment_ptr 1
		.amdhsa_user_sgpr_dispatch_id 0
		.amdhsa_user_sgpr_flat_scratch_init 0
		.amdhsa_user_sgpr_private_segment_size 0
		.amdhsa_uses_dynamic_stack 0
		.amdhsa_system_sgpr_private_segment_wavefront_offset 0
		.amdhsa_system_sgpr_workgroup_id_x 1
		.amdhsa_system_sgpr_workgroup_id_y 0
		.amdhsa_system_sgpr_workgroup_id_z 0
		.amdhsa_system_sgpr_workgroup_info 0
		.amdhsa_system_vgpr_workitem_id 0
		.amdhsa_next_free_vgpr 18
		.amdhsa_next_free_sgpr 63
		.amdhsa_reserve_vcc 1
		.amdhsa_reserve_flat_scratch 0
		.amdhsa_float_round_mode_32 0
		.amdhsa_float_round_mode_16_64 0
		.amdhsa_float_denorm_mode_32 3
		.amdhsa_float_denorm_mode_16_64 3
		.amdhsa_dx10_clamp 1
		.amdhsa_ieee_mode 1
		.amdhsa_fp16_overflow 0
		.amdhsa_exception_fp_ieee_invalid_op 0
		.amdhsa_exception_fp_denorm_src 0
		.amdhsa_exception_fp_ieee_div_zero 0
		.amdhsa_exception_fp_ieee_overflow 0
		.amdhsa_exception_fp_ieee_underflow 0
		.amdhsa_exception_fp_ieee_inexact 0
		.amdhsa_exception_int_div_zero 0
	.end_amdhsa_kernel
	.section	.text._ZN2at6native32elementwise_kernel_manual_unrollILi128ELi4EZNS0_22gpu_kernel_impl_nocastINS0_13BUnaryFunctorIiiiZNS0_12_GLOBAL__N_121threshold_kernel_implIiEEvRNS_18TensorIteratorBaseET_S8_EUliiE_EEEEvS7_RKS8_EUlibE_EEviT1_,"axG",@progbits,_ZN2at6native32elementwise_kernel_manual_unrollILi128ELi4EZNS0_22gpu_kernel_impl_nocastINS0_13BUnaryFunctorIiiiZNS0_12_GLOBAL__N_121threshold_kernel_implIiEEvRNS_18TensorIteratorBaseET_S8_EUliiE_EEEEvS7_RKS8_EUlibE_EEviT1_,comdat
.Lfunc_end61:
	.size	_ZN2at6native32elementwise_kernel_manual_unrollILi128ELi4EZNS0_22gpu_kernel_impl_nocastINS0_13BUnaryFunctorIiiiZNS0_12_GLOBAL__N_121threshold_kernel_implIiEEvRNS_18TensorIteratorBaseET_S8_EUliiE_EEEEvS7_RKS8_EUlibE_EEviT1_, .Lfunc_end61-_ZN2at6native32elementwise_kernel_manual_unrollILi128ELi4EZNS0_22gpu_kernel_impl_nocastINS0_13BUnaryFunctorIiiiZNS0_12_GLOBAL__N_121threshold_kernel_implIiEEvRNS_18TensorIteratorBaseET_S8_EUliiE_EEEEvS7_RKS8_EUlibE_EEviT1_
                                        ; -- End function
	.set _ZN2at6native32elementwise_kernel_manual_unrollILi128ELi4EZNS0_22gpu_kernel_impl_nocastINS0_13BUnaryFunctorIiiiZNS0_12_GLOBAL__N_121threshold_kernel_implIiEEvRNS_18TensorIteratorBaseET_S8_EUliiE_EEEEvS7_RKS8_EUlibE_EEviT1_.num_vgpr, 18
	.set _ZN2at6native32elementwise_kernel_manual_unrollILi128ELi4EZNS0_22gpu_kernel_impl_nocastINS0_13BUnaryFunctorIiiiZNS0_12_GLOBAL__N_121threshold_kernel_implIiEEvRNS_18TensorIteratorBaseET_S8_EUliiE_EEEEvS7_RKS8_EUlibE_EEviT1_.num_agpr, 0
	.set _ZN2at6native32elementwise_kernel_manual_unrollILi128ELi4EZNS0_22gpu_kernel_impl_nocastINS0_13BUnaryFunctorIiiiZNS0_12_GLOBAL__N_121threshold_kernel_implIiEEvRNS_18TensorIteratorBaseET_S8_EUliiE_EEEEvS7_RKS8_EUlibE_EEviT1_.numbered_sgpr, 63
	.set _ZN2at6native32elementwise_kernel_manual_unrollILi128ELi4EZNS0_22gpu_kernel_impl_nocastINS0_13BUnaryFunctorIiiiZNS0_12_GLOBAL__N_121threshold_kernel_implIiEEvRNS_18TensorIteratorBaseET_S8_EUliiE_EEEEvS7_RKS8_EUlibE_EEviT1_.num_named_barrier, 0
	.set _ZN2at6native32elementwise_kernel_manual_unrollILi128ELi4EZNS0_22gpu_kernel_impl_nocastINS0_13BUnaryFunctorIiiiZNS0_12_GLOBAL__N_121threshold_kernel_implIiEEvRNS_18TensorIteratorBaseET_S8_EUliiE_EEEEvS7_RKS8_EUlibE_EEviT1_.private_seg_size, 0
	.set _ZN2at6native32elementwise_kernel_manual_unrollILi128ELi4EZNS0_22gpu_kernel_impl_nocastINS0_13BUnaryFunctorIiiiZNS0_12_GLOBAL__N_121threshold_kernel_implIiEEvRNS_18TensorIteratorBaseET_S8_EUliiE_EEEEvS7_RKS8_EUlibE_EEviT1_.uses_vcc, 1
	.set _ZN2at6native32elementwise_kernel_manual_unrollILi128ELi4EZNS0_22gpu_kernel_impl_nocastINS0_13BUnaryFunctorIiiiZNS0_12_GLOBAL__N_121threshold_kernel_implIiEEvRNS_18TensorIteratorBaseET_S8_EUliiE_EEEEvS7_RKS8_EUlibE_EEviT1_.uses_flat_scratch, 0
	.set _ZN2at6native32elementwise_kernel_manual_unrollILi128ELi4EZNS0_22gpu_kernel_impl_nocastINS0_13BUnaryFunctorIiiiZNS0_12_GLOBAL__N_121threshold_kernel_implIiEEvRNS_18TensorIteratorBaseET_S8_EUliiE_EEEEvS7_RKS8_EUlibE_EEviT1_.has_dyn_sized_stack, 0
	.set _ZN2at6native32elementwise_kernel_manual_unrollILi128ELi4EZNS0_22gpu_kernel_impl_nocastINS0_13BUnaryFunctorIiiiZNS0_12_GLOBAL__N_121threshold_kernel_implIiEEvRNS_18TensorIteratorBaseET_S8_EUliiE_EEEEvS7_RKS8_EUlibE_EEviT1_.has_recursion, 0
	.set _ZN2at6native32elementwise_kernel_manual_unrollILi128ELi4EZNS0_22gpu_kernel_impl_nocastINS0_13BUnaryFunctorIiiiZNS0_12_GLOBAL__N_121threshold_kernel_implIiEEvRNS_18TensorIteratorBaseET_S8_EUliiE_EEEEvS7_RKS8_EUlibE_EEviT1_.has_indirect_call, 0
	.section	.AMDGPU.csdata,"",@progbits
; Kernel info:
; codeLenInByte = 5740
; TotalNumSgprs: 67
; NumVgprs: 18
; ScratchSize: 0
; MemoryBound: 0
; FloatMode: 240
; IeeeMode: 1
; LDSByteSize: 0 bytes/workgroup (compile time only)
; SGPRBlocks: 8
; VGPRBlocks: 4
; NumSGPRsForWavesPerEU: 67
; NumVGPRsForWavesPerEU: 18
; Occupancy: 10
; WaveLimiterHint : 1
; COMPUTE_PGM_RSRC2:SCRATCH_EN: 0
; COMPUTE_PGM_RSRC2:USER_SGPR: 6
; COMPUTE_PGM_RSRC2:TRAP_HANDLER: 0
; COMPUTE_PGM_RSRC2:TGID_X_EN: 1
; COMPUTE_PGM_RSRC2:TGID_Y_EN: 0
; COMPUTE_PGM_RSRC2:TGID_Z_EN: 0
; COMPUTE_PGM_RSRC2:TIDIG_COMP_CNT: 0
	.section	.text._ZN2at6native32elementwise_kernel_manual_unrollILi128ELi4EZNS0_15gpu_kernel_implINS0_13BUnaryFunctorIiiiZNS0_12_GLOBAL__N_121threshold_kernel_implIiEEvRNS_18TensorIteratorBaseET_S8_EUliiE_EEEEvS7_RKS8_EUlibE_EEviT1_,"axG",@progbits,_ZN2at6native32elementwise_kernel_manual_unrollILi128ELi4EZNS0_15gpu_kernel_implINS0_13BUnaryFunctorIiiiZNS0_12_GLOBAL__N_121threshold_kernel_implIiEEvRNS_18TensorIteratorBaseET_S8_EUliiE_EEEEvS7_RKS8_EUlibE_EEviT1_,comdat
	.globl	_ZN2at6native32elementwise_kernel_manual_unrollILi128ELi4EZNS0_15gpu_kernel_implINS0_13BUnaryFunctorIiiiZNS0_12_GLOBAL__N_121threshold_kernel_implIiEEvRNS_18TensorIteratorBaseET_S8_EUliiE_EEEEvS7_RKS8_EUlibE_EEviT1_ ; -- Begin function _ZN2at6native32elementwise_kernel_manual_unrollILi128ELi4EZNS0_15gpu_kernel_implINS0_13BUnaryFunctorIiiiZNS0_12_GLOBAL__N_121threshold_kernel_implIiEEvRNS_18TensorIteratorBaseET_S8_EUliiE_EEEEvS7_RKS8_EUlibE_EEviT1_
	.p2align	8
	.type	_ZN2at6native32elementwise_kernel_manual_unrollILi128ELi4EZNS0_15gpu_kernel_implINS0_13BUnaryFunctorIiiiZNS0_12_GLOBAL__N_121threshold_kernel_implIiEEvRNS_18TensorIteratorBaseET_S8_EUliiE_EEEEvS7_RKS8_EUlibE_EEviT1_,@function
_ZN2at6native32elementwise_kernel_manual_unrollILi128ELi4EZNS0_15gpu_kernel_implINS0_13BUnaryFunctorIiiiZNS0_12_GLOBAL__N_121threshold_kernel_implIiEEvRNS_18TensorIteratorBaseET_S8_EUliiE_EEEEvS7_RKS8_EUlibE_EEviT1_: ; @_ZN2at6native32elementwise_kernel_manual_unrollILi128ELi4EZNS0_15gpu_kernel_implINS0_13BUnaryFunctorIiiiZNS0_12_GLOBAL__N_121threshold_kernel_implIiEEvRNS_18TensorIteratorBaseET_S8_EUliiE_EEEEvS7_RKS8_EUlibE_EEviT1_
; %bb.0:
	s_load_dwordx2 s[2:3], s[4:5], 0x28
	s_load_dword s42, s[4:5], 0x0
	s_load_dwordx8 s[8:15], s[4:5], 0x8
	v_lshl_or_b32 v4, s6, 9, v0
	v_or_b32_e32 v0, 0x180, v4
	s_waitcnt lgkmcnt(0)
	s_bfe_u32 s33, s3, 0x80008
	v_cmp_le_i32_e32 vcc, s42, v0
	s_mov_b64 s[4:5], 0
	s_mov_b64 s[16:17], 0
	s_and_saveexec_b64 s[0:1], vcc
	s_xor_b64 s[6:7], exec, s[0:1]
	s_cbranch_execz .LBB62_1011
; %bb.1:
	v_cmp_gt_i32_e32 vcc, s42, v4
	s_mov_b64 s[22:23], -1
	s_mov_b64 s[24:25], 0
	s_mov_b64 s[18:19], 0
	s_and_saveexec_b64 s[20:21], vcc
	s_cbranch_execz .LBB62_248
; %bb.2:
	v_mul_lo_u32 v0, v4, s13
	v_mov_b32_e32 v1, s11
	s_and_b32 s22, 0xffff, s33
	s_cmp_lt_i32 s22, 11
	v_ashrrev_i32_e32 v2, 31, v0
	v_add_co_u32_e32 v0, vcc, s10, v0
	v_addc_co_u32_e32 v1, vcc, v1, v2, vcc
	s_cbranch_scc1 .LBB62_9
; %bb.3:
	s_cmp_gt_i32 s22, 25
	s_cbranch_scc0 .LBB62_18
; %bb.4:
	s_cmp_gt_i32 s22, 28
	s_cbranch_scc0 .LBB62_22
	;; [unrolled: 3-line block ×4, first 2 shown]
; %bb.7:
	s_cmp_eq_u32 s22, 46
	s_cbranch_scc0 .LBB62_28
; %bb.8:
	global_load_dword v2, v[0:1], off
	s_mov_b64 s[0:1], -1
	s_waitcnt vmcnt(0)
	v_lshlrev_b32_e32 v2, 16, v2
	v_cvt_i32_f32_e32 v2, v2
	s_branch .LBB62_30
.LBB62_9:
                                        ; implicit-def: $vgpr2
	s_mov_b64 s[0:1], 0
	s_cbranch_execnz .LBB62_199
.LBB62_10:
	s_andn2_b64 vcc, exec, s[0:1]
	s_cbranch_vccnz .LBB62_246
.LBB62_11:
	v_mul_lo_u32 v1, v4, s12
	v_mov_b32_e32 v0, s15
	v_mov_b32_e32 v3, s2
	s_waitcnt vmcnt(0)
	v_cmp_lt_i32_e32 vcc, s14, v2
	v_cndmask_b32_e32 v0, v0, v3, vcc
	v_ashrrev_i32_e32 v3, 31, v1
	v_mov_b32_e32 v5, s9
	s_and_b32 s28, s3, 0xff
	v_add_co_u32_e32 v2, vcc, s8, v1
	s_cmp_lt_i32 s28, 11
	v_addc_co_u32_e32 v3, vcc, v5, v3, vcc
	s_cbranch_scc1 .LBB62_19
; %bb.12:
	s_and_b32 s29, 0xffff, s28
	s_cmp_gt_i32 s29, 25
	s_cbranch_scc0 .LBB62_23
; %bb.13:
	s_cmp_gt_i32 s29, 28
	s_cbranch_scc0 .LBB62_25
; %bb.14:
	;; [unrolled: 3-line block ×4, first 2 shown]
	s_mov_b64 s[22:23], 0
	s_mov_b64 s[0:1], -1
	s_cmp_eq_u32 s29, 46
	s_mov_b64 s[16:17], 0
	s_cbranch_scc0 .LBB62_34
; %bb.17:
	v_cvt_f32_i32_e32 v1, v0
	s_movk_i32 s0, 0x7fff
	s_mov_b64 s[16:17], -1
	v_bfe_u32 v5, v1, 16, 1
	v_add3_u32 v1, v1, v5, s0
	v_lshrrev_b32_e32 v1, 16, v1
	global_store_dword v[2:3], v1, off
	s_mov_b64 s[0:1], 0
	s_branch .LBB62_34
.LBB62_18:
	s_mov_b64 s[0:1], 0
                                        ; implicit-def: $vgpr2
	s_cbranch_execnz .LBB62_166
	s_branch .LBB62_198
.LBB62_19:
	s_mov_b64 s[0:1], 0
	s_mov_b64 s[16:17], 0
	s_cbranch_execnz .LBB62_103
.LBB62_20:
	s_andn2_b64 vcc, exec, s[16:17]
	s_cbranch_vccnz .LBB62_141
.LBB62_21:
	v_add_u32_e32 v4, 0x80, v4
	s_mov_b64 s[22:23], -1
	s_branch .LBB62_247
.LBB62_22:
	s_mov_b64 s[16:17], -1
	s_mov_b64 s[0:1], 0
                                        ; implicit-def: $vgpr2
	s_branch .LBB62_149
.LBB62_23:
	s_mov_b64 s[22:23], -1
	s_mov_b64 s[0:1], 0
	s_mov_b64 s[16:17], 0
	s_branch .LBB62_61
.LBB62_24:
	s_mov_b64 s[16:17], -1
	s_mov_b64 s[0:1], 0
                                        ; implicit-def: $vgpr2
	s_branch .LBB62_144
.LBB62_25:
	s_mov_b64 s[22:23], -1
	s_mov_b64 s[0:1], 0
	s_mov_b64 s[16:17], 0
	s_branch .LBB62_44
.LBB62_26:
	s_mov_b64 s[16:17], -1
	s_branch .LBB62_29
.LBB62_27:
	s_mov_b64 s[22:23], -1
	s_mov_b64 s[0:1], 0
	s_mov_b64 s[16:17], 0
	s_branch .LBB62_40
.LBB62_28:
	s_mov_b64 s[18:19], -1
.LBB62_29:
	s_mov_b64 s[0:1], 0
                                        ; implicit-def: $vgpr2
.LBB62_30:
	s_and_b64 vcc, exec, s[16:17]
	s_cbranch_vccz .LBB62_143
; %bb.31:
	s_cmp_eq_u32 s22, 44
	s_cbranch_scc0 .LBB62_142
; %bb.32:
	global_load_ubyte v2, v[0:1], off
	s_mov_b64 s[0:1], -1
	s_mov_b64 s[18:19], 0
	s_waitcnt vmcnt(0)
	v_lshlrev_b32_e32 v3, 23, v2
	v_cvt_i32_f32_e32 v3, v3
	v_cmp_ne_u32_e32 vcc, 0, v2
	v_cndmask_b32_e32 v2, 0, v3, vcc
	s_branch .LBB62_143
.LBB62_33:
	s_mov_b64 s[22:23], -1
	s_mov_b64 s[0:1], 0
	s_mov_b64 s[16:17], 0
.LBB62_34:
	s_and_b64 vcc, exec, s[22:23]
	s_cbranch_vccz .LBB62_39
; %bb.35:
	s_cmp_eq_u32 s29, 44
	s_mov_b64 s[0:1], -1
	s_cbranch_scc0 .LBB62_39
; %bb.36:
	v_cvt_f32_i32_e32 v1, v0
	s_movk_i32 s0, 0xff
	v_mov_b32_e32 v6, 0xff
	v_bfe_u32 v5, v1, 23, 8
	v_cmp_ne_u32_e32 vcc, s0, v5
	s_and_saveexec_b64 s[16:17], vcc
; %bb.37:
	s_mov_b32 s0, 0x3fffff
	v_lshrrev_b32_e32 v6, 23, v1
	v_and_b32_e32 v7, 0x400000, v1
	v_and_or_b32 v1, v1, s0, v5
	v_cmp_ne_u32_e32 vcc, 0, v7
	v_cmp_ne_u32_e64 s[0:1], 0, v1
	s_and_b64 s[0:1], vcc, s[0:1]
	v_cndmask_b32_e64 v1, 0, 1, s[0:1]
	v_add_u32_e32 v6, v6, v1
; %bb.38:
	s_or_b64 exec, exec, s[16:17]
	s_mov_b64 s[16:17], -1
	s_mov_b64 s[0:1], 0
	global_store_byte v[2:3], v6, off
.LBB62_39:
	s_mov_b64 s[22:23], 0
.LBB62_40:
	s_and_b64 vcc, exec, s[22:23]
	s_cbranch_vccz .LBB62_43
; %bb.41:
	s_cmp_eq_u32 s29, 29
	s_mov_b64 s[0:1], -1
	s_cbranch_scc0 .LBB62_43
; %bb.42:
	v_ashrrev_i32_e32 v1, 31, v0
	global_store_dwordx2 v[2:3], v[0:1], off
	s_mov_b64 s[16:17], -1
	s_mov_b64 s[0:1], 0
.LBB62_43:
	s_mov_b64 s[22:23], 0
.LBB62_44:
	s_and_b64 vcc, exec, s[22:23]
	s_cbranch_vccz .LBB62_60
; %bb.45:
	s_cmp_lt_i32 s29, 27
	s_mov_b64 s[16:17], -1
	s_cbranch_scc1 .LBB62_51
; %bb.46:
	s_cmp_gt_i32 s29, 27
	s_cbranch_scc0 .LBB62_48
; %bb.47:
	s_mov_b64 s[16:17], 0
	global_store_dword v[2:3], v0, off
.LBB62_48:
	s_andn2_b64 vcc, exec, s[16:17]
	s_cbranch_vccnz .LBB62_50
; %bb.49:
	global_store_short v[2:3], v0, off
.LBB62_50:
	s_mov_b64 s[16:17], 0
.LBB62_51:
	s_andn2_b64 vcc, exec, s[16:17]
	s_cbranch_vccnz .LBB62_59
; %bb.52:
	v_cvt_f32_i32_e32 v1, v0
	s_mov_b32 s16, 0x43800000
	v_mov_b32_e32 v6, 0x80
	v_and_b32_e32 v5, 0x7fffffff, v1
	v_cmp_gt_u32_e32 vcc, s16, v5
	s_and_saveexec_b64 s[16:17], vcc
	s_cbranch_execz .LBB62_58
; %bb.53:
	s_mov_b32 s22, 0x3bffffff
	v_cmp_lt_u32_e32 vcc, s22, v5
	s_mov_b64 s[22:23], 0
                                        ; implicit-def: $vgpr5
	s_and_saveexec_b64 s[26:27], vcc
	s_xor_b64 s[26:27], exec, s[26:27]
	s_cbranch_execz .LBB62_275
; %bb.54:
	v_bfe_u32 v5, v1, 20, 1
	s_mov_b32 s30, 0x487ffff
	v_add3_u32 v5, v1, v5, s30
	s_mov_b64 s[22:23], exec
	v_lshrrev_b32_e32 v5, 20, v5
	s_andn2_saveexec_b64 s[26:27], s[26:27]
	s_cbranch_execnz .LBB62_276
.LBB62_55:
	s_or_b64 exec, exec, s[26:27]
	v_mov_b32_e32 v6, 0
	s_and_saveexec_b64 s[26:27], s[22:23]
.LBB62_56:
	v_lshrrev_b32_e32 v1, 24, v1
	s_movk_i32 s22, 0x80
	v_and_or_b32 v6, v1, s22, v5
.LBB62_57:
	s_or_b64 exec, exec, s[26:27]
.LBB62_58:
	s_or_b64 exec, exec, s[16:17]
	global_store_byte v[2:3], v6, off
.LBB62_59:
	s_mov_b64 s[16:17], -1
.LBB62_60:
	s_mov_b64 s[22:23], 0
.LBB62_61:
	s_and_b64 vcc, exec, s[22:23]
	s_cbranch_vccz .LBB62_102
; %bb.62:
	s_cmp_gt_i32 s29, 22
	s_mov_b64 s[22:23], -1
	s_cbranch_scc0 .LBB62_94
; %bb.63:
	s_cmp_lt_i32 s29, 24
	s_mov_b64 s[16:17], -1
	s_cbranch_scc1 .LBB62_83
; %bb.64:
	s_cmp_gt_i32 s29, 24
	s_cbranch_scc0 .LBB62_72
; %bb.65:
	v_cvt_f32_i32_e32 v1, v0
	s_mov_b32 s16, 0x47800000
	v_mov_b32_e32 v6, 0x80
	v_and_b32_e32 v5, 0x7fffffff, v1
	v_cmp_gt_u32_e32 vcc, s16, v5
	s_and_saveexec_b64 s[16:17], vcc
	s_cbranch_execz .LBB62_71
; %bb.66:
	s_mov_b32 s22, 0x37ffffff
	v_cmp_lt_u32_e32 vcc, s22, v5
	s_mov_b64 s[22:23], 0
                                        ; implicit-def: $vgpr5
	s_and_saveexec_b64 s[26:27], vcc
	s_xor_b64 s[26:27], exec, s[26:27]
	s_cbranch_execz .LBB62_279
; %bb.67:
	v_bfe_u32 v5, v1, 21, 1
	s_mov_b32 s30, 0x88fffff
	v_add3_u32 v5, v1, v5, s30
	s_mov_b64 s[22:23], exec
	v_lshrrev_b32_e32 v5, 21, v5
	s_andn2_saveexec_b64 s[26:27], s[26:27]
	s_cbranch_execnz .LBB62_280
.LBB62_68:
	s_or_b64 exec, exec, s[26:27]
	v_mov_b32_e32 v6, 0
	s_and_saveexec_b64 s[26:27], s[22:23]
.LBB62_69:
	v_lshrrev_b32_e32 v1, 24, v1
	s_movk_i32 s22, 0x80
	v_and_or_b32 v6, v1, s22, v5
.LBB62_70:
	s_or_b64 exec, exec, s[26:27]
.LBB62_71:
	s_or_b64 exec, exec, s[16:17]
	s_mov_b64 s[16:17], 0
	global_store_byte v[2:3], v6, off
.LBB62_72:
	s_and_b64 vcc, exec, s[16:17]
	s_cbranch_vccz .LBB62_82
; %bb.73:
	v_cvt_f32_i32_e32 v1, v0
	s_mov_b32 s16, 0x43f00000
                                        ; implicit-def: $vgpr5
	v_and_b32_e32 v6, 0x7fffffff, v1
	v_cmp_gt_u32_e32 vcc, s16, v6
	s_and_saveexec_b64 s[16:17], vcc
	s_xor_b64 s[16:17], exec, s[16:17]
	s_cbranch_execz .LBB62_79
; %bb.74:
	s_mov_b32 s22, 0x3c7fffff
	v_cmp_lt_u32_e32 vcc, s22, v6
                                        ; implicit-def: $vgpr5
	s_and_saveexec_b64 s[22:23], vcc
	s_xor_b64 s[22:23], exec, s[22:23]
; %bb.75:
	v_bfe_u32 v5, v1, 20, 1
	s_mov_b32 s26, 0x407ffff
	v_add3_u32 v5, v1, v5, s26
	v_lshrrev_b32_e32 v6, 20, v5
	v_and_b32_e32 v5, 0xff00000, v5
	s_mov_b32 s26, 0x7f00000
	v_mov_b32_e32 v7, 0x7e
	v_cmp_ne_u32_e32 vcc, s26, v5
	v_cndmask_b32_e32 v5, v7, v6, vcc
; %bb.76:
	s_andn2_saveexec_b64 s[22:23], s[22:23]
; %bb.77:
	s_mov_b32 s26, 0x46800000
	v_add_f32_e64 v5, |v1|, s26
; %bb.78:
	s_or_b64 exec, exec, s[22:23]
                                        ; implicit-def: $vgpr6
.LBB62_79:
	s_andn2_saveexec_b64 s[16:17], s[16:17]
; %bb.80:
	s_mov_b32 s22, 0x7f800000
	v_mov_b32_e32 v5, 0x7e
	v_mov_b32_e32 v7, 0x7f
	v_cmp_lt_u32_e32 vcc, s22, v6
	v_cndmask_b32_e32 v5, v5, v7, vcc
; %bb.81:
	s_or_b64 exec, exec, s[16:17]
	v_lshrrev_b32_e32 v1, 24, v1
	s_movk_i32 s16, 0x80
	v_and_or_b32 v1, v1, s16, v5
	global_store_byte v[2:3], v1, off
.LBB62_82:
	s_mov_b64 s[16:17], 0
.LBB62_83:
	s_andn2_b64 vcc, exec, s[16:17]
	s_cbranch_vccnz .LBB62_93
; %bb.84:
	v_cvt_f32_i32_e32 v1, v0
	s_mov_b32 s16, 0x47800000
                                        ; implicit-def: $vgpr5
	v_and_b32_e32 v6, 0x7fffffff, v1
	v_cmp_gt_u32_e32 vcc, s16, v6
	s_and_saveexec_b64 s[16:17], vcc
	s_xor_b64 s[16:17], exec, s[16:17]
	s_cbranch_execz .LBB62_90
; %bb.85:
	s_mov_b32 s22, 0x387fffff
	v_cmp_lt_u32_e32 vcc, s22, v6
                                        ; implicit-def: $vgpr5
	s_and_saveexec_b64 s[22:23], vcc
	s_xor_b64 s[22:23], exec, s[22:23]
; %bb.86:
	v_bfe_u32 v5, v1, 21, 1
	s_mov_b32 s26, 0x80fffff
	v_add3_u32 v5, v1, v5, s26
	v_lshrrev_b32_e32 v5, 21, v5
; %bb.87:
	s_andn2_saveexec_b64 s[22:23], s[22:23]
; %bb.88:
	s_mov_b32 s26, 0x43000000
	v_add_f32_e64 v5, |v1|, s26
; %bb.89:
	s_or_b64 exec, exec, s[22:23]
                                        ; implicit-def: $vgpr6
.LBB62_90:
	s_andn2_saveexec_b64 s[16:17], s[16:17]
; %bb.91:
	s_mov_b32 s22, 0x7f800000
	v_mov_b32_e32 v5, 0x7c
	v_mov_b32_e32 v7, 0x7f
	v_cmp_lt_u32_e32 vcc, s22, v6
	v_cndmask_b32_e32 v5, v5, v7, vcc
; %bb.92:
	s_or_b64 exec, exec, s[16:17]
	v_lshrrev_b32_e32 v1, 24, v1
	s_movk_i32 s16, 0x80
	v_and_or_b32 v1, v1, s16, v5
	global_store_byte v[2:3], v1, off
.LBB62_93:
	s_mov_b64 s[22:23], 0
	s_mov_b64 s[16:17], -1
.LBB62_94:
	s_andn2_b64 vcc, exec, s[22:23]
	s_cbranch_vccnz .LBB62_102
; %bb.95:
	s_cmp_gt_i32 s29, 14
	s_mov_b64 s[22:23], -1
	s_cbranch_scc0 .LBB62_99
; %bb.96:
	s_cmp_eq_u32 s29, 15
	s_mov_b64 s[0:1], -1
	s_cbranch_scc0 .LBB62_98
; %bb.97:
	v_cvt_f32_i32_e32 v1, v0
	s_movk_i32 s0, 0x7fff
	s_mov_b64 s[16:17], -1
	v_bfe_u32 v5, v1, 16, 1
	v_add3_u32 v1, v1, v5, s0
	global_store_short_d16_hi v[2:3], v1, off
	s_mov_b64 s[0:1], 0
.LBB62_98:
	s_mov_b64 s[22:23], 0
.LBB62_99:
	s_and_b64 vcc, exec, s[22:23]
	s_cbranch_vccz .LBB62_102
; %bb.100:
	s_cmp_eq_u32 s29, 11
	s_mov_b64 s[0:1], -1
	s_cbranch_scc0 .LBB62_102
; %bb.101:
	v_cmp_ne_u32_e32 vcc, 0, v0
	v_cndmask_b32_e64 v1, 0, 1, vcc
	s_mov_b64 s[16:17], -1
	s_mov_b64 s[0:1], 0
	global_store_byte v[2:3], v1, off
.LBB62_102:
	s_branch .LBB62_20
.LBB62_103:
	s_and_b32 s22, 0xffff, s28
	s_cmp_lt_i32 s22, 5
	s_mov_b64 s[16:17], -1
	s_cbranch_scc1 .LBB62_124
; %bb.104:
	s_cmp_lt_i32 s22, 8
	s_cbranch_scc1 .LBB62_114
; %bb.105:
	s_cmp_lt_i32 s22, 9
	s_cbranch_scc1 .LBB62_111
; %bb.106:
	s_cmp_gt_i32 s22, 9
	s_cbranch_scc0 .LBB62_108
; %bb.107:
	v_cvt_f64_i32_e32 v[5:6], v0
	v_mov_b32_e32 v7, 0
	v_mov_b32_e32 v8, v7
	s_mov_b64 s[16:17], 0
	global_store_dwordx4 v[2:3], v[5:8], off
.LBB62_108:
	s_andn2_b64 vcc, exec, s[16:17]
	s_cbranch_vccnz .LBB62_110
; %bb.109:
	v_cvt_f32_i32_e32 v5, v0
	v_mov_b32_e32 v6, 0
	global_store_dwordx2 v[2:3], v[5:6], off
.LBB62_110:
	s_mov_b64 s[16:17], 0
.LBB62_111:
	s_andn2_b64 vcc, exec, s[16:17]
	s_cbranch_vccnz .LBB62_113
; %bb.112:
	v_cvt_f32_i32_e32 v1, v0
	v_cvt_f16_f32_e32 v1, v1
	global_store_dword v[2:3], v1, off
.LBB62_113:
	s_mov_b64 s[16:17], 0
.LBB62_114:
	s_andn2_b64 vcc, exec, s[16:17]
	s_cbranch_vccnz .LBB62_123
; %bb.115:
	s_cmp_lt_i32 s22, 6
	s_mov_b64 s[16:17], -1
	s_cbranch_scc1 .LBB62_121
; %bb.116:
	s_cmp_gt_i32 s22, 6
	s_cbranch_scc0 .LBB62_118
; %bb.117:
	v_cvt_f64_i32_e32 v[5:6], v0
	s_mov_b64 s[16:17], 0
	global_store_dwordx2 v[2:3], v[5:6], off
.LBB62_118:
	s_andn2_b64 vcc, exec, s[16:17]
	s_cbranch_vccnz .LBB62_120
; %bb.119:
	v_cvt_f32_i32_e32 v1, v0
	global_store_dword v[2:3], v1, off
.LBB62_120:
	s_mov_b64 s[16:17], 0
.LBB62_121:
	s_andn2_b64 vcc, exec, s[16:17]
	s_cbranch_vccnz .LBB62_123
; %bb.122:
	v_cvt_f32_i32_e32 v1, v0
	v_cvt_f16_f32_e32 v1, v1
	global_store_short v[2:3], v1, off
.LBB62_123:
	s_mov_b64 s[16:17], 0
.LBB62_124:
	s_andn2_b64 vcc, exec, s[16:17]
	s_cbranch_vccnz .LBB62_140
; %bb.125:
	s_cmp_lt_i32 s22, 2
	s_mov_b64 s[16:17], -1
	s_cbranch_scc1 .LBB62_135
; %bb.126:
	s_cmp_lt_i32 s22, 3
	s_cbranch_scc1 .LBB62_132
; %bb.127:
	s_cmp_gt_i32 s22, 3
	s_cbranch_scc0 .LBB62_129
; %bb.128:
	v_ashrrev_i32_e32 v1, 31, v0
	global_store_dwordx2 v[2:3], v[0:1], off
	s_mov_b64 s[16:17], 0
.LBB62_129:
	s_andn2_b64 vcc, exec, s[16:17]
	s_cbranch_vccnz .LBB62_131
; %bb.130:
	global_store_dword v[2:3], v0, off
.LBB62_131:
	s_mov_b64 s[16:17], 0
.LBB62_132:
	s_andn2_b64 vcc, exec, s[16:17]
	s_cbranch_vccnz .LBB62_134
; %bb.133:
	global_store_short v[2:3], v0, off
.LBB62_134:
	s_mov_b64 s[16:17], 0
.LBB62_135:
	s_andn2_b64 vcc, exec, s[16:17]
	s_cbranch_vccnz .LBB62_140
; %bb.136:
	s_cmp_gt_i32 s22, 0
	s_mov_b64 s[16:17], -1
	s_cbranch_scc0 .LBB62_138
; %bb.137:
	global_store_byte v[2:3], v0, off
	s_mov_b64 s[16:17], 0
.LBB62_138:
	s_andn2_b64 vcc, exec, s[16:17]
	s_cbranch_vccnz .LBB62_140
; %bb.139:
	global_store_byte v[2:3], v0, off
.LBB62_140:
	s_branch .LBB62_21
.LBB62_141:
	s_mov_b64 s[22:23], 0
                                        ; implicit-def: $vgpr4
	s_branch .LBB62_247
.LBB62_142:
	s_mov_b64 s[18:19], -1
                                        ; implicit-def: $vgpr2
.LBB62_143:
	s_mov_b64 s[16:17], 0
.LBB62_144:
	s_and_b64 vcc, exec, s[16:17]
	s_cbranch_vccz .LBB62_148
; %bb.145:
	s_cmp_eq_u32 s22, 29
	s_cbranch_scc0 .LBB62_147
; %bb.146:
	global_load_dword v2, v[0:1], off
	s_mov_b64 s[0:1], -1
	s_mov_b64 s[18:19], 0
	s_branch .LBB62_148
.LBB62_147:
	s_mov_b64 s[18:19], -1
                                        ; implicit-def: $vgpr2
.LBB62_148:
	s_mov_b64 s[16:17], 0
.LBB62_149:
	s_and_b64 vcc, exec, s[16:17]
	s_cbranch_vccz .LBB62_165
; %bb.150:
	s_cmp_lt_i32 s22, 27
	s_cbranch_scc1 .LBB62_153
; %bb.151:
	s_cmp_gt_i32 s22, 27
	s_cbranch_scc0 .LBB62_154
; %bb.152:
	global_load_dword v2, v[0:1], off
	s_mov_b64 s[0:1], 0
	s_branch .LBB62_155
.LBB62_153:
	s_mov_b64 s[0:1], -1
                                        ; implicit-def: $vgpr2
	s_branch .LBB62_158
.LBB62_154:
	s_mov_b64 s[0:1], -1
                                        ; implicit-def: $vgpr2
.LBB62_155:
	s_andn2_b64 vcc, exec, s[0:1]
	s_cbranch_vccnz .LBB62_157
; %bb.156:
	global_load_ushort v2, v[0:1], off
.LBB62_157:
	s_mov_b64 s[0:1], 0
.LBB62_158:
	s_andn2_b64 vcc, exec, s[0:1]
	s_cbranch_vccnz .LBB62_164
; %bb.159:
	global_load_ubyte v3, v[0:1], off
	s_movk_i32 s0, 0x7f
	s_mov_b64 s[16:17], 0
	s_waitcnt vmcnt(0)
	v_cmp_lt_i16_e32 vcc, s0, v3
	s_and_saveexec_b64 s[0:1], vcc
	s_xor_b64 s[0:1], exec, s[0:1]
	s_cbranch_execz .LBB62_175
; %bb.160:
	s_movk_i32 s16, 0x80
	v_cmp_ne_u16_e32 vcc, s16, v3
	s_and_b64 s[16:17], vcc, exec
	s_andn2_saveexec_b64 s[0:1], s[0:1]
	s_cbranch_execnz .LBB62_176
.LBB62_161:
	s_or_b64 exec, exec, s[0:1]
	v_mov_b32_e32 v2, 0
	s_and_saveexec_b64 s[0:1], s[16:17]
	s_cbranch_execz .LBB62_163
.LBB62_162:
	v_lshlrev_b32_e32 v2, 24, v3
	v_and_b32_e32 v3, 0xffff, v3
	v_and_b32_e32 v5, 7, v3
	v_ffbh_u32_e32 v7, v5
	v_min_u32_e32 v7, 32, v7
	v_subrev_u32_e32 v8, 28, v7
	v_bfe_u32 v6, v3, 3, 4
	v_lshlrev_b32_e32 v3, v8, v3
	v_sub_u32_e32 v7, 29, v7
	v_and_b32_e32 v3, 7, v3
	v_cmp_eq_u32_e32 vcc, 0, v6
	v_cndmask_b32_e32 v6, v6, v7, vcc
	v_cndmask_b32_e32 v3, v5, v3, vcc
	v_mov_b32_e32 v5, 0x3b800000
	v_lshlrev_b32_e32 v3, 20, v3
	v_and_b32_e32 v2, 0x80000000, v2
	v_lshl_add_u32 v5, v6, 23, v5
	v_or3_b32 v2, v2, v5, v3
	v_cvt_i32_f32_e32 v2, v2
.LBB62_163:
	s_or_b64 exec, exec, s[0:1]
.LBB62_164:
	s_mov_b64 s[0:1], -1
.LBB62_165:
	s_branch .LBB62_198
.LBB62_166:
	s_cmp_gt_i32 s22, 22
	s_cbranch_scc0 .LBB62_174
; %bb.167:
	s_cmp_lt_i32 s22, 24
	s_cbranch_scc1 .LBB62_177
; %bb.168:
	s_cmp_gt_i32 s22, 24
	s_cbranch_scc0 .LBB62_178
; %bb.169:
	global_load_ubyte v3, v[0:1], off
	s_movk_i32 s0, 0x7f
	s_mov_b64 s[16:17], 0
	s_waitcnt vmcnt(0)
	v_cmp_lt_i16_e32 vcc, s0, v3
	s_and_saveexec_b64 s[0:1], vcc
	s_xor_b64 s[0:1], exec, s[0:1]
	s_cbranch_execz .LBB62_190
; %bb.170:
	s_movk_i32 s16, 0x80
	v_cmp_ne_u16_e32 vcc, s16, v3
	s_and_b64 s[16:17], vcc, exec
	s_andn2_saveexec_b64 s[0:1], s[0:1]
	s_cbranch_execnz .LBB62_191
.LBB62_171:
	s_or_b64 exec, exec, s[0:1]
	v_mov_b32_e32 v2, 0
	s_and_saveexec_b64 s[0:1], s[16:17]
	s_cbranch_execz .LBB62_173
.LBB62_172:
	v_lshlrev_b32_e32 v2, 24, v3
	v_and_b32_e32 v3, 0xffff, v3
	v_and_b32_e32 v5, 3, v3
	v_ffbh_u32_e32 v7, v5
	v_min_u32_e32 v7, 32, v7
	v_subrev_u32_e32 v8, 29, v7
	v_bfe_u32 v6, v3, 2, 5
	v_lshlrev_b32_e32 v3, v8, v3
	v_sub_u32_e32 v7, 30, v7
	v_and_b32_e32 v3, 3, v3
	v_cmp_eq_u32_e32 vcc, 0, v6
	v_cndmask_b32_e32 v6, v6, v7, vcc
	v_cndmask_b32_e32 v3, v5, v3, vcc
	v_mov_b32_e32 v5, 0x37800000
	v_lshlrev_b32_e32 v3, 21, v3
	v_and_b32_e32 v2, 0x80000000, v2
	v_lshl_add_u32 v5, v6, 23, v5
	v_or3_b32 v2, v2, v5, v3
	v_cvt_i32_f32_e32 v2, v2
.LBB62_173:
	s_or_b64 exec, exec, s[0:1]
	s_mov_b64 s[0:1], 0
	s_branch .LBB62_179
.LBB62_174:
	s_mov_b64 s[16:17], -1
                                        ; implicit-def: $vgpr2
	s_branch .LBB62_185
.LBB62_175:
	s_andn2_saveexec_b64 s[0:1], s[0:1]
	s_cbranch_execz .LBB62_161
.LBB62_176:
	v_cmp_ne_u16_e32 vcc, 0, v3
	s_andn2_b64 s[16:17], s[16:17], exec
	s_and_b64 s[26:27], vcc, exec
	s_or_b64 s[16:17], s[16:17], s[26:27]
	s_or_b64 exec, exec, s[0:1]
	v_mov_b32_e32 v2, 0
	s_and_saveexec_b64 s[0:1], s[16:17]
	s_cbranch_execnz .LBB62_162
	s_branch .LBB62_163
.LBB62_177:
	s_mov_b64 s[0:1], -1
                                        ; implicit-def: $vgpr2
	s_branch .LBB62_182
.LBB62_178:
	s_mov_b64 s[0:1], -1
                                        ; implicit-def: $vgpr2
.LBB62_179:
	s_and_b64 vcc, exec, s[0:1]
	s_cbranch_vccz .LBB62_181
; %bb.180:
	global_load_ubyte v2, v[0:1], off
	s_mov_b32 s0, 0x7f800000
	s_waitcnt vmcnt(0)
	v_lshlrev_b32_e32 v2, 24, v2
	v_and_b32_e32 v3, 0x7f000000, v2
	v_ffbh_u32_e32 v5, v3
	v_min_u32_e32 v5, 32, v5
	v_sub_u32_e64 v5, v5, 4 clamp
	v_lshlrev_b32_e32 v7, v5, v3
	v_lshlrev_b32_e32 v5, 23, v5
	v_lshrrev_b32_e32 v7, 4, v7
	v_add_u32_e32 v6, 0x1000000, v3
	v_sub_u32_e32 v5, v7, v5
	v_ashrrev_i32_e32 v6, 8, v6
	v_add_u32_e32 v5, 0x3c000000, v5
	v_and_or_b32 v5, v6, s0, v5
	v_cmp_ne_u32_e32 vcc, 0, v3
	v_cndmask_b32_e32 v3, 0, v5, vcc
	s_brev_b32 s0, 1
	v_and_or_b32 v2, v2, s0, v3
	v_cvt_i32_f32_e32 v2, v2
.LBB62_181:
	s_mov_b64 s[0:1], 0
.LBB62_182:
	s_andn2_b64 vcc, exec, s[0:1]
	s_cbranch_vccnz .LBB62_184
; %bb.183:
	global_load_ubyte v2, v[0:1], off
	s_movk_i32 s0, 0x7f00
	s_brev_b32 s1, 16
	s_waitcnt vmcnt(0)
	v_lshlrev_b16_e32 v3, 8, v2
	v_lshlrev_b32_e32 v2, 25, v2
	v_lshrrev_b32_e32 v5, 4, v2
	v_and_or_b32 v6, v3, s0, 0.5
	v_or_b32_e32 v5, 0x70000000, v5
	v_add_f32_e32 v6, -0.5, v6
	v_mul_f32_e32 v5, 0x7800000, v5
	v_cmp_gt_u32_e32 vcc, s1, v2
	v_bfe_i32 v3, v3, 0, 16
	v_cndmask_b32_e32 v2, v5, v6, vcc
	s_brev_b32 s0, 1
	v_and_or_b32 v2, v3, s0, v2
	v_cvt_i32_f32_e32 v2, v2
.LBB62_184:
	s_mov_b64 s[16:17], 0
	s_mov_b64 s[0:1], -1
.LBB62_185:
	s_andn2_b64 vcc, exec, s[16:17]
	s_cbranch_vccnz .LBB62_198
; %bb.186:
	s_cmp_gt_i32 s22, 14
	s_cbranch_scc0 .LBB62_189
; %bb.187:
	s_cmp_eq_u32 s22, 15
	s_cbranch_scc0 .LBB62_192
; %bb.188:
	global_load_ushort v2, v[0:1], off
	s_mov_b64 s[0:1], -1
	s_mov_b64 s[18:19], 0
	s_waitcnt vmcnt(0)
	v_lshlrev_b32_e32 v2, 16, v2
	v_cvt_i32_f32_e32 v2, v2
	s_branch .LBB62_193
.LBB62_189:
	s_mov_b64 s[16:17], -1
                                        ; implicit-def: $vgpr2
	s_branch .LBB62_194
.LBB62_190:
	s_andn2_saveexec_b64 s[0:1], s[0:1]
	s_cbranch_execz .LBB62_171
.LBB62_191:
	v_cmp_ne_u16_e32 vcc, 0, v3
	s_andn2_b64 s[16:17], s[16:17], exec
	s_and_b64 s[26:27], vcc, exec
	s_or_b64 s[16:17], s[16:17], s[26:27]
	s_or_b64 exec, exec, s[0:1]
	v_mov_b32_e32 v2, 0
	s_and_saveexec_b64 s[0:1], s[16:17]
	s_cbranch_execnz .LBB62_172
	s_branch .LBB62_173
.LBB62_192:
	s_mov_b64 s[18:19], -1
                                        ; implicit-def: $vgpr2
.LBB62_193:
	s_mov_b64 s[16:17], 0
.LBB62_194:
	s_and_b64 vcc, exec, s[16:17]
	s_cbranch_vccz .LBB62_198
; %bb.195:
	s_cmp_eq_u32 s22, 11
	s_cbranch_scc0 .LBB62_197
; %bb.196:
	global_load_ubyte v2, v[0:1], off
	s_mov_b64 s[0:1], -1
	s_mov_b64 s[18:19], 0
	s_waitcnt vmcnt(0)
	v_cmp_ne_u16_e32 vcc, 0, v2
	v_cndmask_b32_e64 v2, 0, 1, vcc
	s_branch .LBB62_198
.LBB62_197:
	s_mov_b64 s[18:19], -1
                                        ; implicit-def: $vgpr2
.LBB62_198:
	s_branch .LBB62_10
.LBB62_199:
	s_cmp_lt_i32 s22, 5
	s_cbranch_scc1 .LBB62_204
; %bb.200:
	s_cmp_lt_i32 s22, 8
	s_cbranch_scc1 .LBB62_205
; %bb.201:
	;; [unrolled: 3-line block ×3, first 2 shown]
	s_cmp_gt_i32 s22, 9
	s_cbranch_scc0 .LBB62_207
; %bb.203:
	global_load_dwordx2 v[2:3], v[0:1], off
	s_mov_b64 s[0:1], 0
	s_waitcnt vmcnt(0)
	v_cvt_i32_f64_e32 v2, v[2:3]
	s_branch .LBB62_208
.LBB62_204:
                                        ; implicit-def: $vgpr2
	s_branch .LBB62_226
.LBB62_205:
	s_mov_b64 s[0:1], -1
                                        ; implicit-def: $vgpr2
	s_branch .LBB62_214
.LBB62_206:
	s_mov_b64 s[0:1], -1
                                        ; implicit-def: $vgpr2
	s_branch .LBB62_211
.LBB62_207:
	s_mov_b64 s[0:1], -1
                                        ; implicit-def: $vgpr2
.LBB62_208:
	s_andn2_b64 vcc, exec, s[0:1]
	s_cbranch_vccnz .LBB62_210
; %bb.209:
	global_load_dword v2, v[0:1], off
	s_waitcnt vmcnt(0)
	v_cvt_i32_f32_e32 v2, v2
.LBB62_210:
	s_mov_b64 s[0:1], 0
.LBB62_211:
	s_andn2_b64 vcc, exec, s[0:1]
	s_cbranch_vccnz .LBB62_213
; %bb.212:
	global_load_dword v2, v[0:1], off
	s_waitcnt vmcnt(0)
	v_cvt_f32_f16_e32 v2, v2
	v_cvt_i32_f32_e32 v2, v2
.LBB62_213:
	s_mov_b64 s[0:1], 0
.LBB62_214:
	s_andn2_b64 vcc, exec, s[0:1]
	s_cbranch_vccnz .LBB62_225
; %bb.215:
	s_cmp_lt_i32 s22, 6
	s_cbranch_scc1 .LBB62_218
; %bb.216:
	s_cmp_gt_i32 s22, 6
	s_cbranch_scc0 .LBB62_219
; %bb.217:
	global_load_dwordx2 v[2:3], v[0:1], off
	s_mov_b64 s[0:1], 0
	s_waitcnt vmcnt(0)
	v_cvt_i32_f64_e32 v2, v[2:3]
	s_branch .LBB62_220
.LBB62_218:
	s_mov_b64 s[0:1], -1
                                        ; implicit-def: $vgpr2
	s_branch .LBB62_223
.LBB62_219:
	s_mov_b64 s[0:1], -1
                                        ; implicit-def: $vgpr2
.LBB62_220:
	s_andn2_b64 vcc, exec, s[0:1]
	s_cbranch_vccnz .LBB62_222
; %bb.221:
	global_load_dword v2, v[0:1], off
	s_waitcnt vmcnt(0)
	v_cvt_i32_f32_e32 v2, v2
.LBB62_222:
	s_mov_b64 s[0:1], 0
.LBB62_223:
	s_andn2_b64 vcc, exec, s[0:1]
	s_cbranch_vccnz .LBB62_225
; %bb.224:
	global_load_ushort v2, v[0:1], off
	s_waitcnt vmcnt(0)
	v_cvt_f32_f16_e32 v2, v2
	v_cvt_i32_f32_e32 v2, v2
.LBB62_225:
	s_cbranch_execnz .LBB62_245
.LBB62_226:
	s_cmp_lt_i32 s22, 2
	s_cbranch_scc1 .LBB62_230
; %bb.227:
	s_cmp_lt_i32 s22, 3
	s_cbranch_scc1 .LBB62_231
; %bb.228:
	s_cmp_gt_i32 s22, 3
	s_cbranch_scc0 .LBB62_232
; %bb.229:
	global_load_dword v2, v[0:1], off
	s_mov_b64 s[0:1], 0
	s_branch .LBB62_233
.LBB62_230:
	s_mov_b64 s[0:1], -1
                                        ; implicit-def: $vgpr2
	s_branch .LBB62_239
.LBB62_231:
	s_mov_b64 s[0:1], -1
                                        ; implicit-def: $vgpr2
	s_branch .LBB62_236
.LBB62_232:
	s_mov_b64 s[0:1], -1
                                        ; implicit-def: $vgpr2
.LBB62_233:
	s_andn2_b64 vcc, exec, s[0:1]
	s_cbranch_vccnz .LBB62_235
; %bb.234:
	global_load_dword v2, v[0:1], off
.LBB62_235:
	s_mov_b64 s[0:1], 0
.LBB62_236:
	s_andn2_b64 vcc, exec, s[0:1]
	s_cbranch_vccnz .LBB62_238
; %bb.237:
	global_load_sshort v2, v[0:1], off
.LBB62_238:
	s_mov_b64 s[0:1], 0
.LBB62_239:
	s_andn2_b64 vcc, exec, s[0:1]
	s_cbranch_vccnz .LBB62_245
; %bb.240:
	s_cmp_gt_i32 s22, 0
	s_cbranch_scc0 .LBB62_242
; %bb.241:
	global_load_sbyte v2, v[0:1], off
	s_mov_b64 s[0:1], 0
	s_branch .LBB62_243
.LBB62_242:
	s_mov_b64 s[0:1], -1
                                        ; implicit-def: $vgpr2
.LBB62_243:
	s_andn2_b64 vcc, exec, s[0:1]
	s_cbranch_vccnz .LBB62_245
; %bb.244:
	global_load_ubyte v2, v[0:1], off
.LBB62_245:
	s_branch .LBB62_11
.LBB62_246:
	s_mov_b64 s[0:1], 0
                                        ; implicit-def: $vgpr4
	s_mov_b64 s[22:23], 0
.LBB62_247:
	s_and_b64 s[16:17], s[0:1], exec
	s_and_b64 s[18:19], s[18:19], exec
	s_orn2_b64 s[22:23], s[22:23], exec
.LBB62_248:
	s_or_b64 exec, exec, s[20:21]
	s_mov_b64 s[26:27], 0
	s_mov_b64 s[0:1], 0
                                        ; implicit-def: $vgpr0_vgpr1
                                        ; implicit-def: $vgpr5
	s_and_saveexec_b64 s[20:21], s[22:23]
	s_cbranch_execz .LBB62_257
; %bb.249:
	v_cmp_gt_i32_e32 vcc, s42, v4
	s_mov_b64 s[0:1], -1
	s_mov_b64 s[22:23], s[18:19]
	s_mov_b64 s[24:25], s[16:17]
	s_and_saveexec_b64 s[26:27], vcc
	s_cbranch_execz .LBB62_505
; %bb.250:
	v_mul_lo_u32 v0, v4, s13
	v_mov_b32_e32 v1, s11
	s_and_b32 s28, 0xffff, s33
	s_cmp_lt_i32 s28, 11
	s_waitcnt vmcnt(0)
	v_ashrrev_i32_e32 v2, 31, v0
	v_add_co_u32_e32 v0, vcc, s10, v0
	v_addc_co_u32_e32 v1, vcc, v1, v2, vcc
	s_cbranch_scc1 .LBB62_260
; %bb.251:
	s_cmp_gt_i32 s28, 25
	s_cbranch_scc0 .LBB62_269
; %bb.252:
	s_cmp_gt_i32 s28, 28
	s_cbranch_scc0 .LBB62_271
	;; [unrolled: 3-line block ×4, first 2 shown]
; %bb.255:
	s_cmp_eq_u32 s28, 46
	s_mov_b64 s[24:25], 0
	s_cbranch_scc0 .LBB62_281
; %bb.256:
	global_load_dword v2, v[0:1], off
	s_mov_b64 s[22:23], 0
	s_waitcnt vmcnt(0)
	v_lshlrev_b32_e32 v2, 16, v2
	v_cvt_i32_f32_e32 v2, v2
	s_branch .LBB62_282
.LBB62_257:
	s_or_b64 exec, exec, s[20:21]
	s_mov_b64 s[20:21], 0
	s_and_saveexec_b64 s[22:23], s[18:19]
	s_cbranch_execnz .LBB62_843
.LBB62_258:
	s_or_b64 exec, exec, s[22:23]
	s_and_saveexec_b64 s[18:19], s[24:25]
	s_xor_b64 s[18:19], exec, s[18:19]
	s_cbranch_execz .LBB62_844
.LBB62_259:
	global_load_ubyte v2, v[0:1], off
	s_or_b64 s[0:1], s[0:1], exec
	s_waitcnt vmcnt(0)
	v_cmp_ne_u16_e32 vcc, 0, v2
	v_cndmask_b32_e64 v5, 0, 1, vcc
	s_or_b64 exec, exec, s[18:19]
	s_and_saveexec_b64 s[18:19], s[26:27]
	s_cbranch_execz .LBB62_890
	s_branch .LBB62_845
.LBB62_260:
	s_mov_b64 s[0:1], 0
                                        ; implicit-def: $vgpr2
	s_mov_b64 s[22:23], s[18:19]
	s_cbranch_execnz .LBB62_455
.LBB62_261:
	s_andn2_b64 vcc, exec, s[0:1]
	s_cbranch_vccnz .LBB62_503
.LBB62_262:
	v_mul_lo_u32 v1, v4, s12
	v_mov_b32_e32 v0, s15
	v_mov_b32_e32 v3, s2
	s_waitcnt vmcnt(0)
	v_cmp_lt_i32_e32 vcc, s14, v2
	v_cndmask_b32_e32 v0, v0, v3, vcc
	v_ashrrev_i32_e32 v3, 31, v1
	v_mov_b32_e32 v5, s9
	s_and_b32 s34, s3, 0xff
	v_add_co_u32_e32 v2, vcc, s8, v1
	s_cmp_lt_i32 s34, 11
	v_addc_co_u32_e32 v3, vcc, v5, v3, vcc
	s_cbranch_scc1 .LBB62_270
; %bb.263:
	s_and_b32 s35, 0xffff, s34
	s_cmp_gt_i32 s35, 25
	s_cbranch_scc0 .LBB62_272
; %bb.264:
	s_cmp_gt_i32 s35, 28
	s_cbranch_scc0 .LBB62_274
; %bb.265:
	s_cmp_gt_i32 s35, 43
	s_cbranch_scc0 .LBB62_278
; %bb.266:
	s_cmp_gt_i32 s35, 45
	s_cbranch_scc0 .LBB62_285
; %bb.267:
	s_mov_b64 s[28:29], 0
	s_mov_b64 s[0:1], -1
	s_cmp_eq_u32 s35, 46
	s_mov_b64 s[24:25], 0
	s_cbranch_scc0 .LBB62_286
; %bb.268:
	v_cvt_f32_i32_e32 v1, v0
	s_movk_i32 s0, 0x7fff
	s_mov_b64 s[24:25], -1
	v_bfe_u32 v5, v1, 16, 1
	v_add3_u32 v1, v1, v5, s0
	v_lshrrev_b32_e32 v1, 16, v1
	global_store_dword v[2:3], v1, off
	s_mov_b64 s[0:1], 0
	s_branch .LBB62_286
.LBB62_269:
	s_mov_b64 s[24:25], -1
	s_mov_b64 s[0:1], 0
	s_mov_b64 s[22:23], s[18:19]
                                        ; implicit-def: $vgpr2
	s_branch .LBB62_421
.LBB62_270:
	s_mov_b64 s[28:29], -1
	s_mov_b64 s[24:25], 0
	s_mov_b64 s[0:1], s[16:17]
	s_branch .LBB62_355
.LBB62_271:
	s_mov_b64 s[24:25], -1
	s_mov_b64 s[0:1], 0
	s_mov_b64 s[22:23], s[18:19]
                                        ; implicit-def: $vgpr2
	s_branch .LBB62_404
.LBB62_272:
	s_mov_b64 s[28:29], -1
	s_mov_b64 s[24:25], 0
	s_mov_b64 s[0:1], s[16:17]
	s_branch .LBB62_313
.LBB62_273:
	s_mov_b64 s[24:25], -1
	s_mov_b64 s[0:1], 0
	s_mov_b64 s[22:23], s[18:19]
                                        ; implicit-def: $vgpr2
	s_branch .LBB62_399
.LBB62_274:
	s_mov_b64 s[28:29], -1
	s_mov_b64 s[24:25], 0
	s_mov_b64 s[0:1], s[16:17]
	s_branch .LBB62_296
.LBB62_275:
	s_andn2_saveexec_b64 s[26:27], s[26:27]
	s_cbranch_execz .LBB62_55
.LBB62_276:
	s_mov_b32 s30, 0x46000000
	v_add_f32_e64 v5, |v1|, s30
	v_and_b32_e32 v5, 0xff, v5
	v_cmp_ne_u32_e32 vcc, 0, v5
	s_andn2_b64 s[22:23], s[22:23], exec
	s_and_b64 s[30:31], vcc, exec
	s_or_b64 s[22:23], s[22:23], s[30:31]
	s_or_b64 exec, exec, s[26:27]
	v_mov_b32_e32 v6, 0
	s_and_saveexec_b64 s[26:27], s[22:23]
	s_cbranch_execnz .LBB62_56
	s_branch .LBB62_57
.LBB62_277:
	s_mov_b64 s[24:25], -1
	s_mov_b64 s[0:1], 0
	s_mov_b64 s[22:23], s[18:19]
                                        ; implicit-def: $vgpr2
	s_branch .LBB62_282
.LBB62_278:
	s_mov_b64 s[28:29], -1
	s_mov_b64 s[24:25], 0
	s_mov_b64 s[0:1], s[16:17]
	s_branch .LBB62_292
.LBB62_279:
	s_andn2_saveexec_b64 s[26:27], s[26:27]
	s_cbranch_execz .LBB62_68
.LBB62_280:
	s_mov_b32 s30, 0x42800000
	v_add_f32_e64 v5, |v1|, s30
	v_and_b32_e32 v5, 0xff, v5
	v_cmp_ne_u32_e32 vcc, 0, v5
	s_andn2_b64 s[22:23], s[22:23], exec
	s_and_b64 s[30:31], vcc, exec
	s_or_b64 s[22:23], s[22:23], s[30:31]
	s_or_b64 exec, exec, s[26:27]
	v_mov_b32_e32 v6, 0
	s_and_saveexec_b64 s[26:27], s[22:23]
	s_cbranch_execnz .LBB62_69
	s_branch .LBB62_70
.LBB62_281:
	s_mov_b64 s[22:23], -1
                                        ; implicit-def: $vgpr2
	s_mov_b64 s[0:1], 0
.LBB62_282:
	s_and_b64 vcc, exec, s[24:25]
	s_cbranch_vccz .LBB62_398
; %bb.283:
	s_cmp_eq_u32 s28, 44
	s_cbranch_scc0 .LBB62_397
; %bb.284:
	global_load_ubyte v2, v[0:1], off
	s_mov_b64 s[0:1], -1
	s_mov_b64 s[22:23], 0
	s_waitcnt vmcnt(0)
	v_lshlrev_b32_e32 v3, 23, v2
	v_cvt_i32_f32_e32 v3, v3
	v_cmp_ne_u32_e32 vcc, 0, v2
	v_cndmask_b32_e32 v2, 0, v3, vcc
	s_branch .LBB62_398
.LBB62_285:
	s_mov_b64 s[28:29], -1
	s_mov_b64 s[24:25], 0
	s_mov_b64 s[0:1], s[16:17]
.LBB62_286:
	s_and_b64 vcc, exec, s[28:29]
	s_cbranch_vccz .LBB62_291
; %bb.287:
	s_cmp_eq_u32 s35, 44
	s_mov_b64 s[0:1], -1
	s_cbranch_scc0 .LBB62_291
; %bb.288:
	v_cvt_f32_i32_e32 v1, v0
	s_movk_i32 s0, 0xff
	v_mov_b32_e32 v6, 0xff
	v_bfe_u32 v5, v1, 23, 8
	v_cmp_ne_u32_e32 vcc, s0, v5
	s_and_saveexec_b64 s[24:25], vcc
; %bb.289:
	s_mov_b32 s0, 0x3fffff
	v_lshrrev_b32_e32 v6, 23, v1
	v_and_b32_e32 v7, 0x400000, v1
	v_and_or_b32 v1, v1, s0, v5
	v_cmp_ne_u32_e32 vcc, 0, v7
	v_cmp_ne_u32_e64 s[0:1], 0, v1
	s_and_b64 s[0:1], vcc, s[0:1]
	v_cndmask_b32_e64 v1, 0, 1, s[0:1]
	v_add_u32_e32 v6, v6, v1
; %bb.290:
	s_or_b64 exec, exec, s[24:25]
	s_mov_b64 s[24:25], -1
	s_mov_b64 s[0:1], 0
	global_store_byte v[2:3], v6, off
.LBB62_291:
	s_mov_b64 s[28:29], 0
.LBB62_292:
	s_and_b64 vcc, exec, s[28:29]
	s_cbranch_vccz .LBB62_295
; %bb.293:
	s_cmp_eq_u32 s35, 29
	s_mov_b64 s[0:1], -1
	s_cbranch_scc0 .LBB62_295
; %bb.294:
	v_ashrrev_i32_e32 v1, 31, v0
	global_store_dwordx2 v[2:3], v[0:1], off
	s_mov_b64 s[24:25], -1
	s_mov_b64 s[0:1], 0
.LBB62_295:
	s_mov_b64 s[28:29], 0
.LBB62_296:
	s_and_b64 vcc, exec, s[28:29]
	s_cbranch_vccz .LBB62_312
; %bb.297:
	s_cmp_lt_i32 s35, 27
	s_mov_b64 s[24:25], -1
	s_cbranch_scc1 .LBB62_303
; %bb.298:
	s_cmp_gt_i32 s35, 27
	s_cbranch_scc0 .LBB62_300
; %bb.299:
	s_mov_b64 s[24:25], 0
	global_store_dword v[2:3], v0, off
.LBB62_300:
	s_andn2_b64 vcc, exec, s[24:25]
	s_cbranch_vccnz .LBB62_302
; %bb.301:
	global_store_short v[2:3], v0, off
.LBB62_302:
	s_mov_b64 s[24:25], 0
.LBB62_303:
	s_andn2_b64 vcc, exec, s[24:25]
	s_cbranch_vccnz .LBB62_311
; %bb.304:
	v_cvt_f32_i32_e32 v1, v0
	s_mov_b32 s24, 0x43800000
	v_mov_b32_e32 v6, 0x80
	v_and_b32_e32 v5, 0x7fffffff, v1
	v_cmp_gt_u32_e32 vcc, s24, v5
	s_and_saveexec_b64 s[24:25], vcc
	s_cbranch_execz .LBB62_310
; %bb.305:
	s_mov_b32 s28, 0x3bffffff
	v_cmp_lt_u32_e32 vcc, s28, v5
	s_mov_b64 s[28:29], 0
                                        ; implicit-def: $vgpr5
	s_and_saveexec_b64 s[30:31], vcc
	s_xor_b64 s[30:31], exec, s[30:31]
	s_cbranch_execz .LBB62_518
; %bb.306:
	v_bfe_u32 v5, v1, 20, 1
	s_mov_b32 s36, 0x487ffff
	v_add3_u32 v5, v1, v5, s36
	s_mov_b64 s[28:29], exec
	v_lshrrev_b32_e32 v5, 20, v5
	s_andn2_saveexec_b64 s[30:31], s[30:31]
	s_cbranch_execnz .LBB62_519
.LBB62_307:
	s_or_b64 exec, exec, s[30:31]
	v_mov_b32_e32 v6, 0
	s_and_saveexec_b64 s[30:31], s[28:29]
.LBB62_308:
	v_lshrrev_b32_e32 v1, 24, v1
	s_movk_i32 s28, 0x80
	v_and_or_b32 v6, v1, s28, v5
.LBB62_309:
	s_or_b64 exec, exec, s[30:31]
.LBB62_310:
	s_or_b64 exec, exec, s[24:25]
	global_store_byte v[2:3], v6, off
.LBB62_311:
	s_mov_b64 s[24:25], -1
.LBB62_312:
	s_mov_b64 s[28:29], 0
.LBB62_313:
	s_and_b64 vcc, exec, s[28:29]
	s_cbranch_vccz .LBB62_354
; %bb.314:
	s_cmp_gt_i32 s35, 22
	s_mov_b64 s[28:29], -1
	s_cbranch_scc0 .LBB62_346
; %bb.315:
	s_cmp_lt_i32 s35, 24
	s_mov_b64 s[24:25], -1
	s_cbranch_scc1 .LBB62_335
; %bb.316:
	s_cmp_gt_i32 s35, 24
	s_cbranch_scc0 .LBB62_324
; %bb.317:
	v_cvt_f32_i32_e32 v1, v0
	s_mov_b32 s24, 0x47800000
	v_mov_b32_e32 v6, 0x80
	v_and_b32_e32 v5, 0x7fffffff, v1
	v_cmp_gt_u32_e32 vcc, s24, v5
	s_and_saveexec_b64 s[24:25], vcc
	s_cbranch_execz .LBB62_323
; %bb.318:
	s_mov_b32 s28, 0x37ffffff
	v_cmp_lt_u32_e32 vcc, s28, v5
	s_mov_b64 s[28:29], 0
                                        ; implicit-def: $vgpr5
	s_and_saveexec_b64 s[30:31], vcc
	s_xor_b64 s[30:31], exec, s[30:31]
	s_cbranch_execz .LBB62_521
; %bb.319:
	v_bfe_u32 v5, v1, 21, 1
	s_mov_b32 s36, 0x88fffff
	v_add3_u32 v5, v1, v5, s36
	s_mov_b64 s[28:29], exec
	v_lshrrev_b32_e32 v5, 21, v5
	s_andn2_saveexec_b64 s[30:31], s[30:31]
	s_cbranch_execnz .LBB62_522
.LBB62_320:
	s_or_b64 exec, exec, s[30:31]
	v_mov_b32_e32 v6, 0
	s_and_saveexec_b64 s[30:31], s[28:29]
.LBB62_321:
	v_lshrrev_b32_e32 v1, 24, v1
	s_movk_i32 s28, 0x80
	v_and_or_b32 v6, v1, s28, v5
.LBB62_322:
	s_or_b64 exec, exec, s[30:31]
.LBB62_323:
	s_or_b64 exec, exec, s[24:25]
	s_mov_b64 s[24:25], 0
	global_store_byte v[2:3], v6, off
.LBB62_324:
	s_and_b64 vcc, exec, s[24:25]
	s_cbranch_vccz .LBB62_334
; %bb.325:
	v_cvt_f32_i32_e32 v1, v0
	s_mov_b32 s24, 0x43f00000
                                        ; implicit-def: $vgpr5
	v_and_b32_e32 v6, 0x7fffffff, v1
	v_cmp_gt_u32_e32 vcc, s24, v6
	s_and_saveexec_b64 s[24:25], vcc
	s_xor_b64 s[24:25], exec, s[24:25]
	s_cbranch_execz .LBB62_331
; %bb.326:
	s_mov_b32 s28, 0x3c7fffff
	v_cmp_lt_u32_e32 vcc, s28, v6
                                        ; implicit-def: $vgpr5
	s_and_saveexec_b64 s[28:29], vcc
	s_xor_b64 s[28:29], exec, s[28:29]
; %bb.327:
	v_bfe_u32 v5, v1, 20, 1
	s_mov_b32 s30, 0x407ffff
	v_add3_u32 v5, v1, v5, s30
	v_lshrrev_b32_e32 v6, 20, v5
	v_and_b32_e32 v5, 0xff00000, v5
	s_mov_b32 s30, 0x7f00000
	v_mov_b32_e32 v7, 0x7e
	v_cmp_ne_u32_e32 vcc, s30, v5
	v_cndmask_b32_e32 v5, v7, v6, vcc
; %bb.328:
	s_andn2_saveexec_b64 s[28:29], s[28:29]
; %bb.329:
	s_mov_b32 s30, 0x46800000
	v_add_f32_e64 v5, |v1|, s30
; %bb.330:
	s_or_b64 exec, exec, s[28:29]
                                        ; implicit-def: $vgpr6
.LBB62_331:
	s_andn2_saveexec_b64 s[24:25], s[24:25]
; %bb.332:
	s_mov_b32 s28, 0x7f800000
	v_mov_b32_e32 v5, 0x7e
	v_mov_b32_e32 v7, 0x7f
	v_cmp_lt_u32_e32 vcc, s28, v6
	v_cndmask_b32_e32 v5, v5, v7, vcc
; %bb.333:
	s_or_b64 exec, exec, s[24:25]
	v_lshrrev_b32_e32 v1, 24, v1
	s_movk_i32 s24, 0x80
	v_and_or_b32 v1, v1, s24, v5
	global_store_byte v[2:3], v1, off
.LBB62_334:
	s_mov_b64 s[24:25], 0
.LBB62_335:
	s_andn2_b64 vcc, exec, s[24:25]
	s_cbranch_vccnz .LBB62_345
; %bb.336:
	v_cvt_f32_i32_e32 v1, v0
	s_mov_b32 s24, 0x47800000
                                        ; implicit-def: $vgpr5
	v_and_b32_e32 v6, 0x7fffffff, v1
	v_cmp_gt_u32_e32 vcc, s24, v6
	s_and_saveexec_b64 s[24:25], vcc
	s_xor_b64 s[24:25], exec, s[24:25]
	s_cbranch_execz .LBB62_342
; %bb.337:
	s_mov_b32 s28, 0x387fffff
	v_cmp_lt_u32_e32 vcc, s28, v6
                                        ; implicit-def: $vgpr5
	s_and_saveexec_b64 s[28:29], vcc
	s_xor_b64 s[28:29], exec, s[28:29]
; %bb.338:
	v_bfe_u32 v5, v1, 21, 1
	s_mov_b32 s30, 0x80fffff
	v_add3_u32 v5, v1, v5, s30
	v_lshrrev_b32_e32 v5, 21, v5
; %bb.339:
	s_andn2_saveexec_b64 s[28:29], s[28:29]
; %bb.340:
	s_mov_b32 s30, 0x43000000
	v_add_f32_e64 v5, |v1|, s30
; %bb.341:
	s_or_b64 exec, exec, s[28:29]
                                        ; implicit-def: $vgpr6
.LBB62_342:
	s_andn2_saveexec_b64 s[24:25], s[24:25]
; %bb.343:
	s_mov_b32 s28, 0x7f800000
	v_mov_b32_e32 v5, 0x7c
	v_mov_b32_e32 v7, 0x7f
	v_cmp_lt_u32_e32 vcc, s28, v6
	v_cndmask_b32_e32 v5, v5, v7, vcc
; %bb.344:
	s_or_b64 exec, exec, s[24:25]
	v_lshrrev_b32_e32 v1, 24, v1
	s_movk_i32 s24, 0x80
	v_and_or_b32 v1, v1, s24, v5
	global_store_byte v[2:3], v1, off
.LBB62_345:
	s_mov_b64 s[28:29], 0
	s_mov_b64 s[24:25], -1
.LBB62_346:
	s_andn2_b64 vcc, exec, s[28:29]
	s_cbranch_vccnz .LBB62_354
; %bb.347:
	s_cmp_gt_i32 s35, 14
	s_mov_b64 s[28:29], -1
	s_cbranch_scc0 .LBB62_351
; %bb.348:
	s_cmp_eq_u32 s35, 15
	s_mov_b64 s[0:1], -1
	s_cbranch_scc0 .LBB62_350
; %bb.349:
	v_cvt_f32_i32_e32 v1, v0
	s_movk_i32 s0, 0x7fff
	s_mov_b64 s[24:25], -1
	v_bfe_u32 v5, v1, 16, 1
	v_add3_u32 v1, v1, v5, s0
	global_store_short_d16_hi v[2:3], v1, off
	s_mov_b64 s[0:1], 0
.LBB62_350:
	s_mov_b64 s[28:29], 0
.LBB62_351:
	s_and_b64 vcc, exec, s[28:29]
	s_cbranch_vccz .LBB62_354
; %bb.352:
	s_cmp_eq_u32 s35, 11
	s_mov_b64 s[0:1], -1
	s_cbranch_scc0 .LBB62_354
; %bb.353:
	v_cmp_ne_u32_e32 vcc, 0, v0
	v_cndmask_b32_e64 v1, 0, 1, vcc
	s_mov_b64 s[24:25], -1
	s_mov_b64 s[0:1], 0
	global_store_byte v[2:3], v1, off
.LBB62_354:
	s_mov_b64 s[28:29], 0
.LBB62_355:
	s_and_b64 vcc, exec, s[28:29]
	s_cbranch_vccz .LBB62_394
; %bb.356:
	s_and_b32 s28, 0xffff, s34
	s_cmp_lt_i32 s28, 5
	s_mov_b64 s[24:25], -1
	s_cbranch_scc1 .LBB62_377
; %bb.357:
	s_cmp_lt_i32 s28, 8
	s_cbranch_scc1 .LBB62_367
; %bb.358:
	s_cmp_lt_i32 s28, 9
	s_cbranch_scc1 .LBB62_364
; %bb.359:
	s_cmp_gt_i32 s28, 9
	s_cbranch_scc0 .LBB62_361
; %bb.360:
	v_cvt_f64_i32_e32 v[5:6], v0
	v_mov_b32_e32 v7, 0
	v_mov_b32_e32 v8, v7
	s_mov_b64 s[24:25], 0
	global_store_dwordx4 v[2:3], v[5:8], off
.LBB62_361:
	s_andn2_b64 vcc, exec, s[24:25]
	s_cbranch_vccnz .LBB62_363
; %bb.362:
	v_cvt_f32_i32_e32 v5, v0
	v_mov_b32_e32 v6, 0
	global_store_dwordx2 v[2:3], v[5:6], off
.LBB62_363:
	s_mov_b64 s[24:25], 0
.LBB62_364:
	s_andn2_b64 vcc, exec, s[24:25]
	s_cbranch_vccnz .LBB62_366
; %bb.365:
	v_cvt_f32_i32_e32 v1, v0
	v_cvt_f16_f32_e32 v1, v1
	global_store_dword v[2:3], v1, off
.LBB62_366:
	s_mov_b64 s[24:25], 0
.LBB62_367:
	s_andn2_b64 vcc, exec, s[24:25]
	s_cbranch_vccnz .LBB62_376
; %bb.368:
	s_cmp_lt_i32 s28, 6
	s_mov_b64 s[24:25], -1
	s_cbranch_scc1 .LBB62_374
; %bb.369:
	s_cmp_gt_i32 s28, 6
	s_cbranch_scc0 .LBB62_371
; %bb.370:
	v_cvt_f64_i32_e32 v[5:6], v0
	s_mov_b64 s[24:25], 0
	global_store_dwordx2 v[2:3], v[5:6], off
.LBB62_371:
	s_andn2_b64 vcc, exec, s[24:25]
	s_cbranch_vccnz .LBB62_373
; %bb.372:
	v_cvt_f32_i32_e32 v1, v0
	global_store_dword v[2:3], v1, off
.LBB62_373:
	s_mov_b64 s[24:25], 0
.LBB62_374:
	s_andn2_b64 vcc, exec, s[24:25]
	s_cbranch_vccnz .LBB62_376
; %bb.375:
	v_cvt_f32_i32_e32 v1, v0
	v_cvt_f16_f32_e32 v1, v1
	global_store_short v[2:3], v1, off
.LBB62_376:
	s_mov_b64 s[24:25], 0
.LBB62_377:
	s_andn2_b64 vcc, exec, s[24:25]
	s_cbranch_vccnz .LBB62_393
; %bb.378:
	s_cmp_lt_i32 s28, 2
	s_mov_b64 s[24:25], -1
	s_cbranch_scc1 .LBB62_388
; %bb.379:
	s_cmp_lt_i32 s28, 3
	s_cbranch_scc1 .LBB62_385
; %bb.380:
	s_cmp_gt_i32 s28, 3
	s_cbranch_scc0 .LBB62_382
; %bb.381:
	v_ashrrev_i32_e32 v1, 31, v0
	s_mov_b64 s[24:25], 0
	global_store_dwordx2 v[2:3], v[0:1], off
.LBB62_382:
	s_andn2_b64 vcc, exec, s[24:25]
	s_cbranch_vccnz .LBB62_384
; %bb.383:
	global_store_dword v[2:3], v0, off
.LBB62_384:
	s_mov_b64 s[24:25], 0
.LBB62_385:
	s_andn2_b64 vcc, exec, s[24:25]
	s_cbranch_vccnz .LBB62_387
; %bb.386:
	global_store_short v[2:3], v0, off
.LBB62_387:
	s_mov_b64 s[24:25], 0
.LBB62_388:
	s_andn2_b64 vcc, exec, s[24:25]
	s_cbranch_vccnz .LBB62_393
; %bb.389:
	s_cmp_gt_i32 s28, 0
	s_mov_b64 s[24:25], -1
	s_cbranch_scc0 .LBB62_391
; %bb.390:
	s_mov_b64 s[24:25], 0
	global_store_byte v[2:3], v0, off
.LBB62_391:
	s_andn2_b64 vcc, exec, s[24:25]
	s_cbranch_vccnz .LBB62_393
; %bb.392:
	global_store_byte v[2:3], v0, off
.LBB62_393:
	s_mov_b64 s[24:25], -1
.LBB62_394:
	s_andn2_b64 vcc, exec, s[24:25]
	s_cbranch_vccnz .LBB62_396
; %bb.395:
	v_add_u32_e32 v4, 0x80, v4
	s_mov_b64 s[28:29], -1
	s_branch .LBB62_504
.LBB62_396:
	s_mov_b64 s[28:29], 0
                                        ; implicit-def: $vgpr4
	s_branch .LBB62_504
.LBB62_397:
	s_mov_b64 s[22:23], -1
                                        ; implicit-def: $vgpr2
.LBB62_398:
	s_mov_b64 s[24:25], 0
.LBB62_399:
	s_and_b64 vcc, exec, s[24:25]
	s_cbranch_vccz .LBB62_403
; %bb.400:
	s_cmp_eq_u32 s28, 29
	s_cbranch_scc0 .LBB62_402
; %bb.401:
	global_load_dword v2, v[0:1], off
	s_mov_b64 s[0:1], -1
	s_mov_b64 s[22:23], 0
	s_branch .LBB62_403
.LBB62_402:
	s_mov_b64 s[22:23], -1
                                        ; implicit-def: $vgpr2
.LBB62_403:
	s_mov_b64 s[24:25], 0
.LBB62_404:
	s_and_b64 vcc, exec, s[24:25]
	s_cbranch_vccz .LBB62_420
; %bb.405:
	s_cmp_lt_i32 s28, 27
	s_cbranch_scc1 .LBB62_408
; %bb.406:
	s_cmp_gt_i32 s28, 27
	s_cbranch_scc0 .LBB62_409
; %bb.407:
	global_load_dword v2, v[0:1], off
	s_mov_b64 s[0:1], 0
	s_branch .LBB62_410
.LBB62_408:
	s_mov_b64 s[0:1], -1
                                        ; implicit-def: $vgpr2
	s_branch .LBB62_413
.LBB62_409:
	s_mov_b64 s[0:1], -1
                                        ; implicit-def: $vgpr2
.LBB62_410:
	s_andn2_b64 vcc, exec, s[0:1]
	s_cbranch_vccnz .LBB62_412
; %bb.411:
	global_load_ushort v2, v[0:1], off
.LBB62_412:
	s_mov_b64 s[0:1], 0
.LBB62_413:
	s_andn2_b64 vcc, exec, s[0:1]
	s_cbranch_vccnz .LBB62_419
; %bb.414:
	global_load_ubyte v3, v[0:1], off
	s_movk_i32 s0, 0x7f
	s_mov_b64 s[24:25], 0
	s_waitcnt vmcnt(0)
	v_cmp_lt_i16_e32 vcc, s0, v3
	s_and_saveexec_b64 s[0:1], vcc
	s_xor_b64 s[0:1], exec, s[0:1]
	s_cbranch_execz .LBB62_431
; %bb.415:
	s_movk_i32 s24, 0x80
	v_cmp_ne_u16_e32 vcc, s24, v3
	s_and_b64 s[24:25], vcc, exec
	s_andn2_saveexec_b64 s[0:1], s[0:1]
	s_cbranch_execnz .LBB62_432
.LBB62_416:
	s_or_b64 exec, exec, s[0:1]
	v_mov_b32_e32 v2, 0
	s_and_saveexec_b64 s[0:1], s[24:25]
	s_cbranch_execz .LBB62_418
.LBB62_417:
	v_lshlrev_b32_e32 v2, 24, v3
	v_and_b32_e32 v3, 0xffff, v3
	v_and_b32_e32 v5, 7, v3
	v_ffbh_u32_e32 v7, v5
	v_min_u32_e32 v7, 32, v7
	v_subrev_u32_e32 v8, 28, v7
	v_bfe_u32 v6, v3, 3, 4
	v_lshlrev_b32_e32 v3, v8, v3
	v_sub_u32_e32 v7, 29, v7
	v_and_b32_e32 v3, 7, v3
	v_cmp_eq_u32_e32 vcc, 0, v6
	v_cndmask_b32_e32 v6, v6, v7, vcc
	v_cndmask_b32_e32 v3, v5, v3, vcc
	v_mov_b32_e32 v5, 0x3b800000
	v_lshlrev_b32_e32 v3, 20, v3
	v_and_b32_e32 v2, 0x80000000, v2
	v_lshl_add_u32 v5, v6, 23, v5
	v_or3_b32 v2, v2, v5, v3
	v_cvt_i32_f32_e32 v2, v2
.LBB62_418:
	s_or_b64 exec, exec, s[0:1]
.LBB62_419:
	s_mov_b64 s[0:1], -1
.LBB62_420:
	s_mov_b64 s[24:25], 0
.LBB62_421:
	s_and_b64 vcc, exec, s[24:25]
	s_cbranch_vccz .LBB62_454
; %bb.422:
	s_cmp_gt_i32 s28, 22
	s_cbranch_scc0 .LBB62_430
; %bb.423:
	s_cmp_lt_i32 s28, 24
	s_cbranch_scc1 .LBB62_433
; %bb.424:
	s_cmp_gt_i32 s28, 24
	s_cbranch_scc0 .LBB62_434
; %bb.425:
	global_load_ubyte v3, v[0:1], off
	s_movk_i32 s0, 0x7f
	s_mov_b64 s[24:25], 0
	s_waitcnt vmcnt(0)
	v_cmp_lt_i16_e32 vcc, s0, v3
	s_and_saveexec_b64 s[0:1], vcc
	s_xor_b64 s[0:1], exec, s[0:1]
	s_cbranch_execz .LBB62_446
; %bb.426:
	s_movk_i32 s24, 0x80
	v_cmp_ne_u16_e32 vcc, s24, v3
	s_and_b64 s[24:25], vcc, exec
	s_andn2_saveexec_b64 s[0:1], s[0:1]
	s_cbranch_execnz .LBB62_447
.LBB62_427:
	s_or_b64 exec, exec, s[0:1]
	v_mov_b32_e32 v2, 0
	s_and_saveexec_b64 s[0:1], s[24:25]
	s_cbranch_execz .LBB62_429
.LBB62_428:
	v_lshlrev_b32_e32 v2, 24, v3
	v_and_b32_e32 v3, 0xffff, v3
	v_and_b32_e32 v5, 3, v3
	v_ffbh_u32_e32 v7, v5
	v_min_u32_e32 v7, 32, v7
	v_subrev_u32_e32 v8, 29, v7
	v_bfe_u32 v6, v3, 2, 5
	v_lshlrev_b32_e32 v3, v8, v3
	v_sub_u32_e32 v7, 30, v7
	v_and_b32_e32 v3, 3, v3
	v_cmp_eq_u32_e32 vcc, 0, v6
	v_cndmask_b32_e32 v6, v6, v7, vcc
	v_cndmask_b32_e32 v3, v5, v3, vcc
	v_mov_b32_e32 v5, 0x37800000
	v_lshlrev_b32_e32 v3, 21, v3
	v_and_b32_e32 v2, 0x80000000, v2
	v_lshl_add_u32 v5, v6, 23, v5
	v_or3_b32 v2, v2, v5, v3
	v_cvt_i32_f32_e32 v2, v2
.LBB62_429:
	s_or_b64 exec, exec, s[0:1]
	s_mov_b64 s[0:1], 0
	s_branch .LBB62_435
.LBB62_430:
	s_mov_b64 s[24:25], -1
                                        ; implicit-def: $vgpr2
	s_branch .LBB62_441
.LBB62_431:
	s_andn2_saveexec_b64 s[0:1], s[0:1]
	s_cbranch_execz .LBB62_416
.LBB62_432:
	v_cmp_ne_u16_e32 vcc, 0, v3
	s_andn2_b64 s[24:25], s[24:25], exec
	s_and_b64 s[30:31], vcc, exec
	s_or_b64 s[24:25], s[24:25], s[30:31]
	s_or_b64 exec, exec, s[0:1]
	v_mov_b32_e32 v2, 0
	s_and_saveexec_b64 s[0:1], s[24:25]
	s_cbranch_execnz .LBB62_417
	s_branch .LBB62_418
.LBB62_433:
	s_mov_b64 s[0:1], -1
                                        ; implicit-def: $vgpr2
	s_branch .LBB62_438
.LBB62_434:
	s_mov_b64 s[0:1], -1
                                        ; implicit-def: $vgpr2
.LBB62_435:
	s_and_b64 vcc, exec, s[0:1]
	s_cbranch_vccz .LBB62_437
; %bb.436:
	global_load_ubyte v2, v[0:1], off
	s_mov_b32 s0, 0x7f800000
	s_waitcnt vmcnt(0)
	v_lshlrev_b32_e32 v2, 24, v2
	v_and_b32_e32 v3, 0x7f000000, v2
	v_ffbh_u32_e32 v5, v3
	v_min_u32_e32 v5, 32, v5
	v_sub_u32_e64 v5, v5, 4 clamp
	v_lshlrev_b32_e32 v7, v5, v3
	v_lshlrev_b32_e32 v5, 23, v5
	v_lshrrev_b32_e32 v7, 4, v7
	v_add_u32_e32 v6, 0x1000000, v3
	v_sub_u32_e32 v5, v7, v5
	v_ashrrev_i32_e32 v6, 8, v6
	v_add_u32_e32 v5, 0x3c000000, v5
	v_and_or_b32 v5, v6, s0, v5
	v_cmp_ne_u32_e32 vcc, 0, v3
	v_cndmask_b32_e32 v3, 0, v5, vcc
	s_brev_b32 s0, 1
	v_and_or_b32 v2, v2, s0, v3
	v_cvt_i32_f32_e32 v2, v2
.LBB62_437:
	s_mov_b64 s[0:1], 0
.LBB62_438:
	s_andn2_b64 vcc, exec, s[0:1]
	s_cbranch_vccnz .LBB62_440
; %bb.439:
	global_load_ubyte v2, v[0:1], off
	s_movk_i32 s0, 0x7f00
	s_brev_b32 s1, 16
	s_waitcnt vmcnt(0)
	v_lshlrev_b16_e32 v3, 8, v2
	v_lshlrev_b32_e32 v2, 25, v2
	v_lshrrev_b32_e32 v5, 4, v2
	v_and_or_b32 v6, v3, s0, 0.5
	v_or_b32_e32 v5, 0x70000000, v5
	v_add_f32_e32 v6, -0.5, v6
	v_mul_f32_e32 v5, 0x7800000, v5
	v_cmp_gt_u32_e32 vcc, s1, v2
	v_bfe_i32 v3, v3, 0, 16
	v_cndmask_b32_e32 v2, v5, v6, vcc
	s_brev_b32 s0, 1
	v_and_or_b32 v2, v3, s0, v2
	v_cvt_i32_f32_e32 v2, v2
.LBB62_440:
	s_mov_b64 s[24:25], 0
	s_mov_b64 s[0:1], -1
.LBB62_441:
	s_andn2_b64 vcc, exec, s[24:25]
	s_cbranch_vccnz .LBB62_454
; %bb.442:
	s_cmp_gt_i32 s28, 14
	s_cbranch_scc0 .LBB62_445
; %bb.443:
	s_cmp_eq_u32 s28, 15
	s_cbranch_scc0 .LBB62_448
; %bb.444:
	global_load_ushort v2, v[0:1], off
	s_mov_b64 s[0:1], -1
	s_mov_b64 s[22:23], 0
	s_waitcnt vmcnt(0)
	v_lshlrev_b32_e32 v2, 16, v2
	v_cvt_i32_f32_e32 v2, v2
	s_branch .LBB62_449
.LBB62_445:
	s_mov_b64 s[24:25], -1
                                        ; implicit-def: $vgpr2
	s_branch .LBB62_450
.LBB62_446:
	s_andn2_saveexec_b64 s[0:1], s[0:1]
	s_cbranch_execz .LBB62_427
.LBB62_447:
	v_cmp_ne_u16_e32 vcc, 0, v3
	s_andn2_b64 s[24:25], s[24:25], exec
	s_and_b64 s[30:31], vcc, exec
	s_or_b64 s[24:25], s[24:25], s[30:31]
	s_or_b64 exec, exec, s[0:1]
	v_mov_b32_e32 v2, 0
	s_and_saveexec_b64 s[0:1], s[24:25]
	s_cbranch_execnz .LBB62_428
	s_branch .LBB62_429
.LBB62_448:
	s_mov_b64 s[22:23], -1
                                        ; implicit-def: $vgpr2
.LBB62_449:
	s_mov_b64 s[24:25], 0
.LBB62_450:
	s_and_b64 vcc, exec, s[24:25]
	s_cbranch_vccz .LBB62_454
; %bb.451:
	s_cmp_eq_u32 s28, 11
	s_cbranch_scc0 .LBB62_453
; %bb.452:
	global_load_ubyte v2, v[0:1], off
	s_mov_b64 s[0:1], -1
	s_mov_b64 s[22:23], 0
	s_waitcnt vmcnt(0)
	v_cmp_ne_u16_e32 vcc, 0, v2
	v_cndmask_b32_e64 v2, 0, 1, vcc
	s_branch .LBB62_454
.LBB62_453:
	s_mov_b64 s[22:23], -1
                                        ; implicit-def: $vgpr2
.LBB62_454:
	s_branch .LBB62_261
.LBB62_455:
	s_cmp_lt_i32 s28, 5
	s_cbranch_scc1 .LBB62_460
; %bb.456:
	s_cmp_lt_i32 s28, 8
	s_cbranch_scc1 .LBB62_461
; %bb.457:
	;; [unrolled: 3-line block ×3, first 2 shown]
	s_cmp_gt_i32 s28, 9
	s_cbranch_scc0 .LBB62_463
; %bb.459:
	global_load_dwordx2 v[2:3], v[0:1], off
	s_mov_b64 s[0:1], 0
	s_waitcnt vmcnt(0)
	v_cvt_i32_f64_e32 v2, v[2:3]
	s_branch .LBB62_464
.LBB62_460:
	s_mov_b64 s[0:1], -1
                                        ; implicit-def: $vgpr2
	s_branch .LBB62_482
.LBB62_461:
	s_mov_b64 s[0:1], -1
                                        ; implicit-def: $vgpr2
	s_branch .LBB62_470
.LBB62_462:
	s_mov_b64 s[0:1], -1
                                        ; implicit-def: $vgpr2
	s_branch .LBB62_467
.LBB62_463:
	s_mov_b64 s[0:1], -1
                                        ; implicit-def: $vgpr2
.LBB62_464:
	s_andn2_b64 vcc, exec, s[0:1]
	s_cbranch_vccnz .LBB62_466
; %bb.465:
	global_load_dword v2, v[0:1], off
	s_waitcnt vmcnt(0)
	v_cvt_i32_f32_e32 v2, v2
.LBB62_466:
	s_mov_b64 s[0:1], 0
.LBB62_467:
	s_andn2_b64 vcc, exec, s[0:1]
	s_cbranch_vccnz .LBB62_469
; %bb.468:
	global_load_dword v2, v[0:1], off
	s_waitcnt vmcnt(0)
	v_cvt_f32_f16_e32 v2, v2
	v_cvt_i32_f32_e32 v2, v2
.LBB62_469:
	s_mov_b64 s[0:1], 0
.LBB62_470:
	s_andn2_b64 vcc, exec, s[0:1]
	s_cbranch_vccnz .LBB62_481
; %bb.471:
	s_cmp_lt_i32 s28, 6
	s_cbranch_scc1 .LBB62_474
; %bb.472:
	s_cmp_gt_i32 s28, 6
	s_cbranch_scc0 .LBB62_475
; %bb.473:
	global_load_dwordx2 v[2:3], v[0:1], off
	s_mov_b64 s[0:1], 0
	s_waitcnt vmcnt(0)
	v_cvt_i32_f64_e32 v2, v[2:3]
	s_branch .LBB62_476
.LBB62_474:
	s_mov_b64 s[0:1], -1
                                        ; implicit-def: $vgpr2
	s_branch .LBB62_479
.LBB62_475:
	s_mov_b64 s[0:1], -1
                                        ; implicit-def: $vgpr2
.LBB62_476:
	s_andn2_b64 vcc, exec, s[0:1]
	s_cbranch_vccnz .LBB62_478
; %bb.477:
	global_load_dword v2, v[0:1], off
	s_waitcnt vmcnt(0)
	v_cvt_i32_f32_e32 v2, v2
.LBB62_478:
	s_mov_b64 s[0:1], 0
.LBB62_479:
	s_andn2_b64 vcc, exec, s[0:1]
	s_cbranch_vccnz .LBB62_481
; %bb.480:
	global_load_ushort v2, v[0:1], off
	s_waitcnt vmcnt(0)
	v_cvt_f32_f16_e32 v2, v2
	v_cvt_i32_f32_e32 v2, v2
.LBB62_481:
	s_mov_b64 s[0:1], 0
.LBB62_482:
	s_andn2_b64 vcc, exec, s[0:1]
	s_cbranch_vccnz .LBB62_502
; %bb.483:
	s_cmp_lt_i32 s28, 2
	s_cbranch_scc1 .LBB62_487
; %bb.484:
	s_cmp_lt_i32 s28, 3
	s_cbranch_scc1 .LBB62_488
; %bb.485:
	s_cmp_gt_i32 s28, 3
	s_cbranch_scc0 .LBB62_489
; %bb.486:
	global_load_dword v2, v[0:1], off
	s_mov_b64 s[0:1], 0
	s_branch .LBB62_490
.LBB62_487:
	s_mov_b64 s[0:1], -1
                                        ; implicit-def: $vgpr2
	s_branch .LBB62_496
.LBB62_488:
	s_mov_b64 s[0:1], -1
                                        ; implicit-def: $vgpr2
	s_branch .LBB62_493
.LBB62_489:
	s_mov_b64 s[0:1], -1
                                        ; implicit-def: $vgpr2
.LBB62_490:
	s_andn2_b64 vcc, exec, s[0:1]
	s_cbranch_vccnz .LBB62_492
; %bb.491:
	global_load_dword v2, v[0:1], off
.LBB62_492:
	s_mov_b64 s[0:1], 0
.LBB62_493:
	s_andn2_b64 vcc, exec, s[0:1]
	s_cbranch_vccnz .LBB62_495
; %bb.494:
	global_load_sshort v2, v[0:1], off
.LBB62_495:
	s_mov_b64 s[0:1], 0
.LBB62_496:
	s_andn2_b64 vcc, exec, s[0:1]
	s_cbranch_vccnz .LBB62_502
; %bb.497:
	s_cmp_gt_i32 s28, 0
	s_cbranch_scc0 .LBB62_499
; %bb.498:
	global_load_sbyte v2, v[0:1], off
	s_mov_b64 s[0:1], 0
	s_branch .LBB62_500
.LBB62_499:
	s_mov_b64 s[0:1], -1
                                        ; implicit-def: $vgpr2
.LBB62_500:
	s_andn2_b64 vcc, exec, s[0:1]
	s_cbranch_vccnz .LBB62_502
; %bb.501:
	global_load_ubyte v2, v[0:1], off
.LBB62_502:
	s_branch .LBB62_262
.LBB62_503:
	s_mov_b64 s[28:29], 0
                                        ; implicit-def: $vgpr4
	s_mov_b64 s[0:1], s[16:17]
.LBB62_504:
	s_andn2_b64 s[24:25], s[16:17], exec
	s_and_b64 s[0:1], s[0:1], exec
	s_or_b64 s[24:25], s[24:25], s[0:1]
	s_andn2_b64 s[0:1], s[18:19], exec
	s_and_b64 s[22:23], s[22:23], exec
	s_or_b64 s[22:23], s[0:1], s[22:23]
	s_orn2_b64 s[0:1], s[28:29], exec
.LBB62_505:
	s_or_b64 exec, exec, s[26:27]
	s_mov_b64 s[28:29], 0
	s_mov_b64 s[30:31], 0
	;; [unrolled: 1-line block ×3, first 2 shown]
                                        ; implicit-def: $vgpr0_vgpr1
                                        ; implicit-def: $vgpr5
	s_and_saveexec_b64 s[26:27], s[0:1]
	s_cbranch_execz .LBB62_842
; %bb.506:
	v_cmp_gt_i32_e32 vcc, s42, v4
	s_mov_b64 s[38:39], -1
	s_mov_b64 s[0:1], s[22:23]
	s_mov_b64 s[34:35], s[24:25]
	s_and_saveexec_b64 s[28:29], vcc
	s_cbranch_execz .LBB62_760
; %bb.507:
	v_mul_lo_u32 v0, v4, s13
	v_mov_b32_e32 v1, s11
	s_and_b32 s36, 0xffff, s33
	s_cmp_lt_i32 s36, 11
	s_waitcnt vmcnt(0)
	v_ashrrev_i32_e32 v2, 31, v0
	v_add_co_u32_e32 v0, vcc, s10, v0
	v_addc_co_u32_e32 v1, vcc, v1, v2, vcc
	s_cbranch_scc1 .LBB62_514
; %bb.508:
	s_cmp_gt_i32 s36, 25
	s_cbranch_scc0 .LBB62_515
; %bb.509:
	s_cmp_gt_i32 s36, 28
	s_cbranch_scc0 .LBB62_516
	;; [unrolled: 3-line block ×4, first 2 shown]
; %bb.512:
	s_cmp_eq_u32 s36, 46
	s_mov_b64 s[34:35], 0
	s_cbranch_scc0 .LBB62_523
; %bb.513:
	global_load_dword v2, v[0:1], off
	s_mov_b64 s[0:1], -1
	s_waitcnt vmcnt(0)
	v_lshlrev_b32_e32 v2, 16, v2
	v_cvt_i32_f32_e32 v2, v2
	s_branch .LBB62_524
.LBB62_514:
	s_mov_b64 s[34:35], -1
	s_mov_b64 s[0:1], 0
                                        ; implicit-def: $vgpr2
	s_mov_b64 s[30:31], s[22:23]
	s_branch .LBB62_585
.LBB62_515:
	s_mov_b64 s[34:35], -1
	s_mov_b64 s[0:1], 0
	s_mov_b64 s[30:31], s[22:23]
                                        ; implicit-def: $vgpr2
	s_branch .LBB62_551
.LBB62_516:
	s_mov_b64 s[34:35], -1
	s_mov_b64 s[0:1], 0
	s_mov_b64 s[30:31], s[22:23]
                                        ; implicit-def: $vgpr2
	s_branch .LBB62_534
.LBB62_517:
	s_mov_b64 s[34:35], -1
	s_mov_b64 s[0:1], 0
	s_mov_b64 s[30:31], s[22:23]
                                        ; implicit-def: $vgpr2
	s_branch .LBB62_529
.LBB62_518:
	s_andn2_saveexec_b64 s[30:31], s[30:31]
	s_cbranch_execz .LBB62_307
.LBB62_519:
	s_mov_b32 s36, 0x46000000
	v_add_f32_e64 v5, |v1|, s36
	v_and_b32_e32 v5, 0xff, v5
	v_cmp_ne_u32_e32 vcc, 0, v5
	s_andn2_b64 s[28:29], s[28:29], exec
	s_and_b64 s[36:37], vcc, exec
	s_or_b64 s[28:29], s[28:29], s[36:37]
	s_or_b64 exec, exec, s[30:31]
	v_mov_b32_e32 v6, 0
	s_and_saveexec_b64 s[30:31], s[28:29]
	s_cbranch_execnz .LBB62_308
	s_branch .LBB62_309
.LBB62_520:
	s_mov_b64 s[34:35], -1
	s_mov_b64 s[0:1], 0
	s_mov_b64 s[30:31], s[22:23]
                                        ; implicit-def: $vgpr2
	s_branch .LBB62_524
.LBB62_521:
	s_andn2_saveexec_b64 s[30:31], s[30:31]
	s_cbranch_execz .LBB62_320
.LBB62_522:
	s_mov_b32 s36, 0x42800000
	v_add_f32_e64 v5, |v1|, s36
	v_and_b32_e32 v5, 0xff, v5
	v_cmp_ne_u32_e32 vcc, 0, v5
	s_andn2_b64 s[28:29], s[28:29], exec
	s_and_b64 s[36:37], vcc, exec
	s_or_b64 s[28:29], s[28:29], s[36:37]
	s_or_b64 exec, exec, s[30:31]
	v_mov_b32_e32 v6, 0
	s_and_saveexec_b64 s[30:31], s[28:29]
	s_cbranch_execnz .LBB62_321
	s_branch .LBB62_322
.LBB62_523:
	s_mov_b64 s[30:31], -1
                                        ; implicit-def: $vgpr2
	s_mov_b64 s[0:1], 0
.LBB62_524:
	s_and_b64 vcc, exec, s[34:35]
	s_cbranch_vccz .LBB62_528
; %bb.525:
	s_cmp_eq_u32 s36, 44
	s_cbranch_scc0 .LBB62_527
; %bb.526:
	global_load_ubyte v2, v[0:1], off
	s_mov_b64 s[0:1], -1
	s_mov_b64 s[30:31], 0
	s_waitcnt vmcnt(0)
	v_lshlrev_b32_e32 v3, 23, v2
	v_cvt_i32_f32_e32 v3, v3
	v_cmp_ne_u32_e32 vcc, 0, v2
	v_cndmask_b32_e32 v2, 0, v3, vcc
	s_branch .LBB62_528
.LBB62_527:
	s_mov_b64 s[30:31], -1
                                        ; implicit-def: $vgpr2
.LBB62_528:
	s_mov_b64 s[34:35], 0
.LBB62_529:
	s_and_b64 vcc, exec, s[34:35]
	s_cbranch_vccz .LBB62_533
; %bb.530:
	s_cmp_eq_u32 s36, 29
	s_cbranch_scc0 .LBB62_532
; %bb.531:
	global_load_dword v2, v[0:1], off
	s_mov_b64 s[0:1], -1
	s_mov_b64 s[30:31], 0
	s_branch .LBB62_533
.LBB62_532:
	s_mov_b64 s[30:31], -1
                                        ; implicit-def: $vgpr2
.LBB62_533:
	s_mov_b64 s[34:35], 0
.LBB62_534:
	s_and_b64 vcc, exec, s[34:35]
	s_cbranch_vccz .LBB62_550
; %bb.535:
	s_cmp_lt_i32 s36, 27
	s_cbranch_scc1 .LBB62_538
; %bb.536:
	s_cmp_gt_i32 s36, 27
	s_cbranch_scc0 .LBB62_539
; %bb.537:
	global_load_dword v2, v[0:1], off
	s_mov_b64 s[0:1], 0
	s_branch .LBB62_540
.LBB62_538:
	s_mov_b64 s[0:1], -1
                                        ; implicit-def: $vgpr2
	s_branch .LBB62_543
.LBB62_539:
	s_mov_b64 s[0:1], -1
                                        ; implicit-def: $vgpr2
.LBB62_540:
	s_andn2_b64 vcc, exec, s[0:1]
	s_cbranch_vccnz .LBB62_542
; %bb.541:
	global_load_ushort v2, v[0:1], off
.LBB62_542:
	s_mov_b64 s[0:1], 0
.LBB62_543:
	s_andn2_b64 vcc, exec, s[0:1]
	s_cbranch_vccnz .LBB62_549
; %bb.544:
	global_load_ubyte v3, v[0:1], off
	s_movk_i32 s0, 0x7f
	s_mov_b64 s[34:35], 0
	s_waitcnt vmcnt(0)
	v_cmp_lt_i16_e32 vcc, s0, v3
	s_and_saveexec_b64 s[0:1], vcc
	s_xor_b64 s[0:1], exec, s[0:1]
	s_cbranch_execz .LBB62_561
; %bb.545:
	s_movk_i32 s34, 0x80
	v_cmp_ne_u16_e32 vcc, s34, v3
	s_and_b64 s[34:35], vcc, exec
	s_andn2_saveexec_b64 s[0:1], s[0:1]
	s_cbranch_execnz .LBB62_562
.LBB62_546:
	s_or_b64 exec, exec, s[0:1]
	v_mov_b32_e32 v2, 0
	s_and_saveexec_b64 s[0:1], s[34:35]
	s_cbranch_execz .LBB62_548
.LBB62_547:
	v_lshlrev_b32_e32 v2, 24, v3
	v_and_b32_e32 v3, 0xffff, v3
	v_and_b32_e32 v5, 7, v3
	v_ffbh_u32_e32 v7, v5
	v_min_u32_e32 v7, 32, v7
	v_subrev_u32_e32 v8, 28, v7
	v_bfe_u32 v6, v3, 3, 4
	v_lshlrev_b32_e32 v3, v8, v3
	v_sub_u32_e32 v7, 29, v7
	v_and_b32_e32 v3, 7, v3
	v_cmp_eq_u32_e32 vcc, 0, v6
	v_cndmask_b32_e32 v6, v6, v7, vcc
	v_cndmask_b32_e32 v3, v5, v3, vcc
	v_mov_b32_e32 v5, 0x3b800000
	v_lshlrev_b32_e32 v3, 20, v3
	v_and_b32_e32 v2, 0x80000000, v2
	v_lshl_add_u32 v5, v6, 23, v5
	v_or3_b32 v2, v2, v5, v3
	v_cvt_i32_f32_e32 v2, v2
.LBB62_548:
	s_or_b64 exec, exec, s[0:1]
.LBB62_549:
	s_mov_b64 s[0:1], -1
.LBB62_550:
	s_mov_b64 s[34:35], 0
.LBB62_551:
	s_and_b64 vcc, exec, s[34:35]
	s_cbranch_vccz .LBB62_584
; %bb.552:
	s_cmp_gt_i32 s36, 22
	s_cbranch_scc0 .LBB62_560
; %bb.553:
	s_cmp_lt_i32 s36, 24
	s_cbranch_scc1 .LBB62_563
; %bb.554:
	s_cmp_gt_i32 s36, 24
	s_cbranch_scc0 .LBB62_564
; %bb.555:
	global_load_ubyte v3, v[0:1], off
	s_movk_i32 s0, 0x7f
	s_mov_b64 s[34:35], 0
	s_waitcnt vmcnt(0)
	v_cmp_lt_i16_e32 vcc, s0, v3
	s_and_saveexec_b64 s[0:1], vcc
	s_xor_b64 s[0:1], exec, s[0:1]
	s_cbranch_execz .LBB62_576
; %bb.556:
	s_movk_i32 s34, 0x80
	v_cmp_ne_u16_e32 vcc, s34, v3
	s_and_b64 s[34:35], vcc, exec
	s_andn2_saveexec_b64 s[0:1], s[0:1]
	s_cbranch_execnz .LBB62_577
.LBB62_557:
	s_or_b64 exec, exec, s[0:1]
	v_mov_b32_e32 v2, 0
	s_and_saveexec_b64 s[0:1], s[34:35]
	s_cbranch_execz .LBB62_559
.LBB62_558:
	v_lshlrev_b32_e32 v2, 24, v3
	v_and_b32_e32 v3, 0xffff, v3
	v_and_b32_e32 v5, 3, v3
	v_ffbh_u32_e32 v7, v5
	v_min_u32_e32 v7, 32, v7
	v_subrev_u32_e32 v8, 29, v7
	v_bfe_u32 v6, v3, 2, 5
	v_lshlrev_b32_e32 v3, v8, v3
	v_sub_u32_e32 v7, 30, v7
	v_and_b32_e32 v3, 3, v3
	v_cmp_eq_u32_e32 vcc, 0, v6
	v_cndmask_b32_e32 v6, v6, v7, vcc
	v_cndmask_b32_e32 v3, v5, v3, vcc
	v_mov_b32_e32 v5, 0x37800000
	v_lshlrev_b32_e32 v3, 21, v3
	v_and_b32_e32 v2, 0x80000000, v2
	v_lshl_add_u32 v5, v6, 23, v5
	v_or3_b32 v2, v2, v5, v3
	v_cvt_i32_f32_e32 v2, v2
.LBB62_559:
	s_or_b64 exec, exec, s[0:1]
	s_mov_b64 s[0:1], 0
	s_branch .LBB62_565
.LBB62_560:
	s_mov_b64 s[34:35], -1
                                        ; implicit-def: $vgpr2
	s_branch .LBB62_571
.LBB62_561:
	s_andn2_saveexec_b64 s[0:1], s[0:1]
	s_cbranch_execz .LBB62_546
.LBB62_562:
	v_cmp_ne_u16_e32 vcc, 0, v3
	s_andn2_b64 s[34:35], s[34:35], exec
	s_and_b64 s[38:39], vcc, exec
	s_or_b64 s[34:35], s[34:35], s[38:39]
	s_or_b64 exec, exec, s[0:1]
	v_mov_b32_e32 v2, 0
	s_and_saveexec_b64 s[0:1], s[34:35]
	s_cbranch_execnz .LBB62_547
	s_branch .LBB62_548
.LBB62_563:
	s_mov_b64 s[0:1], -1
                                        ; implicit-def: $vgpr2
	s_branch .LBB62_568
.LBB62_564:
	s_mov_b64 s[0:1], -1
                                        ; implicit-def: $vgpr2
.LBB62_565:
	s_and_b64 vcc, exec, s[0:1]
	s_cbranch_vccz .LBB62_567
; %bb.566:
	global_load_ubyte v2, v[0:1], off
	s_mov_b32 s0, 0x7f800000
	s_waitcnt vmcnt(0)
	v_lshlrev_b32_e32 v2, 24, v2
	v_and_b32_e32 v3, 0x7f000000, v2
	v_ffbh_u32_e32 v5, v3
	v_min_u32_e32 v5, 32, v5
	v_sub_u32_e64 v5, v5, 4 clamp
	v_lshlrev_b32_e32 v7, v5, v3
	v_lshlrev_b32_e32 v5, 23, v5
	v_lshrrev_b32_e32 v7, 4, v7
	v_add_u32_e32 v6, 0x1000000, v3
	v_sub_u32_e32 v5, v7, v5
	v_ashrrev_i32_e32 v6, 8, v6
	v_add_u32_e32 v5, 0x3c000000, v5
	v_and_or_b32 v5, v6, s0, v5
	v_cmp_ne_u32_e32 vcc, 0, v3
	v_cndmask_b32_e32 v3, 0, v5, vcc
	s_brev_b32 s0, 1
	v_and_or_b32 v2, v2, s0, v3
	v_cvt_i32_f32_e32 v2, v2
.LBB62_567:
	s_mov_b64 s[0:1], 0
.LBB62_568:
	s_andn2_b64 vcc, exec, s[0:1]
	s_cbranch_vccnz .LBB62_570
; %bb.569:
	global_load_ubyte v2, v[0:1], off
	s_movk_i32 s0, 0x7f00
	s_brev_b32 s1, 16
	s_waitcnt vmcnt(0)
	v_lshlrev_b16_e32 v3, 8, v2
	v_lshlrev_b32_e32 v2, 25, v2
	v_lshrrev_b32_e32 v5, 4, v2
	v_and_or_b32 v6, v3, s0, 0.5
	v_or_b32_e32 v5, 0x70000000, v5
	v_add_f32_e32 v6, -0.5, v6
	v_mul_f32_e32 v5, 0x7800000, v5
	v_cmp_gt_u32_e32 vcc, s1, v2
	v_bfe_i32 v3, v3, 0, 16
	v_cndmask_b32_e32 v2, v5, v6, vcc
	s_brev_b32 s0, 1
	v_and_or_b32 v2, v3, s0, v2
	v_cvt_i32_f32_e32 v2, v2
.LBB62_570:
	s_mov_b64 s[34:35], 0
	s_mov_b64 s[0:1], -1
.LBB62_571:
	s_andn2_b64 vcc, exec, s[34:35]
	s_cbranch_vccnz .LBB62_584
; %bb.572:
	s_cmp_gt_i32 s36, 14
	s_cbranch_scc0 .LBB62_575
; %bb.573:
	s_cmp_eq_u32 s36, 15
	s_cbranch_scc0 .LBB62_578
; %bb.574:
	global_load_ushort v2, v[0:1], off
	s_mov_b64 s[0:1], -1
	s_mov_b64 s[30:31], 0
	s_waitcnt vmcnt(0)
	v_lshlrev_b32_e32 v2, 16, v2
	v_cvt_i32_f32_e32 v2, v2
	s_branch .LBB62_579
.LBB62_575:
	s_mov_b64 s[34:35], -1
                                        ; implicit-def: $vgpr2
	s_branch .LBB62_580
.LBB62_576:
	s_andn2_saveexec_b64 s[0:1], s[0:1]
	s_cbranch_execz .LBB62_557
.LBB62_577:
	v_cmp_ne_u16_e32 vcc, 0, v3
	s_andn2_b64 s[34:35], s[34:35], exec
	s_and_b64 s[38:39], vcc, exec
	s_or_b64 s[34:35], s[34:35], s[38:39]
	s_or_b64 exec, exec, s[0:1]
	v_mov_b32_e32 v2, 0
	s_and_saveexec_b64 s[0:1], s[34:35]
	s_cbranch_execnz .LBB62_558
	s_branch .LBB62_559
.LBB62_578:
	s_mov_b64 s[30:31], -1
                                        ; implicit-def: $vgpr2
.LBB62_579:
	s_mov_b64 s[34:35], 0
.LBB62_580:
	s_and_b64 vcc, exec, s[34:35]
	s_cbranch_vccz .LBB62_584
; %bb.581:
	s_cmp_eq_u32 s36, 11
	s_cbranch_scc0 .LBB62_583
; %bb.582:
	global_load_ubyte v2, v[0:1], off
	s_mov_b64 s[0:1], -1
	s_mov_b64 s[30:31], 0
	s_waitcnt vmcnt(0)
	v_cmp_ne_u16_e32 vcc, 0, v2
	v_cndmask_b32_e64 v2, 0, 1, vcc
	s_branch .LBB62_584
.LBB62_583:
	s_mov_b64 s[30:31], -1
                                        ; implicit-def: $vgpr2
.LBB62_584:
	s_mov_b64 s[34:35], 0
.LBB62_585:
	s_and_b64 vcc, exec, s[34:35]
	s_cbranch_vccz .LBB62_634
; %bb.586:
	s_cmp_lt_i32 s36, 5
	s_cbranch_scc1 .LBB62_591
; %bb.587:
	s_cmp_lt_i32 s36, 8
	s_cbranch_scc1 .LBB62_592
	;; [unrolled: 3-line block ×3, first 2 shown]
; %bb.589:
	s_cmp_gt_i32 s36, 9
	s_cbranch_scc0 .LBB62_594
; %bb.590:
	global_load_dwordx2 v[2:3], v[0:1], off
	s_mov_b64 s[0:1], 0
	s_waitcnt vmcnt(0)
	v_cvt_i32_f64_e32 v2, v[2:3]
	s_branch .LBB62_595
.LBB62_591:
	s_mov_b64 s[0:1], -1
                                        ; implicit-def: $vgpr2
	s_branch .LBB62_613
.LBB62_592:
	s_mov_b64 s[0:1], -1
                                        ; implicit-def: $vgpr2
	s_branch .LBB62_601
.LBB62_593:
	s_mov_b64 s[0:1], -1
                                        ; implicit-def: $vgpr2
	s_branch .LBB62_598
.LBB62_594:
	s_mov_b64 s[0:1], -1
                                        ; implicit-def: $vgpr2
.LBB62_595:
	s_andn2_b64 vcc, exec, s[0:1]
	s_cbranch_vccnz .LBB62_597
; %bb.596:
	global_load_dword v2, v[0:1], off
	s_waitcnt vmcnt(0)
	v_cvt_i32_f32_e32 v2, v2
.LBB62_597:
	s_mov_b64 s[0:1], 0
.LBB62_598:
	s_andn2_b64 vcc, exec, s[0:1]
	s_cbranch_vccnz .LBB62_600
; %bb.599:
	global_load_dword v2, v[0:1], off
	s_waitcnt vmcnt(0)
	v_cvt_f32_f16_e32 v2, v2
	v_cvt_i32_f32_e32 v2, v2
.LBB62_600:
	s_mov_b64 s[0:1], 0
.LBB62_601:
	s_andn2_b64 vcc, exec, s[0:1]
	s_cbranch_vccnz .LBB62_612
; %bb.602:
	s_cmp_lt_i32 s36, 6
	s_cbranch_scc1 .LBB62_605
; %bb.603:
	s_cmp_gt_i32 s36, 6
	s_cbranch_scc0 .LBB62_606
; %bb.604:
	global_load_dwordx2 v[2:3], v[0:1], off
	s_mov_b64 s[0:1], 0
	s_waitcnt vmcnt(0)
	v_cvt_i32_f64_e32 v2, v[2:3]
	s_branch .LBB62_607
.LBB62_605:
	s_mov_b64 s[0:1], -1
                                        ; implicit-def: $vgpr2
	s_branch .LBB62_610
.LBB62_606:
	s_mov_b64 s[0:1], -1
                                        ; implicit-def: $vgpr2
.LBB62_607:
	s_andn2_b64 vcc, exec, s[0:1]
	s_cbranch_vccnz .LBB62_609
; %bb.608:
	global_load_dword v2, v[0:1], off
	s_waitcnt vmcnt(0)
	v_cvt_i32_f32_e32 v2, v2
.LBB62_609:
	s_mov_b64 s[0:1], 0
.LBB62_610:
	s_andn2_b64 vcc, exec, s[0:1]
	s_cbranch_vccnz .LBB62_612
; %bb.611:
	global_load_ushort v2, v[0:1], off
	s_waitcnt vmcnt(0)
	v_cvt_f32_f16_e32 v2, v2
	v_cvt_i32_f32_e32 v2, v2
.LBB62_612:
	s_mov_b64 s[0:1], 0
.LBB62_613:
	s_andn2_b64 vcc, exec, s[0:1]
	s_cbranch_vccnz .LBB62_633
; %bb.614:
	s_cmp_lt_i32 s36, 2
	s_cbranch_scc1 .LBB62_618
; %bb.615:
	s_cmp_lt_i32 s36, 3
	s_cbranch_scc1 .LBB62_619
; %bb.616:
	s_cmp_gt_i32 s36, 3
	s_cbranch_scc0 .LBB62_620
; %bb.617:
	global_load_dword v2, v[0:1], off
	s_mov_b64 s[0:1], 0
	s_branch .LBB62_621
.LBB62_618:
	s_mov_b64 s[0:1], -1
                                        ; implicit-def: $vgpr2
	s_branch .LBB62_627
.LBB62_619:
	s_mov_b64 s[0:1], -1
                                        ; implicit-def: $vgpr2
	s_branch .LBB62_624
.LBB62_620:
	s_mov_b64 s[0:1], -1
                                        ; implicit-def: $vgpr2
.LBB62_621:
	s_andn2_b64 vcc, exec, s[0:1]
	s_cbranch_vccnz .LBB62_623
; %bb.622:
	global_load_dword v2, v[0:1], off
.LBB62_623:
	s_mov_b64 s[0:1], 0
.LBB62_624:
	s_andn2_b64 vcc, exec, s[0:1]
	s_cbranch_vccnz .LBB62_626
; %bb.625:
	global_load_sshort v2, v[0:1], off
.LBB62_626:
	s_mov_b64 s[0:1], 0
.LBB62_627:
	s_andn2_b64 vcc, exec, s[0:1]
	s_cbranch_vccnz .LBB62_633
; %bb.628:
	s_cmp_gt_i32 s36, 0
	s_cbranch_scc0 .LBB62_630
; %bb.629:
	global_load_sbyte v2, v[0:1], off
	s_mov_b64 s[0:1], 0
	s_branch .LBB62_631
.LBB62_630:
	s_mov_b64 s[0:1], -1
                                        ; implicit-def: $vgpr2
.LBB62_631:
	s_andn2_b64 vcc, exec, s[0:1]
	s_cbranch_vccnz .LBB62_633
; %bb.632:
	global_load_ubyte v2, v[0:1], off
.LBB62_633:
	s_mov_b64 s[0:1], -1
.LBB62_634:
	s_andn2_b64 vcc, exec, s[0:1]
	s_cbranch_vccnz .LBB62_642
; %bb.635:
	v_mul_lo_u32 v1, v4, s12
	v_mov_b32_e32 v0, s15
	v_mov_b32_e32 v3, s2
	s_waitcnt vmcnt(0)
	v_cmp_lt_i32_e32 vcc, s14, v2
	v_cndmask_b32_e32 v0, v0, v3, vcc
	v_ashrrev_i32_e32 v3, 31, v1
	v_mov_b32_e32 v5, s9
	s_and_b32 s40, s3, 0xff
	v_add_co_u32_e32 v2, vcc, s8, v1
	s_cmp_lt_i32 s40, 11
	v_addc_co_u32_e32 v3, vcc, v5, v3, vcc
	s_cbranch_scc1 .LBB62_643
; %bb.636:
	s_and_b32 s41, 0xffff, s40
	s_cmp_gt_i32 s41, 25
	s_cbranch_scc0 .LBB62_644
; %bb.637:
	s_cmp_gt_i32 s41, 28
	s_cbranch_scc0 .LBB62_645
; %bb.638:
	;; [unrolled: 3-line block ×4, first 2 shown]
	s_mov_b64 s[36:37], 0
	s_mov_b64 s[0:1], -1
	s_cmp_eq_u32 s41, 46
	s_mov_b64 s[34:35], 0
	s_cbranch_scc0 .LBB62_648
; %bb.641:
	v_cvt_f32_i32_e32 v1, v0
	s_movk_i32 s0, 0x7fff
	s_mov_b64 s[34:35], -1
	v_bfe_u32 v5, v1, 16, 1
	v_add3_u32 v1, v1, v5, s0
	v_lshrrev_b32_e32 v1, 16, v1
	global_store_dword v[2:3], v1, off
	s_mov_b64 s[0:1], 0
	s_branch .LBB62_648
.LBB62_642:
	s_mov_b64 s[36:37], 0
                                        ; implicit-def: $vgpr4
	s_mov_b64 s[0:1], s[24:25]
	s_branch .LBB62_759
.LBB62_643:
	s_mov_b64 s[36:37], -1
	s_mov_b64 s[34:35], 0
	s_mov_b64 s[0:1], s[24:25]
	s_branch .LBB62_717
.LBB62_644:
	s_mov_b64 s[36:37], -1
	s_mov_b64 s[34:35], 0
	s_mov_b64 s[0:1], s[24:25]
	s_branch .LBB62_675
.LBB62_645:
	s_mov_b64 s[36:37], -1
	s_mov_b64 s[34:35], 0
	s_mov_b64 s[0:1], s[24:25]
	s_branch .LBB62_658
.LBB62_646:
	s_mov_b64 s[36:37], -1
	s_mov_b64 s[34:35], 0
	s_mov_b64 s[0:1], s[24:25]
	s_branch .LBB62_654
.LBB62_647:
	s_mov_b64 s[36:37], -1
	s_mov_b64 s[34:35], 0
	s_mov_b64 s[0:1], s[24:25]
.LBB62_648:
	s_and_b64 vcc, exec, s[36:37]
	s_cbranch_vccz .LBB62_653
; %bb.649:
	s_cmp_eq_u32 s41, 44
	s_mov_b64 s[0:1], -1
	s_cbranch_scc0 .LBB62_653
; %bb.650:
	v_cvt_f32_i32_e32 v1, v0
	s_movk_i32 s0, 0xff
	v_mov_b32_e32 v6, 0xff
	v_bfe_u32 v5, v1, 23, 8
	v_cmp_ne_u32_e32 vcc, s0, v5
	s_and_saveexec_b64 s[34:35], vcc
; %bb.651:
	s_mov_b32 s0, 0x3fffff
	v_lshrrev_b32_e32 v6, 23, v1
	v_and_b32_e32 v7, 0x400000, v1
	v_and_or_b32 v1, v1, s0, v5
	v_cmp_ne_u32_e32 vcc, 0, v7
	v_cmp_ne_u32_e64 s[0:1], 0, v1
	s_and_b64 s[0:1], vcc, s[0:1]
	v_cndmask_b32_e64 v1, 0, 1, s[0:1]
	v_add_u32_e32 v6, v6, v1
; %bb.652:
	s_or_b64 exec, exec, s[34:35]
	s_mov_b64 s[34:35], -1
	s_mov_b64 s[0:1], 0
	global_store_byte v[2:3], v6, off
.LBB62_653:
	s_mov_b64 s[36:37], 0
.LBB62_654:
	s_and_b64 vcc, exec, s[36:37]
	s_cbranch_vccz .LBB62_657
; %bb.655:
	s_cmp_eq_u32 s41, 29
	s_mov_b64 s[0:1], -1
	s_cbranch_scc0 .LBB62_657
; %bb.656:
	v_ashrrev_i32_e32 v1, 31, v0
	global_store_dwordx2 v[2:3], v[0:1], off
	s_mov_b64 s[34:35], -1
	s_mov_b64 s[0:1], 0
.LBB62_657:
	s_mov_b64 s[36:37], 0
.LBB62_658:
	s_and_b64 vcc, exec, s[36:37]
	s_cbranch_vccz .LBB62_674
; %bb.659:
	s_cmp_lt_i32 s41, 27
	s_mov_b64 s[34:35], -1
	s_cbranch_scc1 .LBB62_665
; %bb.660:
	s_cmp_gt_i32 s41, 27
	s_cbranch_scc0 .LBB62_662
; %bb.661:
	s_mov_b64 s[34:35], 0
	global_store_dword v[2:3], v0, off
.LBB62_662:
	s_andn2_b64 vcc, exec, s[34:35]
	s_cbranch_vccnz .LBB62_664
; %bb.663:
	global_store_short v[2:3], v0, off
.LBB62_664:
	s_mov_b64 s[34:35], 0
.LBB62_665:
	s_andn2_b64 vcc, exec, s[34:35]
	s_cbranch_vccnz .LBB62_673
; %bb.666:
	v_cvt_f32_i32_e32 v1, v0
	s_mov_b32 s34, 0x43800000
	v_mov_b32_e32 v6, 0x80
	v_and_b32_e32 v5, 0x7fffffff, v1
	v_cmp_gt_u32_e32 vcc, s34, v5
	s_and_saveexec_b64 s[34:35], vcc
	s_cbranch_execz .LBB62_672
; %bb.667:
	s_mov_b32 s36, 0x3bffffff
	v_cmp_lt_u32_e32 vcc, s36, v5
	s_mov_b64 s[36:37], 0
                                        ; implicit-def: $vgpr5
	s_and_saveexec_b64 s[38:39], vcc
	s_xor_b64 s[38:39], exec, s[38:39]
	s_cbranch_execz .LBB62_773
; %bb.668:
	v_bfe_u32 v5, v1, 20, 1
	s_mov_b32 s43, 0x487ffff
	v_add3_u32 v5, v1, v5, s43
	s_mov_b64 s[36:37], exec
	v_lshrrev_b32_e32 v5, 20, v5
	s_andn2_saveexec_b64 s[38:39], s[38:39]
	s_cbranch_execnz .LBB62_774
.LBB62_669:
	s_or_b64 exec, exec, s[38:39]
	v_mov_b32_e32 v6, 0
	s_and_saveexec_b64 s[38:39], s[36:37]
.LBB62_670:
	v_lshrrev_b32_e32 v1, 24, v1
	s_movk_i32 s36, 0x80
	v_and_or_b32 v6, v1, s36, v5
.LBB62_671:
	s_or_b64 exec, exec, s[38:39]
.LBB62_672:
	s_or_b64 exec, exec, s[34:35]
	global_store_byte v[2:3], v6, off
.LBB62_673:
	s_mov_b64 s[34:35], -1
.LBB62_674:
	s_mov_b64 s[36:37], 0
.LBB62_675:
	s_and_b64 vcc, exec, s[36:37]
	s_cbranch_vccz .LBB62_716
; %bb.676:
	s_cmp_gt_i32 s41, 22
	s_mov_b64 s[36:37], -1
	s_cbranch_scc0 .LBB62_708
; %bb.677:
	s_cmp_lt_i32 s41, 24
	s_mov_b64 s[34:35], -1
	s_cbranch_scc1 .LBB62_697
; %bb.678:
	s_cmp_gt_i32 s41, 24
	s_cbranch_scc0 .LBB62_686
; %bb.679:
	v_cvt_f32_i32_e32 v1, v0
	s_mov_b32 s34, 0x47800000
	v_mov_b32_e32 v6, 0x80
	v_and_b32_e32 v5, 0x7fffffff, v1
	v_cmp_gt_u32_e32 vcc, s34, v5
	s_and_saveexec_b64 s[34:35], vcc
	s_cbranch_execz .LBB62_685
; %bb.680:
	s_mov_b32 s36, 0x37ffffff
	v_cmp_lt_u32_e32 vcc, s36, v5
	s_mov_b64 s[36:37], 0
                                        ; implicit-def: $vgpr5
	s_and_saveexec_b64 s[38:39], vcc
	s_xor_b64 s[38:39], exec, s[38:39]
	s_cbranch_execz .LBB62_776
; %bb.681:
	v_bfe_u32 v5, v1, 21, 1
	s_mov_b32 s43, 0x88fffff
	v_add3_u32 v5, v1, v5, s43
	s_mov_b64 s[36:37], exec
	v_lshrrev_b32_e32 v5, 21, v5
	s_andn2_saveexec_b64 s[38:39], s[38:39]
	s_cbranch_execnz .LBB62_777
.LBB62_682:
	s_or_b64 exec, exec, s[38:39]
	v_mov_b32_e32 v6, 0
	s_and_saveexec_b64 s[38:39], s[36:37]
.LBB62_683:
	v_lshrrev_b32_e32 v1, 24, v1
	s_movk_i32 s36, 0x80
	v_and_or_b32 v6, v1, s36, v5
.LBB62_684:
	s_or_b64 exec, exec, s[38:39]
.LBB62_685:
	s_or_b64 exec, exec, s[34:35]
	s_mov_b64 s[34:35], 0
	global_store_byte v[2:3], v6, off
.LBB62_686:
	s_and_b64 vcc, exec, s[34:35]
	s_cbranch_vccz .LBB62_696
; %bb.687:
	v_cvt_f32_i32_e32 v1, v0
	s_mov_b32 s34, 0x43f00000
                                        ; implicit-def: $vgpr5
	v_and_b32_e32 v6, 0x7fffffff, v1
	v_cmp_gt_u32_e32 vcc, s34, v6
	s_and_saveexec_b64 s[34:35], vcc
	s_xor_b64 s[34:35], exec, s[34:35]
	s_cbranch_execz .LBB62_693
; %bb.688:
	s_mov_b32 s36, 0x3c7fffff
	v_cmp_lt_u32_e32 vcc, s36, v6
                                        ; implicit-def: $vgpr5
	s_and_saveexec_b64 s[36:37], vcc
	s_xor_b64 s[36:37], exec, s[36:37]
; %bb.689:
	v_bfe_u32 v5, v1, 20, 1
	s_mov_b32 s38, 0x407ffff
	v_add3_u32 v5, v1, v5, s38
	v_lshrrev_b32_e32 v6, 20, v5
	v_and_b32_e32 v5, 0xff00000, v5
	s_mov_b32 s38, 0x7f00000
	v_mov_b32_e32 v7, 0x7e
	v_cmp_ne_u32_e32 vcc, s38, v5
	v_cndmask_b32_e32 v5, v7, v6, vcc
; %bb.690:
	s_andn2_saveexec_b64 s[36:37], s[36:37]
; %bb.691:
	s_mov_b32 s38, 0x46800000
	v_add_f32_e64 v5, |v1|, s38
; %bb.692:
	s_or_b64 exec, exec, s[36:37]
                                        ; implicit-def: $vgpr6
.LBB62_693:
	s_andn2_saveexec_b64 s[34:35], s[34:35]
; %bb.694:
	s_mov_b32 s36, 0x7f800000
	v_mov_b32_e32 v5, 0x7e
	v_mov_b32_e32 v7, 0x7f
	v_cmp_lt_u32_e32 vcc, s36, v6
	v_cndmask_b32_e32 v5, v5, v7, vcc
; %bb.695:
	s_or_b64 exec, exec, s[34:35]
	v_lshrrev_b32_e32 v1, 24, v1
	s_movk_i32 s34, 0x80
	v_and_or_b32 v1, v1, s34, v5
	global_store_byte v[2:3], v1, off
.LBB62_696:
	s_mov_b64 s[34:35], 0
.LBB62_697:
	s_andn2_b64 vcc, exec, s[34:35]
	s_cbranch_vccnz .LBB62_707
; %bb.698:
	v_cvt_f32_i32_e32 v1, v0
	s_mov_b32 s34, 0x47800000
                                        ; implicit-def: $vgpr5
	v_and_b32_e32 v6, 0x7fffffff, v1
	v_cmp_gt_u32_e32 vcc, s34, v6
	s_and_saveexec_b64 s[34:35], vcc
	s_xor_b64 s[34:35], exec, s[34:35]
	s_cbranch_execz .LBB62_704
; %bb.699:
	s_mov_b32 s36, 0x387fffff
	v_cmp_lt_u32_e32 vcc, s36, v6
                                        ; implicit-def: $vgpr5
	s_and_saveexec_b64 s[36:37], vcc
	s_xor_b64 s[36:37], exec, s[36:37]
; %bb.700:
	v_bfe_u32 v5, v1, 21, 1
	s_mov_b32 s38, 0x80fffff
	v_add3_u32 v5, v1, v5, s38
	v_lshrrev_b32_e32 v5, 21, v5
; %bb.701:
	s_andn2_saveexec_b64 s[36:37], s[36:37]
; %bb.702:
	s_mov_b32 s38, 0x43000000
	v_add_f32_e64 v5, |v1|, s38
; %bb.703:
	s_or_b64 exec, exec, s[36:37]
                                        ; implicit-def: $vgpr6
.LBB62_704:
	s_andn2_saveexec_b64 s[34:35], s[34:35]
; %bb.705:
	s_mov_b32 s36, 0x7f800000
	v_mov_b32_e32 v5, 0x7c
	v_mov_b32_e32 v7, 0x7f
	v_cmp_lt_u32_e32 vcc, s36, v6
	v_cndmask_b32_e32 v5, v5, v7, vcc
; %bb.706:
	s_or_b64 exec, exec, s[34:35]
	v_lshrrev_b32_e32 v1, 24, v1
	s_movk_i32 s34, 0x80
	v_and_or_b32 v1, v1, s34, v5
	global_store_byte v[2:3], v1, off
.LBB62_707:
	s_mov_b64 s[36:37], 0
	s_mov_b64 s[34:35], -1
.LBB62_708:
	s_andn2_b64 vcc, exec, s[36:37]
	s_cbranch_vccnz .LBB62_716
; %bb.709:
	s_cmp_gt_i32 s41, 14
	s_mov_b64 s[36:37], -1
	s_cbranch_scc0 .LBB62_713
; %bb.710:
	s_cmp_eq_u32 s41, 15
	s_mov_b64 s[0:1], -1
	s_cbranch_scc0 .LBB62_712
; %bb.711:
	v_cvt_f32_i32_e32 v1, v0
	s_movk_i32 s0, 0x7fff
	s_mov_b64 s[34:35], -1
	v_bfe_u32 v5, v1, 16, 1
	v_add3_u32 v1, v1, v5, s0
	global_store_short_d16_hi v[2:3], v1, off
	s_mov_b64 s[0:1], 0
.LBB62_712:
	s_mov_b64 s[36:37], 0
.LBB62_713:
	s_and_b64 vcc, exec, s[36:37]
	s_cbranch_vccz .LBB62_716
; %bb.714:
	s_cmp_eq_u32 s41, 11
	s_mov_b64 s[0:1], -1
	s_cbranch_scc0 .LBB62_716
; %bb.715:
	v_cmp_ne_u32_e32 vcc, 0, v0
	v_cndmask_b32_e64 v1, 0, 1, vcc
	s_mov_b64 s[34:35], -1
	s_mov_b64 s[0:1], 0
	global_store_byte v[2:3], v1, off
.LBB62_716:
	s_mov_b64 s[36:37], 0
.LBB62_717:
	s_and_b64 vcc, exec, s[36:37]
	s_cbranch_vccz .LBB62_756
; %bb.718:
	s_and_b32 s36, 0xffff, s40
	s_cmp_lt_i32 s36, 5
	s_mov_b64 s[34:35], -1
	s_cbranch_scc1 .LBB62_739
; %bb.719:
	s_cmp_lt_i32 s36, 8
	s_cbranch_scc1 .LBB62_729
; %bb.720:
	s_cmp_lt_i32 s36, 9
	s_cbranch_scc1 .LBB62_726
; %bb.721:
	s_cmp_gt_i32 s36, 9
	s_cbranch_scc0 .LBB62_723
; %bb.722:
	v_cvt_f64_i32_e32 v[5:6], v0
	v_mov_b32_e32 v7, 0
	v_mov_b32_e32 v8, v7
	s_mov_b64 s[34:35], 0
	global_store_dwordx4 v[2:3], v[5:8], off
.LBB62_723:
	s_andn2_b64 vcc, exec, s[34:35]
	s_cbranch_vccnz .LBB62_725
; %bb.724:
	v_cvt_f32_i32_e32 v5, v0
	v_mov_b32_e32 v6, 0
	global_store_dwordx2 v[2:3], v[5:6], off
.LBB62_725:
	s_mov_b64 s[34:35], 0
.LBB62_726:
	s_andn2_b64 vcc, exec, s[34:35]
	s_cbranch_vccnz .LBB62_728
; %bb.727:
	v_cvt_f32_i32_e32 v1, v0
	v_cvt_f16_f32_e32 v1, v1
	global_store_dword v[2:3], v1, off
.LBB62_728:
	s_mov_b64 s[34:35], 0
.LBB62_729:
	s_andn2_b64 vcc, exec, s[34:35]
	s_cbranch_vccnz .LBB62_738
; %bb.730:
	s_cmp_lt_i32 s36, 6
	s_mov_b64 s[34:35], -1
	s_cbranch_scc1 .LBB62_736
; %bb.731:
	s_cmp_gt_i32 s36, 6
	s_cbranch_scc0 .LBB62_733
; %bb.732:
	v_cvt_f64_i32_e32 v[5:6], v0
	s_mov_b64 s[34:35], 0
	global_store_dwordx2 v[2:3], v[5:6], off
.LBB62_733:
	s_andn2_b64 vcc, exec, s[34:35]
	s_cbranch_vccnz .LBB62_735
; %bb.734:
	v_cvt_f32_i32_e32 v1, v0
	global_store_dword v[2:3], v1, off
.LBB62_735:
	s_mov_b64 s[34:35], 0
.LBB62_736:
	s_andn2_b64 vcc, exec, s[34:35]
	s_cbranch_vccnz .LBB62_738
; %bb.737:
	v_cvt_f32_i32_e32 v1, v0
	v_cvt_f16_f32_e32 v1, v1
	global_store_short v[2:3], v1, off
.LBB62_738:
	s_mov_b64 s[34:35], 0
.LBB62_739:
	s_andn2_b64 vcc, exec, s[34:35]
	s_cbranch_vccnz .LBB62_755
; %bb.740:
	s_cmp_lt_i32 s36, 2
	s_mov_b64 s[34:35], -1
	s_cbranch_scc1 .LBB62_750
; %bb.741:
	s_cmp_lt_i32 s36, 3
	s_cbranch_scc1 .LBB62_747
; %bb.742:
	s_cmp_gt_i32 s36, 3
	s_cbranch_scc0 .LBB62_744
; %bb.743:
	v_ashrrev_i32_e32 v1, 31, v0
	s_mov_b64 s[34:35], 0
	global_store_dwordx2 v[2:3], v[0:1], off
.LBB62_744:
	s_andn2_b64 vcc, exec, s[34:35]
	s_cbranch_vccnz .LBB62_746
; %bb.745:
	global_store_dword v[2:3], v0, off
.LBB62_746:
	s_mov_b64 s[34:35], 0
.LBB62_747:
	s_andn2_b64 vcc, exec, s[34:35]
	s_cbranch_vccnz .LBB62_749
; %bb.748:
	global_store_short v[2:3], v0, off
.LBB62_749:
	s_mov_b64 s[34:35], 0
.LBB62_750:
	s_andn2_b64 vcc, exec, s[34:35]
	s_cbranch_vccnz .LBB62_755
; %bb.751:
	s_cmp_gt_i32 s36, 0
	s_mov_b64 s[34:35], -1
	s_cbranch_scc0 .LBB62_753
; %bb.752:
	s_mov_b64 s[34:35], 0
	global_store_byte v[2:3], v0, off
.LBB62_753:
	s_andn2_b64 vcc, exec, s[34:35]
	s_cbranch_vccnz .LBB62_755
; %bb.754:
	global_store_byte v[2:3], v0, off
.LBB62_755:
	s_mov_b64 s[34:35], -1
.LBB62_756:
	s_andn2_b64 vcc, exec, s[34:35]
	s_cbranch_vccnz .LBB62_758
; %bb.757:
	v_add_u32_e32 v4, 0x80, v4
	s_mov_b64 s[36:37], -1
	s_branch .LBB62_759
.LBB62_758:
	s_mov_b64 s[36:37], 0
                                        ; implicit-def: $vgpr4
.LBB62_759:
	s_andn2_b64 s[34:35], s[24:25], exec
	s_and_b64 s[0:1], s[0:1], exec
	s_or_b64 s[34:35], s[34:35], s[0:1]
	s_andn2_b64 s[0:1], s[22:23], exec
	s_and_b64 s[30:31], s[30:31], exec
	s_or_b64 s[0:1], s[0:1], s[30:31]
	s_orn2_b64 s[38:39], s[36:37], exec
.LBB62_760:
	s_or_b64 exec, exec, s[28:29]
	s_mov_b64 s[36:37], 0
	s_mov_b64 s[30:31], 0
	;; [unrolled: 1-line block ×3, first 2 shown]
                                        ; implicit-def: $vgpr0_vgpr1
                                        ; implicit-def: $vgpr5
	s_and_saveexec_b64 s[28:29], s[38:39]
	s_cbranch_execz .LBB62_841
; %bb.761:
	v_cmp_gt_i32_e32 vcc, s42, v4
	s_mov_b64 s[38:39], 0
	s_mov_b64 s[42:43], s[0:1]
	;; [unrolled: 1-line block ×3, first 2 shown]
                                        ; implicit-def: $vgpr0_vgpr1
                                        ; implicit-def: $vgpr5
	s_and_saveexec_b64 s[30:31], vcc
	s_cbranch_execz .LBB62_840
; %bb.762:
	v_mul_lo_u32 v0, v4, s13
	v_mov_b32_e32 v1, s11
	s_and_b32 s44, 0xffff, s33
	s_cmp_lt_i32 s44, 11
	s_waitcnt vmcnt(0)
	v_ashrrev_i32_e32 v2, 31, v0
	v_add_co_u32_e32 v0, vcc, s10, v0
	v_addc_co_u32_e32 v1, vcc, v1, v2, vcc
	s_cbranch_scc1 .LBB62_769
; %bb.763:
	s_cmp_gt_i32 s44, 25
	s_cbranch_scc0 .LBB62_770
; %bb.764:
	s_cmp_gt_i32 s44, 28
	s_cbranch_scc0 .LBB62_771
; %bb.765:
	s_cmp_gt_i32 s44, 43
	s_cbranch_scc0 .LBB62_772
; %bb.766:
	s_cmp_gt_i32 s44, 45
	s_cbranch_scc0 .LBB62_775
; %bb.767:
	s_cmp_eq_u32 s44, 46
	s_mov_b64 s[42:43], 0
	s_cbranch_scc0 .LBB62_778
; %bb.768:
	global_load_dword v2, v[0:1], off
	s_mov_b64 s[40:41], -1
	s_waitcnt vmcnt(0)
	v_lshlrev_b32_e32 v2, 16, v2
	v_cvt_i32_f32_e32 v5, v2
	s_branch .LBB62_780
.LBB62_769:
	s_mov_b64 s[42:43], -1
                                        ; implicit-def: $vgpr5
	s_mov_b64 s[36:37], s[0:1]
	s_branch .LBB62_839
.LBB62_770:
	s_mov_b64 s[42:43], -1
	s_mov_b64 s[36:37], s[0:1]
                                        ; implicit-def: $vgpr5
	s_branch .LBB62_807
.LBB62_771:
	s_mov_b64 s[42:43], -1
	s_mov_b64 s[36:37], s[0:1]
                                        ; implicit-def: $vgpr5
	s_branch .LBB62_790
.LBB62_772:
	s_mov_b64 s[42:43], -1
	s_mov_b64 s[36:37], s[0:1]
                                        ; implicit-def: $vgpr5
	s_branch .LBB62_785
.LBB62_773:
	s_andn2_saveexec_b64 s[38:39], s[38:39]
	s_cbranch_execz .LBB62_669
.LBB62_774:
	s_mov_b32 s43, 0x46000000
	v_add_f32_e64 v5, |v1|, s43
	v_and_b32_e32 v5, 0xff, v5
	v_cmp_ne_u32_e32 vcc, 0, v5
	s_andn2_b64 s[36:37], s[36:37], exec
	s_and_b64 s[44:45], vcc, exec
	s_or_b64 s[36:37], s[36:37], s[44:45]
	s_or_b64 exec, exec, s[38:39]
	v_mov_b32_e32 v6, 0
	s_and_saveexec_b64 s[38:39], s[36:37]
	s_cbranch_execnz .LBB62_670
	s_branch .LBB62_671
.LBB62_775:
	s_mov_b64 s[42:43], -1
	s_mov_b64 s[36:37], s[0:1]
	s_branch .LBB62_779
.LBB62_776:
	s_andn2_saveexec_b64 s[38:39], s[38:39]
	s_cbranch_execz .LBB62_682
.LBB62_777:
	s_mov_b32 s43, 0x42800000
	v_add_f32_e64 v5, |v1|, s43
	v_and_b32_e32 v5, 0xff, v5
	v_cmp_ne_u32_e32 vcc, 0, v5
	s_andn2_b64 s[36:37], s[36:37], exec
	s_and_b64 s[44:45], vcc, exec
	s_or_b64 s[36:37], s[36:37], s[44:45]
	s_or_b64 exec, exec, s[38:39]
	v_mov_b32_e32 v6, 0
	s_and_saveexec_b64 s[38:39], s[36:37]
	s_cbranch_execnz .LBB62_683
	s_branch .LBB62_684
.LBB62_778:
	s_mov_b64 s[36:37], -1
.LBB62_779:
                                        ; implicit-def: $vgpr5
.LBB62_780:
	s_and_b64 vcc, exec, s[42:43]
	s_cbranch_vccz .LBB62_784
; %bb.781:
	s_cmp_eq_u32 s44, 44
	s_cbranch_scc0 .LBB62_783
; %bb.782:
	global_load_ubyte v2, v[0:1], off
	s_mov_b64 s[36:37], 0
	s_mov_b64 s[40:41], -1
	s_waitcnt vmcnt(0)
	v_lshlrev_b32_e32 v3, 23, v2
	v_cvt_i32_f32_e32 v3, v3
	v_cmp_ne_u32_e32 vcc, 0, v2
	v_cndmask_b32_e32 v5, 0, v3, vcc
	s_branch .LBB62_784
.LBB62_783:
	s_mov_b64 s[36:37], -1
                                        ; implicit-def: $vgpr5
.LBB62_784:
	s_mov_b64 s[42:43], 0
.LBB62_785:
	s_and_b64 vcc, exec, s[42:43]
	s_cbranch_vccz .LBB62_789
; %bb.786:
	s_cmp_eq_u32 s44, 29
	s_cbranch_scc0 .LBB62_788
; %bb.787:
	global_load_dword v5, v[0:1], off
	s_mov_b64 s[36:37], 0
	s_mov_b64 s[40:41], -1
	s_branch .LBB62_789
.LBB62_788:
	s_mov_b64 s[36:37], -1
                                        ; implicit-def: $vgpr5
.LBB62_789:
	s_mov_b64 s[42:43], 0
.LBB62_790:
	s_and_b64 vcc, exec, s[42:43]
	s_cbranch_vccz .LBB62_806
; %bb.791:
	s_cmp_lt_i32 s44, 27
	s_cbranch_scc1 .LBB62_794
; %bb.792:
	s_cmp_gt_i32 s44, 27
	s_cbranch_scc0 .LBB62_795
; %bb.793:
	global_load_dword v5, v[0:1], off
	s_mov_b64 s[40:41], 0
	s_branch .LBB62_796
.LBB62_794:
	s_mov_b64 s[40:41], -1
                                        ; implicit-def: $vgpr5
	s_branch .LBB62_799
.LBB62_795:
	s_mov_b64 s[40:41], -1
                                        ; implicit-def: $vgpr5
.LBB62_796:
	s_andn2_b64 vcc, exec, s[40:41]
	s_cbranch_vccnz .LBB62_798
; %bb.797:
	global_load_ushort v5, v[0:1], off
.LBB62_798:
	s_mov_b64 s[40:41], 0
.LBB62_799:
	s_andn2_b64 vcc, exec, s[40:41]
	s_cbranch_vccnz .LBB62_805
; %bb.800:
	global_load_ubyte v2, v[0:1], off
	s_movk_i32 s40, 0x7f
	s_mov_b64 s[42:43], 0
	s_waitcnt vmcnt(0)
	v_cmp_lt_i16_e32 vcc, s40, v2
	s_and_saveexec_b64 s[40:41], vcc
	s_xor_b64 s[40:41], exec, s[40:41]
	s_cbranch_execz .LBB62_817
; %bb.801:
	s_movk_i32 s42, 0x80
	v_cmp_ne_u16_e32 vcc, s42, v2
	s_and_b64 s[42:43], vcc, exec
	s_andn2_saveexec_b64 s[40:41], s[40:41]
	s_cbranch_execnz .LBB62_818
.LBB62_802:
	s_or_b64 exec, exec, s[40:41]
	v_mov_b32_e32 v5, 0
	s_and_saveexec_b64 s[40:41], s[42:43]
	s_cbranch_execz .LBB62_804
.LBB62_803:
	v_lshlrev_b32_e32 v3, 24, v2
	v_and_b32_e32 v2, 0xffff, v2
	v_and_b32_e32 v5, 7, v2
	v_ffbh_u32_e32 v7, v5
	v_min_u32_e32 v7, 32, v7
	v_subrev_u32_e32 v8, 28, v7
	v_bfe_u32 v6, v2, 3, 4
	v_lshlrev_b32_e32 v2, v8, v2
	v_sub_u32_e32 v7, 29, v7
	v_and_b32_e32 v2, 7, v2
	v_cmp_eq_u32_e32 vcc, 0, v6
	v_cndmask_b32_e32 v6, v6, v7, vcc
	v_cndmask_b32_e32 v2, v5, v2, vcc
	v_mov_b32_e32 v5, 0x3b800000
	v_lshlrev_b32_e32 v2, 20, v2
	v_and_b32_e32 v3, 0x80000000, v3
	v_lshl_add_u32 v5, v6, 23, v5
	v_or3_b32 v2, v3, v5, v2
	v_cvt_i32_f32_e32 v5, v2
.LBB62_804:
	s_or_b64 exec, exec, s[40:41]
.LBB62_805:
	s_mov_b64 s[40:41], -1
.LBB62_806:
	s_mov_b64 s[42:43], 0
.LBB62_807:
	s_and_b64 vcc, exec, s[42:43]
	s_cbranch_vccz .LBB62_838
; %bb.808:
	s_cmp_gt_i32 s44, 22
	s_cbranch_scc0 .LBB62_816
; %bb.809:
	s_cmp_lt_i32 s44, 24
	s_cbranch_scc1 .LBB62_819
; %bb.810:
	s_cmp_gt_i32 s44, 24
	s_cbranch_scc0 .LBB62_820
; %bb.811:
	global_load_ubyte v2, v[0:1], off
	s_movk_i32 s38, 0x7f
	s_mov_b64 s[40:41], 0
	s_waitcnt vmcnt(0)
	v_cmp_lt_i16_e32 vcc, s38, v2
	s_and_saveexec_b64 s[38:39], vcc
	s_xor_b64 s[38:39], exec, s[38:39]
	s_cbranch_execz .LBB62_832
; %bb.812:
	s_movk_i32 s40, 0x80
	v_cmp_ne_u16_e32 vcc, s40, v2
	s_and_b64 s[40:41], vcc, exec
	s_andn2_saveexec_b64 s[38:39], s[38:39]
	s_cbranch_execnz .LBB62_833
.LBB62_813:
	s_or_b64 exec, exec, s[38:39]
	v_mov_b32_e32 v5, 0
	s_and_saveexec_b64 s[38:39], s[40:41]
	s_cbranch_execz .LBB62_815
.LBB62_814:
	v_lshlrev_b32_e32 v3, 24, v2
	v_and_b32_e32 v2, 0xffff, v2
	v_and_b32_e32 v5, 3, v2
	v_ffbh_u32_e32 v7, v5
	v_min_u32_e32 v7, 32, v7
	v_subrev_u32_e32 v8, 29, v7
	v_bfe_u32 v6, v2, 2, 5
	v_lshlrev_b32_e32 v2, v8, v2
	v_sub_u32_e32 v7, 30, v7
	v_and_b32_e32 v2, 3, v2
	v_cmp_eq_u32_e32 vcc, 0, v6
	v_cndmask_b32_e32 v6, v6, v7, vcc
	v_cndmask_b32_e32 v2, v5, v2, vcc
	v_mov_b32_e32 v5, 0x37800000
	v_lshlrev_b32_e32 v2, 21, v2
	v_and_b32_e32 v3, 0x80000000, v3
	v_lshl_add_u32 v5, v6, 23, v5
	v_or3_b32 v2, v3, v5, v2
	v_cvt_i32_f32_e32 v5, v2
.LBB62_815:
	s_or_b64 exec, exec, s[38:39]
	s_mov_b64 s[38:39], 0
	s_branch .LBB62_821
.LBB62_816:
	s_mov_b64 s[38:39], -1
                                        ; implicit-def: $vgpr5
	s_branch .LBB62_827
.LBB62_817:
	s_andn2_saveexec_b64 s[40:41], s[40:41]
	s_cbranch_execz .LBB62_802
.LBB62_818:
	v_cmp_ne_u16_e32 vcc, 0, v2
	s_andn2_b64 s[42:43], s[42:43], exec
	s_and_b64 s[46:47], vcc, exec
	s_or_b64 s[42:43], s[42:43], s[46:47]
	s_or_b64 exec, exec, s[40:41]
	v_mov_b32_e32 v5, 0
	s_and_saveexec_b64 s[40:41], s[42:43]
	s_cbranch_execnz .LBB62_803
	s_branch .LBB62_804
.LBB62_819:
	s_mov_b64 s[38:39], -1
                                        ; implicit-def: $vgpr5
	s_branch .LBB62_824
.LBB62_820:
	s_mov_b64 s[38:39], -1
                                        ; implicit-def: $vgpr5
.LBB62_821:
	s_and_b64 vcc, exec, s[38:39]
	s_cbranch_vccz .LBB62_823
; %bb.822:
	global_load_ubyte v2, v[0:1], off
	s_mov_b32 s38, 0x7f800000
	s_waitcnt vmcnt(0)
	v_lshlrev_b32_e32 v2, 24, v2
	v_and_b32_e32 v3, 0x7f000000, v2
	v_ffbh_u32_e32 v5, v3
	v_min_u32_e32 v5, 32, v5
	v_sub_u32_e64 v5, v5, 4 clamp
	v_lshlrev_b32_e32 v7, v5, v3
	v_lshlrev_b32_e32 v5, 23, v5
	v_lshrrev_b32_e32 v7, 4, v7
	v_add_u32_e32 v6, 0x1000000, v3
	v_sub_u32_e32 v5, v7, v5
	v_ashrrev_i32_e32 v6, 8, v6
	v_add_u32_e32 v5, 0x3c000000, v5
	v_and_or_b32 v5, v6, s38, v5
	v_cmp_ne_u32_e32 vcc, 0, v3
	v_cndmask_b32_e32 v3, 0, v5, vcc
	s_brev_b32 s38, 1
	v_and_or_b32 v2, v2, s38, v3
	v_cvt_i32_f32_e32 v5, v2
.LBB62_823:
	s_mov_b64 s[38:39], 0
.LBB62_824:
	s_andn2_b64 vcc, exec, s[38:39]
	s_cbranch_vccnz .LBB62_826
; %bb.825:
	global_load_ubyte v2, v[0:1], off
	s_movk_i32 s38, 0x7f00
	s_brev_b32 s39, 16
	s_waitcnt vmcnt(0)
	v_lshlrev_b16_e32 v3, 8, v2
	v_lshlrev_b32_e32 v2, 25, v2
	v_lshrrev_b32_e32 v5, 4, v2
	v_and_or_b32 v6, v3, s38, 0.5
	v_or_b32_e32 v5, 0x70000000, v5
	v_add_f32_e32 v6, -0.5, v6
	v_mul_f32_e32 v5, 0x7800000, v5
	v_cmp_gt_u32_e32 vcc, s39, v2
	v_bfe_i32 v3, v3, 0, 16
	v_cndmask_b32_e32 v2, v5, v6, vcc
	s_brev_b32 s38, 1
	v_and_or_b32 v2, v3, s38, v2
	v_cvt_i32_f32_e32 v5, v2
.LBB62_826:
	s_mov_b64 s[38:39], 0
	s_mov_b64 s[40:41], -1
.LBB62_827:
	s_andn2_b64 vcc, exec, s[38:39]
	s_mov_b64 s[38:39], 0
	s_cbranch_vccnz .LBB62_838
; %bb.828:
	s_cmp_gt_i32 s44, 14
	s_cbranch_scc0 .LBB62_831
; %bb.829:
	s_cmp_eq_u32 s44, 15
	s_cbranch_scc0 .LBB62_834
; %bb.830:
	global_load_ushort v2, v[0:1], off
	s_mov_b64 s[36:37], 0
	s_mov_b64 s[40:41], -1
	s_waitcnt vmcnt(0)
	v_lshlrev_b32_e32 v2, 16, v2
	v_cvt_i32_f32_e32 v5, v2
	s_branch .LBB62_835
.LBB62_831:
	s_mov_b64 s[42:43], -1
                                        ; implicit-def: $vgpr5
	s_branch .LBB62_836
.LBB62_832:
	s_andn2_saveexec_b64 s[38:39], s[38:39]
	s_cbranch_execz .LBB62_813
.LBB62_833:
	v_cmp_ne_u16_e32 vcc, 0, v2
	s_andn2_b64 s[40:41], s[40:41], exec
	s_and_b64 s[42:43], vcc, exec
	s_or_b64 s[40:41], s[40:41], s[42:43]
	s_or_b64 exec, exec, s[38:39]
	v_mov_b32_e32 v5, 0
	s_and_saveexec_b64 s[38:39], s[40:41]
	s_cbranch_execnz .LBB62_814
	s_branch .LBB62_815
.LBB62_834:
	s_mov_b64 s[36:37], -1
                                        ; implicit-def: $vgpr5
.LBB62_835:
	s_mov_b64 s[42:43], 0
.LBB62_836:
	s_and_b64 vcc, exec, s[42:43]
	s_cbranch_vccz .LBB62_838
; %bb.837:
	s_cmp_lg_u32 s44, 11
	s_cselect_b64 s[42:43], -1, 0
	s_andn2_b64 s[36:37], s[36:37], exec
	s_and_b64 s[42:43], s[42:43], exec
	s_mov_b64 s[38:39], -1
	s_or_b64 s[36:37], s[36:37], s[42:43]
.LBB62_838:
	s_mov_b64 s[42:43], 0
.LBB62_839:
	s_and_b64 s[44:45], s[42:43], exec
	s_andn2_b64 s[42:43], s[0:1], exec
	s_and_b64 s[36:37], s[36:37], exec
	s_and_b64 s[40:41], s[40:41], exec
	;; [unrolled: 1-line block ×3, first 2 shown]
	s_or_b64 s[42:43], s[42:43], s[36:37]
.LBB62_840:
	s_or_b64 exec, exec, s[30:31]
	s_and_b64 s[36:37], s[38:39], exec
	s_andn2_b64 s[0:1], s[0:1], exec
	s_and_b64 s[38:39], s[42:43], exec
	s_and_b64 s[40:41], s[40:41], exec
	s_and_b64 s[30:31], s[44:45], exec
	s_or_b64 s[0:1], s[0:1], s[38:39]
.LBB62_841:
	s_or_b64 exec, exec, s[28:29]
	s_andn2_b64 s[24:25], s[24:25], exec
	s_and_b64 s[28:29], s[34:35], exec
	s_andn2_b64 s[22:23], s[22:23], exec
	s_and_b64 s[0:1], s[0:1], exec
	s_or_b64 s[24:25], s[24:25], s[28:29]
	s_and_b64 s[34:35], s[40:41], exec
	s_and_b64 s[30:31], s[30:31], exec
	;; [unrolled: 1-line block ×3, first 2 shown]
	s_or_b64 s[22:23], s[22:23], s[0:1]
.LBB62_842:
	s_or_b64 exec, exec, s[26:27]
	s_andn2_b64 s[0:1], s[16:17], exec
	s_and_b64 s[16:17], s[24:25], exec
	s_andn2_b64 s[18:19], s[18:19], exec
	s_and_b64 s[22:23], s[22:23], exec
	s_or_b64 s[16:17], s[0:1], s[16:17]
	s_and_b64 s[0:1], s[34:35], exec
	s_and_b64 s[26:27], s[30:31], exec
	;; [unrolled: 1-line block ×3, first 2 shown]
	s_or_b64 s[18:19], s[18:19], s[22:23]
	s_or_b64 exec, exec, s[20:21]
	s_mov_b64 s[20:21], 0
	s_and_saveexec_b64 s[22:23], s[18:19]
	s_cbranch_execz .LBB62_258
.LBB62_843:
	s_mov_b64 s[20:21], exec
	s_andn2_b64 s[24:25], s[24:25], exec
	s_trap 2
	s_or_b64 exec, exec, s[22:23]
	s_and_saveexec_b64 s[18:19], s[24:25]
	s_xor_b64 s[18:19], exec, s[18:19]
	s_cbranch_execnz .LBB62_259
.LBB62_844:
	s_or_b64 exec, exec, s[18:19]
	s_and_saveexec_b64 s[18:19], s[26:27]
	s_cbranch_execz .LBB62_890
.LBB62_845:
	s_sext_i32_i16 s22, s33
	s_cmp_lt_i32 s22, 5
	s_cbranch_scc1 .LBB62_850
; %bb.846:
	s_cmp_lt_i32 s22, 8
	s_cbranch_scc1 .LBB62_851
; %bb.847:
	;; [unrolled: 3-line block ×3, first 2 shown]
	s_cmp_gt_i32 s22, 9
	s_cbranch_scc0 .LBB62_853
; %bb.849:
	global_load_dwordx2 v[2:3], v[0:1], off
	s_mov_b64 s[22:23], 0
	s_waitcnt vmcnt(0)
	v_cvt_i32_f64_e32 v5, v[2:3]
	s_branch .LBB62_854
.LBB62_850:
                                        ; implicit-def: $vgpr5
	s_branch .LBB62_871
.LBB62_851:
                                        ; implicit-def: $vgpr5
	s_branch .LBB62_860
.LBB62_852:
	s_mov_b64 s[22:23], -1
                                        ; implicit-def: $vgpr5
	s_branch .LBB62_857
.LBB62_853:
	s_mov_b64 s[22:23], -1
                                        ; implicit-def: $vgpr5
.LBB62_854:
	s_andn2_b64 vcc, exec, s[22:23]
	s_cbranch_vccnz .LBB62_856
; %bb.855:
	global_load_dword v2, v[0:1], off
	s_waitcnt vmcnt(0)
	v_cvt_i32_f32_e32 v5, v2
.LBB62_856:
	s_mov_b64 s[22:23], 0
.LBB62_857:
	s_andn2_b64 vcc, exec, s[22:23]
	s_cbranch_vccnz .LBB62_859
; %bb.858:
	global_load_dword v2, v[0:1], off
	s_waitcnt vmcnt(0)
	v_cvt_f32_f16_e32 v2, v2
	v_cvt_i32_f32_e32 v5, v2
.LBB62_859:
	s_cbranch_execnz .LBB62_870
.LBB62_860:
	s_sext_i32_i16 s22, s33
	s_cmp_lt_i32 s22, 6
	s_cbranch_scc1 .LBB62_863
; %bb.861:
	s_cmp_gt_i32 s22, 6
	s_cbranch_scc0 .LBB62_864
; %bb.862:
	global_load_dwordx2 v[2:3], v[0:1], off
	s_mov_b64 s[22:23], 0
	s_waitcnt vmcnt(0)
	v_cvt_i32_f64_e32 v5, v[2:3]
	s_branch .LBB62_865
.LBB62_863:
	s_mov_b64 s[22:23], -1
                                        ; implicit-def: $vgpr5
	s_branch .LBB62_868
.LBB62_864:
	s_mov_b64 s[22:23], -1
                                        ; implicit-def: $vgpr5
.LBB62_865:
	s_andn2_b64 vcc, exec, s[22:23]
	s_cbranch_vccnz .LBB62_867
; %bb.866:
	global_load_dword v2, v[0:1], off
	s_waitcnt vmcnt(0)
	v_cvt_i32_f32_e32 v5, v2
.LBB62_867:
	s_mov_b64 s[22:23], 0
.LBB62_868:
	s_andn2_b64 vcc, exec, s[22:23]
	s_cbranch_vccnz .LBB62_870
; %bb.869:
	global_load_ushort v2, v[0:1], off
	s_waitcnt vmcnt(0)
	v_cvt_f32_f16_e32 v2, v2
	v_cvt_i32_f32_e32 v5, v2
.LBB62_870:
	s_cbranch_execnz .LBB62_889
.LBB62_871:
	s_sext_i32_i16 s22, s33
	s_cmp_lt_i32 s22, 2
	s_cbranch_scc1 .LBB62_875
; %bb.872:
	s_cmp_lt_i32 s22, 3
	s_cbranch_scc1 .LBB62_876
; %bb.873:
	s_cmp_gt_i32 s22, 3
	s_cbranch_scc0 .LBB62_877
; %bb.874:
	global_load_dword v5, v[0:1], off
	s_mov_b64 s[22:23], 0
	s_branch .LBB62_878
.LBB62_875:
                                        ; implicit-def: $vgpr5
	s_branch .LBB62_884
.LBB62_876:
	s_mov_b64 s[22:23], -1
                                        ; implicit-def: $vgpr5
	s_branch .LBB62_881
.LBB62_877:
	s_mov_b64 s[22:23], -1
                                        ; implicit-def: $vgpr5
.LBB62_878:
	s_andn2_b64 vcc, exec, s[22:23]
	s_cbranch_vccnz .LBB62_880
; %bb.879:
	global_load_dword v5, v[0:1], off
.LBB62_880:
	s_mov_b64 s[22:23], 0
.LBB62_881:
	s_andn2_b64 vcc, exec, s[22:23]
	s_cbranch_vccnz .LBB62_883
; %bb.882:
	global_load_sshort v5, v[0:1], off
.LBB62_883:
	s_cbranch_execnz .LBB62_889
.LBB62_884:
	s_sext_i32_i16 s22, s33
	s_cmp_gt_i32 s22, 0
	s_cbranch_scc0 .LBB62_886
; %bb.885:
	global_load_sbyte v5, v[0:1], off
	s_mov_b64 s[22:23], 0
	s_branch .LBB62_887
.LBB62_886:
	s_mov_b64 s[22:23], -1
                                        ; implicit-def: $vgpr5
.LBB62_887:
	s_andn2_b64 vcc, exec, s[22:23]
	s_cbranch_vccnz .LBB62_889
; %bb.888:
	global_load_ubyte v5, v[0:1], off
.LBB62_889:
	s_or_b64 s[0:1], s[0:1], exec
.LBB62_890:
	s_or_b64 exec, exec, s[18:19]
	s_mov_b64 s[24:25], 0
	s_mov_b64 s[22:23], 0
                                        ; implicit-def: $sgpr30
                                        ; implicit-def: $vgpr2_vgpr3
                                        ; implicit-def: $vgpr0
	s_and_saveexec_b64 s[18:19], s[0:1]
	s_cbranch_execz .LBB62_898
; %bb.891:
	v_mul_lo_u32 v1, v4, s12
	v_mov_b32_e32 v0, s15
	s_waitcnt vmcnt(0)
	v_mov_b32_e32 v2, s2
	v_cmp_lt_i32_e32 vcc, s14, v5
	v_cndmask_b32_e32 v0, v0, v2, vcc
	v_ashrrev_i32_e32 v3, 31, v1
	v_mov_b32_e32 v4, s9
	s_and_b32 s30, s3, 0xff
	v_add_co_u32_e32 v2, vcc, s8, v1
	s_cmp_lt_i32 s30, 11
	v_addc_co_u32_e32 v3, vcc, v4, v3, vcc
	s_cbranch_scc1 .LBB62_901
; %bb.892:
	s_and_b32 s31, 0xffff, s30
	s_mov_b64 s[24:25], -1
	s_cmp_gt_i32 s31, 25
	s_mov_b64 s[0:1], s[16:17]
	s_cbranch_scc0 .LBB62_929
; %bb.893:
	s_mov_b64 s[22:23], -1
	s_cmp_gt_i32 s31, 28
	s_mov_b64 s[0:1], s[16:17]
	s_cbranch_scc0 .LBB62_913
; %bb.894:
	s_cmp_gt_i32 s31, 43
	s_mov_b64 s[0:1], s[16:17]
	s_cbranch_scc0 .LBB62_909
; %bb.895:
	;; [unrolled: 4-line block ×3, first 2 shown]
	s_cmp_eq_u32 s31, 46
	s_mov_b64 s[0:1], -1
	s_cbranch_scc0 .LBB62_902
; %bb.897:
	v_cvt_f32_i32_e32 v1, v0
	s_movk_i32 s0, 0x7fff
	s_mov_b64 s[22:23], 0
	v_bfe_u32 v4, v1, 16, 1
	v_add3_u32 v1, v1, v4, s0
	v_lshrrev_b32_e32 v1, 16, v1
	global_store_dword v[2:3], v1, off
	s_mov_b64 s[0:1], 0
	s_branch .LBB62_903
.LBB62_898:
	s_or_b64 exec, exec, s[18:19]
	s_and_saveexec_b64 s[0:1], s[16:17]
	s_cbranch_execnz .LBB62_971
.LBB62_899:
	s_or_b64 exec, exec, s[0:1]
	s_and_saveexec_b64 s[0:1], s[24:25]
	s_xor_b64 s[0:1], exec, s[0:1]
	s_cbranch_execz .LBB62_972
.LBB62_900:
	v_cmp_ne_u32_e32 vcc, 0, v0
	v_cndmask_b32_e64 v1, 0, 1, vcc
	s_waitcnt vmcnt(0)
	global_store_byte v[2:3], v1, off
	s_or_b64 exec, exec, s[0:1]
	s_and_saveexec_b64 s[0:1], s[22:23]
	s_xor_b64 s[0:1], exec, s[0:1]
	s_cbranch_execz .LBB62_1010
	s_branch .LBB62_973
.LBB62_901:
	s_mov_b64 s[22:23], -1
	s_mov_b64 s[0:1], s[16:17]
	s_branch .LBB62_970
.LBB62_902:
	s_mov_b64 s[22:23], 0
.LBB62_903:
	s_and_b64 vcc, exec, s[22:23]
	s_cbranch_vccz .LBB62_908
; %bb.904:
	s_cmp_eq_u32 s31, 44
	s_mov_b64 s[0:1], -1
	s_cbranch_scc0 .LBB62_908
; %bb.905:
	v_cvt_f32_i32_e32 v1, v0
	s_movk_i32 s0, 0xff
	v_mov_b32_e32 v5, 0xff
	v_bfe_u32 v4, v1, 23, 8
	v_cmp_ne_u32_e32 vcc, s0, v4
	s_and_saveexec_b64 s[22:23], vcc
; %bb.906:
	s_mov_b32 s0, 0x3fffff
	v_lshrrev_b32_e32 v5, 23, v1
	v_and_b32_e32 v6, 0x400000, v1
	v_and_or_b32 v1, v1, s0, v4
	v_cmp_ne_u32_e32 vcc, 0, v6
	v_cmp_ne_u32_e64 s[0:1], 0, v1
	s_and_b64 s[0:1], vcc, s[0:1]
	v_cndmask_b32_e64 v1, 0, 1, s[0:1]
	v_add_u32_e32 v5, v5, v1
; %bb.907:
	s_or_b64 exec, exec, s[22:23]
	s_mov_b64 s[0:1], 0
	global_store_byte v[2:3], v5, off
.LBB62_908:
	s_mov_b64 s[22:23], 0
.LBB62_909:
	s_and_b64 vcc, exec, s[22:23]
	s_cbranch_vccz .LBB62_912
; %bb.910:
	s_cmp_eq_u32 s31, 29
	s_mov_b64 s[0:1], -1
	s_cbranch_scc0 .LBB62_912
; %bb.911:
	v_ashrrev_i32_e32 v1, 31, v0
	global_store_dwordx2 v[2:3], v[0:1], off
	s_mov_b64 s[0:1], 0
.LBB62_912:
	s_mov_b64 s[22:23], 0
.LBB62_913:
	s_and_b64 vcc, exec, s[22:23]
	s_cbranch_vccz .LBB62_928
; %bb.914:
	s_cmp_lt_i32 s31, 27
	s_mov_b64 s[22:23], -1
	s_cbranch_scc1 .LBB62_920
; %bb.915:
	s_cmp_gt_i32 s31, 27
	s_cbranch_scc0 .LBB62_917
; %bb.916:
	s_mov_b64 s[22:23], 0
	global_store_dword v[2:3], v0, off
.LBB62_917:
	s_andn2_b64 vcc, exec, s[22:23]
	s_cbranch_vccnz .LBB62_919
; %bb.918:
	global_store_short v[2:3], v0, off
.LBB62_919:
	s_mov_b64 s[22:23], 0
.LBB62_920:
	s_andn2_b64 vcc, exec, s[22:23]
	s_cbranch_vccnz .LBB62_928
; %bb.921:
	v_cvt_f32_i32_e32 v1, v0
	s_mov_b32 s22, 0x43800000
	v_mov_b32_e32 v5, 0x80
	v_and_b32_e32 v4, 0x7fffffff, v1
	v_cmp_gt_u32_e32 vcc, s22, v4
	s_and_saveexec_b64 s[22:23], vcc
	s_cbranch_execz .LBB62_927
; %bb.922:
	s_mov_b32 s24, 0x3bffffff
	v_cmp_lt_u32_e32 vcc, s24, v4
	s_mov_b64 s[24:25], 0
                                        ; implicit-def: $vgpr4
	s_and_saveexec_b64 s[26:27], vcc
	s_xor_b64 s[26:27], exec, s[26:27]
	s_cbranch_execz .LBB62_1025
; %bb.923:
	v_bfe_u32 v4, v1, 20, 1
	s_mov_b32 s28, 0x487ffff
	v_add3_u32 v4, v1, v4, s28
	s_mov_b64 s[24:25], exec
	v_lshrrev_b32_e32 v4, 20, v4
	s_andn2_saveexec_b64 s[26:27], s[26:27]
	s_cbranch_execnz .LBB62_1026
.LBB62_924:
	s_or_b64 exec, exec, s[26:27]
	v_mov_b32_e32 v5, 0
	s_and_saveexec_b64 s[26:27], s[24:25]
.LBB62_925:
	v_lshrrev_b32_e32 v1, 24, v1
	s_movk_i32 s24, 0x80
	v_and_or_b32 v5, v1, s24, v4
.LBB62_926:
	s_or_b64 exec, exec, s[26:27]
.LBB62_927:
	s_or_b64 exec, exec, s[22:23]
	global_store_byte v[2:3], v5, off
.LBB62_928:
	s_mov_b64 s[24:25], 0
.LBB62_929:
	s_mov_b64 s[22:23], 0
	s_and_b64 vcc, exec, s[24:25]
	s_cbranch_vccz .LBB62_969
; %bb.930:
	s_cmp_gt_i32 s31, 22
	s_mov_b64 s[24:25], -1
	s_cbranch_scc0 .LBB62_962
; %bb.931:
	s_cmp_lt_i32 s31, 24
	s_cbranch_scc1 .LBB62_951
; %bb.932:
	s_cmp_gt_i32 s31, 24
	s_cbranch_scc0 .LBB62_940
; %bb.933:
	v_cvt_f32_i32_e32 v1, v0
	s_mov_b32 s24, 0x47800000
	v_mov_b32_e32 v5, 0x80
	v_and_b32_e32 v4, 0x7fffffff, v1
	v_cmp_gt_u32_e32 vcc, s24, v4
	s_and_saveexec_b64 s[24:25], vcc
	s_cbranch_execz .LBB62_939
; %bb.934:
	s_mov_b32 s26, 0x37ffffff
	v_cmp_lt_u32_e32 vcc, s26, v4
	s_mov_b64 s[26:27], 0
                                        ; implicit-def: $vgpr4
	s_and_saveexec_b64 s[28:29], vcc
	s_xor_b64 s[28:29], exec, s[28:29]
	s_cbranch_execz .LBB62_1145
; %bb.935:
	v_bfe_u32 v4, v1, 21, 1
	s_mov_b32 s34, 0x88fffff
	v_add3_u32 v4, v1, v4, s34
	s_mov_b64 s[26:27], exec
	v_lshrrev_b32_e32 v4, 21, v4
	s_andn2_saveexec_b64 s[28:29], s[28:29]
	s_cbranch_execnz .LBB62_1146
.LBB62_936:
	s_or_b64 exec, exec, s[28:29]
	v_mov_b32_e32 v5, 0
	s_and_saveexec_b64 s[28:29], s[26:27]
.LBB62_937:
	v_lshrrev_b32_e32 v1, 24, v1
	s_movk_i32 s26, 0x80
	v_and_or_b32 v5, v1, s26, v4
.LBB62_938:
	s_or_b64 exec, exec, s[28:29]
.LBB62_939:
	s_or_b64 exec, exec, s[24:25]
	s_mov_b64 s[24:25], 0
	global_store_byte v[2:3], v5, off
.LBB62_940:
	s_and_b64 vcc, exec, s[24:25]
	s_cbranch_vccz .LBB62_950
; %bb.941:
	v_cvt_f32_i32_e32 v1, v0
	s_mov_b32 s24, 0x43f00000
                                        ; implicit-def: $vgpr4
	v_and_b32_e32 v5, 0x7fffffff, v1
	v_cmp_gt_u32_e32 vcc, s24, v5
	s_and_saveexec_b64 s[24:25], vcc
	s_xor_b64 s[24:25], exec, s[24:25]
	s_cbranch_execz .LBB62_947
; %bb.942:
	s_mov_b32 s26, 0x3c7fffff
	v_cmp_lt_u32_e32 vcc, s26, v5
                                        ; implicit-def: $vgpr4
	s_and_saveexec_b64 s[26:27], vcc
	s_xor_b64 s[26:27], exec, s[26:27]
; %bb.943:
	v_bfe_u32 v4, v1, 20, 1
	s_mov_b32 s28, 0x407ffff
	v_add3_u32 v4, v1, v4, s28
	v_lshrrev_b32_e32 v5, 20, v4
	v_and_b32_e32 v4, 0xff00000, v4
	s_mov_b32 s28, 0x7f00000
	v_mov_b32_e32 v6, 0x7e
	v_cmp_ne_u32_e32 vcc, s28, v4
	v_cndmask_b32_e32 v4, v6, v5, vcc
; %bb.944:
	s_andn2_saveexec_b64 s[26:27], s[26:27]
; %bb.945:
	s_mov_b32 s28, 0x46800000
	v_add_f32_e64 v4, |v1|, s28
; %bb.946:
	s_or_b64 exec, exec, s[26:27]
                                        ; implicit-def: $vgpr5
.LBB62_947:
	s_andn2_saveexec_b64 s[24:25], s[24:25]
; %bb.948:
	s_mov_b32 s26, 0x7f800000
	v_mov_b32_e32 v4, 0x7e
	v_mov_b32_e32 v6, 0x7f
	v_cmp_lt_u32_e32 vcc, s26, v5
	v_cndmask_b32_e32 v4, v4, v6, vcc
; %bb.949:
	s_or_b64 exec, exec, s[24:25]
	v_lshrrev_b32_e32 v1, 24, v1
	s_movk_i32 s24, 0x80
	v_and_or_b32 v1, v1, s24, v4
	global_store_byte v[2:3], v1, off
.LBB62_950:
	s_mov_b64 s[24:25], 0
.LBB62_951:
	s_andn2_b64 vcc, exec, s[24:25]
	s_cbranch_vccnz .LBB62_961
; %bb.952:
	v_cvt_f32_i32_e32 v1, v0
	s_mov_b32 s24, 0x47800000
                                        ; implicit-def: $vgpr4
	v_and_b32_e32 v5, 0x7fffffff, v1
	v_cmp_gt_u32_e32 vcc, s24, v5
	s_and_saveexec_b64 s[24:25], vcc
	s_xor_b64 s[24:25], exec, s[24:25]
	s_cbranch_execz .LBB62_958
; %bb.953:
	s_mov_b32 s26, 0x387fffff
	v_cmp_lt_u32_e32 vcc, s26, v5
                                        ; implicit-def: $vgpr4
	s_and_saveexec_b64 s[26:27], vcc
	s_xor_b64 s[26:27], exec, s[26:27]
; %bb.954:
	v_bfe_u32 v4, v1, 21, 1
	s_mov_b32 s28, 0x80fffff
	v_add3_u32 v4, v1, v4, s28
	v_lshrrev_b32_e32 v4, 21, v4
; %bb.955:
	s_andn2_saveexec_b64 s[26:27], s[26:27]
; %bb.956:
	s_mov_b32 s28, 0x43000000
	v_add_f32_e64 v4, |v1|, s28
; %bb.957:
	s_or_b64 exec, exec, s[26:27]
                                        ; implicit-def: $vgpr5
.LBB62_958:
	s_andn2_saveexec_b64 s[24:25], s[24:25]
; %bb.959:
	s_mov_b32 s26, 0x7f800000
	v_mov_b32_e32 v4, 0x7c
	v_mov_b32_e32 v6, 0x7f
	v_cmp_lt_u32_e32 vcc, s26, v5
	v_cndmask_b32_e32 v4, v4, v6, vcc
; %bb.960:
	s_or_b64 exec, exec, s[24:25]
	v_lshrrev_b32_e32 v1, 24, v1
	s_movk_i32 s24, 0x80
	v_and_or_b32 v1, v1, s24, v4
	global_store_byte v[2:3], v1, off
.LBB62_961:
	s_mov_b64 s[24:25], 0
.LBB62_962:
	s_andn2_b64 vcc, exec, s[24:25]
	s_mov_b64 s[24:25], 0
	s_cbranch_vccnz .LBB62_970
; %bb.963:
	s_cmp_gt_i32 s31, 14
	s_mov_b64 s[26:27], -1
	s_cbranch_scc0 .LBB62_967
; %bb.964:
	s_cmp_eq_u32 s31, 15
	s_mov_b64 s[0:1], -1
	s_cbranch_scc0 .LBB62_966
; %bb.965:
	v_cvt_f32_i32_e32 v1, v0
	s_movk_i32 s0, 0x7fff
	v_bfe_u32 v4, v1, 16, 1
	v_add3_u32 v1, v1, v4, s0
	global_store_short_d16_hi v[2:3], v1, off
	s_mov_b64 s[0:1], 0
.LBB62_966:
	s_mov_b64 s[26:27], 0
.LBB62_967:
	s_and_b64 vcc, exec, s[26:27]
	s_cbranch_vccz .LBB62_970
; %bb.968:
	s_cmp_lg_u32 s31, 11
	s_cselect_b64 s[26:27], -1, 0
	s_andn2_b64 s[0:1], s[0:1], exec
	s_and_b64 s[26:27], s[26:27], exec
	s_mov_b64 s[24:25], -1
	s_or_b64 s[0:1], s[0:1], s[26:27]
	s_branch .LBB62_970
.LBB62_969:
	s_mov_b64 s[24:25], 0
.LBB62_970:
	s_andn2_b64 s[16:17], s[16:17], exec
	s_and_b64 s[0:1], s[0:1], exec
	s_and_b64 s[22:23], s[22:23], exec
	s_and_b64 s[24:25], s[24:25], exec
	s_or_b64 s[16:17], s[16:17], s[0:1]
	s_or_b64 exec, exec, s[18:19]
	s_and_saveexec_b64 s[0:1], s[16:17]
	s_cbranch_execz .LBB62_899
.LBB62_971:
	s_or_b64 s[20:21], s[20:21], exec
	s_andn2_b64 s[24:25], s[24:25], exec
	s_trap 2
	s_or_b64 exec, exec, s[0:1]
	s_and_saveexec_b64 s[0:1], s[24:25]
	s_xor_b64 s[0:1], exec, s[0:1]
	s_cbranch_execnz .LBB62_900
.LBB62_972:
	s_or_b64 exec, exec, s[0:1]
	s_and_saveexec_b64 s[0:1], s[22:23]
	s_xor_b64 s[0:1], exec, s[0:1]
	s_cbranch_execz .LBB62_1010
.LBB62_973:
	s_sext_i32_i16 s18, s30
	s_cmp_lt_i32 s18, 5
	s_mov_b64 s[16:17], -1
	s_cbranch_scc1 .LBB62_994
; %bb.974:
	s_cmp_lt_i32 s18, 8
	s_cbranch_scc1 .LBB62_984
; %bb.975:
	s_cmp_lt_i32 s18, 9
	s_cbranch_scc1 .LBB62_981
; %bb.976:
	s_cmp_gt_i32 s18, 9
	s_cbranch_scc0 .LBB62_978
; %bb.977:
	s_waitcnt vmcnt(0)
	v_cvt_f64_i32_e32 v[4:5], v0
	v_mov_b32_e32 v6, 0
	v_mov_b32_e32 v7, v6
	s_mov_b64 s[16:17], 0
	global_store_dwordx4 v[2:3], v[4:7], off
.LBB62_978:
	s_andn2_b64 vcc, exec, s[16:17]
	s_cbranch_vccnz .LBB62_980
; %bb.979:
	v_cvt_f32_i32_e32 v4, v0
	s_waitcnt vmcnt(0)
	v_mov_b32_e32 v5, 0
	global_store_dwordx2 v[2:3], v[4:5], off
.LBB62_980:
	s_mov_b64 s[16:17], 0
.LBB62_981:
	s_andn2_b64 vcc, exec, s[16:17]
	s_cbranch_vccnz .LBB62_983
; %bb.982:
	v_cvt_f32_i32_e32 v1, v0
	v_cvt_f16_f32_e32 v1, v1
	s_waitcnt vmcnt(0)
	global_store_dword v[2:3], v1, off
.LBB62_983:
	s_mov_b64 s[16:17], 0
.LBB62_984:
	s_andn2_b64 vcc, exec, s[16:17]
	s_cbranch_vccnz .LBB62_993
; %bb.985:
	s_sext_i32_i16 s18, s30
	s_cmp_lt_i32 s18, 6
	s_mov_b64 s[16:17], -1
	s_cbranch_scc1 .LBB62_991
; %bb.986:
	s_cmp_gt_i32 s18, 6
	s_cbranch_scc0 .LBB62_988
; %bb.987:
	s_waitcnt vmcnt(0)
	v_cvt_f64_i32_e32 v[4:5], v0
	s_mov_b64 s[16:17], 0
	global_store_dwordx2 v[2:3], v[4:5], off
.LBB62_988:
	s_andn2_b64 vcc, exec, s[16:17]
	s_cbranch_vccnz .LBB62_990
; %bb.989:
	v_cvt_f32_i32_e32 v1, v0
	s_waitcnt vmcnt(0)
	global_store_dword v[2:3], v1, off
.LBB62_990:
	s_mov_b64 s[16:17], 0
.LBB62_991:
	s_andn2_b64 vcc, exec, s[16:17]
	s_cbranch_vccnz .LBB62_993
; %bb.992:
	v_cvt_f32_i32_e32 v1, v0
	v_cvt_f16_f32_e32 v1, v1
	s_waitcnt vmcnt(0)
	global_store_short v[2:3], v1, off
.LBB62_993:
	s_mov_b64 s[16:17], 0
.LBB62_994:
	s_andn2_b64 vcc, exec, s[16:17]
	s_cbranch_vccnz .LBB62_1010
; %bb.995:
	s_sext_i32_i16 s18, s30
	s_cmp_lt_i32 s18, 2
	s_mov_b64 s[16:17], -1
	s_cbranch_scc1 .LBB62_1005
; %bb.996:
	s_cmp_lt_i32 s18, 3
	s_cbranch_scc1 .LBB62_1002
; %bb.997:
	s_cmp_gt_i32 s18, 3
	s_cbranch_scc0 .LBB62_999
; %bb.998:
	v_ashrrev_i32_e32 v1, 31, v0
	s_mov_b64 s[16:17], 0
	s_waitcnt vmcnt(0)
	global_store_dwordx2 v[2:3], v[0:1], off
.LBB62_999:
	s_andn2_b64 vcc, exec, s[16:17]
	s_cbranch_vccnz .LBB62_1001
; %bb.1000:
	s_waitcnt vmcnt(0)
	global_store_dword v[2:3], v0, off
.LBB62_1001:
	s_mov_b64 s[16:17], 0
.LBB62_1002:
	s_andn2_b64 vcc, exec, s[16:17]
	s_cbranch_vccnz .LBB62_1004
; %bb.1003:
	s_waitcnt vmcnt(0)
	global_store_short v[2:3], v0, off
.LBB62_1004:
	s_mov_b64 s[16:17], 0
.LBB62_1005:
	s_andn2_b64 vcc, exec, s[16:17]
	s_cbranch_vccnz .LBB62_1010
; %bb.1006:
	s_sext_i32_i16 s16, s30
	s_cmp_gt_i32 s16, 0
	s_mov_b64 s[16:17], -1
	s_cbranch_scc0 .LBB62_1008
; %bb.1007:
	s_mov_b64 s[16:17], 0
	s_waitcnt vmcnt(0)
	global_store_byte v[2:3], v0, off
.LBB62_1008:
	s_andn2_b64 vcc, exec, s[16:17]
	s_cbranch_vccnz .LBB62_1010
; %bb.1009:
	s_waitcnt vmcnt(0)
	global_store_byte v[2:3], v0, off
.LBB62_1010:
	s_or_b64 exec, exec, s[0:1]
	s_and_b64 s[16:17], s[20:21], exec
                                        ; implicit-def: $vgpr4
.LBB62_1011:
	s_or_saveexec_b64 s[6:7], s[6:7]
	s_mov_b64 s[0:1], 0
                                        ; implicit-def: $sgpr24
                                        ; implicit-def: $vgpr2_vgpr3
                                        ; implicit-def: $vgpr0
	s_xor_b64 exec, exec, s[6:7]
	s_cbranch_execz .LBB62_1942
; %bb.1012:
	v_mul_lo_u32 v3, s13, v4
	v_mov_b32_e32 v1, s11
	s_and_b32 s24, 0xffff, s33
	s_cmp_lt_i32 s24, 11
	s_waitcnt vmcnt(0)
	v_ashrrev_i32_e32 v2, 31, v3
	v_add_co_u32_e32 v0, vcc, s10, v3
	v_addc_co_u32_e32 v1, vcc, v1, v2, vcc
	s_cbranch_scc1 .LBB62_1019
; %bb.1013:
	s_cmp_gt_i32 s24, 25
	s_cbranch_scc0 .LBB62_1021
; %bb.1014:
	s_cmp_gt_i32 s24, 28
	s_cbranch_scc0 .LBB62_1022
	;; [unrolled: 3-line block ×4, first 2 shown]
; %bb.1017:
	s_cmp_eq_u32 s24, 46
	s_mov_b64 s[18:19], 0
	s_cbranch_scc0 .LBB62_1027
; %bb.1018:
	global_load_dword v2, v[0:1], off
	s_mov_b64 s[20:21], -1
	s_waitcnt vmcnt(0)
	v_lshlrev_b32_e32 v2, 16, v2
	v_cvt_i32_f32_e32 v2, v2
	s_branch .LBB62_1028
.LBB62_1019:
	s_mov_b64 s[20:21], 0
                                        ; implicit-def: $vgpr2
	s_mov_b64 s[18:19], s[16:17]
	s_cbranch_execnz .LBB62_1086
.LBB62_1020:
	s_andn2_b64 vcc, exec, s[20:21]
	s_cbranch_vccz .LBB62_1131
	s_branch .LBB62_1940
.LBB62_1021:
	s_mov_b64 s[20:21], 0
                                        ; implicit-def: $vgpr2
	s_cbranch_execnz .LBB62_1053
	s_branch .LBB62_1082
.LBB62_1022:
	s_mov_b64 s[20:21], 0
                                        ; implicit-def: $vgpr2
	s_cbranch_execz .LBB62_1052
	s_branch .LBB62_1037
.LBB62_1023:
	s_mov_b64 s[20:21], 0
                                        ; implicit-def: $vgpr2
	s_cbranch_execnz .LBB62_1033
	s_branch .LBB62_1036
.LBB62_1024:
	s_mov_b64 s[18:19], -1
	s_mov_b64 s[20:21], 0
                                        ; implicit-def: $vgpr2
	s_branch .LBB62_1028
.LBB62_1025:
	s_andn2_saveexec_b64 s[26:27], s[26:27]
	s_cbranch_execz .LBB62_924
.LBB62_1026:
	s_mov_b32 s28, 0x46000000
	v_add_f32_e64 v4, |v1|, s28
	v_and_b32_e32 v4, 0xff, v4
	v_cmp_ne_u32_e32 vcc, 0, v4
	s_andn2_b64 s[24:25], s[24:25], exec
	s_and_b64 s[28:29], vcc, exec
	s_or_b64 s[24:25], s[24:25], s[28:29]
	s_or_b64 exec, exec, s[26:27]
	v_mov_b32_e32 v5, 0
	s_and_saveexec_b64 s[26:27], s[24:25]
	s_cbranch_execnz .LBB62_925
	s_branch .LBB62_926
.LBB62_1027:
	s_mov_b64 s[0:1], -1
                                        ; implicit-def: $vgpr2
	s_mov_b64 s[20:21], 0
.LBB62_1028:
	s_and_b64 vcc, exec, s[18:19]
	s_cbranch_vccz .LBB62_1031
; %bb.1029:
	s_cmp_eq_u32 s24, 44
	s_cbranch_scc0 .LBB62_1032
; %bb.1030:
	global_load_ubyte v2, v[0:1], off
	s_mov_b64 s[0:1], 0
	s_mov_b64 s[20:21], -1
	s_waitcnt vmcnt(0)
	v_lshlrev_b32_e32 v5, 23, v2
	v_cvt_i32_f32_e32 v5, v5
	v_cmp_ne_u32_e32 vcc, 0, v2
	v_cndmask_b32_e32 v2, 0, v5, vcc
.LBB62_1031:
	s_branch .LBB62_1036
.LBB62_1032:
	s_mov_b64 s[0:1], -1
                                        ; implicit-def: $vgpr2
	s_branch .LBB62_1036
.LBB62_1033:
	s_cmp_eq_u32 s24, 29
	s_cbranch_scc0 .LBB62_1035
; %bb.1034:
	global_load_dword v2, v[0:1], off
	s_mov_b64 s[0:1], 0
	s_mov_b64 s[20:21], -1
	s_branch .LBB62_1036
.LBB62_1035:
	s_mov_b64 s[0:1], -1
                                        ; implicit-def: $vgpr2
.LBB62_1036:
	s_branch .LBB62_1052
.LBB62_1037:
	s_cmp_lt_i32 s24, 27
	s_cbranch_scc1 .LBB62_1040
; %bb.1038:
	s_cmp_gt_i32 s24, 27
	s_cbranch_scc0 .LBB62_1041
; %bb.1039:
	global_load_dword v2, v[0:1], off
	s_mov_b64 s[18:19], 0
	s_branch .LBB62_1042
.LBB62_1040:
	s_mov_b64 s[18:19], -1
                                        ; implicit-def: $vgpr2
	s_branch .LBB62_1045
.LBB62_1041:
	s_mov_b64 s[18:19], -1
                                        ; implicit-def: $vgpr2
.LBB62_1042:
	s_andn2_b64 vcc, exec, s[18:19]
	s_cbranch_vccnz .LBB62_1044
; %bb.1043:
	global_load_ushort v2, v[0:1], off
.LBB62_1044:
	s_mov_b64 s[18:19], 0
.LBB62_1045:
	s_andn2_b64 vcc, exec, s[18:19]
	s_cbranch_vccnz .LBB62_1051
; %bb.1046:
	global_load_ubyte v5, v[0:1], off
	s_movk_i32 s18, 0x7f
	s_mov_b64 s[20:21], 0
	s_waitcnt vmcnt(0)
	v_cmp_lt_i16_e32 vcc, s18, v5
	s_and_saveexec_b64 s[18:19], vcc
	s_xor_b64 s[18:19], exec, s[18:19]
	s_cbranch_execz .LBB62_1062
; %bb.1047:
	s_movk_i32 s20, 0x80
	v_cmp_ne_u16_e32 vcc, s20, v5
	s_and_b64 s[20:21], vcc, exec
	s_andn2_saveexec_b64 s[18:19], s[18:19]
	s_cbranch_execnz .LBB62_1063
.LBB62_1048:
	s_or_b64 exec, exec, s[18:19]
	v_mov_b32_e32 v2, 0
	s_and_saveexec_b64 s[18:19], s[20:21]
	s_cbranch_execz .LBB62_1050
.LBB62_1049:
	v_lshlrev_b32_e32 v2, 24, v5
	v_and_b32_e32 v5, 0xffff, v5
	v_and_b32_e32 v6, 7, v5
	v_ffbh_u32_e32 v8, v6
	v_min_u32_e32 v8, 32, v8
	v_subrev_u32_e32 v9, 28, v8
	v_bfe_u32 v7, v5, 3, 4
	v_lshlrev_b32_e32 v5, v9, v5
	v_sub_u32_e32 v8, 29, v8
	v_and_b32_e32 v5, 7, v5
	v_cmp_eq_u32_e32 vcc, 0, v7
	v_cndmask_b32_e32 v7, v7, v8, vcc
	v_cndmask_b32_e32 v5, v6, v5, vcc
	v_mov_b32_e32 v6, 0x3b800000
	v_lshlrev_b32_e32 v5, 20, v5
	v_and_b32_e32 v2, 0x80000000, v2
	v_lshl_add_u32 v6, v7, 23, v6
	v_or3_b32 v2, v2, v6, v5
	v_cvt_i32_f32_e32 v2, v2
.LBB62_1050:
	s_or_b64 exec, exec, s[18:19]
.LBB62_1051:
	s_mov_b64 s[20:21], -1
.LBB62_1052:
	s_branch .LBB62_1082
.LBB62_1053:
	s_cmp_gt_i32 s24, 22
	s_cbranch_scc0 .LBB62_1061
; %bb.1054:
	s_cmp_lt_i32 s24, 24
	s_cbranch_scc1 .LBB62_1064
; %bb.1055:
	s_cmp_gt_i32 s24, 24
	s_cbranch_scc0 .LBB62_1065
; %bb.1056:
	global_load_ubyte v5, v[0:1], off
	s_movk_i32 s4, 0x7f
	s_mov_b64 s[18:19], 0
	s_waitcnt vmcnt(0)
	v_cmp_lt_i16_e32 vcc, s4, v5
	s_and_saveexec_b64 s[4:5], vcc
	s_xor_b64 s[4:5], exec, s[4:5]
	s_cbranch_execz .LBB62_1076
; %bb.1057:
	s_movk_i32 s18, 0x80
	v_cmp_ne_u16_e32 vcc, s18, v5
	s_and_b64 s[18:19], vcc, exec
	s_andn2_saveexec_b64 s[4:5], s[4:5]
	s_cbranch_execnz .LBB62_1077
.LBB62_1058:
	s_or_b64 exec, exec, s[4:5]
	v_mov_b32_e32 v2, 0
	s_and_saveexec_b64 s[4:5], s[18:19]
	s_cbranch_execz .LBB62_1060
.LBB62_1059:
	v_lshlrev_b32_e32 v2, 24, v5
	v_and_b32_e32 v5, 0xffff, v5
	v_and_b32_e32 v6, 3, v5
	v_ffbh_u32_e32 v8, v6
	v_min_u32_e32 v8, 32, v8
	v_subrev_u32_e32 v9, 29, v8
	v_bfe_u32 v7, v5, 2, 5
	v_lshlrev_b32_e32 v5, v9, v5
	v_sub_u32_e32 v8, 30, v8
	v_and_b32_e32 v5, 3, v5
	v_cmp_eq_u32_e32 vcc, 0, v7
	v_cndmask_b32_e32 v7, v7, v8, vcc
	v_cndmask_b32_e32 v5, v6, v5, vcc
	v_mov_b32_e32 v6, 0x37800000
	v_lshlrev_b32_e32 v5, 21, v5
	v_and_b32_e32 v2, 0x80000000, v2
	v_lshl_add_u32 v6, v7, 23, v6
	v_or3_b32 v2, v2, v6, v5
	v_cvt_i32_f32_e32 v2, v2
.LBB62_1060:
	s_or_b64 exec, exec, s[4:5]
	s_mov_b64 s[4:5], 0
	s_branch .LBB62_1066
.LBB62_1061:
                                        ; implicit-def: $vgpr2
	s_mov_b64 s[4:5], 0
	s_branch .LBB62_1072
.LBB62_1062:
	s_andn2_saveexec_b64 s[18:19], s[18:19]
	s_cbranch_execz .LBB62_1048
.LBB62_1063:
	v_cmp_ne_u16_e32 vcc, 0, v5
	s_andn2_b64 s[20:21], s[20:21], exec
	s_and_b64 s[22:23], vcc, exec
	s_or_b64 s[20:21], s[20:21], s[22:23]
	s_or_b64 exec, exec, s[18:19]
	v_mov_b32_e32 v2, 0
	s_and_saveexec_b64 s[18:19], s[20:21]
	s_cbranch_execnz .LBB62_1049
	s_branch .LBB62_1050
.LBB62_1064:
	s_mov_b64 s[4:5], -1
                                        ; implicit-def: $vgpr2
	s_branch .LBB62_1069
.LBB62_1065:
	s_mov_b64 s[4:5], -1
                                        ; implicit-def: $vgpr2
.LBB62_1066:
	s_and_b64 vcc, exec, s[4:5]
	s_cbranch_vccz .LBB62_1068
; %bb.1067:
	global_load_ubyte v2, v[0:1], off
	s_mov_b32 s4, 0x7f800000
	s_waitcnt vmcnt(0)
	v_lshlrev_b32_e32 v2, 24, v2
	v_and_b32_e32 v5, 0x7f000000, v2
	v_ffbh_u32_e32 v6, v5
	v_min_u32_e32 v6, 32, v6
	v_sub_u32_e64 v6, v6, 4 clamp
	v_lshlrev_b32_e32 v8, v6, v5
	v_lshlrev_b32_e32 v6, 23, v6
	v_lshrrev_b32_e32 v8, 4, v8
	v_add_u32_e32 v7, 0x1000000, v5
	v_sub_u32_e32 v6, v8, v6
	v_ashrrev_i32_e32 v7, 8, v7
	v_add_u32_e32 v6, 0x3c000000, v6
	v_and_or_b32 v6, v7, s4, v6
	v_cmp_ne_u32_e32 vcc, 0, v5
	v_cndmask_b32_e32 v5, 0, v6, vcc
	s_brev_b32 s4, 1
	v_and_or_b32 v2, v2, s4, v5
	v_cvt_i32_f32_e32 v2, v2
.LBB62_1068:
	s_mov_b64 s[4:5], 0
.LBB62_1069:
	s_andn2_b64 vcc, exec, s[4:5]
	s_cbranch_vccnz .LBB62_1071
; %bb.1070:
	global_load_ubyte v2, v[0:1], off
	s_movk_i32 s4, 0x7f00
	s_brev_b32 s5, 16
	s_waitcnt vmcnt(0)
	v_lshlrev_b16_e32 v5, 8, v2
	v_lshlrev_b32_e32 v2, 25, v2
	v_lshrrev_b32_e32 v6, 4, v2
	v_and_or_b32 v7, v5, s4, 0.5
	v_or_b32_e32 v6, 0x70000000, v6
	v_add_f32_e32 v7, -0.5, v7
	v_mul_f32_e32 v6, 0x7800000, v6
	v_cmp_gt_u32_e32 vcc, s5, v2
	v_bfe_i32 v5, v5, 0, 16
	v_cndmask_b32_e32 v2, v6, v7, vcc
	s_brev_b32 s4, 1
	v_and_or_b32 v2, v5, s4, v2
	v_cvt_i32_f32_e32 v2, v2
.LBB62_1071:
	s_mov_b64 s[20:21], -1
	s_mov_b64 s[4:5], 0
	s_cbranch_execnz .LBB62_1082
.LBB62_1072:
	s_cmp_gt_i32 s24, 14
	s_cbranch_scc0 .LBB62_1075
; %bb.1073:
	s_cmp_eq_u32 s24, 15
	s_cbranch_scc0 .LBB62_1078
; %bb.1074:
	global_load_ushort v2, v[0:1], off
	s_mov_b64 s[0:1], 0
	s_mov_b64 s[20:21], -1
	s_waitcnt vmcnt(0)
	v_lshlrev_b32_e32 v2, 16, v2
	v_cvt_i32_f32_e32 v2, v2
	s_branch .LBB62_1079
.LBB62_1075:
	s_mov_b64 s[18:19], -1
                                        ; implicit-def: $vgpr2
	s_branch .LBB62_1080
.LBB62_1076:
	s_andn2_saveexec_b64 s[4:5], s[4:5]
	s_cbranch_execz .LBB62_1058
.LBB62_1077:
	v_cmp_ne_u16_e32 vcc, 0, v5
	s_andn2_b64 s[18:19], s[18:19], exec
	s_and_b64 s[20:21], vcc, exec
	s_or_b64 s[18:19], s[18:19], s[20:21]
	s_or_b64 exec, exec, s[4:5]
	v_mov_b32_e32 v2, 0
	s_and_saveexec_b64 s[4:5], s[18:19]
	s_cbranch_execnz .LBB62_1059
	s_branch .LBB62_1060
.LBB62_1078:
	s_mov_b64 s[0:1], -1
                                        ; implicit-def: $vgpr2
.LBB62_1079:
	s_mov_b64 s[18:19], 0
.LBB62_1080:
	s_and_b64 vcc, exec, s[18:19]
	s_cbranch_vccz .LBB62_1082
; %bb.1081:
	s_cmp_lg_u32 s24, 11
	s_mov_b64 s[4:5], -1
	s_cselect_b64 s[0:1], -1, 0
.LBB62_1082:
	s_and_b64 vcc, exec, s[0:1]
	s_mov_b64 s[18:19], s[16:17]
	s_cbranch_vccnz .LBB62_1143
; %bb.1083:
	s_andn2_b64 vcc, exec, s[4:5]
	s_cbranch_vccnz .LBB62_1085
.LBB62_1084:
	global_load_ubyte v2, v[0:1], off
	s_mov_b64 s[20:21], -1
	s_waitcnt vmcnt(0)
	v_cmp_ne_u16_e32 vcc, 0, v2
	v_cndmask_b32_e64 v2, 0, 1, vcc
.LBB62_1085:
	s_branch .LBB62_1020
.LBB62_1086:
	s_cmp_lt_i32 s24, 5
	s_cbranch_scc1 .LBB62_1091
; %bb.1087:
	s_cmp_lt_i32 s24, 8
	s_cbranch_scc1 .LBB62_1092
; %bb.1088:
	;; [unrolled: 3-line block ×3, first 2 shown]
	s_cmp_gt_i32 s24, 9
	s_cbranch_scc0 .LBB62_1094
; %bb.1090:
	global_load_dwordx2 v[5:6], v[0:1], off
	s_mov_b64 s[0:1], 0
	s_waitcnt vmcnt(0)
	v_cvt_i32_f64_e32 v2, v[5:6]
	s_branch .LBB62_1095
.LBB62_1091:
                                        ; implicit-def: $vgpr2
	s_branch .LBB62_1112
.LBB62_1092:
                                        ; implicit-def: $vgpr2
	s_branch .LBB62_1101
.LBB62_1093:
	s_mov_b64 s[0:1], -1
                                        ; implicit-def: $vgpr2
	s_branch .LBB62_1098
.LBB62_1094:
	s_mov_b64 s[0:1], -1
                                        ; implicit-def: $vgpr2
.LBB62_1095:
	s_andn2_b64 vcc, exec, s[0:1]
	s_cbranch_vccnz .LBB62_1097
; %bb.1096:
	global_load_dword v2, v[0:1], off
	s_waitcnt vmcnt(0)
	v_cvt_i32_f32_e32 v2, v2
.LBB62_1097:
	s_mov_b64 s[0:1], 0
.LBB62_1098:
	s_andn2_b64 vcc, exec, s[0:1]
	s_cbranch_vccnz .LBB62_1100
; %bb.1099:
	global_load_dword v2, v[0:1], off
	s_waitcnt vmcnt(0)
	v_cvt_f32_f16_e32 v2, v2
	v_cvt_i32_f32_e32 v2, v2
.LBB62_1100:
	s_cbranch_execnz .LBB62_1111
.LBB62_1101:
	s_cmp_lt_i32 s24, 6
	s_cbranch_scc1 .LBB62_1104
; %bb.1102:
	s_cmp_gt_i32 s24, 6
	s_cbranch_scc0 .LBB62_1105
; %bb.1103:
	global_load_dwordx2 v[5:6], v[0:1], off
	s_mov_b64 s[0:1], 0
	s_waitcnt vmcnt(0)
	v_cvt_i32_f64_e32 v2, v[5:6]
	s_branch .LBB62_1106
.LBB62_1104:
	s_mov_b64 s[0:1], -1
                                        ; implicit-def: $vgpr2
	s_branch .LBB62_1109
.LBB62_1105:
	s_mov_b64 s[0:1], -1
                                        ; implicit-def: $vgpr2
.LBB62_1106:
	s_andn2_b64 vcc, exec, s[0:1]
	s_cbranch_vccnz .LBB62_1108
; %bb.1107:
	global_load_dword v2, v[0:1], off
	s_waitcnt vmcnt(0)
	v_cvt_i32_f32_e32 v2, v2
.LBB62_1108:
	s_mov_b64 s[0:1], 0
.LBB62_1109:
	s_andn2_b64 vcc, exec, s[0:1]
	s_cbranch_vccnz .LBB62_1111
; %bb.1110:
	global_load_ushort v2, v[0:1], off
	s_waitcnt vmcnt(0)
	v_cvt_f32_f16_e32 v2, v2
	v_cvt_i32_f32_e32 v2, v2
.LBB62_1111:
	s_cbranch_execnz .LBB62_1130
.LBB62_1112:
	s_cmp_lt_i32 s24, 2
	s_cbranch_scc1 .LBB62_1116
; %bb.1113:
	s_cmp_lt_i32 s24, 3
	s_cbranch_scc1 .LBB62_1117
; %bb.1114:
	s_cmp_gt_i32 s24, 3
	s_cbranch_scc0 .LBB62_1118
; %bb.1115:
	global_load_dword v2, v[0:1], off
	s_mov_b64 s[0:1], 0
	s_branch .LBB62_1119
.LBB62_1116:
                                        ; implicit-def: $vgpr2
	s_branch .LBB62_1125
.LBB62_1117:
	s_mov_b64 s[0:1], -1
                                        ; implicit-def: $vgpr2
	s_branch .LBB62_1122
.LBB62_1118:
	s_mov_b64 s[0:1], -1
                                        ; implicit-def: $vgpr2
.LBB62_1119:
	s_andn2_b64 vcc, exec, s[0:1]
	s_cbranch_vccnz .LBB62_1121
; %bb.1120:
	global_load_dword v2, v[0:1], off
.LBB62_1121:
	s_mov_b64 s[0:1], 0
.LBB62_1122:
	s_andn2_b64 vcc, exec, s[0:1]
	s_cbranch_vccnz .LBB62_1124
; %bb.1123:
	global_load_sshort v2, v[0:1], off
.LBB62_1124:
	s_cbranch_execnz .LBB62_1130
.LBB62_1125:
	s_cmp_gt_i32 s24, 0
	s_cbranch_scc0 .LBB62_1127
; %bb.1126:
	global_load_sbyte v2, v[0:1], off
	s_mov_b64 s[0:1], 0
	s_branch .LBB62_1128
.LBB62_1127:
	s_mov_b64 s[0:1], -1
                                        ; implicit-def: $vgpr2
.LBB62_1128:
	s_andn2_b64 vcc, exec, s[0:1]
	s_cbranch_vccnz .LBB62_1130
; %bb.1129:
	global_load_ubyte v2, v[0:1], off
.LBB62_1130:
.LBB62_1131:
	s_lshl_b32 s13, s13, 7
	v_add_u32_e32 v3, s13, v3
	v_ashrrev_i32_e32 v1, 31, v3
	v_mov_b32_e32 v5, s11
	v_add_co_u32_e32 v0, vcc, s10, v3
	s_cmp_lt_i32 s24, 11
	v_addc_co_u32_e32 v1, vcc, v5, v1, vcc
	s_cbranch_scc1 .LBB62_1138
; %bb.1132:
	s_cmp_gt_i32 s24, 25
	s_mov_b64 s[4:5], 0
	s_cbranch_scc0 .LBB62_1140
; %bb.1133:
	s_cmp_gt_i32 s24, 28
	s_cbranch_scc0 .LBB62_1141
; %bb.1134:
	s_cmp_gt_i32 s24, 43
	;; [unrolled: 3-line block ×3, first 2 shown]
	s_cbranch_scc0 .LBB62_1144
; %bb.1136:
	s_cmp_eq_u32 s24, 46
	s_mov_b64 s[22:23], 0
	s_cbranch_scc0 .LBB62_1147
; %bb.1137:
	global_load_dword v5, v[0:1], off
	s_mov_b64 s[0:1], 0
	s_mov_b64 s[20:21], -1
	s_waitcnt vmcnt(0)
	v_lshlrev_b32_e32 v5, 16, v5
	v_cvt_i32_f32_e32 v7, v5
	s_branch .LBB62_1148
.LBB62_1138:
	s_mov_b64 s[20:21], 0
                                        ; implicit-def: $vgpr7
	s_cbranch_execnz .LBB62_1209
.LBB62_1139:
	s_andn2_b64 vcc, exec, s[20:21]
	s_cbranch_vccnz .LBB62_1940
	s_branch .LBB62_1256
.LBB62_1140:
	s_mov_b64 s[20:21], 0
	s_mov_b64 s[0:1], 0
                                        ; implicit-def: $vgpr7
	s_cbranch_execnz .LBB62_1175
	s_branch .LBB62_1205
.LBB62_1141:
	s_mov_b64 s[22:23], -1
	s_mov_b64 s[20:21], 0
	s_mov_b64 s[0:1], 0
                                        ; implicit-def: $vgpr7
	s_branch .LBB62_1158
.LBB62_1142:
	s_mov_b64 s[22:23], -1
	s_mov_b64 s[20:21], 0
	s_mov_b64 s[0:1], 0
                                        ; implicit-def: $vgpr7
	s_branch .LBB62_1153
.LBB62_1143:
	s_or_b64 s[18:19], s[16:17], exec
	s_trap 2
	s_cbranch_execz .LBB62_1084
	s_branch .LBB62_1085
.LBB62_1144:
	s_mov_b64 s[22:23], -1
	s_mov_b64 s[20:21], 0
	s_mov_b64 s[0:1], 0
                                        ; implicit-def: $vgpr7
	s_branch .LBB62_1148
.LBB62_1145:
	s_andn2_saveexec_b64 s[28:29], s[28:29]
	s_cbranch_execz .LBB62_936
.LBB62_1146:
	s_mov_b32 s34, 0x42800000
	v_add_f32_e64 v4, |v1|, s34
	v_and_b32_e32 v4, 0xff, v4
	v_cmp_ne_u32_e32 vcc, 0, v4
	s_andn2_b64 s[26:27], s[26:27], exec
	s_and_b64 s[34:35], vcc, exec
	s_or_b64 s[26:27], s[26:27], s[34:35]
	s_or_b64 exec, exec, s[28:29]
	v_mov_b32_e32 v5, 0
	s_and_saveexec_b64 s[28:29], s[26:27]
	s_cbranch_execnz .LBB62_937
	s_branch .LBB62_938
.LBB62_1147:
	s_mov_b64 s[0:1], -1
                                        ; implicit-def: $vgpr7
	s_mov_b64 s[20:21], 0
.LBB62_1148:
	s_and_b64 vcc, exec, s[22:23]
	s_cbranch_vccz .LBB62_1152
; %bb.1149:
	s_cmp_eq_u32 s24, 44
	s_cbranch_scc0 .LBB62_1151
; %bb.1150:
	global_load_ubyte v5, v[0:1], off
	s_mov_b64 s[0:1], 0
	s_mov_b64 s[20:21], -1
	s_waitcnt vmcnt(0)
	v_lshlrev_b32_e32 v6, 23, v5
	v_cvt_i32_f32_e32 v6, v6
	v_cmp_ne_u32_e32 vcc, 0, v5
	v_cndmask_b32_e32 v7, 0, v6, vcc
	s_branch .LBB62_1152
.LBB62_1151:
	s_mov_b64 s[0:1], -1
                                        ; implicit-def: $vgpr7
.LBB62_1152:
	s_mov_b64 s[22:23], 0
.LBB62_1153:
	s_and_b64 vcc, exec, s[22:23]
	s_cbranch_vccz .LBB62_1157
; %bb.1154:
	s_cmp_eq_u32 s24, 29
	s_cbranch_scc0 .LBB62_1156
; %bb.1155:
	global_load_dword v7, v[0:1], off
	s_mov_b64 s[0:1], 0
	s_mov_b64 s[20:21], -1
	s_branch .LBB62_1157
.LBB62_1156:
	s_mov_b64 s[0:1], -1
                                        ; implicit-def: $vgpr7
.LBB62_1157:
	s_mov_b64 s[22:23], 0
.LBB62_1158:
	s_and_b64 vcc, exec, s[22:23]
	s_cbranch_vccz .LBB62_1174
; %bb.1159:
	s_cmp_lt_i32 s24, 27
	s_cbranch_scc1 .LBB62_1162
; %bb.1160:
	s_cmp_gt_i32 s24, 27
	s_cbranch_scc0 .LBB62_1163
; %bb.1161:
	global_load_dword v7, v[0:1], off
	s_mov_b64 s[20:21], 0
	s_branch .LBB62_1164
.LBB62_1162:
	s_mov_b64 s[20:21], -1
                                        ; implicit-def: $vgpr7
	s_branch .LBB62_1167
.LBB62_1163:
	s_mov_b64 s[20:21], -1
                                        ; implicit-def: $vgpr7
.LBB62_1164:
	s_andn2_b64 vcc, exec, s[20:21]
	s_cbranch_vccnz .LBB62_1166
; %bb.1165:
	global_load_ushort v7, v[0:1], off
.LBB62_1166:
	s_mov_b64 s[20:21], 0
.LBB62_1167:
	s_andn2_b64 vcc, exec, s[20:21]
	s_cbranch_vccnz .LBB62_1173
; %bb.1168:
	global_load_ubyte v5, v[0:1], off
	s_movk_i32 s20, 0x7f
	s_mov_b64 s[22:23], 0
	s_waitcnt vmcnt(0)
	v_cmp_lt_i16_e32 vcc, s20, v5
	s_and_saveexec_b64 s[20:21], vcc
	s_xor_b64 s[20:21], exec, s[20:21]
	s_cbranch_execz .LBB62_1184
; %bb.1169:
	s_movk_i32 s22, 0x80
	v_cmp_ne_u16_e32 vcc, s22, v5
	s_and_b64 s[22:23], vcc, exec
	s_andn2_saveexec_b64 s[20:21], s[20:21]
	s_cbranch_execnz .LBB62_1185
.LBB62_1170:
	s_or_b64 exec, exec, s[20:21]
	v_mov_b32_e32 v7, 0
	s_and_saveexec_b64 s[20:21], s[22:23]
	s_cbranch_execz .LBB62_1172
.LBB62_1171:
	v_lshlrev_b32_e32 v6, 24, v5
	v_and_b32_e32 v5, 0xffff, v5
	v_and_b32_e32 v7, 7, v5
	v_ffbh_u32_e32 v9, v7
	v_min_u32_e32 v9, 32, v9
	v_subrev_u32_e32 v10, 28, v9
	v_bfe_u32 v8, v5, 3, 4
	v_lshlrev_b32_e32 v5, v10, v5
	v_sub_u32_e32 v9, 29, v9
	v_and_b32_e32 v5, 7, v5
	v_cmp_eq_u32_e32 vcc, 0, v8
	v_cndmask_b32_e32 v8, v8, v9, vcc
	v_cndmask_b32_e32 v5, v7, v5, vcc
	v_mov_b32_e32 v7, 0x3b800000
	v_lshlrev_b32_e32 v5, 20, v5
	v_and_b32_e32 v6, 0x80000000, v6
	v_lshl_add_u32 v7, v8, 23, v7
	v_or3_b32 v5, v6, v7, v5
	v_cvt_i32_f32_e32 v7, v5
.LBB62_1172:
	s_or_b64 exec, exec, s[20:21]
.LBB62_1173:
	s_mov_b64 s[20:21], -1
.LBB62_1174:
	s_branch .LBB62_1205
.LBB62_1175:
	s_cmp_gt_i32 s24, 22
	s_cbranch_scc0 .LBB62_1183
; %bb.1176:
	s_cmp_lt_i32 s24, 24
	s_cbranch_scc1 .LBB62_1186
; %bb.1177:
	s_cmp_gt_i32 s24, 24
	s_cbranch_scc0 .LBB62_1187
; %bb.1178:
	global_load_ubyte v5, v[0:1], off
	s_movk_i32 s4, 0x7f
	s_mov_b64 s[20:21], 0
	s_waitcnt vmcnt(0)
	v_cmp_lt_i16_e32 vcc, s4, v5
	s_and_saveexec_b64 s[4:5], vcc
	s_xor_b64 s[4:5], exec, s[4:5]
	s_cbranch_execz .LBB62_1199
; %bb.1179:
	s_movk_i32 s20, 0x80
	v_cmp_ne_u16_e32 vcc, s20, v5
	s_and_b64 s[20:21], vcc, exec
	s_andn2_saveexec_b64 s[4:5], s[4:5]
	s_cbranch_execnz .LBB62_1200
.LBB62_1180:
	s_or_b64 exec, exec, s[4:5]
	v_mov_b32_e32 v7, 0
	s_and_saveexec_b64 s[4:5], s[20:21]
	s_cbranch_execz .LBB62_1182
.LBB62_1181:
	v_lshlrev_b32_e32 v6, 24, v5
	v_and_b32_e32 v5, 0xffff, v5
	v_and_b32_e32 v7, 3, v5
	v_ffbh_u32_e32 v9, v7
	v_min_u32_e32 v9, 32, v9
	v_subrev_u32_e32 v10, 29, v9
	v_bfe_u32 v8, v5, 2, 5
	v_lshlrev_b32_e32 v5, v10, v5
	v_sub_u32_e32 v9, 30, v9
	v_and_b32_e32 v5, 3, v5
	v_cmp_eq_u32_e32 vcc, 0, v8
	v_cndmask_b32_e32 v8, v8, v9, vcc
	v_cndmask_b32_e32 v5, v7, v5, vcc
	v_mov_b32_e32 v7, 0x37800000
	v_lshlrev_b32_e32 v5, 21, v5
	v_and_b32_e32 v6, 0x80000000, v6
	v_lshl_add_u32 v7, v8, 23, v7
	v_or3_b32 v5, v6, v7, v5
	v_cvt_i32_f32_e32 v7, v5
.LBB62_1182:
	s_or_b64 exec, exec, s[4:5]
	s_mov_b64 s[4:5], 0
	s_branch .LBB62_1188
.LBB62_1183:
	s_mov_b64 s[4:5], -1
                                        ; implicit-def: $vgpr7
	s_branch .LBB62_1194
.LBB62_1184:
	s_andn2_saveexec_b64 s[20:21], s[20:21]
	s_cbranch_execz .LBB62_1170
.LBB62_1185:
	v_cmp_ne_u16_e32 vcc, 0, v5
	s_andn2_b64 s[22:23], s[22:23], exec
	s_and_b64 s[26:27], vcc, exec
	s_or_b64 s[22:23], s[22:23], s[26:27]
	s_or_b64 exec, exec, s[20:21]
	v_mov_b32_e32 v7, 0
	s_and_saveexec_b64 s[20:21], s[22:23]
	s_cbranch_execnz .LBB62_1171
	s_branch .LBB62_1172
.LBB62_1186:
	s_mov_b64 s[4:5], -1
                                        ; implicit-def: $vgpr7
	s_branch .LBB62_1191
.LBB62_1187:
	s_mov_b64 s[4:5], -1
                                        ; implicit-def: $vgpr7
.LBB62_1188:
	s_and_b64 vcc, exec, s[4:5]
	s_cbranch_vccz .LBB62_1190
; %bb.1189:
	global_load_ubyte v5, v[0:1], off
	s_mov_b32 s4, 0x7f800000
	s_waitcnt vmcnt(0)
	v_lshlrev_b32_e32 v5, 24, v5
	v_and_b32_e32 v6, 0x7f000000, v5
	v_ffbh_u32_e32 v7, v6
	v_min_u32_e32 v7, 32, v7
	v_sub_u32_e64 v7, v7, 4 clamp
	v_lshlrev_b32_e32 v9, v7, v6
	v_lshlrev_b32_e32 v7, 23, v7
	v_lshrrev_b32_e32 v9, 4, v9
	v_add_u32_e32 v8, 0x1000000, v6
	v_sub_u32_e32 v7, v9, v7
	v_ashrrev_i32_e32 v8, 8, v8
	v_add_u32_e32 v7, 0x3c000000, v7
	v_and_or_b32 v7, v8, s4, v7
	v_cmp_ne_u32_e32 vcc, 0, v6
	v_cndmask_b32_e32 v6, 0, v7, vcc
	s_brev_b32 s4, 1
	v_and_or_b32 v5, v5, s4, v6
	v_cvt_i32_f32_e32 v7, v5
.LBB62_1190:
	s_mov_b64 s[4:5], 0
.LBB62_1191:
	s_andn2_b64 vcc, exec, s[4:5]
	s_cbranch_vccnz .LBB62_1193
; %bb.1192:
	global_load_ubyte v5, v[0:1], off
	s_movk_i32 s4, 0x7f00
	s_brev_b32 s5, 16
	s_waitcnt vmcnt(0)
	v_lshlrev_b16_e32 v6, 8, v5
	v_lshlrev_b32_e32 v5, 25, v5
	v_lshrrev_b32_e32 v7, 4, v5
	v_and_or_b32 v8, v6, s4, 0.5
	v_or_b32_e32 v7, 0x70000000, v7
	v_add_f32_e32 v8, -0.5, v8
	v_mul_f32_e32 v7, 0x7800000, v7
	v_cmp_gt_u32_e32 vcc, s5, v5
	v_bfe_i32 v6, v6, 0, 16
	v_cndmask_b32_e32 v5, v7, v8, vcc
	s_brev_b32 s4, 1
	v_and_or_b32 v5, v6, s4, v5
	v_cvt_i32_f32_e32 v7, v5
.LBB62_1193:
	s_mov_b64 s[4:5], 0
	s_mov_b64 s[20:21], -1
.LBB62_1194:
	s_andn2_b64 vcc, exec, s[4:5]
	s_mov_b64 s[4:5], 0
	s_cbranch_vccnz .LBB62_1205
; %bb.1195:
	s_cmp_gt_i32 s24, 14
	s_cbranch_scc0 .LBB62_1198
; %bb.1196:
	s_cmp_eq_u32 s24, 15
	s_cbranch_scc0 .LBB62_1201
; %bb.1197:
	global_load_ushort v5, v[0:1], off
	s_mov_b64 s[0:1], 0
	s_mov_b64 s[20:21], -1
	s_waitcnt vmcnt(0)
	v_lshlrev_b32_e32 v5, 16, v5
	v_cvt_i32_f32_e32 v7, v5
	s_branch .LBB62_1202
.LBB62_1198:
	s_mov_b64 s[22:23], -1
                                        ; implicit-def: $vgpr7
	s_branch .LBB62_1203
.LBB62_1199:
	s_andn2_saveexec_b64 s[4:5], s[4:5]
	s_cbranch_execz .LBB62_1180
.LBB62_1200:
	v_cmp_ne_u16_e32 vcc, 0, v5
	s_andn2_b64 s[20:21], s[20:21], exec
	s_and_b64 s[22:23], vcc, exec
	s_or_b64 s[20:21], s[20:21], s[22:23]
	s_or_b64 exec, exec, s[4:5]
	v_mov_b32_e32 v7, 0
	s_and_saveexec_b64 s[4:5], s[20:21]
	s_cbranch_execnz .LBB62_1181
	s_branch .LBB62_1182
.LBB62_1201:
	s_mov_b64 s[0:1], -1
                                        ; implicit-def: $vgpr7
.LBB62_1202:
	s_mov_b64 s[22:23], 0
.LBB62_1203:
	s_and_b64 vcc, exec, s[22:23]
	s_cbranch_vccz .LBB62_1205
; %bb.1204:
	s_cmp_lg_u32 s24, 11
	s_mov_b64 s[4:5], -1
	s_cselect_b64 s[0:1], -1, 0
.LBB62_1205:
	s_and_b64 vcc, exec, s[0:1]
	s_cbranch_vccnz .LBB62_1268
; %bb.1206:
	s_andn2_b64 vcc, exec, s[4:5]
	s_cbranch_vccnz .LBB62_1208
.LBB62_1207:
	global_load_ubyte v5, v[0:1], off
	s_mov_b64 s[20:21], -1
	s_waitcnt vmcnt(0)
	v_cmp_ne_u16_e32 vcc, 0, v5
	v_cndmask_b32_e64 v7, 0, 1, vcc
.LBB62_1208:
	s_branch .LBB62_1139
.LBB62_1209:
	s_cmp_lt_i32 s24, 5
	s_cbranch_scc1 .LBB62_1214
; %bb.1210:
	s_cmp_lt_i32 s24, 8
	s_cbranch_scc1 .LBB62_1215
; %bb.1211:
	;; [unrolled: 3-line block ×3, first 2 shown]
	s_cmp_gt_i32 s24, 9
	s_cbranch_scc0 .LBB62_1217
; %bb.1213:
	global_load_dwordx2 v[5:6], v[0:1], off
	s_mov_b64 s[0:1], 0
	s_waitcnt vmcnt(0)
	v_cvt_i32_f64_e32 v7, v[5:6]
	s_branch .LBB62_1218
.LBB62_1214:
                                        ; implicit-def: $vgpr7
	s_branch .LBB62_1236
.LBB62_1215:
	s_mov_b64 s[0:1], -1
                                        ; implicit-def: $vgpr7
	s_branch .LBB62_1224
.LBB62_1216:
	s_mov_b64 s[0:1], -1
                                        ; implicit-def: $vgpr7
	s_branch .LBB62_1221
.LBB62_1217:
	s_mov_b64 s[0:1], -1
                                        ; implicit-def: $vgpr7
.LBB62_1218:
	s_andn2_b64 vcc, exec, s[0:1]
	s_cbranch_vccnz .LBB62_1220
; %bb.1219:
	global_load_dword v5, v[0:1], off
	s_waitcnt vmcnt(0)
	v_cvt_i32_f32_e32 v7, v5
.LBB62_1220:
	s_mov_b64 s[0:1], 0
.LBB62_1221:
	s_andn2_b64 vcc, exec, s[0:1]
	s_cbranch_vccnz .LBB62_1223
; %bb.1222:
	global_load_dword v5, v[0:1], off
	s_waitcnt vmcnt(0)
	v_cvt_f32_f16_e32 v5, v5
	v_cvt_i32_f32_e32 v7, v5
.LBB62_1223:
	s_mov_b64 s[0:1], 0
.LBB62_1224:
	s_andn2_b64 vcc, exec, s[0:1]
	s_cbranch_vccnz .LBB62_1235
; %bb.1225:
	s_cmp_lt_i32 s24, 6
	s_cbranch_scc1 .LBB62_1228
; %bb.1226:
	s_cmp_gt_i32 s24, 6
	s_cbranch_scc0 .LBB62_1229
; %bb.1227:
	global_load_dwordx2 v[5:6], v[0:1], off
	s_mov_b64 s[0:1], 0
	s_waitcnt vmcnt(0)
	v_cvt_i32_f64_e32 v7, v[5:6]
	s_branch .LBB62_1230
.LBB62_1228:
	s_mov_b64 s[0:1], -1
                                        ; implicit-def: $vgpr7
	s_branch .LBB62_1233
.LBB62_1229:
	s_mov_b64 s[0:1], -1
                                        ; implicit-def: $vgpr7
.LBB62_1230:
	s_andn2_b64 vcc, exec, s[0:1]
	s_cbranch_vccnz .LBB62_1232
; %bb.1231:
	global_load_dword v5, v[0:1], off
	s_waitcnt vmcnt(0)
	v_cvt_i32_f32_e32 v7, v5
.LBB62_1232:
	s_mov_b64 s[0:1], 0
.LBB62_1233:
	s_andn2_b64 vcc, exec, s[0:1]
	s_cbranch_vccnz .LBB62_1235
; %bb.1234:
	global_load_ushort v5, v[0:1], off
	s_waitcnt vmcnt(0)
	v_cvt_f32_f16_e32 v5, v5
	v_cvt_i32_f32_e32 v7, v5
.LBB62_1235:
	s_cbranch_execnz .LBB62_1255
.LBB62_1236:
	s_cmp_lt_i32 s24, 2
	s_cbranch_scc1 .LBB62_1240
; %bb.1237:
	s_cmp_lt_i32 s24, 3
	s_cbranch_scc1 .LBB62_1241
; %bb.1238:
	s_cmp_gt_i32 s24, 3
	s_cbranch_scc0 .LBB62_1242
; %bb.1239:
	global_load_dword v7, v[0:1], off
	s_mov_b64 s[0:1], 0
	s_branch .LBB62_1243
.LBB62_1240:
	s_mov_b64 s[0:1], -1
                                        ; implicit-def: $vgpr7
	s_branch .LBB62_1249
.LBB62_1241:
	s_mov_b64 s[0:1], -1
                                        ; implicit-def: $vgpr7
	s_branch .LBB62_1246
.LBB62_1242:
	s_mov_b64 s[0:1], -1
                                        ; implicit-def: $vgpr7
.LBB62_1243:
	s_andn2_b64 vcc, exec, s[0:1]
	s_cbranch_vccnz .LBB62_1245
; %bb.1244:
	global_load_dword v7, v[0:1], off
.LBB62_1245:
	s_mov_b64 s[0:1], 0
.LBB62_1246:
	s_andn2_b64 vcc, exec, s[0:1]
	s_cbranch_vccnz .LBB62_1248
; %bb.1247:
	global_load_sshort v7, v[0:1], off
.LBB62_1248:
	s_mov_b64 s[0:1], 0
.LBB62_1249:
	s_andn2_b64 vcc, exec, s[0:1]
	s_cbranch_vccnz .LBB62_1255
; %bb.1250:
	s_cmp_gt_i32 s24, 0
	s_cbranch_scc0 .LBB62_1252
; %bb.1251:
	global_load_sbyte v7, v[0:1], off
	s_mov_b64 s[0:1], 0
	s_branch .LBB62_1253
.LBB62_1252:
	s_mov_b64 s[0:1], -1
                                        ; implicit-def: $vgpr7
.LBB62_1253:
	s_andn2_b64 vcc, exec, s[0:1]
	s_cbranch_vccnz .LBB62_1255
; %bb.1254:
	global_load_ubyte v7, v[0:1], off
.LBB62_1255:
.LBB62_1256:
	v_add_u32_e32 v3, s13, v3
	v_ashrrev_i32_e32 v1, 31, v3
	v_mov_b32_e32 v5, s11
	v_add_co_u32_e32 v0, vcc, s10, v3
	s_cmp_lt_i32 s24, 11
	v_addc_co_u32_e32 v1, vcc, v5, v1, vcc
	s_cbranch_scc1 .LBB62_1263
; %bb.1257:
	s_cmp_gt_i32 s24, 25
	s_mov_b64 s[4:5], 0
	s_cbranch_scc0 .LBB62_1265
; %bb.1258:
	s_cmp_gt_i32 s24, 28
	s_cbranch_scc0 .LBB62_1266
; %bb.1259:
	s_cmp_gt_i32 s24, 43
	;; [unrolled: 3-line block ×3, first 2 shown]
	s_cbranch_scc0 .LBB62_1269
; %bb.1261:
	s_cmp_eq_u32 s24, 46
	s_mov_b64 s[22:23], 0
	s_cbranch_scc0 .LBB62_1270
; %bb.1262:
	global_load_dword v5, v[0:1], off
	s_mov_b64 s[0:1], 0
	s_mov_b64 s[20:21], -1
	s_waitcnt vmcnt(0)
	v_lshlrev_b32_e32 v5, 16, v5
	v_cvt_i32_f32_e32 v6, v5
	s_branch .LBB62_1271
.LBB62_1263:
	s_mov_b64 s[20:21], 0
                                        ; implicit-def: $vgpr6
	s_cbranch_execnz .LBB62_1333
.LBB62_1264:
	s_andn2_b64 vcc, exec, s[20:21]
	s_cbranch_vccnz .LBB62_1940
	s_branch .LBB62_1381
.LBB62_1265:
	s_mov_b64 s[22:23], -1
	s_mov_b64 s[20:21], 0
	s_mov_b64 s[0:1], 0
                                        ; implicit-def: $vgpr6
	s_branch .LBB62_1298
.LBB62_1266:
	s_mov_b64 s[22:23], -1
	s_mov_b64 s[20:21], 0
	s_mov_b64 s[0:1], 0
                                        ; implicit-def: $vgpr6
	s_branch .LBB62_1281
.LBB62_1267:
	s_mov_b64 s[22:23], -1
	s_mov_b64 s[20:21], 0
	s_mov_b64 s[0:1], 0
                                        ; implicit-def: $vgpr6
	s_branch .LBB62_1276
.LBB62_1268:
	s_trap 2
	s_or_b64 s[18:19], s[18:19], exec
	s_cbranch_execz .LBB62_1207
	s_branch .LBB62_1208
.LBB62_1269:
	s_mov_b64 s[22:23], -1
	s_mov_b64 s[20:21], 0
	s_mov_b64 s[0:1], 0
                                        ; implicit-def: $vgpr6
	s_branch .LBB62_1271
.LBB62_1270:
	s_mov_b64 s[0:1], -1
                                        ; implicit-def: $vgpr6
	s_mov_b64 s[20:21], 0
.LBB62_1271:
	s_and_b64 vcc, exec, s[22:23]
	s_cbranch_vccz .LBB62_1275
; %bb.1272:
	s_cmp_eq_u32 s24, 44
	s_cbranch_scc0 .LBB62_1274
; %bb.1273:
	global_load_ubyte v5, v[0:1], off
	s_mov_b64 s[0:1], 0
	s_mov_b64 s[20:21], -1
	s_waitcnt vmcnt(0)
	v_lshlrev_b32_e32 v6, 23, v5
	v_cvt_i32_f32_e32 v6, v6
	v_cmp_ne_u32_e32 vcc, 0, v5
	v_cndmask_b32_e32 v6, 0, v6, vcc
	s_branch .LBB62_1275
.LBB62_1274:
	s_mov_b64 s[0:1], -1
                                        ; implicit-def: $vgpr6
.LBB62_1275:
	s_mov_b64 s[22:23], 0
.LBB62_1276:
	s_and_b64 vcc, exec, s[22:23]
	s_cbranch_vccz .LBB62_1280
; %bb.1277:
	s_cmp_eq_u32 s24, 29
	s_cbranch_scc0 .LBB62_1279
; %bb.1278:
	global_load_dword v6, v[0:1], off
	s_mov_b64 s[0:1], 0
	s_mov_b64 s[20:21], -1
	s_branch .LBB62_1280
.LBB62_1279:
	s_mov_b64 s[0:1], -1
                                        ; implicit-def: $vgpr6
.LBB62_1280:
	s_mov_b64 s[22:23], 0
.LBB62_1281:
	s_and_b64 vcc, exec, s[22:23]
	s_cbranch_vccz .LBB62_1297
; %bb.1282:
	s_cmp_lt_i32 s24, 27
	s_cbranch_scc1 .LBB62_1285
; %bb.1283:
	s_cmp_gt_i32 s24, 27
	s_cbranch_scc0 .LBB62_1286
; %bb.1284:
	global_load_dword v6, v[0:1], off
	s_mov_b64 s[20:21], 0
	s_branch .LBB62_1287
.LBB62_1285:
	s_mov_b64 s[20:21], -1
                                        ; implicit-def: $vgpr6
	s_branch .LBB62_1290
.LBB62_1286:
	s_mov_b64 s[20:21], -1
                                        ; implicit-def: $vgpr6
.LBB62_1287:
	s_andn2_b64 vcc, exec, s[20:21]
	s_cbranch_vccnz .LBB62_1289
; %bb.1288:
	global_load_ushort v6, v[0:1], off
.LBB62_1289:
	s_mov_b64 s[20:21], 0
.LBB62_1290:
	s_andn2_b64 vcc, exec, s[20:21]
	s_cbranch_vccnz .LBB62_1296
; %bb.1291:
	global_load_ubyte v5, v[0:1], off
	s_movk_i32 s20, 0x7f
	s_mov_b64 s[22:23], 0
	s_waitcnt vmcnt(0)
	v_cmp_lt_i16_e32 vcc, s20, v5
	s_and_saveexec_b64 s[20:21], vcc
	s_xor_b64 s[20:21], exec, s[20:21]
	s_cbranch_execz .LBB62_1308
; %bb.1292:
	s_movk_i32 s22, 0x80
	v_cmp_ne_u16_e32 vcc, s22, v5
	s_and_b64 s[22:23], vcc, exec
	s_andn2_saveexec_b64 s[20:21], s[20:21]
	s_cbranch_execnz .LBB62_1309
.LBB62_1293:
	s_or_b64 exec, exec, s[20:21]
	v_mov_b32_e32 v6, 0
	s_and_saveexec_b64 s[20:21], s[22:23]
	s_cbranch_execz .LBB62_1295
.LBB62_1294:
	v_lshlrev_b32_e32 v6, 24, v5
	v_and_b32_e32 v5, 0xffff, v5
	v_and_b32_e32 v8, 7, v5
	v_ffbh_u32_e32 v10, v8
	v_min_u32_e32 v10, 32, v10
	v_subrev_u32_e32 v11, 28, v10
	v_bfe_u32 v9, v5, 3, 4
	v_lshlrev_b32_e32 v5, v11, v5
	v_sub_u32_e32 v10, 29, v10
	v_and_b32_e32 v5, 7, v5
	v_cmp_eq_u32_e32 vcc, 0, v9
	v_cndmask_b32_e32 v9, v9, v10, vcc
	v_cndmask_b32_e32 v5, v8, v5, vcc
	v_mov_b32_e32 v8, 0x3b800000
	v_lshlrev_b32_e32 v5, 20, v5
	v_and_b32_e32 v6, 0x80000000, v6
	v_lshl_add_u32 v8, v9, 23, v8
	v_or3_b32 v5, v6, v8, v5
	v_cvt_i32_f32_e32 v6, v5
.LBB62_1295:
	s_or_b64 exec, exec, s[20:21]
.LBB62_1296:
	s_mov_b64 s[20:21], -1
.LBB62_1297:
	s_mov_b64 s[22:23], 0
.LBB62_1298:
	s_and_b64 vcc, exec, s[22:23]
	s_cbranch_vccz .LBB62_1329
; %bb.1299:
	s_cmp_gt_i32 s24, 22
	s_cbranch_scc0 .LBB62_1307
; %bb.1300:
	s_cmp_lt_i32 s24, 24
	s_cbranch_scc1 .LBB62_1310
; %bb.1301:
	s_cmp_gt_i32 s24, 24
	s_cbranch_scc0 .LBB62_1311
; %bb.1302:
	global_load_ubyte v5, v[0:1], off
	s_movk_i32 s4, 0x7f
	s_mov_b64 s[20:21], 0
	s_waitcnt vmcnt(0)
	v_cmp_lt_i16_e32 vcc, s4, v5
	s_and_saveexec_b64 s[4:5], vcc
	s_xor_b64 s[4:5], exec, s[4:5]
	s_cbranch_execz .LBB62_1323
; %bb.1303:
	s_movk_i32 s20, 0x80
	v_cmp_ne_u16_e32 vcc, s20, v5
	s_and_b64 s[20:21], vcc, exec
	s_andn2_saveexec_b64 s[4:5], s[4:5]
	s_cbranch_execnz .LBB62_1324
.LBB62_1304:
	s_or_b64 exec, exec, s[4:5]
	v_mov_b32_e32 v6, 0
	s_and_saveexec_b64 s[4:5], s[20:21]
	s_cbranch_execz .LBB62_1306
.LBB62_1305:
	v_lshlrev_b32_e32 v6, 24, v5
	v_and_b32_e32 v5, 0xffff, v5
	v_and_b32_e32 v8, 3, v5
	v_ffbh_u32_e32 v10, v8
	v_min_u32_e32 v10, 32, v10
	v_subrev_u32_e32 v11, 29, v10
	v_bfe_u32 v9, v5, 2, 5
	v_lshlrev_b32_e32 v5, v11, v5
	v_sub_u32_e32 v10, 30, v10
	v_and_b32_e32 v5, 3, v5
	v_cmp_eq_u32_e32 vcc, 0, v9
	v_cndmask_b32_e32 v9, v9, v10, vcc
	v_cndmask_b32_e32 v5, v8, v5, vcc
	v_mov_b32_e32 v8, 0x37800000
	v_lshlrev_b32_e32 v5, 21, v5
	v_and_b32_e32 v6, 0x80000000, v6
	v_lshl_add_u32 v8, v9, 23, v8
	v_or3_b32 v5, v6, v8, v5
	v_cvt_i32_f32_e32 v6, v5
.LBB62_1306:
	s_or_b64 exec, exec, s[4:5]
	s_mov_b64 s[4:5], 0
	s_branch .LBB62_1312
.LBB62_1307:
	s_mov_b64 s[4:5], -1
                                        ; implicit-def: $vgpr6
	s_branch .LBB62_1318
.LBB62_1308:
	s_andn2_saveexec_b64 s[20:21], s[20:21]
	s_cbranch_execz .LBB62_1293
.LBB62_1309:
	v_cmp_ne_u16_e32 vcc, 0, v5
	s_andn2_b64 s[22:23], s[22:23], exec
	s_and_b64 s[26:27], vcc, exec
	s_or_b64 s[22:23], s[22:23], s[26:27]
	s_or_b64 exec, exec, s[20:21]
	v_mov_b32_e32 v6, 0
	s_and_saveexec_b64 s[20:21], s[22:23]
	s_cbranch_execnz .LBB62_1294
	s_branch .LBB62_1295
.LBB62_1310:
	s_mov_b64 s[4:5], -1
                                        ; implicit-def: $vgpr6
	s_branch .LBB62_1315
.LBB62_1311:
	s_mov_b64 s[4:5], -1
                                        ; implicit-def: $vgpr6
.LBB62_1312:
	s_and_b64 vcc, exec, s[4:5]
	s_cbranch_vccz .LBB62_1314
; %bb.1313:
	global_load_ubyte v5, v[0:1], off
	s_mov_b32 s4, 0x7f800000
	s_waitcnt vmcnt(0)
	v_lshlrev_b32_e32 v5, 24, v5
	v_and_b32_e32 v6, 0x7f000000, v5
	v_ffbh_u32_e32 v8, v6
	v_min_u32_e32 v8, 32, v8
	v_sub_u32_e64 v8, v8, 4 clamp
	v_lshlrev_b32_e32 v10, v8, v6
	v_lshlrev_b32_e32 v8, 23, v8
	v_lshrrev_b32_e32 v10, 4, v10
	v_add_u32_e32 v9, 0x1000000, v6
	v_sub_u32_e32 v8, v10, v8
	v_ashrrev_i32_e32 v9, 8, v9
	v_add_u32_e32 v8, 0x3c000000, v8
	v_and_or_b32 v8, v9, s4, v8
	v_cmp_ne_u32_e32 vcc, 0, v6
	v_cndmask_b32_e32 v6, 0, v8, vcc
	s_brev_b32 s4, 1
	v_and_or_b32 v5, v5, s4, v6
	v_cvt_i32_f32_e32 v6, v5
.LBB62_1314:
	s_mov_b64 s[4:5], 0
.LBB62_1315:
	s_andn2_b64 vcc, exec, s[4:5]
	s_cbranch_vccnz .LBB62_1317
; %bb.1316:
	global_load_ubyte v5, v[0:1], off
	s_movk_i32 s4, 0x7f00
	s_brev_b32 s5, 16
	s_waitcnt vmcnt(0)
	v_lshlrev_b16_e32 v6, 8, v5
	v_lshlrev_b32_e32 v5, 25, v5
	v_lshrrev_b32_e32 v8, 4, v5
	v_and_or_b32 v9, v6, s4, 0.5
	v_or_b32_e32 v8, 0x70000000, v8
	v_add_f32_e32 v9, -0.5, v9
	v_mul_f32_e32 v8, 0x7800000, v8
	v_cmp_gt_u32_e32 vcc, s5, v5
	v_bfe_i32 v6, v6, 0, 16
	v_cndmask_b32_e32 v5, v8, v9, vcc
	s_brev_b32 s4, 1
	v_and_or_b32 v5, v6, s4, v5
	v_cvt_i32_f32_e32 v6, v5
.LBB62_1317:
	s_mov_b64 s[4:5], 0
	s_mov_b64 s[20:21], -1
.LBB62_1318:
	s_andn2_b64 vcc, exec, s[4:5]
	s_mov_b64 s[4:5], 0
	s_cbranch_vccnz .LBB62_1329
; %bb.1319:
	s_cmp_gt_i32 s24, 14
	s_cbranch_scc0 .LBB62_1322
; %bb.1320:
	s_cmp_eq_u32 s24, 15
	s_cbranch_scc0 .LBB62_1325
; %bb.1321:
	global_load_ushort v5, v[0:1], off
	s_mov_b64 s[0:1], 0
	s_mov_b64 s[20:21], -1
	s_waitcnt vmcnt(0)
	v_lshlrev_b32_e32 v5, 16, v5
	v_cvt_i32_f32_e32 v6, v5
	s_branch .LBB62_1326
.LBB62_1322:
	s_mov_b64 s[22:23], -1
                                        ; implicit-def: $vgpr6
	s_branch .LBB62_1327
.LBB62_1323:
	s_andn2_saveexec_b64 s[4:5], s[4:5]
	s_cbranch_execz .LBB62_1304
.LBB62_1324:
	v_cmp_ne_u16_e32 vcc, 0, v5
	s_andn2_b64 s[20:21], s[20:21], exec
	s_and_b64 s[22:23], vcc, exec
	s_or_b64 s[20:21], s[20:21], s[22:23]
	s_or_b64 exec, exec, s[4:5]
	v_mov_b32_e32 v6, 0
	s_and_saveexec_b64 s[4:5], s[20:21]
	s_cbranch_execnz .LBB62_1305
	s_branch .LBB62_1306
.LBB62_1325:
	s_mov_b64 s[0:1], -1
                                        ; implicit-def: $vgpr6
.LBB62_1326:
	s_mov_b64 s[22:23], 0
.LBB62_1327:
	s_and_b64 vcc, exec, s[22:23]
	s_cbranch_vccz .LBB62_1329
; %bb.1328:
	s_cmp_lg_u32 s24, 11
	s_mov_b64 s[4:5], -1
	s_cselect_b64 s[0:1], -1, 0
.LBB62_1329:
	s_and_b64 vcc, exec, s[0:1]
	s_cbranch_vccnz .LBB62_1392
; %bb.1330:
	s_andn2_b64 vcc, exec, s[4:5]
	s_cbranch_vccnz .LBB62_1332
.LBB62_1331:
	global_load_ubyte v5, v[0:1], off
	s_mov_b64 s[20:21], -1
	s_waitcnt vmcnt(0)
	v_cmp_ne_u16_e32 vcc, 0, v5
	v_cndmask_b32_e64 v6, 0, 1, vcc
.LBB62_1332:
	s_branch .LBB62_1264
.LBB62_1333:
	s_cmp_lt_i32 s24, 5
	s_cbranch_scc1 .LBB62_1338
; %bb.1334:
	s_cmp_lt_i32 s24, 8
	s_cbranch_scc1 .LBB62_1339
; %bb.1335:
	;; [unrolled: 3-line block ×3, first 2 shown]
	s_cmp_gt_i32 s24, 9
	s_cbranch_scc0 .LBB62_1341
; %bb.1337:
	global_load_dwordx2 v[5:6], v[0:1], off
	s_mov_b64 s[0:1], 0
	s_waitcnt vmcnt(0)
	v_cvt_i32_f64_e32 v6, v[5:6]
	s_branch .LBB62_1342
.LBB62_1338:
	s_mov_b64 s[0:1], -1
                                        ; implicit-def: $vgpr6
	s_branch .LBB62_1360
.LBB62_1339:
	s_mov_b64 s[0:1], -1
                                        ; implicit-def: $vgpr6
	s_branch .LBB62_1348
.LBB62_1340:
	s_mov_b64 s[0:1], -1
                                        ; implicit-def: $vgpr6
	s_branch .LBB62_1345
.LBB62_1341:
	s_mov_b64 s[0:1], -1
                                        ; implicit-def: $vgpr6
.LBB62_1342:
	s_andn2_b64 vcc, exec, s[0:1]
	s_cbranch_vccnz .LBB62_1344
; %bb.1343:
	global_load_dword v5, v[0:1], off
	s_waitcnt vmcnt(0)
	v_cvt_i32_f32_e32 v6, v5
.LBB62_1344:
	s_mov_b64 s[0:1], 0
.LBB62_1345:
	s_andn2_b64 vcc, exec, s[0:1]
	s_cbranch_vccnz .LBB62_1347
; %bb.1346:
	global_load_dword v5, v[0:1], off
	s_waitcnt vmcnt(0)
	v_cvt_f32_f16_e32 v5, v5
	v_cvt_i32_f32_e32 v6, v5
.LBB62_1347:
	s_mov_b64 s[0:1], 0
.LBB62_1348:
	s_andn2_b64 vcc, exec, s[0:1]
	s_cbranch_vccnz .LBB62_1359
; %bb.1349:
	s_cmp_lt_i32 s24, 6
	s_cbranch_scc1 .LBB62_1352
; %bb.1350:
	s_cmp_gt_i32 s24, 6
	s_cbranch_scc0 .LBB62_1353
; %bb.1351:
	global_load_dwordx2 v[5:6], v[0:1], off
	s_mov_b64 s[0:1], 0
	s_waitcnt vmcnt(0)
	v_cvt_i32_f64_e32 v6, v[5:6]
	s_branch .LBB62_1354
.LBB62_1352:
	s_mov_b64 s[0:1], -1
                                        ; implicit-def: $vgpr6
	s_branch .LBB62_1357
.LBB62_1353:
	s_mov_b64 s[0:1], -1
                                        ; implicit-def: $vgpr6
.LBB62_1354:
	s_andn2_b64 vcc, exec, s[0:1]
	s_cbranch_vccnz .LBB62_1356
; %bb.1355:
	global_load_dword v5, v[0:1], off
	s_waitcnt vmcnt(0)
	v_cvt_i32_f32_e32 v6, v5
.LBB62_1356:
	s_mov_b64 s[0:1], 0
.LBB62_1357:
	s_andn2_b64 vcc, exec, s[0:1]
	s_cbranch_vccnz .LBB62_1359
; %bb.1358:
	global_load_ushort v5, v[0:1], off
	s_waitcnt vmcnt(0)
	v_cvt_f32_f16_e32 v5, v5
	v_cvt_i32_f32_e32 v6, v5
.LBB62_1359:
	s_mov_b64 s[0:1], 0
.LBB62_1360:
	s_andn2_b64 vcc, exec, s[0:1]
	s_cbranch_vccnz .LBB62_1380
; %bb.1361:
	s_cmp_lt_i32 s24, 2
	s_cbranch_scc1 .LBB62_1365
; %bb.1362:
	s_cmp_lt_i32 s24, 3
	s_cbranch_scc1 .LBB62_1366
; %bb.1363:
	s_cmp_gt_i32 s24, 3
	s_cbranch_scc0 .LBB62_1367
; %bb.1364:
	global_load_dword v6, v[0:1], off
	s_mov_b64 s[0:1], 0
	s_branch .LBB62_1368
.LBB62_1365:
	s_mov_b64 s[0:1], -1
                                        ; implicit-def: $vgpr6
	s_branch .LBB62_1374
.LBB62_1366:
	s_mov_b64 s[0:1], -1
                                        ; implicit-def: $vgpr6
	s_branch .LBB62_1371
.LBB62_1367:
	s_mov_b64 s[0:1], -1
                                        ; implicit-def: $vgpr6
.LBB62_1368:
	s_andn2_b64 vcc, exec, s[0:1]
	s_cbranch_vccnz .LBB62_1370
; %bb.1369:
	global_load_dword v6, v[0:1], off
.LBB62_1370:
	s_mov_b64 s[0:1], 0
.LBB62_1371:
	s_andn2_b64 vcc, exec, s[0:1]
	s_cbranch_vccnz .LBB62_1373
; %bb.1372:
	global_load_sshort v6, v[0:1], off
.LBB62_1373:
	s_mov_b64 s[0:1], 0
.LBB62_1374:
	s_andn2_b64 vcc, exec, s[0:1]
	s_cbranch_vccnz .LBB62_1380
; %bb.1375:
	s_cmp_gt_i32 s24, 0
	s_cbranch_scc0 .LBB62_1377
; %bb.1376:
	global_load_sbyte v6, v[0:1], off
	s_mov_b64 s[0:1], 0
	s_branch .LBB62_1378
.LBB62_1377:
	s_mov_b64 s[0:1], -1
                                        ; implicit-def: $vgpr6
.LBB62_1378:
	s_andn2_b64 vcc, exec, s[0:1]
	s_cbranch_vccnz .LBB62_1380
; %bb.1379:
	global_load_ubyte v6, v[0:1], off
.LBB62_1380:
.LBB62_1381:
	v_add_u32_e32 v0, s13, v3
	v_ashrrev_i32_e32 v1, 31, v0
	v_mov_b32_e32 v3, s11
	v_add_co_u32_e32 v0, vcc, s10, v0
	s_cmp_lt_i32 s24, 11
	v_addc_co_u32_e32 v1, vcc, v3, v1, vcc
	s_cbranch_scc1 .LBB62_1388
; %bb.1382:
	s_cmp_gt_i32 s24, 25
	s_mov_b64 s[4:5], 0
	s_cbranch_scc0 .LBB62_1389
; %bb.1383:
	s_cmp_gt_i32 s24, 28
	s_cbranch_scc0 .LBB62_1390
; %bb.1384:
	s_cmp_gt_i32 s24, 43
	;; [unrolled: 3-line block ×3, first 2 shown]
	s_cbranch_scc0 .LBB62_1393
; %bb.1386:
	s_cmp_eq_u32 s24, 46
	s_mov_b64 s[20:21], 0
	s_cbranch_scc0 .LBB62_1394
; %bb.1387:
	global_load_dword v3, v[0:1], off
	s_mov_b64 s[0:1], 0
	s_mov_b64 s[10:11], -1
	s_waitcnt vmcnt(0)
	v_lshlrev_b32_e32 v3, 16, v3
	v_cvt_i32_f32_e32 v5, v3
	s_branch .LBB62_1395
.LBB62_1388:
	s_mov_b64 s[0:1], -1
	s_mov_b64 s[10:11], 0
                                        ; implicit-def: $vgpr5
	s_branch .LBB62_1457
.LBB62_1389:
	s_mov_b64 s[20:21], -1
	s_mov_b64 s[10:11], 0
	s_mov_b64 s[0:1], 0
                                        ; implicit-def: $vgpr5
	s_branch .LBB62_1422
.LBB62_1390:
	s_mov_b64 s[20:21], -1
	s_mov_b64 s[10:11], 0
	s_mov_b64 s[0:1], 0
                                        ; implicit-def: $vgpr5
	s_branch .LBB62_1405
.LBB62_1391:
	s_mov_b64 s[20:21], -1
	s_mov_b64 s[10:11], 0
	s_mov_b64 s[0:1], 0
                                        ; implicit-def: $vgpr5
	s_branch .LBB62_1400
.LBB62_1392:
	s_trap 2
	s_or_b64 s[18:19], s[18:19], exec
	s_cbranch_execz .LBB62_1331
	s_branch .LBB62_1332
.LBB62_1393:
	s_mov_b64 s[20:21], -1
	s_mov_b64 s[10:11], 0
	s_mov_b64 s[0:1], 0
                                        ; implicit-def: $vgpr5
	s_branch .LBB62_1395
.LBB62_1394:
	s_mov_b64 s[0:1], -1
                                        ; implicit-def: $vgpr5
	s_mov_b64 s[10:11], 0
.LBB62_1395:
	s_and_b64 vcc, exec, s[20:21]
	s_cbranch_vccz .LBB62_1399
; %bb.1396:
	s_cmp_eq_u32 s24, 44
	s_cbranch_scc0 .LBB62_1398
; %bb.1397:
	global_load_ubyte v3, v[0:1], off
	s_mov_b64 s[0:1], 0
	s_mov_b64 s[10:11], -1
	s_waitcnt vmcnt(0)
	v_lshlrev_b32_e32 v5, 23, v3
	v_cvt_i32_f32_e32 v5, v5
	v_cmp_ne_u32_e32 vcc, 0, v3
	v_cndmask_b32_e32 v5, 0, v5, vcc
	s_branch .LBB62_1399
.LBB62_1398:
	s_mov_b64 s[0:1], -1
                                        ; implicit-def: $vgpr5
.LBB62_1399:
	s_mov_b64 s[20:21], 0
.LBB62_1400:
	s_and_b64 vcc, exec, s[20:21]
	s_cbranch_vccz .LBB62_1404
; %bb.1401:
	s_cmp_eq_u32 s24, 29
	s_cbranch_scc0 .LBB62_1403
; %bb.1402:
	global_load_dword v5, v[0:1], off
	s_mov_b64 s[0:1], 0
	s_mov_b64 s[10:11], -1
	s_branch .LBB62_1404
.LBB62_1403:
	s_mov_b64 s[0:1], -1
                                        ; implicit-def: $vgpr5
.LBB62_1404:
	s_mov_b64 s[20:21], 0
.LBB62_1405:
	s_and_b64 vcc, exec, s[20:21]
	s_cbranch_vccz .LBB62_1421
; %bb.1406:
	s_cmp_lt_i32 s24, 27
	s_cbranch_scc1 .LBB62_1409
; %bb.1407:
	s_cmp_gt_i32 s24, 27
	s_cbranch_scc0 .LBB62_1410
; %bb.1408:
	global_load_dword v5, v[0:1], off
	s_mov_b64 s[10:11], 0
	s_branch .LBB62_1411
.LBB62_1409:
	s_mov_b64 s[10:11], -1
                                        ; implicit-def: $vgpr5
	s_branch .LBB62_1414
.LBB62_1410:
	s_mov_b64 s[10:11], -1
                                        ; implicit-def: $vgpr5
.LBB62_1411:
	s_andn2_b64 vcc, exec, s[10:11]
	s_cbranch_vccnz .LBB62_1413
; %bb.1412:
	global_load_ushort v5, v[0:1], off
.LBB62_1413:
	s_mov_b64 s[10:11], 0
.LBB62_1414:
	s_andn2_b64 vcc, exec, s[10:11]
	s_cbranch_vccnz .LBB62_1420
; %bb.1415:
	global_load_ubyte v3, v[0:1], off
	s_movk_i32 s10, 0x7f
	s_mov_b64 s[20:21], 0
	s_waitcnt vmcnt(0)
	v_cmp_lt_i16_e32 vcc, s10, v3
	s_and_saveexec_b64 s[10:11], vcc
	s_xor_b64 s[10:11], exec, s[10:11]
	s_cbranch_execz .LBB62_1432
; %bb.1416:
	s_movk_i32 s13, 0x80
	v_cmp_ne_u16_e32 vcc, s13, v3
	s_and_b64 s[20:21], vcc, exec
	s_andn2_saveexec_b64 s[10:11], s[10:11]
	s_cbranch_execnz .LBB62_1433
.LBB62_1417:
	s_or_b64 exec, exec, s[10:11]
	v_mov_b32_e32 v5, 0
	s_and_saveexec_b64 s[10:11], s[20:21]
	s_cbranch_execz .LBB62_1419
.LBB62_1418:
	v_lshlrev_b32_e32 v5, 24, v3
	v_and_b32_e32 v3, 0xffff, v3
	v_and_b32_e32 v8, 7, v3
	v_ffbh_u32_e32 v10, v8
	v_min_u32_e32 v10, 32, v10
	v_subrev_u32_e32 v11, 28, v10
	v_bfe_u32 v9, v3, 3, 4
	v_lshlrev_b32_e32 v3, v11, v3
	v_sub_u32_e32 v10, 29, v10
	v_and_b32_e32 v3, 7, v3
	v_cmp_eq_u32_e32 vcc, 0, v9
	v_cndmask_b32_e32 v9, v9, v10, vcc
	v_cndmask_b32_e32 v3, v8, v3, vcc
	v_mov_b32_e32 v8, 0x3b800000
	v_lshlrev_b32_e32 v3, 20, v3
	v_and_b32_e32 v5, 0x80000000, v5
	v_lshl_add_u32 v8, v9, 23, v8
	v_or3_b32 v3, v5, v8, v3
	v_cvt_i32_f32_e32 v5, v3
.LBB62_1419:
	s_or_b64 exec, exec, s[10:11]
.LBB62_1420:
	s_mov_b64 s[10:11], -1
.LBB62_1421:
	s_mov_b64 s[20:21], 0
.LBB62_1422:
	s_and_b64 vcc, exec, s[20:21]
	s_cbranch_vccz .LBB62_1453
; %bb.1423:
	s_cmp_gt_i32 s24, 22
	s_cbranch_scc0 .LBB62_1431
; %bb.1424:
	s_cmp_lt_i32 s24, 24
	s_cbranch_scc1 .LBB62_1434
; %bb.1425:
	s_cmp_gt_i32 s24, 24
	s_cbranch_scc0 .LBB62_1435
; %bb.1426:
	global_load_ubyte v3, v[0:1], off
	s_movk_i32 s4, 0x7f
	s_mov_b64 s[10:11], 0
	s_waitcnt vmcnt(0)
	v_cmp_lt_i16_e32 vcc, s4, v3
	s_and_saveexec_b64 s[4:5], vcc
	s_xor_b64 s[4:5], exec, s[4:5]
	s_cbranch_execz .LBB62_1447
; %bb.1427:
	s_movk_i32 s10, 0x80
	v_cmp_ne_u16_e32 vcc, s10, v3
	s_and_b64 s[10:11], vcc, exec
	s_andn2_saveexec_b64 s[4:5], s[4:5]
	s_cbranch_execnz .LBB62_1448
.LBB62_1428:
	s_or_b64 exec, exec, s[4:5]
	v_mov_b32_e32 v5, 0
	s_and_saveexec_b64 s[4:5], s[10:11]
	s_cbranch_execz .LBB62_1430
.LBB62_1429:
	v_lshlrev_b32_e32 v5, 24, v3
	v_and_b32_e32 v3, 0xffff, v3
	v_and_b32_e32 v8, 3, v3
	v_ffbh_u32_e32 v10, v8
	v_min_u32_e32 v10, 32, v10
	v_subrev_u32_e32 v11, 29, v10
	v_bfe_u32 v9, v3, 2, 5
	v_lshlrev_b32_e32 v3, v11, v3
	v_sub_u32_e32 v10, 30, v10
	v_and_b32_e32 v3, 3, v3
	v_cmp_eq_u32_e32 vcc, 0, v9
	v_cndmask_b32_e32 v9, v9, v10, vcc
	v_cndmask_b32_e32 v3, v8, v3, vcc
	v_mov_b32_e32 v8, 0x37800000
	v_lshlrev_b32_e32 v3, 21, v3
	v_and_b32_e32 v5, 0x80000000, v5
	v_lshl_add_u32 v8, v9, 23, v8
	v_or3_b32 v3, v5, v8, v3
	v_cvt_i32_f32_e32 v5, v3
.LBB62_1430:
	s_or_b64 exec, exec, s[4:5]
	s_mov_b64 s[4:5], 0
	s_branch .LBB62_1436
.LBB62_1431:
	s_mov_b64 s[4:5], -1
                                        ; implicit-def: $vgpr5
	s_branch .LBB62_1442
.LBB62_1432:
	s_andn2_saveexec_b64 s[10:11], s[10:11]
	s_cbranch_execz .LBB62_1417
.LBB62_1433:
	v_cmp_ne_u16_e32 vcc, 0, v3
	s_andn2_b64 s[20:21], s[20:21], exec
	s_and_b64 s[22:23], vcc, exec
	s_or_b64 s[20:21], s[20:21], s[22:23]
	s_or_b64 exec, exec, s[10:11]
	v_mov_b32_e32 v5, 0
	s_and_saveexec_b64 s[10:11], s[20:21]
	s_cbranch_execnz .LBB62_1418
	s_branch .LBB62_1419
.LBB62_1434:
	s_mov_b64 s[4:5], -1
                                        ; implicit-def: $vgpr5
	s_branch .LBB62_1439
.LBB62_1435:
	s_mov_b64 s[4:5], -1
                                        ; implicit-def: $vgpr5
.LBB62_1436:
	s_and_b64 vcc, exec, s[4:5]
	s_cbranch_vccz .LBB62_1438
; %bb.1437:
	global_load_ubyte v3, v[0:1], off
	s_mov_b32 s4, 0x7f800000
	s_waitcnt vmcnt(0)
	v_lshlrev_b32_e32 v3, 24, v3
	v_and_b32_e32 v5, 0x7f000000, v3
	v_ffbh_u32_e32 v8, v5
	v_min_u32_e32 v8, 32, v8
	v_sub_u32_e64 v8, v8, 4 clamp
	v_lshlrev_b32_e32 v10, v8, v5
	v_lshlrev_b32_e32 v8, 23, v8
	v_lshrrev_b32_e32 v10, 4, v10
	v_add_u32_e32 v9, 0x1000000, v5
	v_sub_u32_e32 v8, v10, v8
	v_ashrrev_i32_e32 v9, 8, v9
	v_add_u32_e32 v8, 0x3c000000, v8
	v_and_or_b32 v8, v9, s4, v8
	v_cmp_ne_u32_e32 vcc, 0, v5
	v_cndmask_b32_e32 v5, 0, v8, vcc
	s_brev_b32 s4, 1
	v_and_or_b32 v3, v3, s4, v5
	v_cvt_i32_f32_e32 v5, v3
.LBB62_1438:
	s_mov_b64 s[4:5], 0
.LBB62_1439:
	s_andn2_b64 vcc, exec, s[4:5]
	s_cbranch_vccnz .LBB62_1441
; %bb.1440:
	global_load_ubyte v3, v[0:1], off
	s_movk_i32 s4, 0x7f00
	s_brev_b32 s5, 16
	s_waitcnt vmcnt(0)
	v_lshlrev_b16_e32 v5, 8, v3
	v_lshlrev_b32_e32 v3, 25, v3
	v_lshrrev_b32_e32 v8, 4, v3
	v_and_or_b32 v9, v5, s4, 0.5
	v_or_b32_e32 v8, 0x70000000, v8
	v_add_f32_e32 v9, -0.5, v9
	v_mul_f32_e32 v8, 0x7800000, v8
	v_cmp_gt_u32_e32 vcc, s5, v3
	v_bfe_i32 v5, v5, 0, 16
	v_cndmask_b32_e32 v3, v8, v9, vcc
	s_brev_b32 s4, 1
	v_and_or_b32 v3, v5, s4, v3
	v_cvt_i32_f32_e32 v5, v3
.LBB62_1441:
	s_mov_b64 s[4:5], 0
	s_mov_b64 s[10:11], -1
.LBB62_1442:
	s_andn2_b64 vcc, exec, s[4:5]
	s_mov_b64 s[4:5], 0
	s_cbranch_vccnz .LBB62_1453
; %bb.1443:
	s_cmp_gt_i32 s24, 14
	s_cbranch_scc0 .LBB62_1446
; %bb.1444:
	s_cmp_eq_u32 s24, 15
	s_cbranch_scc0 .LBB62_1449
; %bb.1445:
	global_load_ushort v3, v[0:1], off
	s_mov_b64 s[0:1], 0
	s_mov_b64 s[10:11], -1
	s_waitcnt vmcnt(0)
	v_lshlrev_b32_e32 v3, 16, v3
	v_cvt_i32_f32_e32 v5, v3
	s_branch .LBB62_1450
.LBB62_1446:
	s_mov_b64 s[20:21], -1
                                        ; implicit-def: $vgpr5
	s_branch .LBB62_1451
.LBB62_1447:
	s_andn2_saveexec_b64 s[4:5], s[4:5]
	s_cbranch_execz .LBB62_1428
.LBB62_1448:
	v_cmp_ne_u16_e32 vcc, 0, v3
	s_andn2_b64 s[10:11], s[10:11], exec
	s_and_b64 s[20:21], vcc, exec
	s_or_b64 s[10:11], s[10:11], s[20:21]
	s_or_b64 exec, exec, s[4:5]
	v_mov_b32_e32 v5, 0
	s_and_saveexec_b64 s[4:5], s[10:11]
	s_cbranch_execnz .LBB62_1429
	s_branch .LBB62_1430
.LBB62_1449:
	s_mov_b64 s[0:1], -1
                                        ; implicit-def: $vgpr5
.LBB62_1450:
	s_mov_b64 s[20:21], 0
.LBB62_1451:
	s_and_b64 vcc, exec, s[20:21]
	s_cbranch_vccz .LBB62_1453
; %bb.1452:
	s_cmp_lg_u32 s24, 11
	s_mov_b64 s[4:5], -1
	s_cselect_b64 s[0:1], -1, 0
.LBB62_1453:
	s_and_b64 vcc, exec, s[0:1]
	s_cbranch_vccnz .LBB62_1986
; %bb.1454:
	s_andn2_b64 vcc, exec, s[4:5]
	s_cbranch_vccnz .LBB62_1456
.LBB62_1455:
	global_load_ubyte v3, v[0:1], off
	s_mov_b64 s[10:11], -1
	s_waitcnt vmcnt(0)
	v_cmp_ne_u16_e32 vcc, 0, v3
	v_cndmask_b32_e64 v5, 0, 1, vcc
.LBB62_1456:
	s_mov_b64 s[0:1], 0
.LBB62_1457:
	s_and_b64 vcc, exec, s[0:1]
	s_cbranch_vccz .LBB62_1506
; %bb.1458:
	s_cmp_lt_i32 s24, 5
	s_cbranch_scc1 .LBB62_1463
; %bb.1459:
	s_cmp_lt_i32 s24, 8
	s_cbranch_scc1 .LBB62_1464
	;; [unrolled: 3-line block ×3, first 2 shown]
; %bb.1461:
	s_cmp_gt_i32 s24, 9
	s_cbranch_scc0 .LBB62_1466
; %bb.1462:
	global_load_dwordx2 v[8:9], v[0:1], off
	s_mov_b64 s[0:1], 0
	s_waitcnt vmcnt(0)
	v_cvt_i32_f64_e32 v5, v[8:9]
	s_branch .LBB62_1467
.LBB62_1463:
	s_mov_b64 s[0:1], -1
                                        ; implicit-def: $vgpr5
	s_branch .LBB62_1485
.LBB62_1464:
	s_mov_b64 s[0:1], -1
                                        ; implicit-def: $vgpr5
	s_branch .LBB62_1473
.LBB62_1465:
	s_mov_b64 s[0:1], -1
                                        ; implicit-def: $vgpr5
	s_branch .LBB62_1470
.LBB62_1466:
	s_mov_b64 s[0:1], -1
                                        ; implicit-def: $vgpr5
.LBB62_1467:
	s_andn2_b64 vcc, exec, s[0:1]
	s_cbranch_vccnz .LBB62_1469
; %bb.1468:
	global_load_dword v3, v[0:1], off
	s_waitcnt vmcnt(0)
	v_cvt_i32_f32_e32 v5, v3
.LBB62_1469:
	s_mov_b64 s[0:1], 0
.LBB62_1470:
	s_andn2_b64 vcc, exec, s[0:1]
	s_cbranch_vccnz .LBB62_1472
; %bb.1471:
	global_load_dword v3, v[0:1], off
	s_waitcnt vmcnt(0)
	v_cvt_f32_f16_e32 v3, v3
	v_cvt_i32_f32_e32 v5, v3
.LBB62_1472:
	s_mov_b64 s[0:1], 0
.LBB62_1473:
	s_andn2_b64 vcc, exec, s[0:1]
	s_cbranch_vccnz .LBB62_1484
; %bb.1474:
	s_cmp_lt_i32 s24, 6
	s_cbranch_scc1 .LBB62_1477
; %bb.1475:
	s_cmp_gt_i32 s24, 6
	s_cbranch_scc0 .LBB62_1478
; %bb.1476:
	global_load_dwordx2 v[8:9], v[0:1], off
	s_mov_b64 s[0:1], 0
	s_waitcnt vmcnt(0)
	v_cvt_i32_f64_e32 v5, v[8:9]
	s_branch .LBB62_1479
.LBB62_1477:
	s_mov_b64 s[0:1], -1
                                        ; implicit-def: $vgpr5
	s_branch .LBB62_1482
.LBB62_1478:
	s_mov_b64 s[0:1], -1
                                        ; implicit-def: $vgpr5
.LBB62_1479:
	s_andn2_b64 vcc, exec, s[0:1]
	s_cbranch_vccnz .LBB62_1481
; %bb.1480:
	global_load_dword v3, v[0:1], off
	s_waitcnt vmcnt(0)
	v_cvt_i32_f32_e32 v5, v3
.LBB62_1481:
	s_mov_b64 s[0:1], 0
.LBB62_1482:
	s_andn2_b64 vcc, exec, s[0:1]
	s_cbranch_vccnz .LBB62_1484
; %bb.1483:
	global_load_ushort v3, v[0:1], off
	s_waitcnt vmcnt(0)
	v_cvt_f32_f16_e32 v3, v3
	v_cvt_i32_f32_e32 v5, v3
.LBB62_1484:
	s_mov_b64 s[0:1], 0
.LBB62_1485:
	s_andn2_b64 vcc, exec, s[0:1]
	s_cbranch_vccnz .LBB62_1505
; %bb.1486:
	s_cmp_lt_i32 s24, 2
	s_cbranch_scc1 .LBB62_1490
; %bb.1487:
	s_cmp_lt_i32 s24, 3
	s_cbranch_scc1 .LBB62_1491
; %bb.1488:
	s_cmp_gt_i32 s24, 3
	s_cbranch_scc0 .LBB62_1492
; %bb.1489:
	global_load_dword v5, v[0:1], off
	s_mov_b64 s[0:1], 0
	s_branch .LBB62_1493
.LBB62_1490:
	s_mov_b64 s[0:1], -1
                                        ; implicit-def: $vgpr5
	s_branch .LBB62_1499
.LBB62_1491:
	s_mov_b64 s[0:1], -1
                                        ; implicit-def: $vgpr5
	s_branch .LBB62_1496
.LBB62_1492:
	s_mov_b64 s[0:1], -1
                                        ; implicit-def: $vgpr5
.LBB62_1493:
	s_andn2_b64 vcc, exec, s[0:1]
	s_cbranch_vccnz .LBB62_1495
; %bb.1494:
	global_load_dword v5, v[0:1], off
.LBB62_1495:
	s_mov_b64 s[0:1], 0
.LBB62_1496:
	s_andn2_b64 vcc, exec, s[0:1]
	s_cbranch_vccnz .LBB62_1498
; %bb.1497:
	global_load_sshort v5, v[0:1], off
.LBB62_1498:
	s_mov_b64 s[0:1], 0
.LBB62_1499:
	s_andn2_b64 vcc, exec, s[0:1]
	s_cbranch_vccnz .LBB62_1505
; %bb.1500:
	s_cmp_gt_i32 s24, 0
	s_cbranch_scc0 .LBB62_1502
; %bb.1501:
	global_load_sbyte v5, v[0:1], off
	s_mov_b64 s[0:1], 0
	s_branch .LBB62_1503
.LBB62_1502:
	s_mov_b64 s[0:1], -1
                                        ; implicit-def: $vgpr5
.LBB62_1503:
	s_andn2_b64 vcc, exec, s[0:1]
	s_cbranch_vccnz .LBB62_1505
; %bb.1504:
	global_load_ubyte v5, v[0:1], off
.LBB62_1505:
	s_mov_b64 s[10:11], -1
.LBB62_1506:
	s_andn2_b64 vcc, exec, s[10:11]
	s_cbranch_vccnz .LBB62_1940
; %bb.1507:
	v_mul_lo_u32 v4, s12, v4
	v_mov_b32_e32 v0, s15
	v_mov_b32_e32 v1, s2
	s_waitcnt vmcnt(0)
	v_cmp_lt_i32_e32 vcc, s14, v2
	v_cndmask_b32_e32 v0, v0, v1, vcc
	v_ashrrev_i32_e32 v1, 31, v4
	v_mov_b32_e32 v3, s9
	s_and_b32 s24, s3, 0xff
	v_add_co_u32_e32 v2, vcc, s8, v4
	s_cmp_lt_i32 s24, 11
	v_addc_co_u32_e32 v3, vcc, v3, v1, vcc
	s_cbranch_scc1 .LBB62_1585
; %bb.1508:
	s_and_b32 s3, 0xffff, s24
	s_mov_b64 s[20:21], -1
	s_mov_b64 s[4:5], 0
	s_cmp_gt_i32 s3, 25
	s_mov_b64 s[10:11], 0
	s_mov_b64 s[0:1], 0
	s_cbranch_scc0 .LBB62_1541
; %bb.1509:
	s_cmp_gt_i32 s3, 28
	s_cbranch_scc0 .LBB62_1524
; %bb.1510:
	s_cmp_gt_i32 s3, 43
	;; [unrolled: 3-line block ×3, first 2 shown]
	s_cbranch_scc0 .LBB62_1514
; %bb.1512:
	s_mov_b64 s[0:1], -1
	s_mov_b64 s[20:21], 0
	s_cmp_eq_u32 s3, 46
	s_cbranch_scc0 .LBB62_1514
; %bb.1513:
	v_cvt_f32_i32_e32 v1, v0
	s_movk_i32 s10, 0x7fff
	s_mov_b64 s[0:1], 0
	v_bfe_u32 v8, v1, 16, 1
	v_add3_u32 v1, v1, v8, s10
	v_lshrrev_b32_e32 v1, 16, v1
	global_store_dword v[2:3], v1, off
	s_mov_b64 s[10:11], -1
.LBB62_1514:
	s_and_b64 vcc, exec, s[20:21]
	s_cbranch_vccz .LBB62_1519
; %bb.1515:
	s_cmp_eq_u32 s3, 44
	s_mov_b64 s[0:1], -1
	s_cbranch_scc0 .LBB62_1519
; %bb.1516:
	v_cvt_f32_i32_e32 v1, v0
	s_movk_i32 s0, 0xff
	v_mov_b32_e32 v9, 0xff
	v_bfe_u32 v8, v1, 23, 8
	v_cmp_ne_u32_e32 vcc, s0, v8
	s_and_saveexec_b64 s[10:11], vcc
; %bb.1517:
	s_mov_b32 s0, 0x3fffff
	v_lshrrev_b32_e32 v9, 23, v1
	v_and_b32_e32 v10, 0x400000, v1
	v_and_or_b32 v1, v1, s0, v8
	v_cmp_ne_u32_e32 vcc, 0, v10
	v_cmp_ne_u32_e64 s[0:1], 0, v1
	s_and_b64 s[0:1], vcc, s[0:1]
	v_cndmask_b32_e64 v1, 0, 1, s[0:1]
	v_add_u32_e32 v9, v9, v1
; %bb.1518:
	s_or_b64 exec, exec, s[10:11]
	s_mov_b64 s[0:1], 0
	s_mov_b64 s[10:11], -1
	global_store_byte v[2:3], v9, off
.LBB62_1519:
	s_mov_b64 s[20:21], 0
.LBB62_1520:
	s_and_b64 vcc, exec, s[20:21]
	s_cbranch_vccz .LBB62_1523
; %bb.1521:
	s_cmp_eq_u32 s3, 29
	s_mov_b64 s[0:1], -1
	s_cbranch_scc0 .LBB62_1523
; %bb.1522:
	v_ashrrev_i32_e32 v1, 31, v0
	global_store_dwordx2 v[2:3], v[0:1], off
	s_mov_b64 s[0:1], 0
	s_mov_b64 s[10:11], -1
.LBB62_1523:
	s_mov_b64 s[20:21], 0
.LBB62_1524:
	s_and_b64 vcc, exec, s[20:21]
	s_cbranch_vccz .LBB62_1540
; %bb.1525:
	s_cmp_lt_i32 s3, 27
	s_mov_b64 s[10:11], -1
	s_cbranch_scc1 .LBB62_1531
; %bb.1526:
	s_cmp_gt_i32 s3, 27
	s_cbranch_scc0 .LBB62_1528
; %bb.1527:
	s_mov_b64 s[10:11], 0
	global_store_dword v[2:3], v0, off
.LBB62_1528:
	s_andn2_b64 vcc, exec, s[10:11]
	s_cbranch_vccnz .LBB62_1530
; %bb.1529:
	global_store_short v[2:3], v0, off
.LBB62_1530:
	s_mov_b64 s[10:11], 0
.LBB62_1531:
	s_andn2_b64 vcc, exec, s[10:11]
	s_cbranch_vccnz .LBB62_1539
; %bb.1532:
	v_cvt_f32_i32_e32 v1, v0
	s_mov_b32 s10, 0x43800000
	v_mov_b32_e32 v9, 0x80
	v_and_b32_e32 v8, 0x7fffffff, v1
	v_cmp_gt_u32_e32 vcc, s10, v8
	s_and_saveexec_b64 s[10:11], vcc
	s_cbranch_execz .LBB62_1538
; %bb.1533:
	s_mov_b32 s13, 0x3bffffff
	v_cmp_lt_u32_e32 vcc, s13, v8
	s_mov_b64 s[20:21], 0
                                        ; implicit-def: $vgpr8
	s_and_saveexec_b64 s[22:23], vcc
	s_xor_b64 s[22:23], exec, s[22:23]
	s_cbranch_execz .LBB62_1987
; %bb.1534:
	v_bfe_u32 v8, v1, 20, 1
	s_mov_b32 s13, 0x487ffff
	v_add3_u32 v8, v1, v8, s13
	s_mov_b64 s[20:21], exec
	v_lshrrev_b32_e32 v8, 20, v8
	s_andn2_saveexec_b64 s[22:23], s[22:23]
	s_cbranch_execnz .LBB62_1988
.LBB62_1535:
	s_or_b64 exec, exec, s[22:23]
	v_mov_b32_e32 v9, 0
	s_and_saveexec_b64 s[22:23], s[20:21]
.LBB62_1536:
	v_lshrrev_b32_e32 v1, 24, v1
	s_movk_i32 s13, 0x80
	v_and_or_b32 v9, v1, s13, v8
.LBB62_1537:
	s_or_b64 exec, exec, s[22:23]
.LBB62_1538:
	s_or_b64 exec, exec, s[10:11]
	global_store_byte v[2:3], v9, off
.LBB62_1539:
	s_mov_b64 s[10:11], -1
.LBB62_1540:
	s_mov_b64 s[20:21], 0
.LBB62_1541:
	s_and_b64 vcc, exec, s[20:21]
	s_cbranch_vccz .LBB62_1581
; %bb.1542:
	s_cmp_gt_i32 s3, 22
	s_mov_b64 s[4:5], -1
	s_cbranch_scc0 .LBB62_1574
; %bb.1543:
	s_cmp_lt_i32 s3, 24
	s_cbranch_scc1 .LBB62_1563
; %bb.1544:
	s_cmp_gt_i32 s3, 24
	s_cbranch_scc0 .LBB62_1552
; %bb.1545:
	v_cvt_f32_i32_e32 v1, v0
	s_mov_b32 s4, 0x47800000
	v_mov_b32_e32 v9, 0x80
	v_and_b32_e32 v8, 0x7fffffff, v1
	v_cmp_gt_u32_e32 vcc, s4, v8
	s_and_saveexec_b64 s[4:5], vcc
	s_cbranch_execz .LBB62_1551
; %bb.1546:
	s_mov_b32 s10, 0x37ffffff
	v_cmp_lt_u32_e32 vcc, s10, v8
	s_mov_b64 s[10:11], 0
                                        ; implicit-def: $vgpr8
	s_and_saveexec_b64 s[20:21], vcc
	s_xor_b64 s[20:21], exec, s[20:21]
	s_cbranch_execz .LBB62_1990
; %bb.1547:
	v_bfe_u32 v8, v1, 21, 1
	s_mov_b32 s13, 0x88fffff
	v_add3_u32 v8, v1, v8, s13
	s_mov_b64 s[10:11], exec
	v_lshrrev_b32_e32 v8, 21, v8
	s_andn2_saveexec_b64 s[20:21], s[20:21]
	s_cbranch_execnz .LBB62_1991
.LBB62_1548:
	s_or_b64 exec, exec, s[20:21]
	v_mov_b32_e32 v9, 0
	s_and_saveexec_b64 s[20:21], s[10:11]
.LBB62_1549:
	v_lshrrev_b32_e32 v1, 24, v1
	s_movk_i32 s10, 0x80
	v_and_or_b32 v9, v1, s10, v8
.LBB62_1550:
	s_or_b64 exec, exec, s[20:21]
.LBB62_1551:
	s_or_b64 exec, exec, s[4:5]
	s_mov_b64 s[4:5], 0
	global_store_byte v[2:3], v9, off
.LBB62_1552:
	s_and_b64 vcc, exec, s[4:5]
	s_cbranch_vccz .LBB62_1562
; %bb.1553:
	v_cvt_f32_i32_e32 v1, v0
	s_mov_b32 s4, 0x43f00000
                                        ; implicit-def: $vgpr8
	v_and_b32_e32 v9, 0x7fffffff, v1
	v_cmp_gt_u32_e32 vcc, s4, v9
	s_and_saveexec_b64 s[4:5], vcc
	s_xor_b64 s[4:5], exec, s[4:5]
	s_cbranch_execz .LBB62_1559
; %bb.1554:
	s_mov_b32 s10, 0x3c7fffff
	v_cmp_lt_u32_e32 vcc, s10, v9
                                        ; implicit-def: $vgpr8
	s_and_saveexec_b64 s[10:11], vcc
	s_xor_b64 s[10:11], exec, s[10:11]
; %bb.1555:
	v_bfe_u32 v8, v1, 20, 1
	s_mov_b32 s13, 0x407ffff
	v_add3_u32 v8, v1, v8, s13
	v_lshrrev_b32_e32 v9, 20, v8
	v_and_b32_e32 v8, 0xff00000, v8
	s_mov_b32 s13, 0x7f00000
	v_mov_b32_e32 v10, 0x7e
	v_cmp_ne_u32_e32 vcc, s13, v8
	v_cndmask_b32_e32 v8, v10, v9, vcc
; %bb.1556:
	s_andn2_saveexec_b64 s[10:11], s[10:11]
; %bb.1557:
	s_mov_b32 s13, 0x46800000
	v_add_f32_e64 v8, |v1|, s13
; %bb.1558:
	s_or_b64 exec, exec, s[10:11]
                                        ; implicit-def: $vgpr9
.LBB62_1559:
	s_andn2_saveexec_b64 s[4:5], s[4:5]
; %bb.1560:
	s_mov_b32 s10, 0x7f800000
	v_mov_b32_e32 v8, 0x7e
	v_mov_b32_e32 v10, 0x7f
	v_cmp_lt_u32_e32 vcc, s10, v9
	v_cndmask_b32_e32 v8, v8, v10, vcc
; %bb.1561:
	s_or_b64 exec, exec, s[4:5]
	v_lshrrev_b32_e32 v1, 24, v1
	s_movk_i32 s4, 0x80
	v_and_or_b32 v1, v1, s4, v8
	global_store_byte v[2:3], v1, off
.LBB62_1562:
	s_mov_b64 s[4:5], 0
.LBB62_1563:
	s_andn2_b64 vcc, exec, s[4:5]
	s_cbranch_vccnz .LBB62_1573
; %bb.1564:
	v_cvt_f32_i32_e32 v1, v0
	s_mov_b32 s4, 0x47800000
                                        ; implicit-def: $vgpr8
	v_and_b32_e32 v9, 0x7fffffff, v1
	v_cmp_gt_u32_e32 vcc, s4, v9
	s_and_saveexec_b64 s[4:5], vcc
	s_xor_b64 s[4:5], exec, s[4:5]
	s_cbranch_execz .LBB62_1570
; %bb.1565:
	s_mov_b32 s10, 0x387fffff
	v_cmp_lt_u32_e32 vcc, s10, v9
                                        ; implicit-def: $vgpr8
	s_and_saveexec_b64 s[10:11], vcc
	s_xor_b64 s[10:11], exec, s[10:11]
; %bb.1566:
	v_bfe_u32 v8, v1, 21, 1
	s_mov_b32 s13, 0x80fffff
	v_add3_u32 v8, v1, v8, s13
	v_lshrrev_b32_e32 v8, 21, v8
; %bb.1567:
	s_andn2_saveexec_b64 s[10:11], s[10:11]
; %bb.1568:
	s_mov_b32 s13, 0x43000000
	v_add_f32_e64 v8, |v1|, s13
; %bb.1569:
	s_or_b64 exec, exec, s[10:11]
                                        ; implicit-def: $vgpr9
.LBB62_1570:
	s_andn2_saveexec_b64 s[4:5], s[4:5]
; %bb.1571:
	s_mov_b32 s10, 0x7f800000
	v_mov_b32_e32 v8, 0x7c
	v_mov_b32_e32 v10, 0x7f
	v_cmp_lt_u32_e32 vcc, s10, v9
	v_cndmask_b32_e32 v8, v8, v10, vcc
; %bb.1572:
	s_or_b64 exec, exec, s[4:5]
	v_lshrrev_b32_e32 v1, 24, v1
	s_movk_i32 s4, 0x80
	v_and_or_b32 v1, v1, s4, v8
	global_store_byte v[2:3], v1, off
.LBB62_1573:
	s_mov_b64 s[4:5], 0
	s_mov_b64 s[10:11], -1
.LBB62_1574:
	s_andn2_b64 vcc, exec, s[4:5]
	s_mov_b64 s[4:5], 0
	s_cbranch_vccnz .LBB62_1581
; %bb.1575:
	s_cmp_gt_i32 s3, 14
	s_mov_b64 s[20:21], -1
	s_cbranch_scc0 .LBB62_1579
; %bb.1576:
	s_cmp_eq_u32 s3, 15
	s_mov_b64 s[0:1], -1
	s_cbranch_scc0 .LBB62_1578
; %bb.1577:
	v_cvt_f32_i32_e32 v1, v0
	s_movk_i32 s4, 0x7fff
	s_mov_b64 s[0:1], 0
	s_mov_b64 s[10:11], -1
	v_bfe_u32 v8, v1, 16, 1
	v_add3_u32 v1, v1, v8, s4
	global_store_short_d16_hi v[2:3], v1, off
.LBB62_1578:
	s_mov_b64 s[20:21], 0
.LBB62_1579:
	s_mov_b64 s[4:5], 0
	s_and_b64 vcc, exec, s[20:21]
	s_cbranch_vccz .LBB62_1581
; %bb.1580:
	s_cmp_lg_u32 s3, 11
	s_mov_b64 s[4:5], -1
	s_cselect_b64 s[0:1], -1, 0
.LBB62_1581:
	s_and_b64 vcc, exec, s[0:1]
	s_cbranch_vccnz .LBB62_1989
; %bb.1582:
	s_andn2_b64 vcc, exec, s[4:5]
	s_cbranch_vccnz .LBB62_1584
.LBB62_1583:
	v_cmp_ne_u32_e32 vcc, 0, v0
	v_cndmask_b32_e64 v1, 0, 1, vcc
	s_mov_b64 s[10:11], -1
	global_store_byte v[2:3], v1, off
.LBB62_1584:
	s_mov_b64 s[0:1], 0
	s_branch .LBB62_1586
.LBB62_1585:
	s_mov_b64 s[0:1], -1
	s_mov_b64 s[10:11], 0
.LBB62_1586:
	s_and_b64 vcc, exec, s[0:1]
	s_cbranch_vccz .LBB62_1625
; %bb.1587:
	s_and_b32 s3, 0xffff, s24
	s_cmp_lt_i32 s3, 5
	s_mov_b64 s[0:1], -1
	s_cbranch_scc1 .LBB62_1608
; %bb.1588:
	s_cmp_lt_i32 s3, 8
	s_cbranch_scc1 .LBB62_1598
; %bb.1589:
	s_cmp_lt_i32 s3, 9
	s_cbranch_scc1 .LBB62_1595
; %bb.1590:
	s_cmp_gt_i32 s3, 9
	s_cbranch_scc0 .LBB62_1592
; %bb.1591:
	v_cvt_f64_i32_e32 v[8:9], v0
	v_mov_b32_e32 v10, 0
	v_mov_b32_e32 v11, v10
	s_mov_b64 s[0:1], 0
	global_store_dwordx4 v[2:3], v[8:11], off
.LBB62_1592:
	s_andn2_b64 vcc, exec, s[0:1]
	s_cbranch_vccnz .LBB62_1594
; %bb.1593:
	v_cvt_f32_i32_e32 v8, v0
	v_mov_b32_e32 v9, 0
	global_store_dwordx2 v[2:3], v[8:9], off
.LBB62_1594:
	s_mov_b64 s[0:1], 0
.LBB62_1595:
	s_andn2_b64 vcc, exec, s[0:1]
	s_cbranch_vccnz .LBB62_1597
; %bb.1596:
	v_cvt_f32_i32_e32 v1, v0
	v_cvt_f16_f32_e32 v1, v1
	global_store_dword v[2:3], v1, off
.LBB62_1597:
	s_mov_b64 s[0:1], 0
.LBB62_1598:
	s_andn2_b64 vcc, exec, s[0:1]
	s_cbranch_vccnz .LBB62_1607
; %bb.1599:
	s_cmp_lt_i32 s3, 6
	s_mov_b64 s[0:1], -1
	s_cbranch_scc1 .LBB62_1605
; %bb.1600:
	s_cmp_gt_i32 s3, 6
	s_cbranch_scc0 .LBB62_1602
; %bb.1601:
	v_cvt_f64_i32_e32 v[8:9], v0
	s_mov_b64 s[0:1], 0
	global_store_dwordx2 v[2:3], v[8:9], off
.LBB62_1602:
	s_andn2_b64 vcc, exec, s[0:1]
	s_cbranch_vccnz .LBB62_1604
; %bb.1603:
	v_cvt_f32_i32_e32 v1, v0
	global_store_dword v[2:3], v1, off
.LBB62_1604:
	s_mov_b64 s[0:1], 0
.LBB62_1605:
	s_andn2_b64 vcc, exec, s[0:1]
	s_cbranch_vccnz .LBB62_1607
; %bb.1606:
	v_cvt_f32_i32_e32 v1, v0
	v_cvt_f16_f32_e32 v1, v1
	global_store_short v[2:3], v1, off
.LBB62_1607:
	s_mov_b64 s[0:1], 0
.LBB62_1608:
	s_andn2_b64 vcc, exec, s[0:1]
	s_cbranch_vccnz .LBB62_1624
; %bb.1609:
	s_cmp_lt_i32 s3, 2
	s_mov_b64 s[0:1], -1
	s_cbranch_scc1 .LBB62_1619
; %bb.1610:
	s_cmp_lt_i32 s3, 3
	s_cbranch_scc1 .LBB62_1616
; %bb.1611:
	s_cmp_gt_i32 s3, 3
	s_cbranch_scc0 .LBB62_1613
; %bb.1612:
	v_ashrrev_i32_e32 v1, 31, v0
	global_store_dwordx2 v[2:3], v[0:1], off
	s_mov_b64 s[0:1], 0
.LBB62_1613:
	s_andn2_b64 vcc, exec, s[0:1]
	s_cbranch_vccnz .LBB62_1615
; %bb.1614:
	global_store_dword v[2:3], v0, off
.LBB62_1615:
	s_mov_b64 s[0:1], 0
.LBB62_1616:
	s_andn2_b64 vcc, exec, s[0:1]
	s_cbranch_vccnz .LBB62_1618
; %bb.1617:
	global_store_short v[2:3], v0, off
.LBB62_1618:
	s_mov_b64 s[0:1], 0
.LBB62_1619:
	s_andn2_b64 vcc, exec, s[0:1]
	s_cbranch_vccnz .LBB62_1624
; %bb.1620:
	s_cmp_gt_i32 s3, 0
	s_mov_b64 s[0:1], -1
	s_cbranch_scc0 .LBB62_1622
; %bb.1621:
	global_store_byte v[2:3], v0, off
	s_mov_b64 s[0:1], 0
.LBB62_1622:
	s_andn2_b64 vcc, exec, s[0:1]
	s_cbranch_vccnz .LBB62_1624
; %bb.1623:
	global_store_byte v[2:3], v0, off
.LBB62_1624:
	s_mov_b64 s[10:11], -1
.LBB62_1625:
	s_andn2_b64 vcc, exec, s[10:11]
	s_cbranch_vccnz .LBB62_1940
; %bb.1626:
	s_lshl_b32 s3, s12, 7
	v_mov_b32_e32 v0, s15
	v_mov_b32_e32 v1, s2
	v_cmp_lt_i32_e32 vcc, s14, v7
	v_add_u32_e32 v4, s3, v4
	v_cndmask_b32_e32 v0, v0, v1, vcc
	v_ashrrev_i32_e32 v1, 31, v4
	v_mov_b32_e32 v3, s9
	v_add_co_u32_e32 v2, vcc, s8, v4
	s_cmp_lt_i32 s24, 11
	v_addc_co_u32_e32 v3, vcc, v3, v1, vcc
	s_cbranch_scc1 .LBB62_1704
; %bb.1627:
	s_and_b32 s22, 0xffff, s24
	s_mov_b64 s[12:13], -1
	s_mov_b64 s[4:5], 0
	s_cmp_gt_i32 s22, 25
	s_mov_b64 s[10:11], 0
	s_mov_b64 s[0:1], 0
	s_cbranch_scc0 .LBB62_1660
; %bb.1628:
	s_cmp_gt_i32 s22, 28
	s_cbranch_scc0 .LBB62_1643
; %bb.1629:
	s_cmp_gt_i32 s22, 43
	;; [unrolled: 3-line block ×3, first 2 shown]
	s_cbranch_scc0 .LBB62_1633
; %bb.1631:
	s_mov_b64 s[0:1], -1
	s_mov_b64 s[12:13], 0
	s_cmp_eq_u32 s22, 46
	s_cbranch_scc0 .LBB62_1633
; %bb.1632:
	v_cvt_f32_i32_e32 v1, v0
	s_movk_i32 s10, 0x7fff
	s_mov_b64 s[0:1], 0
	v_bfe_u32 v7, v1, 16, 1
	v_add3_u32 v1, v1, v7, s10
	v_lshrrev_b32_e32 v1, 16, v1
	global_store_dword v[2:3], v1, off
	s_mov_b64 s[10:11], -1
.LBB62_1633:
	s_and_b64 vcc, exec, s[12:13]
	s_cbranch_vccz .LBB62_1638
; %bb.1634:
	s_cmp_eq_u32 s22, 44
	s_mov_b64 s[0:1], -1
	s_cbranch_scc0 .LBB62_1638
; %bb.1635:
	v_cvt_f32_i32_e32 v1, v0
	s_movk_i32 s0, 0xff
	v_mov_b32_e32 v8, 0xff
	v_bfe_u32 v7, v1, 23, 8
	v_cmp_ne_u32_e32 vcc, s0, v7
	s_and_saveexec_b64 s[10:11], vcc
; %bb.1636:
	s_mov_b32 s0, 0x3fffff
	v_lshrrev_b32_e32 v8, 23, v1
	v_and_b32_e32 v9, 0x400000, v1
	v_and_or_b32 v1, v1, s0, v7
	v_cmp_ne_u32_e32 vcc, 0, v9
	v_cmp_ne_u32_e64 s[0:1], 0, v1
	s_and_b64 s[0:1], vcc, s[0:1]
	v_cndmask_b32_e64 v1, 0, 1, s[0:1]
	v_add_u32_e32 v8, v8, v1
; %bb.1637:
	s_or_b64 exec, exec, s[10:11]
	s_mov_b64 s[0:1], 0
	s_mov_b64 s[10:11], -1
	global_store_byte v[2:3], v8, off
.LBB62_1638:
	s_mov_b64 s[12:13], 0
.LBB62_1639:
	s_and_b64 vcc, exec, s[12:13]
	s_cbranch_vccz .LBB62_1642
; %bb.1640:
	s_cmp_eq_u32 s22, 29
	s_mov_b64 s[0:1], -1
	s_cbranch_scc0 .LBB62_1642
; %bb.1641:
	v_ashrrev_i32_e32 v1, 31, v0
	global_store_dwordx2 v[2:3], v[0:1], off
	s_mov_b64 s[0:1], 0
	s_mov_b64 s[10:11], -1
.LBB62_1642:
	s_mov_b64 s[12:13], 0
.LBB62_1643:
	s_and_b64 vcc, exec, s[12:13]
	s_cbranch_vccz .LBB62_1659
; %bb.1644:
	s_cmp_lt_i32 s22, 27
	s_mov_b64 s[10:11], -1
	s_cbranch_scc1 .LBB62_1650
; %bb.1645:
	s_cmp_gt_i32 s22, 27
	s_cbranch_scc0 .LBB62_1647
; %bb.1646:
	s_mov_b64 s[10:11], 0
	global_store_dword v[2:3], v0, off
.LBB62_1647:
	s_andn2_b64 vcc, exec, s[10:11]
	s_cbranch_vccnz .LBB62_1649
; %bb.1648:
	global_store_short v[2:3], v0, off
.LBB62_1649:
	s_mov_b64 s[10:11], 0
.LBB62_1650:
	s_andn2_b64 vcc, exec, s[10:11]
	s_cbranch_vccnz .LBB62_1658
; %bb.1651:
	v_cvt_f32_i32_e32 v1, v0
	s_mov_b32 s10, 0x43800000
	v_mov_b32_e32 v8, 0x80
	v_and_b32_e32 v7, 0x7fffffff, v1
	v_cmp_gt_u32_e32 vcc, s10, v7
	s_and_saveexec_b64 s[10:11], vcc
	s_cbranch_execz .LBB62_1657
; %bb.1652:
	s_mov_b32 s12, 0x3bffffff
	v_cmp_lt_u32_e32 vcc, s12, v7
	s_mov_b64 s[12:13], 0
                                        ; implicit-def: $vgpr7
	s_and_saveexec_b64 s[20:21], vcc
	s_xor_b64 s[20:21], exec, s[20:21]
	s_cbranch_execz .LBB62_1992
; %bb.1653:
	v_bfe_u32 v7, v1, 20, 1
	s_mov_b32 s23, 0x487ffff
	v_add3_u32 v7, v1, v7, s23
	s_mov_b64 s[12:13], exec
	v_lshrrev_b32_e32 v7, 20, v7
	s_andn2_saveexec_b64 s[20:21], s[20:21]
	s_cbranch_execnz .LBB62_1993
.LBB62_1654:
	s_or_b64 exec, exec, s[20:21]
	v_mov_b32_e32 v8, 0
	s_and_saveexec_b64 s[20:21], s[12:13]
.LBB62_1655:
	v_lshrrev_b32_e32 v1, 24, v1
	s_movk_i32 s12, 0x80
	v_and_or_b32 v8, v1, s12, v7
.LBB62_1656:
	s_or_b64 exec, exec, s[20:21]
.LBB62_1657:
	s_or_b64 exec, exec, s[10:11]
	global_store_byte v[2:3], v8, off
.LBB62_1658:
	s_mov_b64 s[10:11], -1
.LBB62_1659:
	s_mov_b64 s[12:13], 0
.LBB62_1660:
	s_and_b64 vcc, exec, s[12:13]
	s_cbranch_vccz .LBB62_1700
; %bb.1661:
	s_cmp_gt_i32 s22, 22
	s_mov_b64 s[4:5], -1
	s_cbranch_scc0 .LBB62_1693
; %bb.1662:
	s_cmp_lt_i32 s22, 24
	s_cbranch_scc1 .LBB62_1682
; %bb.1663:
	s_cmp_gt_i32 s22, 24
	s_cbranch_scc0 .LBB62_1671
; %bb.1664:
	v_cvt_f32_i32_e32 v1, v0
	s_mov_b32 s4, 0x47800000
	v_mov_b32_e32 v8, 0x80
	v_and_b32_e32 v7, 0x7fffffff, v1
	v_cmp_gt_u32_e32 vcc, s4, v7
	s_and_saveexec_b64 s[4:5], vcc
	s_cbranch_execz .LBB62_1670
; %bb.1665:
	s_mov_b32 s10, 0x37ffffff
	v_cmp_lt_u32_e32 vcc, s10, v7
	s_mov_b64 s[10:11], 0
                                        ; implicit-def: $vgpr7
	s_and_saveexec_b64 s[12:13], vcc
	s_xor_b64 s[12:13], exec, s[12:13]
	s_cbranch_execz .LBB62_1995
; %bb.1666:
	v_bfe_u32 v7, v1, 21, 1
	s_mov_b32 s20, 0x88fffff
	v_add3_u32 v7, v1, v7, s20
	s_mov_b64 s[10:11], exec
	v_lshrrev_b32_e32 v7, 21, v7
	s_andn2_saveexec_b64 s[12:13], s[12:13]
	s_cbranch_execnz .LBB62_1996
.LBB62_1667:
	s_or_b64 exec, exec, s[12:13]
	v_mov_b32_e32 v8, 0
	s_and_saveexec_b64 s[12:13], s[10:11]
.LBB62_1668:
	v_lshrrev_b32_e32 v1, 24, v1
	s_movk_i32 s10, 0x80
	v_and_or_b32 v8, v1, s10, v7
.LBB62_1669:
	s_or_b64 exec, exec, s[12:13]
.LBB62_1670:
	s_or_b64 exec, exec, s[4:5]
	s_mov_b64 s[4:5], 0
	global_store_byte v[2:3], v8, off
.LBB62_1671:
	s_and_b64 vcc, exec, s[4:5]
	s_cbranch_vccz .LBB62_1681
; %bb.1672:
	v_cvt_f32_i32_e32 v1, v0
	s_mov_b32 s4, 0x43f00000
                                        ; implicit-def: $vgpr7
	v_and_b32_e32 v8, 0x7fffffff, v1
	v_cmp_gt_u32_e32 vcc, s4, v8
	s_and_saveexec_b64 s[4:5], vcc
	s_xor_b64 s[4:5], exec, s[4:5]
	s_cbranch_execz .LBB62_1678
; %bb.1673:
	s_mov_b32 s10, 0x3c7fffff
	v_cmp_lt_u32_e32 vcc, s10, v8
                                        ; implicit-def: $vgpr7
	s_and_saveexec_b64 s[10:11], vcc
	s_xor_b64 s[10:11], exec, s[10:11]
; %bb.1674:
	v_bfe_u32 v7, v1, 20, 1
	s_mov_b32 s12, 0x407ffff
	v_add3_u32 v7, v1, v7, s12
	v_lshrrev_b32_e32 v8, 20, v7
	v_and_b32_e32 v7, 0xff00000, v7
	s_mov_b32 s12, 0x7f00000
	v_mov_b32_e32 v9, 0x7e
	v_cmp_ne_u32_e32 vcc, s12, v7
	v_cndmask_b32_e32 v7, v9, v8, vcc
; %bb.1675:
	s_andn2_saveexec_b64 s[10:11], s[10:11]
; %bb.1676:
	s_mov_b32 s12, 0x46800000
	v_add_f32_e64 v7, |v1|, s12
; %bb.1677:
	s_or_b64 exec, exec, s[10:11]
                                        ; implicit-def: $vgpr8
.LBB62_1678:
	s_andn2_saveexec_b64 s[4:5], s[4:5]
; %bb.1679:
	s_mov_b32 s10, 0x7f800000
	v_mov_b32_e32 v7, 0x7e
	v_mov_b32_e32 v9, 0x7f
	v_cmp_lt_u32_e32 vcc, s10, v8
	v_cndmask_b32_e32 v7, v7, v9, vcc
; %bb.1680:
	s_or_b64 exec, exec, s[4:5]
	v_lshrrev_b32_e32 v1, 24, v1
	s_movk_i32 s4, 0x80
	v_and_or_b32 v1, v1, s4, v7
	global_store_byte v[2:3], v1, off
.LBB62_1681:
	s_mov_b64 s[4:5], 0
.LBB62_1682:
	s_andn2_b64 vcc, exec, s[4:5]
	s_cbranch_vccnz .LBB62_1692
; %bb.1683:
	v_cvt_f32_i32_e32 v1, v0
	s_mov_b32 s4, 0x47800000
                                        ; implicit-def: $vgpr7
	v_and_b32_e32 v8, 0x7fffffff, v1
	v_cmp_gt_u32_e32 vcc, s4, v8
	s_and_saveexec_b64 s[4:5], vcc
	s_xor_b64 s[4:5], exec, s[4:5]
	s_cbranch_execz .LBB62_1689
; %bb.1684:
	s_mov_b32 s10, 0x387fffff
	v_cmp_lt_u32_e32 vcc, s10, v8
                                        ; implicit-def: $vgpr7
	s_and_saveexec_b64 s[10:11], vcc
	s_xor_b64 s[10:11], exec, s[10:11]
; %bb.1685:
	v_bfe_u32 v7, v1, 21, 1
	s_mov_b32 s12, 0x80fffff
	v_add3_u32 v7, v1, v7, s12
	v_lshrrev_b32_e32 v7, 21, v7
; %bb.1686:
	s_andn2_saveexec_b64 s[10:11], s[10:11]
; %bb.1687:
	s_mov_b32 s12, 0x43000000
	v_add_f32_e64 v7, |v1|, s12
; %bb.1688:
	s_or_b64 exec, exec, s[10:11]
                                        ; implicit-def: $vgpr8
.LBB62_1689:
	s_andn2_saveexec_b64 s[4:5], s[4:5]
; %bb.1690:
	s_mov_b32 s10, 0x7f800000
	v_mov_b32_e32 v7, 0x7c
	v_mov_b32_e32 v9, 0x7f
	v_cmp_lt_u32_e32 vcc, s10, v8
	v_cndmask_b32_e32 v7, v7, v9, vcc
; %bb.1691:
	s_or_b64 exec, exec, s[4:5]
	v_lshrrev_b32_e32 v1, 24, v1
	s_movk_i32 s4, 0x80
	v_and_or_b32 v1, v1, s4, v7
	global_store_byte v[2:3], v1, off
.LBB62_1692:
	s_mov_b64 s[4:5], 0
	s_mov_b64 s[10:11], -1
.LBB62_1693:
	s_andn2_b64 vcc, exec, s[4:5]
	s_mov_b64 s[4:5], 0
	s_cbranch_vccnz .LBB62_1700
; %bb.1694:
	s_cmp_gt_i32 s22, 14
	s_mov_b64 s[12:13], -1
	s_cbranch_scc0 .LBB62_1698
; %bb.1695:
	s_cmp_eq_u32 s22, 15
	s_mov_b64 s[0:1], -1
	s_cbranch_scc0 .LBB62_1697
; %bb.1696:
	v_cvt_f32_i32_e32 v1, v0
	s_movk_i32 s4, 0x7fff
	s_mov_b64 s[0:1], 0
	s_mov_b64 s[10:11], -1
	v_bfe_u32 v7, v1, 16, 1
	v_add3_u32 v1, v1, v7, s4
	global_store_short_d16_hi v[2:3], v1, off
.LBB62_1697:
	s_mov_b64 s[12:13], 0
.LBB62_1698:
	s_mov_b64 s[4:5], 0
	s_and_b64 vcc, exec, s[12:13]
	s_cbranch_vccz .LBB62_1700
; %bb.1699:
	s_cmp_lg_u32 s22, 11
	s_mov_b64 s[4:5], -1
	s_cselect_b64 s[0:1], -1, 0
.LBB62_1700:
	s_and_b64 vcc, exec, s[0:1]
	s_cbranch_vccnz .LBB62_1994
; %bb.1701:
	s_andn2_b64 vcc, exec, s[4:5]
	s_cbranch_vccnz .LBB62_1703
.LBB62_1702:
	v_cmp_ne_u32_e32 vcc, 0, v0
	v_cndmask_b32_e64 v1, 0, 1, vcc
	s_mov_b64 s[10:11], -1
	global_store_byte v[2:3], v1, off
.LBB62_1703:
	s_mov_b64 s[0:1], 0
	s_branch .LBB62_1705
.LBB62_1704:
	s_mov_b64 s[0:1], -1
	s_mov_b64 s[10:11], 0
.LBB62_1705:
	s_and_b64 vcc, exec, s[0:1]
	s_cbranch_vccz .LBB62_1744
; %bb.1706:
	s_and_b32 s4, 0xffff, s24
	s_cmp_lt_i32 s4, 5
	s_mov_b64 s[0:1], -1
	s_cbranch_scc1 .LBB62_1727
; %bb.1707:
	s_cmp_lt_i32 s4, 8
	s_cbranch_scc1 .LBB62_1717
; %bb.1708:
	s_cmp_lt_i32 s4, 9
	s_cbranch_scc1 .LBB62_1714
; %bb.1709:
	s_cmp_gt_i32 s4, 9
	s_cbranch_scc0 .LBB62_1711
; %bb.1710:
	v_cvt_f64_i32_e32 v[7:8], v0
	v_mov_b32_e32 v9, 0
	v_mov_b32_e32 v10, v9
	s_mov_b64 s[0:1], 0
	global_store_dwordx4 v[2:3], v[7:10], off
.LBB62_1711:
	s_andn2_b64 vcc, exec, s[0:1]
	s_cbranch_vccnz .LBB62_1713
; %bb.1712:
	v_cvt_f32_i32_e32 v7, v0
	v_mov_b32_e32 v8, 0
	global_store_dwordx2 v[2:3], v[7:8], off
.LBB62_1713:
	s_mov_b64 s[0:1], 0
.LBB62_1714:
	s_andn2_b64 vcc, exec, s[0:1]
	s_cbranch_vccnz .LBB62_1716
; %bb.1715:
	v_cvt_f32_i32_e32 v1, v0
	v_cvt_f16_f32_e32 v1, v1
	global_store_dword v[2:3], v1, off
.LBB62_1716:
	s_mov_b64 s[0:1], 0
.LBB62_1717:
	s_andn2_b64 vcc, exec, s[0:1]
	s_cbranch_vccnz .LBB62_1726
; %bb.1718:
	s_cmp_lt_i32 s4, 6
	s_mov_b64 s[0:1], -1
	s_cbranch_scc1 .LBB62_1724
; %bb.1719:
	s_cmp_gt_i32 s4, 6
	s_cbranch_scc0 .LBB62_1721
; %bb.1720:
	v_cvt_f64_i32_e32 v[7:8], v0
	s_mov_b64 s[0:1], 0
	global_store_dwordx2 v[2:3], v[7:8], off
.LBB62_1721:
	s_andn2_b64 vcc, exec, s[0:1]
	s_cbranch_vccnz .LBB62_1723
; %bb.1722:
	v_cvt_f32_i32_e32 v1, v0
	global_store_dword v[2:3], v1, off
.LBB62_1723:
	s_mov_b64 s[0:1], 0
.LBB62_1724:
	s_andn2_b64 vcc, exec, s[0:1]
	s_cbranch_vccnz .LBB62_1726
; %bb.1725:
	v_cvt_f32_i32_e32 v1, v0
	v_cvt_f16_f32_e32 v1, v1
	global_store_short v[2:3], v1, off
.LBB62_1726:
	s_mov_b64 s[0:1], 0
.LBB62_1727:
	s_andn2_b64 vcc, exec, s[0:1]
	s_cbranch_vccnz .LBB62_1743
; %bb.1728:
	s_cmp_lt_i32 s4, 2
	s_mov_b64 s[0:1], -1
	s_cbranch_scc1 .LBB62_1738
; %bb.1729:
	s_cmp_lt_i32 s4, 3
	s_cbranch_scc1 .LBB62_1735
; %bb.1730:
	s_cmp_gt_i32 s4, 3
	s_cbranch_scc0 .LBB62_1732
; %bb.1731:
	v_ashrrev_i32_e32 v1, 31, v0
	global_store_dwordx2 v[2:3], v[0:1], off
	s_mov_b64 s[0:1], 0
.LBB62_1732:
	s_andn2_b64 vcc, exec, s[0:1]
	s_cbranch_vccnz .LBB62_1734
; %bb.1733:
	global_store_dword v[2:3], v0, off
.LBB62_1734:
	s_mov_b64 s[0:1], 0
.LBB62_1735:
	s_andn2_b64 vcc, exec, s[0:1]
	s_cbranch_vccnz .LBB62_1737
; %bb.1736:
	global_store_short v[2:3], v0, off
.LBB62_1737:
	s_mov_b64 s[0:1], 0
.LBB62_1738:
	s_andn2_b64 vcc, exec, s[0:1]
	s_cbranch_vccnz .LBB62_1743
; %bb.1739:
	s_cmp_gt_i32 s4, 0
	s_mov_b64 s[0:1], -1
	s_cbranch_scc0 .LBB62_1741
; %bb.1740:
	global_store_byte v[2:3], v0, off
	s_mov_b64 s[0:1], 0
.LBB62_1741:
	s_andn2_b64 vcc, exec, s[0:1]
	s_cbranch_vccnz .LBB62_1743
; %bb.1742:
	global_store_byte v[2:3], v0, off
.LBB62_1743:
	s_mov_b64 s[10:11], -1
.LBB62_1744:
	s_andn2_b64 vcc, exec, s[10:11]
	s_cbranch_vccnz .LBB62_1940
; %bb.1745:
	v_mov_b32_e32 v0, s15
	v_mov_b32_e32 v1, s2
	v_cmp_lt_i32_e32 vcc, s14, v6
	v_add_u32_e32 v4, s3, v4
	v_cndmask_b32_e32 v0, v0, v1, vcc
	v_ashrrev_i32_e32 v1, 31, v4
	v_mov_b32_e32 v3, s9
	v_add_co_u32_e32 v2, vcc, s8, v4
	s_cmp_lt_i32 s24, 11
	v_addc_co_u32_e32 v3, vcc, v3, v1, vcc
	s_cbranch_scc1 .LBB62_1823
; %bb.1746:
	s_and_b32 s22, 0xffff, s24
	s_mov_b64 s[12:13], -1
	s_mov_b64 s[4:5], 0
	s_cmp_gt_i32 s22, 25
	s_mov_b64 s[10:11], 0
	s_mov_b64 s[0:1], 0
	s_cbranch_scc0 .LBB62_1779
; %bb.1747:
	s_cmp_gt_i32 s22, 28
	s_cbranch_scc0 .LBB62_1762
; %bb.1748:
	s_cmp_gt_i32 s22, 43
	;; [unrolled: 3-line block ×3, first 2 shown]
	s_cbranch_scc0 .LBB62_1752
; %bb.1750:
	s_mov_b64 s[0:1], -1
	s_mov_b64 s[12:13], 0
	s_cmp_eq_u32 s22, 46
	s_cbranch_scc0 .LBB62_1752
; %bb.1751:
	v_cvt_f32_i32_e32 v1, v0
	s_movk_i32 s10, 0x7fff
	s_mov_b64 s[0:1], 0
	v_bfe_u32 v6, v1, 16, 1
	v_add3_u32 v1, v1, v6, s10
	v_lshrrev_b32_e32 v1, 16, v1
	global_store_dword v[2:3], v1, off
	s_mov_b64 s[10:11], -1
.LBB62_1752:
	s_and_b64 vcc, exec, s[12:13]
	s_cbranch_vccz .LBB62_1757
; %bb.1753:
	s_cmp_eq_u32 s22, 44
	s_mov_b64 s[0:1], -1
	s_cbranch_scc0 .LBB62_1757
; %bb.1754:
	v_cvt_f32_i32_e32 v1, v0
	s_movk_i32 s0, 0xff
	v_mov_b32_e32 v7, 0xff
	v_bfe_u32 v6, v1, 23, 8
	v_cmp_ne_u32_e32 vcc, s0, v6
	s_and_saveexec_b64 s[10:11], vcc
; %bb.1755:
	s_mov_b32 s0, 0x3fffff
	v_lshrrev_b32_e32 v7, 23, v1
	v_and_b32_e32 v8, 0x400000, v1
	v_and_or_b32 v1, v1, s0, v6
	v_cmp_ne_u32_e32 vcc, 0, v8
	v_cmp_ne_u32_e64 s[0:1], 0, v1
	s_and_b64 s[0:1], vcc, s[0:1]
	v_cndmask_b32_e64 v1, 0, 1, s[0:1]
	v_add_u32_e32 v7, v7, v1
; %bb.1756:
	s_or_b64 exec, exec, s[10:11]
	s_mov_b64 s[0:1], 0
	s_mov_b64 s[10:11], -1
	global_store_byte v[2:3], v7, off
.LBB62_1757:
	s_mov_b64 s[12:13], 0
.LBB62_1758:
	s_and_b64 vcc, exec, s[12:13]
	s_cbranch_vccz .LBB62_1761
; %bb.1759:
	s_cmp_eq_u32 s22, 29
	s_mov_b64 s[0:1], -1
	s_cbranch_scc0 .LBB62_1761
; %bb.1760:
	v_ashrrev_i32_e32 v1, 31, v0
	global_store_dwordx2 v[2:3], v[0:1], off
	s_mov_b64 s[0:1], 0
	s_mov_b64 s[10:11], -1
.LBB62_1761:
	s_mov_b64 s[12:13], 0
.LBB62_1762:
	s_and_b64 vcc, exec, s[12:13]
	s_cbranch_vccz .LBB62_1778
; %bb.1763:
	s_cmp_lt_i32 s22, 27
	s_mov_b64 s[10:11], -1
	s_cbranch_scc1 .LBB62_1769
; %bb.1764:
	s_cmp_gt_i32 s22, 27
	s_cbranch_scc0 .LBB62_1766
; %bb.1765:
	s_mov_b64 s[10:11], 0
	global_store_dword v[2:3], v0, off
.LBB62_1766:
	s_andn2_b64 vcc, exec, s[10:11]
	s_cbranch_vccnz .LBB62_1768
; %bb.1767:
	global_store_short v[2:3], v0, off
.LBB62_1768:
	s_mov_b64 s[10:11], 0
.LBB62_1769:
	s_andn2_b64 vcc, exec, s[10:11]
	s_cbranch_vccnz .LBB62_1777
; %bb.1770:
	v_cvt_f32_i32_e32 v1, v0
	s_mov_b32 s10, 0x43800000
	v_mov_b32_e32 v7, 0x80
	v_and_b32_e32 v6, 0x7fffffff, v1
	v_cmp_gt_u32_e32 vcc, s10, v6
	s_and_saveexec_b64 s[10:11], vcc
	s_cbranch_execz .LBB62_1776
; %bb.1771:
	s_mov_b32 s12, 0x3bffffff
	v_cmp_lt_u32_e32 vcc, s12, v6
	s_mov_b64 s[12:13], 0
                                        ; implicit-def: $vgpr6
	s_and_saveexec_b64 s[20:21], vcc
	s_xor_b64 s[20:21], exec, s[20:21]
	s_cbranch_execz .LBB62_1997
; %bb.1772:
	v_bfe_u32 v6, v1, 20, 1
	s_mov_b32 s23, 0x487ffff
	v_add3_u32 v6, v1, v6, s23
	s_mov_b64 s[12:13], exec
	v_lshrrev_b32_e32 v6, 20, v6
	s_andn2_saveexec_b64 s[20:21], s[20:21]
	s_cbranch_execnz .LBB62_1998
.LBB62_1773:
	s_or_b64 exec, exec, s[20:21]
	v_mov_b32_e32 v7, 0
	s_and_saveexec_b64 s[20:21], s[12:13]
.LBB62_1774:
	v_lshrrev_b32_e32 v1, 24, v1
	s_movk_i32 s12, 0x80
	v_and_or_b32 v7, v1, s12, v6
.LBB62_1775:
	s_or_b64 exec, exec, s[20:21]
.LBB62_1776:
	s_or_b64 exec, exec, s[10:11]
	global_store_byte v[2:3], v7, off
.LBB62_1777:
	s_mov_b64 s[10:11], -1
.LBB62_1778:
	s_mov_b64 s[12:13], 0
.LBB62_1779:
	s_and_b64 vcc, exec, s[12:13]
	s_cbranch_vccz .LBB62_1819
; %bb.1780:
	s_cmp_gt_i32 s22, 22
	s_mov_b64 s[4:5], -1
	s_cbranch_scc0 .LBB62_1812
; %bb.1781:
	s_cmp_lt_i32 s22, 24
	s_cbranch_scc1 .LBB62_1801
; %bb.1782:
	s_cmp_gt_i32 s22, 24
	s_cbranch_scc0 .LBB62_1790
; %bb.1783:
	v_cvt_f32_i32_e32 v1, v0
	s_mov_b32 s4, 0x47800000
	v_mov_b32_e32 v7, 0x80
	v_and_b32_e32 v6, 0x7fffffff, v1
	v_cmp_gt_u32_e32 vcc, s4, v6
	s_and_saveexec_b64 s[4:5], vcc
	s_cbranch_execz .LBB62_1789
; %bb.1784:
	s_mov_b32 s10, 0x37ffffff
	v_cmp_lt_u32_e32 vcc, s10, v6
	s_mov_b64 s[10:11], 0
                                        ; implicit-def: $vgpr6
	s_and_saveexec_b64 s[12:13], vcc
	s_xor_b64 s[12:13], exec, s[12:13]
	s_cbranch_execz .LBB62_2000
; %bb.1785:
	v_bfe_u32 v6, v1, 21, 1
	s_mov_b32 s20, 0x88fffff
	v_add3_u32 v6, v1, v6, s20
	s_mov_b64 s[10:11], exec
	v_lshrrev_b32_e32 v6, 21, v6
	s_andn2_saveexec_b64 s[12:13], s[12:13]
	s_cbranch_execnz .LBB62_2001
.LBB62_1786:
	s_or_b64 exec, exec, s[12:13]
	v_mov_b32_e32 v7, 0
	s_and_saveexec_b64 s[12:13], s[10:11]
.LBB62_1787:
	v_lshrrev_b32_e32 v1, 24, v1
	s_movk_i32 s10, 0x80
	v_and_or_b32 v7, v1, s10, v6
.LBB62_1788:
	s_or_b64 exec, exec, s[12:13]
.LBB62_1789:
	s_or_b64 exec, exec, s[4:5]
	s_mov_b64 s[4:5], 0
	global_store_byte v[2:3], v7, off
.LBB62_1790:
	s_and_b64 vcc, exec, s[4:5]
	s_cbranch_vccz .LBB62_1800
; %bb.1791:
	v_cvt_f32_i32_e32 v1, v0
	s_mov_b32 s4, 0x43f00000
                                        ; implicit-def: $vgpr6
	v_and_b32_e32 v7, 0x7fffffff, v1
	v_cmp_gt_u32_e32 vcc, s4, v7
	s_and_saveexec_b64 s[4:5], vcc
	s_xor_b64 s[4:5], exec, s[4:5]
	s_cbranch_execz .LBB62_1797
; %bb.1792:
	s_mov_b32 s10, 0x3c7fffff
	v_cmp_lt_u32_e32 vcc, s10, v7
                                        ; implicit-def: $vgpr6
	s_and_saveexec_b64 s[10:11], vcc
	s_xor_b64 s[10:11], exec, s[10:11]
; %bb.1793:
	v_bfe_u32 v6, v1, 20, 1
	s_mov_b32 s12, 0x407ffff
	v_add3_u32 v6, v1, v6, s12
	v_lshrrev_b32_e32 v7, 20, v6
	v_and_b32_e32 v6, 0xff00000, v6
	s_mov_b32 s12, 0x7f00000
	v_mov_b32_e32 v8, 0x7e
	v_cmp_ne_u32_e32 vcc, s12, v6
	v_cndmask_b32_e32 v6, v8, v7, vcc
; %bb.1794:
	s_andn2_saveexec_b64 s[10:11], s[10:11]
; %bb.1795:
	s_mov_b32 s12, 0x46800000
	v_add_f32_e64 v6, |v1|, s12
; %bb.1796:
	s_or_b64 exec, exec, s[10:11]
                                        ; implicit-def: $vgpr7
.LBB62_1797:
	s_andn2_saveexec_b64 s[4:5], s[4:5]
; %bb.1798:
	s_mov_b32 s10, 0x7f800000
	v_mov_b32_e32 v6, 0x7e
	v_mov_b32_e32 v8, 0x7f
	v_cmp_lt_u32_e32 vcc, s10, v7
	v_cndmask_b32_e32 v6, v6, v8, vcc
; %bb.1799:
	s_or_b64 exec, exec, s[4:5]
	v_lshrrev_b32_e32 v1, 24, v1
	s_movk_i32 s4, 0x80
	v_and_or_b32 v1, v1, s4, v6
	global_store_byte v[2:3], v1, off
.LBB62_1800:
	s_mov_b64 s[4:5], 0
.LBB62_1801:
	s_andn2_b64 vcc, exec, s[4:5]
	s_cbranch_vccnz .LBB62_1811
; %bb.1802:
	v_cvt_f32_i32_e32 v1, v0
	s_mov_b32 s4, 0x47800000
                                        ; implicit-def: $vgpr6
	v_and_b32_e32 v7, 0x7fffffff, v1
	v_cmp_gt_u32_e32 vcc, s4, v7
	s_and_saveexec_b64 s[4:5], vcc
	s_xor_b64 s[4:5], exec, s[4:5]
	s_cbranch_execz .LBB62_1808
; %bb.1803:
	s_mov_b32 s10, 0x387fffff
	v_cmp_lt_u32_e32 vcc, s10, v7
                                        ; implicit-def: $vgpr6
	s_and_saveexec_b64 s[10:11], vcc
	s_xor_b64 s[10:11], exec, s[10:11]
; %bb.1804:
	v_bfe_u32 v6, v1, 21, 1
	s_mov_b32 s12, 0x80fffff
	v_add3_u32 v6, v1, v6, s12
	v_lshrrev_b32_e32 v6, 21, v6
; %bb.1805:
	s_andn2_saveexec_b64 s[10:11], s[10:11]
; %bb.1806:
	s_mov_b32 s12, 0x43000000
	v_add_f32_e64 v6, |v1|, s12
; %bb.1807:
	s_or_b64 exec, exec, s[10:11]
                                        ; implicit-def: $vgpr7
.LBB62_1808:
	s_andn2_saveexec_b64 s[4:5], s[4:5]
; %bb.1809:
	s_mov_b32 s10, 0x7f800000
	v_mov_b32_e32 v6, 0x7c
	v_mov_b32_e32 v8, 0x7f
	v_cmp_lt_u32_e32 vcc, s10, v7
	v_cndmask_b32_e32 v6, v6, v8, vcc
; %bb.1810:
	s_or_b64 exec, exec, s[4:5]
	v_lshrrev_b32_e32 v1, 24, v1
	s_movk_i32 s4, 0x80
	v_and_or_b32 v1, v1, s4, v6
	global_store_byte v[2:3], v1, off
.LBB62_1811:
	s_mov_b64 s[4:5], 0
	s_mov_b64 s[10:11], -1
.LBB62_1812:
	s_andn2_b64 vcc, exec, s[4:5]
	s_mov_b64 s[4:5], 0
	s_cbranch_vccnz .LBB62_1819
; %bb.1813:
	s_cmp_gt_i32 s22, 14
	s_mov_b64 s[12:13], -1
	s_cbranch_scc0 .LBB62_1817
; %bb.1814:
	s_cmp_eq_u32 s22, 15
	s_mov_b64 s[0:1], -1
	s_cbranch_scc0 .LBB62_1816
; %bb.1815:
	v_cvt_f32_i32_e32 v1, v0
	s_movk_i32 s4, 0x7fff
	s_mov_b64 s[0:1], 0
	s_mov_b64 s[10:11], -1
	v_bfe_u32 v6, v1, 16, 1
	v_add3_u32 v1, v1, v6, s4
	global_store_short_d16_hi v[2:3], v1, off
.LBB62_1816:
	s_mov_b64 s[12:13], 0
.LBB62_1817:
	s_mov_b64 s[4:5], 0
	s_and_b64 vcc, exec, s[12:13]
	s_cbranch_vccz .LBB62_1819
; %bb.1818:
	s_cmp_lg_u32 s22, 11
	s_mov_b64 s[4:5], -1
	s_cselect_b64 s[0:1], -1, 0
.LBB62_1819:
	s_and_b64 vcc, exec, s[0:1]
	s_cbranch_vccnz .LBB62_1999
; %bb.1820:
	s_andn2_b64 vcc, exec, s[4:5]
	s_cbranch_vccnz .LBB62_1822
.LBB62_1821:
	v_cmp_ne_u32_e32 vcc, 0, v0
	v_cndmask_b32_e64 v1, 0, 1, vcc
	s_mov_b64 s[10:11], -1
	global_store_byte v[2:3], v1, off
.LBB62_1822:
	s_mov_b64 s[0:1], 0
	s_branch .LBB62_1824
.LBB62_1823:
	s_mov_b64 s[0:1], -1
	s_mov_b64 s[10:11], 0
.LBB62_1824:
	s_and_b64 vcc, exec, s[0:1]
	s_cbranch_vccz .LBB62_1863
; %bb.1825:
	s_and_b32 s4, 0xffff, s24
	s_cmp_lt_i32 s4, 5
	s_mov_b64 s[0:1], -1
	s_cbranch_scc1 .LBB62_1846
; %bb.1826:
	s_cmp_lt_i32 s4, 8
	s_cbranch_scc1 .LBB62_1836
; %bb.1827:
	s_cmp_lt_i32 s4, 9
	s_cbranch_scc1 .LBB62_1833
; %bb.1828:
	s_cmp_gt_i32 s4, 9
	s_cbranch_scc0 .LBB62_1830
; %bb.1829:
	v_cvt_f64_i32_e32 v[6:7], v0
	v_mov_b32_e32 v8, 0
	v_mov_b32_e32 v9, v8
	s_mov_b64 s[0:1], 0
	global_store_dwordx4 v[2:3], v[6:9], off
.LBB62_1830:
	s_andn2_b64 vcc, exec, s[0:1]
	s_cbranch_vccnz .LBB62_1832
; %bb.1831:
	v_cvt_f32_i32_e32 v6, v0
	v_mov_b32_e32 v7, 0
	global_store_dwordx2 v[2:3], v[6:7], off
.LBB62_1832:
	s_mov_b64 s[0:1], 0
.LBB62_1833:
	s_andn2_b64 vcc, exec, s[0:1]
	s_cbranch_vccnz .LBB62_1835
; %bb.1834:
	v_cvt_f32_i32_e32 v1, v0
	v_cvt_f16_f32_e32 v1, v1
	global_store_dword v[2:3], v1, off
.LBB62_1835:
	s_mov_b64 s[0:1], 0
.LBB62_1836:
	s_andn2_b64 vcc, exec, s[0:1]
	s_cbranch_vccnz .LBB62_1845
; %bb.1837:
	s_cmp_lt_i32 s4, 6
	s_mov_b64 s[0:1], -1
	s_cbranch_scc1 .LBB62_1843
; %bb.1838:
	s_cmp_gt_i32 s4, 6
	s_cbranch_scc0 .LBB62_1840
; %bb.1839:
	v_cvt_f64_i32_e32 v[6:7], v0
	s_mov_b64 s[0:1], 0
	global_store_dwordx2 v[2:3], v[6:7], off
.LBB62_1840:
	s_andn2_b64 vcc, exec, s[0:1]
	s_cbranch_vccnz .LBB62_1842
; %bb.1841:
	v_cvt_f32_i32_e32 v1, v0
	global_store_dword v[2:3], v1, off
.LBB62_1842:
	s_mov_b64 s[0:1], 0
.LBB62_1843:
	s_andn2_b64 vcc, exec, s[0:1]
	s_cbranch_vccnz .LBB62_1845
; %bb.1844:
	v_cvt_f32_i32_e32 v1, v0
	v_cvt_f16_f32_e32 v1, v1
	global_store_short v[2:3], v1, off
.LBB62_1845:
	s_mov_b64 s[0:1], 0
.LBB62_1846:
	s_andn2_b64 vcc, exec, s[0:1]
	s_cbranch_vccnz .LBB62_1862
; %bb.1847:
	s_cmp_lt_i32 s4, 2
	s_mov_b64 s[0:1], -1
	s_cbranch_scc1 .LBB62_1857
; %bb.1848:
	s_cmp_lt_i32 s4, 3
	s_cbranch_scc1 .LBB62_1854
; %bb.1849:
	s_cmp_gt_i32 s4, 3
	s_cbranch_scc0 .LBB62_1851
; %bb.1850:
	v_ashrrev_i32_e32 v1, 31, v0
	global_store_dwordx2 v[2:3], v[0:1], off
	s_mov_b64 s[0:1], 0
.LBB62_1851:
	s_andn2_b64 vcc, exec, s[0:1]
	s_cbranch_vccnz .LBB62_1853
; %bb.1852:
	global_store_dword v[2:3], v0, off
.LBB62_1853:
	s_mov_b64 s[0:1], 0
.LBB62_1854:
	s_andn2_b64 vcc, exec, s[0:1]
	s_cbranch_vccnz .LBB62_1856
; %bb.1855:
	global_store_short v[2:3], v0, off
.LBB62_1856:
	s_mov_b64 s[0:1], 0
.LBB62_1857:
	s_andn2_b64 vcc, exec, s[0:1]
	s_cbranch_vccnz .LBB62_1862
; %bb.1858:
	s_cmp_gt_i32 s4, 0
	s_mov_b64 s[0:1], -1
	s_cbranch_scc0 .LBB62_1860
; %bb.1859:
	global_store_byte v[2:3], v0, off
	s_mov_b64 s[0:1], 0
.LBB62_1860:
	s_andn2_b64 vcc, exec, s[0:1]
	s_cbranch_vccnz .LBB62_1862
; %bb.1861:
	global_store_byte v[2:3], v0, off
.LBB62_1862:
	s_mov_b64 s[10:11], -1
.LBB62_1863:
	s_andn2_b64 vcc, exec, s[10:11]
	s_cbranch_vccnz .LBB62_1940
; %bb.1864:
	v_mov_b32_e32 v0, s15
	v_mov_b32_e32 v1, s2
	v_cmp_lt_i32_e32 vcc, s14, v5
	v_cndmask_b32_e32 v0, v0, v1, vcc
	v_add_u32_e32 v1, s3, v4
	v_ashrrev_i32_e32 v3, 31, v1
	v_mov_b32_e32 v4, s9
	v_add_co_u32_e32 v2, vcc, s8, v1
	s_cmp_lt_i32 s24, 11
	v_addc_co_u32_e32 v3, vcc, v4, v3, vcc
	s_cbranch_scc1 .LBB62_1985
; %bb.1865:
	s_and_b32 s12, 0xffff, s24
	s_mov_b64 s[4:5], -1
	s_mov_b64 s[2:3], 0
	s_cmp_gt_i32 s12, 25
	s_mov_b64 s[0:1], 0
	s_cbranch_scc0 .LBB62_1898
; %bb.1866:
	s_cmp_gt_i32 s12, 28
	s_cbranch_scc0 .LBB62_1882
; %bb.1867:
	s_cmp_gt_i32 s12, 43
	;; [unrolled: 3-line block ×3, first 2 shown]
	s_cbranch_scc0 .LBB62_1872
; %bb.1869:
	s_cmp_eq_u32 s12, 46
	s_mov_b64 s[0:1], -1
	s_cbranch_scc0 .LBB62_1871
; %bb.1870:
	v_cvt_f32_i32_e32 v1, v0
	s_movk_i32 s0, 0x7fff
	v_bfe_u32 v4, v1, 16, 1
	v_add3_u32 v1, v1, v4, s0
	v_lshrrev_b32_e32 v1, 16, v1
	global_store_dword v[2:3], v1, off
	s_mov_b64 s[0:1], 0
.LBB62_1871:
	s_mov_b64 s[4:5], 0
.LBB62_1872:
	s_and_b64 vcc, exec, s[4:5]
	s_cbranch_vccz .LBB62_1877
; %bb.1873:
	s_cmp_eq_u32 s12, 44
	s_mov_b64 s[0:1], -1
	s_cbranch_scc0 .LBB62_1877
; %bb.1874:
	v_cvt_f32_i32_e32 v1, v0
	s_movk_i32 s0, 0xff
	v_mov_b32_e32 v5, 0xff
	v_bfe_u32 v4, v1, 23, 8
	v_cmp_ne_u32_e32 vcc, s0, v4
	s_and_saveexec_b64 s[4:5], vcc
; %bb.1875:
	s_mov_b32 s0, 0x3fffff
	v_lshrrev_b32_e32 v5, 23, v1
	v_and_b32_e32 v6, 0x400000, v1
	v_and_or_b32 v1, v1, s0, v4
	v_cmp_ne_u32_e32 vcc, 0, v6
	v_cmp_ne_u32_e64 s[0:1], 0, v1
	s_and_b64 s[0:1], vcc, s[0:1]
	v_cndmask_b32_e64 v1, 0, 1, s[0:1]
	v_add_u32_e32 v5, v5, v1
; %bb.1876:
	s_or_b64 exec, exec, s[4:5]
	s_mov_b64 s[0:1], 0
	global_store_byte v[2:3], v5, off
.LBB62_1877:
	s_mov_b64 s[4:5], 0
.LBB62_1878:
	s_and_b64 vcc, exec, s[4:5]
	s_cbranch_vccz .LBB62_1881
; %bb.1879:
	s_cmp_eq_u32 s12, 29
	s_mov_b64 s[0:1], -1
	s_cbranch_scc0 .LBB62_1881
; %bb.1880:
	v_ashrrev_i32_e32 v1, 31, v0
	global_store_dwordx2 v[2:3], v[0:1], off
	s_mov_b64 s[0:1], 0
.LBB62_1881:
	s_mov_b64 s[4:5], 0
.LBB62_1882:
	s_and_b64 vcc, exec, s[4:5]
	s_cbranch_vccz .LBB62_1897
; %bb.1883:
	s_cmp_lt_i32 s12, 27
	s_mov_b64 s[4:5], -1
	s_cbranch_scc1 .LBB62_1889
; %bb.1884:
	s_cmp_gt_i32 s12, 27
	s_cbranch_scc0 .LBB62_1886
; %bb.1885:
	global_store_dword v[2:3], v0, off
	s_mov_b64 s[4:5], 0
.LBB62_1886:
	s_andn2_b64 vcc, exec, s[4:5]
	s_cbranch_vccnz .LBB62_1888
; %bb.1887:
	global_store_short v[2:3], v0, off
.LBB62_1888:
	s_mov_b64 s[4:5], 0
.LBB62_1889:
	s_andn2_b64 vcc, exec, s[4:5]
	s_cbranch_vccnz .LBB62_1897
; %bb.1890:
	v_cvt_f32_i32_e32 v1, v0
	s_mov_b32 s4, 0x43800000
	v_mov_b32_e32 v5, 0x80
	v_and_b32_e32 v4, 0x7fffffff, v1
	v_cmp_gt_u32_e32 vcc, s4, v4
	s_and_saveexec_b64 s[4:5], vcc
	s_cbranch_execz .LBB62_1896
; %bb.1891:
	s_mov_b32 s8, 0x3bffffff
	v_cmp_lt_u32_e32 vcc, s8, v4
	s_mov_b64 s[8:9], 0
                                        ; implicit-def: $vgpr4
	s_and_saveexec_b64 s[10:11], vcc
	s_xor_b64 s[10:11], exec, s[10:11]
	s_cbranch_execz .LBB62_2002
; %bb.1892:
	v_bfe_u32 v4, v1, 20, 1
	s_mov_b32 s13, 0x487ffff
	v_add3_u32 v4, v1, v4, s13
	s_mov_b64 s[8:9], exec
	v_lshrrev_b32_e32 v4, 20, v4
	s_andn2_saveexec_b64 s[10:11], s[10:11]
	s_cbranch_execnz .LBB62_2003
.LBB62_1893:
	s_or_b64 exec, exec, s[10:11]
	v_mov_b32_e32 v5, 0
	s_and_saveexec_b64 s[10:11], s[8:9]
.LBB62_1894:
	v_lshrrev_b32_e32 v1, 24, v1
	s_movk_i32 s8, 0x80
	v_and_or_b32 v5, v1, s8, v4
.LBB62_1895:
	s_or_b64 exec, exec, s[10:11]
.LBB62_1896:
	s_or_b64 exec, exec, s[4:5]
	global_store_byte v[2:3], v5, off
.LBB62_1897:
	s_mov_b64 s[4:5], 0
.LBB62_1898:
	s_and_b64 vcc, exec, s[4:5]
	s_cbranch_vccz .LBB62_1938
; %bb.1899:
	s_cmp_gt_i32 s12, 22
	s_mov_b64 s[2:3], -1
	s_cbranch_scc0 .LBB62_1931
; %bb.1900:
	s_cmp_lt_i32 s12, 24
	s_cbranch_scc1 .LBB62_1920
; %bb.1901:
	s_cmp_gt_i32 s12, 24
	s_cbranch_scc0 .LBB62_1909
; %bb.1902:
	v_cvt_f32_i32_e32 v1, v0
	s_mov_b32 s2, 0x47800000
	v_mov_b32_e32 v5, 0x80
	v_and_b32_e32 v4, 0x7fffffff, v1
	v_cmp_gt_u32_e32 vcc, s2, v4
	s_and_saveexec_b64 s[2:3], vcc
	s_cbranch_execz .LBB62_1908
; %bb.1903:
	s_mov_b32 s4, 0x37ffffff
	v_cmp_lt_u32_e32 vcc, s4, v4
	s_mov_b64 s[4:5], 0
                                        ; implicit-def: $vgpr4
	s_and_saveexec_b64 s[8:9], vcc
	s_xor_b64 s[8:9], exec, s[8:9]
	s_cbranch_execz .LBB62_2005
; %bb.1904:
	v_bfe_u32 v4, v1, 21, 1
	s_mov_b32 s10, 0x88fffff
	v_add3_u32 v4, v1, v4, s10
	s_mov_b64 s[4:5], exec
	v_lshrrev_b32_e32 v4, 21, v4
	s_andn2_saveexec_b64 s[8:9], s[8:9]
	s_cbranch_execnz .LBB62_2006
.LBB62_1905:
	s_or_b64 exec, exec, s[8:9]
	v_mov_b32_e32 v5, 0
	s_and_saveexec_b64 s[8:9], s[4:5]
.LBB62_1906:
	v_lshrrev_b32_e32 v1, 24, v1
	s_movk_i32 s4, 0x80
	v_and_or_b32 v5, v1, s4, v4
.LBB62_1907:
	s_or_b64 exec, exec, s[8:9]
.LBB62_1908:
	s_or_b64 exec, exec, s[2:3]
	s_mov_b64 s[2:3], 0
	global_store_byte v[2:3], v5, off
.LBB62_1909:
	s_and_b64 vcc, exec, s[2:3]
	s_cbranch_vccz .LBB62_1919
; %bb.1910:
	v_cvt_f32_i32_e32 v1, v0
	s_mov_b32 s2, 0x43f00000
                                        ; implicit-def: $vgpr4
	v_and_b32_e32 v5, 0x7fffffff, v1
	v_cmp_gt_u32_e32 vcc, s2, v5
	s_and_saveexec_b64 s[2:3], vcc
	s_xor_b64 s[2:3], exec, s[2:3]
	s_cbranch_execz .LBB62_1916
; %bb.1911:
	s_mov_b32 s4, 0x3c7fffff
	v_cmp_lt_u32_e32 vcc, s4, v5
                                        ; implicit-def: $vgpr4
	s_and_saveexec_b64 s[4:5], vcc
	s_xor_b64 s[4:5], exec, s[4:5]
; %bb.1912:
	v_bfe_u32 v4, v1, 20, 1
	s_mov_b32 s8, 0x407ffff
	v_add3_u32 v4, v1, v4, s8
	v_lshrrev_b32_e32 v5, 20, v4
	v_and_b32_e32 v4, 0xff00000, v4
	s_mov_b32 s8, 0x7f00000
	v_mov_b32_e32 v6, 0x7e
	v_cmp_ne_u32_e32 vcc, s8, v4
	v_cndmask_b32_e32 v4, v6, v5, vcc
; %bb.1913:
	s_andn2_saveexec_b64 s[4:5], s[4:5]
; %bb.1914:
	s_mov_b32 s8, 0x46800000
	v_add_f32_e64 v4, |v1|, s8
; %bb.1915:
	s_or_b64 exec, exec, s[4:5]
                                        ; implicit-def: $vgpr5
.LBB62_1916:
	s_andn2_saveexec_b64 s[2:3], s[2:3]
; %bb.1917:
	s_mov_b32 s4, 0x7f800000
	v_mov_b32_e32 v4, 0x7e
	v_mov_b32_e32 v6, 0x7f
	v_cmp_lt_u32_e32 vcc, s4, v5
	v_cndmask_b32_e32 v4, v4, v6, vcc
; %bb.1918:
	s_or_b64 exec, exec, s[2:3]
	v_lshrrev_b32_e32 v1, 24, v1
	s_movk_i32 s2, 0x80
	v_and_or_b32 v1, v1, s2, v4
	global_store_byte v[2:3], v1, off
.LBB62_1919:
	s_mov_b64 s[2:3], 0
.LBB62_1920:
	s_andn2_b64 vcc, exec, s[2:3]
	s_cbranch_vccnz .LBB62_1930
; %bb.1921:
	v_cvt_f32_i32_e32 v1, v0
	s_mov_b32 s2, 0x47800000
                                        ; implicit-def: $vgpr4
	v_and_b32_e32 v5, 0x7fffffff, v1
	v_cmp_gt_u32_e32 vcc, s2, v5
	s_and_saveexec_b64 s[2:3], vcc
	s_xor_b64 s[2:3], exec, s[2:3]
	s_cbranch_execz .LBB62_1927
; %bb.1922:
	s_mov_b32 s4, 0x387fffff
	v_cmp_lt_u32_e32 vcc, s4, v5
                                        ; implicit-def: $vgpr4
	s_and_saveexec_b64 s[4:5], vcc
	s_xor_b64 s[4:5], exec, s[4:5]
; %bb.1923:
	v_bfe_u32 v4, v1, 21, 1
	s_mov_b32 s8, 0x80fffff
	v_add3_u32 v4, v1, v4, s8
	v_lshrrev_b32_e32 v4, 21, v4
; %bb.1924:
	s_andn2_saveexec_b64 s[4:5], s[4:5]
; %bb.1925:
	s_mov_b32 s8, 0x43000000
	v_add_f32_e64 v4, |v1|, s8
; %bb.1926:
	s_or_b64 exec, exec, s[4:5]
                                        ; implicit-def: $vgpr5
.LBB62_1927:
	s_andn2_saveexec_b64 s[2:3], s[2:3]
; %bb.1928:
	s_mov_b32 s4, 0x7f800000
	v_mov_b32_e32 v4, 0x7c
	v_mov_b32_e32 v6, 0x7f
	v_cmp_lt_u32_e32 vcc, s4, v5
	v_cndmask_b32_e32 v4, v4, v6, vcc
; %bb.1929:
	s_or_b64 exec, exec, s[2:3]
	v_lshrrev_b32_e32 v1, 24, v1
	s_movk_i32 s2, 0x80
	v_and_or_b32 v1, v1, s2, v4
	global_store_byte v[2:3], v1, off
.LBB62_1930:
	s_mov_b64 s[2:3], 0
.LBB62_1931:
	s_andn2_b64 vcc, exec, s[2:3]
	s_mov_b64 s[2:3], 0
	s_cbranch_vccnz .LBB62_1938
; %bb.1932:
	s_cmp_gt_i32 s12, 14
	s_mov_b64 s[4:5], -1
	s_cbranch_scc0 .LBB62_1936
; %bb.1933:
	s_cmp_eq_u32 s12, 15
	s_mov_b64 s[0:1], -1
	s_cbranch_scc0 .LBB62_1935
; %bb.1934:
	v_cvt_f32_i32_e32 v1, v0
	s_movk_i32 s0, 0x7fff
	v_bfe_u32 v4, v1, 16, 1
	v_add3_u32 v1, v1, v4, s0
	global_store_short_d16_hi v[2:3], v1, off
	s_mov_b64 s[0:1], 0
.LBB62_1935:
	s_mov_b64 s[4:5], 0
.LBB62_1936:
	s_and_b64 vcc, exec, s[4:5]
	s_cbranch_vccz .LBB62_1938
; %bb.1937:
	s_cmp_lg_u32 s12, 11
	s_mov_b64 s[2:3], -1
	s_cselect_b64 s[0:1], -1, 0
.LBB62_1938:
	s_and_b64 vcc, exec, s[0:1]
	s_cbranch_vccnz .LBB62_2004
.LBB62_1939:
	s_mov_b64 s[0:1], 0
	s_branch .LBB62_1941
.LBB62_1940:
	s_mov_b64 s[0:1], 0
	s_mov_b64 s[2:3], 0
                                        ; implicit-def: $sgpr24
                                        ; implicit-def: $vgpr2_vgpr3
                                        ; implicit-def: $vgpr0
.LBB62_1941:
	s_and_b64 s[4:5], s[2:3], exec
	s_andn2_b64 s[2:3], s[16:17], exec
	s_and_b64 s[8:9], s[18:19], exec
	s_and_b64 s[0:1], s[0:1], exec
	s_or_b64 s[16:17], s[2:3], s[8:9]
.LBB62_1942:
	s_or_b64 exec, exec, s[6:7]
	s_and_saveexec_b64 s[2:3], s[16:17]
	s_cbranch_execz .LBB62_1945
; %bb.1943:
	; divergent unreachable
	s_or_b64 exec, exec, s[2:3]
	s_and_saveexec_b64 s[2:3], s[4:5]
	s_xor_b64 s[2:3], exec, s[2:3]
	s_cbranch_execnz .LBB62_1946
.LBB62_1944:
	s_or_b64 exec, exec, s[2:3]
	s_and_saveexec_b64 s[2:3], s[0:1]
	s_cbranch_execnz .LBB62_1947
	s_branch .LBB62_1984
.LBB62_1945:
	s_or_b64 exec, exec, s[2:3]
	s_and_saveexec_b64 s[2:3], s[4:5]
	s_xor_b64 s[2:3], exec, s[2:3]
	s_cbranch_execz .LBB62_1944
.LBB62_1946:
	v_cmp_ne_u32_e32 vcc, 0, v0
	v_cndmask_b32_e64 v1, 0, 1, vcc
	s_waitcnt vmcnt(0)
	global_store_byte v[2:3], v1, off
	s_or_b64 exec, exec, s[2:3]
	s_and_saveexec_b64 s[2:3], s[0:1]
	s_cbranch_execz .LBB62_1984
.LBB62_1947:
	s_sext_i32_i16 s2, s24
	s_cmp_lt_i32 s2, 5
	s_mov_b64 s[0:1], -1
	s_cbranch_scc1 .LBB62_1968
; %bb.1948:
	s_cmp_lt_i32 s2, 8
	s_cbranch_scc1 .LBB62_1958
; %bb.1949:
	s_cmp_lt_i32 s2, 9
	s_cbranch_scc1 .LBB62_1955
; %bb.1950:
	s_cmp_gt_i32 s2, 9
	s_cbranch_scc0 .LBB62_1952
; %bb.1951:
	s_waitcnt vmcnt(0)
	v_cvt_f64_i32_e32 v[4:5], v0
	v_mov_b32_e32 v6, 0
	v_mov_b32_e32 v7, v6
	s_mov_b64 s[0:1], 0
	global_store_dwordx4 v[2:3], v[4:7], off
.LBB62_1952:
	s_andn2_b64 vcc, exec, s[0:1]
	s_cbranch_vccnz .LBB62_1954
; %bb.1953:
	v_cvt_f32_i32_e32 v4, v0
	s_waitcnt vmcnt(0)
	v_mov_b32_e32 v5, 0
	global_store_dwordx2 v[2:3], v[4:5], off
.LBB62_1954:
	s_mov_b64 s[0:1], 0
.LBB62_1955:
	s_andn2_b64 vcc, exec, s[0:1]
	s_cbranch_vccnz .LBB62_1957
; %bb.1956:
	v_cvt_f32_i32_e32 v1, v0
	v_cvt_f16_f32_e32 v1, v1
	s_waitcnt vmcnt(0)
	global_store_dword v[2:3], v1, off
.LBB62_1957:
	s_mov_b64 s[0:1], 0
.LBB62_1958:
	s_andn2_b64 vcc, exec, s[0:1]
	s_cbranch_vccnz .LBB62_1967
; %bb.1959:
	s_sext_i32_i16 s2, s24
	s_cmp_lt_i32 s2, 6
	s_mov_b64 s[0:1], -1
	s_cbranch_scc1 .LBB62_1965
; %bb.1960:
	s_cmp_gt_i32 s2, 6
	s_cbranch_scc0 .LBB62_1962
; %bb.1961:
	s_waitcnt vmcnt(0)
	v_cvt_f64_i32_e32 v[4:5], v0
	s_mov_b64 s[0:1], 0
	global_store_dwordx2 v[2:3], v[4:5], off
.LBB62_1962:
	s_andn2_b64 vcc, exec, s[0:1]
	s_cbranch_vccnz .LBB62_1964
; %bb.1963:
	v_cvt_f32_i32_e32 v1, v0
	s_waitcnt vmcnt(0)
	global_store_dword v[2:3], v1, off
.LBB62_1964:
	s_mov_b64 s[0:1], 0
.LBB62_1965:
	s_andn2_b64 vcc, exec, s[0:1]
	s_cbranch_vccnz .LBB62_1967
; %bb.1966:
	v_cvt_f32_i32_e32 v1, v0
	v_cvt_f16_f32_e32 v1, v1
	s_waitcnt vmcnt(0)
	global_store_short v[2:3], v1, off
.LBB62_1967:
	s_mov_b64 s[0:1], 0
.LBB62_1968:
	s_andn2_b64 vcc, exec, s[0:1]
	s_cbranch_vccnz .LBB62_1984
; %bb.1969:
	s_sext_i32_i16 s2, s24
	s_cmp_lt_i32 s2, 2
	s_mov_b64 s[0:1], -1
	s_cbranch_scc1 .LBB62_1979
; %bb.1970:
	s_cmp_lt_i32 s2, 3
	s_cbranch_scc1 .LBB62_1976
; %bb.1971:
	s_cmp_gt_i32 s2, 3
	s_cbranch_scc0 .LBB62_1973
; %bb.1972:
	v_ashrrev_i32_e32 v1, 31, v0
	s_waitcnt vmcnt(0)
	global_store_dwordx2 v[2:3], v[0:1], off
	s_mov_b64 s[0:1], 0
.LBB62_1973:
	s_andn2_b64 vcc, exec, s[0:1]
	s_cbranch_vccnz .LBB62_1975
; %bb.1974:
	s_waitcnt vmcnt(0)
	global_store_dword v[2:3], v0, off
.LBB62_1975:
	s_mov_b64 s[0:1], 0
.LBB62_1976:
	s_andn2_b64 vcc, exec, s[0:1]
	s_cbranch_vccnz .LBB62_1978
; %bb.1977:
	s_waitcnt vmcnt(0)
	global_store_short v[2:3], v0, off
.LBB62_1978:
	s_mov_b64 s[0:1], 0
.LBB62_1979:
	s_andn2_b64 vcc, exec, s[0:1]
	s_cbranch_vccnz .LBB62_1984
; %bb.1980:
	s_sext_i32_i16 s0, s24
	s_cmp_gt_i32 s0, 0
	s_mov_b64 s[0:1], -1
	s_cbranch_scc0 .LBB62_1982
; %bb.1981:
	s_waitcnt vmcnt(0)
	global_store_byte v[2:3], v0, off
	s_mov_b64 s[0:1], 0
.LBB62_1982:
	s_andn2_b64 vcc, exec, s[0:1]
	s_cbranch_vccnz .LBB62_1984
; %bb.1983:
	s_waitcnt vmcnt(0)
	global_store_byte v[2:3], v0, off
	s_endpgm
.LBB62_1984:
	s_endpgm
.LBB62_1985:
	s_mov_b64 s[2:3], 0
	s_mov_b64 s[0:1], -1
	s_branch .LBB62_1941
.LBB62_1986:
	s_trap 2
	s_or_b64 s[18:19], s[18:19], exec
	s_cbranch_execz .LBB62_1455
	s_branch .LBB62_1456
.LBB62_1987:
	s_andn2_saveexec_b64 s[22:23], s[22:23]
	s_cbranch_execz .LBB62_1535
.LBB62_1988:
	s_mov_b32 s13, 0x46000000
	v_add_f32_e64 v8, |v1|, s13
	v_and_b32_e32 v8, 0xff, v8
	v_cmp_ne_u32_e32 vcc, 0, v8
	s_andn2_b64 s[20:21], s[20:21], exec
	s_and_b64 s[26:27], vcc, exec
	s_or_b64 s[20:21], s[20:21], s[26:27]
	s_or_b64 exec, exec, s[22:23]
	v_mov_b32_e32 v9, 0
	s_and_saveexec_b64 s[22:23], s[20:21]
	s_cbranch_execnz .LBB62_1536
	s_branch .LBB62_1537
.LBB62_1989:
	s_trap 2
	s_or_b64 s[18:19], s[18:19], exec
	s_cbranch_execz .LBB62_1583
	s_branch .LBB62_1584
.LBB62_1990:
	s_andn2_saveexec_b64 s[20:21], s[20:21]
	s_cbranch_execz .LBB62_1548
.LBB62_1991:
	s_mov_b32 s13, 0x42800000
	v_add_f32_e64 v8, |v1|, s13
	v_and_b32_e32 v8, 0xff, v8
	v_cmp_ne_u32_e32 vcc, 0, v8
	s_andn2_b64 s[10:11], s[10:11], exec
	s_and_b64 s[22:23], vcc, exec
	s_or_b64 s[10:11], s[10:11], s[22:23]
	s_or_b64 exec, exec, s[20:21]
	v_mov_b32_e32 v9, 0
	s_and_saveexec_b64 s[20:21], s[10:11]
	s_cbranch_execnz .LBB62_1549
	s_branch .LBB62_1550
.LBB62_1992:
	s_andn2_saveexec_b64 s[20:21], s[20:21]
	s_cbranch_execz .LBB62_1654
.LBB62_1993:
	s_mov_b32 s23, 0x46000000
	v_add_f32_e64 v7, |v1|, s23
	v_and_b32_e32 v7, 0xff, v7
	v_cmp_ne_u32_e32 vcc, 0, v7
	s_andn2_b64 s[12:13], s[12:13], exec
	s_and_b64 s[26:27], vcc, exec
	s_or_b64 s[12:13], s[12:13], s[26:27]
	s_or_b64 exec, exec, s[20:21]
	v_mov_b32_e32 v8, 0
	s_and_saveexec_b64 s[20:21], s[12:13]
	s_cbranch_execnz .LBB62_1655
	s_branch .LBB62_1656
.LBB62_1994:
	s_trap 2
	s_or_b64 s[18:19], s[18:19], exec
	s_cbranch_execz .LBB62_1702
	s_branch .LBB62_1703
.LBB62_1995:
	s_andn2_saveexec_b64 s[12:13], s[12:13]
	s_cbranch_execz .LBB62_1667
.LBB62_1996:
	s_mov_b32 s20, 0x42800000
	v_add_f32_e64 v7, |v1|, s20
	v_and_b32_e32 v7, 0xff, v7
	v_cmp_ne_u32_e32 vcc, 0, v7
	s_andn2_b64 s[10:11], s[10:11], exec
	s_and_b64 s[20:21], vcc, exec
	s_or_b64 s[10:11], s[10:11], s[20:21]
	s_or_b64 exec, exec, s[12:13]
	v_mov_b32_e32 v8, 0
	s_and_saveexec_b64 s[12:13], s[10:11]
	s_cbranch_execnz .LBB62_1668
	s_branch .LBB62_1669
.LBB62_1997:
	s_andn2_saveexec_b64 s[20:21], s[20:21]
	s_cbranch_execz .LBB62_1773
.LBB62_1998:
	s_mov_b32 s23, 0x46000000
	v_add_f32_e64 v6, |v1|, s23
	v_and_b32_e32 v6, 0xff, v6
	v_cmp_ne_u32_e32 vcc, 0, v6
	s_andn2_b64 s[12:13], s[12:13], exec
	s_and_b64 s[26:27], vcc, exec
	s_or_b64 s[12:13], s[12:13], s[26:27]
	s_or_b64 exec, exec, s[20:21]
	v_mov_b32_e32 v7, 0
	s_and_saveexec_b64 s[20:21], s[12:13]
	s_cbranch_execnz .LBB62_1774
	s_branch .LBB62_1775
.LBB62_1999:
	s_trap 2
	s_or_b64 s[18:19], s[18:19], exec
	s_cbranch_execz .LBB62_1821
	s_branch .LBB62_1822
.LBB62_2000:
	s_andn2_saveexec_b64 s[12:13], s[12:13]
	s_cbranch_execz .LBB62_1786
.LBB62_2001:
	s_mov_b32 s20, 0x42800000
	v_add_f32_e64 v6, |v1|, s20
	v_and_b32_e32 v6, 0xff, v6
	v_cmp_ne_u32_e32 vcc, 0, v6
	s_andn2_b64 s[10:11], s[10:11], exec
	s_and_b64 s[20:21], vcc, exec
	s_or_b64 s[10:11], s[10:11], s[20:21]
	s_or_b64 exec, exec, s[12:13]
	v_mov_b32_e32 v7, 0
	s_and_saveexec_b64 s[12:13], s[10:11]
	s_cbranch_execnz .LBB62_1787
	s_branch .LBB62_1788
.LBB62_2002:
	s_andn2_saveexec_b64 s[10:11], s[10:11]
	s_cbranch_execz .LBB62_1893
.LBB62_2003:
	s_mov_b32 s13, 0x46000000
	v_add_f32_e64 v4, |v1|, s13
	v_and_b32_e32 v4, 0xff, v4
	v_cmp_ne_u32_e32 vcc, 0, v4
	s_andn2_b64 s[8:9], s[8:9], exec
	s_and_b64 s[14:15], vcc, exec
	s_or_b64 s[8:9], s[8:9], s[14:15]
	s_or_b64 exec, exec, s[10:11]
	v_mov_b32_e32 v5, 0
	s_and_saveexec_b64 s[10:11], s[8:9]
	s_cbranch_execnz .LBB62_1894
	s_branch .LBB62_1895
.LBB62_2004:
	s_mov_b64 s[2:3], 0
	s_or_b64 s[18:19], s[18:19], exec
	s_trap 2
	s_branch .LBB62_1939
.LBB62_2005:
	s_andn2_saveexec_b64 s[8:9], s[8:9]
	s_cbranch_execz .LBB62_1905
.LBB62_2006:
	s_mov_b32 s10, 0x42800000
	v_add_f32_e64 v4, |v1|, s10
	v_and_b32_e32 v4, 0xff, v4
	v_cmp_ne_u32_e32 vcc, 0, v4
	s_andn2_b64 s[4:5], s[4:5], exec
	s_and_b64 s[10:11], vcc, exec
	s_or_b64 s[4:5], s[4:5], s[10:11]
	s_or_b64 exec, exec, s[8:9]
	v_mov_b32_e32 v5, 0
	s_and_saveexec_b64 s[8:9], s[4:5]
	s_cbranch_execnz .LBB62_1906
	s_branch .LBB62_1907
	.section	.rodata,"a",@progbits
	.p2align	6, 0x0
	.amdhsa_kernel _ZN2at6native32elementwise_kernel_manual_unrollILi128ELi4EZNS0_15gpu_kernel_implINS0_13BUnaryFunctorIiiiZNS0_12_GLOBAL__N_121threshold_kernel_implIiEEvRNS_18TensorIteratorBaseET_S8_EUliiE_EEEEvS7_RKS8_EUlibE_EEviT1_
		.amdhsa_group_segment_fixed_size 0
		.amdhsa_private_segment_fixed_size 0
		.amdhsa_kernarg_size 48
		.amdhsa_user_sgpr_count 6
		.amdhsa_user_sgpr_private_segment_buffer 1
		.amdhsa_user_sgpr_dispatch_ptr 0
		.amdhsa_user_sgpr_queue_ptr 0
		.amdhsa_user_sgpr_kernarg_segment_ptr 1
		.amdhsa_user_sgpr_dispatch_id 0
		.amdhsa_user_sgpr_flat_scratch_init 0
		.amdhsa_user_sgpr_private_segment_size 0
		.amdhsa_uses_dynamic_stack 0
		.amdhsa_system_sgpr_private_segment_wavefront_offset 0
		.amdhsa_system_sgpr_workgroup_id_x 1
		.amdhsa_system_sgpr_workgroup_id_y 0
		.amdhsa_system_sgpr_workgroup_id_z 0
		.amdhsa_system_sgpr_workgroup_info 0
		.amdhsa_system_vgpr_workitem_id 0
		.amdhsa_next_free_vgpr 12
		.amdhsa_next_free_sgpr 48
		.amdhsa_reserve_vcc 1
		.amdhsa_reserve_flat_scratch 0
		.amdhsa_float_round_mode_32 0
		.amdhsa_float_round_mode_16_64 0
		.amdhsa_float_denorm_mode_32 3
		.amdhsa_float_denorm_mode_16_64 3
		.amdhsa_dx10_clamp 1
		.amdhsa_ieee_mode 1
		.amdhsa_fp16_overflow 0
		.amdhsa_exception_fp_ieee_invalid_op 0
		.amdhsa_exception_fp_denorm_src 0
		.amdhsa_exception_fp_ieee_div_zero 0
		.amdhsa_exception_fp_ieee_overflow 0
		.amdhsa_exception_fp_ieee_underflow 0
		.amdhsa_exception_fp_ieee_inexact 0
		.amdhsa_exception_int_div_zero 0
	.end_amdhsa_kernel
	.section	.text._ZN2at6native32elementwise_kernel_manual_unrollILi128ELi4EZNS0_15gpu_kernel_implINS0_13BUnaryFunctorIiiiZNS0_12_GLOBAL__N_121threshold_kernel_implIiEEvRNS_18TensorIteratorBaseET_S8_EUliiE_EEEEvS7_RKS8_EUlibE_EEviT1_,"axG",@progbits,_ZN2at6native32elementwise_kernel_manual_unrollILi128ELi4EZNS0_15gpu_kernel_implINS0_13BUnaryFunctorIiiiZNS0_12_GLOBAL__N_121threshold_kernel_implIiEEvRNS_18TensorIteratorBaseET_S8_EUliiE_EEEEvS7_RKS8_EUlibE_EEviT1_,comdat
.Lfunc_end62:
	.size	_ZN2at6native32elementwise_kernel_manual_unrollILi128ELi4EZNS0_15gpu_kernel_implINS0_13BUnaryFunctorIiiiZNS0_12_GLOBAL__N_121threshold_kernel_implIiEEvRNS_18TensorIteratorBaseET_S8_EUliiE_EEEEvS7_RKS8_EUlibE_EEviT1_, .Lfunc_end62-_ZN2at6native32elementwise_kernel_manual_unrollILi128ELi4EZNS0_15gpu_kernel_implINS0_13BUnaryFunctorIiiiZNS0_12_GLOBAL__N_121threshold_kernel_implIiEEvRNS_18TensorIteratorBaseET_S8_EUliiE_EEEEvS7_RKS8_EUlibE_EEviT1_
                                        ; -- End function
	.set _ZN2at6native32elementwise_kernel_manual_unrollILi128ELi4EZNS0_15gpu_kernel_implINS0_13BUnaryFunctorIiiiZNS0_12_GLOBAL__N_121threshold_kernel_implIiEEvRNS_18TensorIteratorBaseET_S8_EUliiE_EEEEvS7_RKS8_EUlibE_EEviT1_.num_vgpr, 12
	.set _ZN2at6native32elementwise_kernel_manual_unrollILi128ELi4EZNS0_15gpu_kernel_implINS0_13BUnaryFunctorIiiiZNS0_12_GLOBAL__N_121threshold_kernel_implIiEEvRNS_18TensorIteratorBaseET_S8_EUliiE_EEEEvS7_RKS8_EUlibE_EEviT1_.num_agpr, 0
	.set _ZN2at6native32elementwise_kernel_manual_unrollILi128ELi4EZNS0_15gpu_kernel_implINS0_13BUnaryFunctorIiiiZNS0_12_GLOBAL__N_121threshold_kernel_implIiEEvRNS_18TensorIteratorBaseET_S8_EUliiE_EEEEvS7_RKS8_EUlibE_EEviT1_.numbered_sgpr, 48
	.set _ZN2at6native32elementwise_kernel_manual_unrollILi128ELi4EZNS0_15gpu_kernel_implINS0_13BUnaryFunctorIiiiZNS0_12_GLOBAL__N_121threshold_kernel_implIiEEvRNS_18TensorIteratorBaseET_S8_EUliiE_EEEEvS7_RKS8_EUlibE_EEviT1_.num_named_barrier, 0
	.set _ZN2at6native32elementwise_kernel_manual_unrollILi128ELi4EZNS0_15gpu_kernel_implINS0_13BUnaryFunctorIiiiZNS0_12_GLOBAL__N_121threshold_kernel_implIiEEvRNS_18TensorIteratorBaseET_S8_EUliiE_EEEEvS7_RKS8_EUlibE_EEviT1_.private_seg_size, 0
	.set _ZN2at6native32elementwise_kernel_manual_unrollILi128ELi4EZNS0_15gpu_kernel_implINS0_13BUnaryFunctorIiiiZNS0_12_GLOBAL__N_121threshold_kernel_implIiEEvRNS_18TensorIteratorBaseET_S8_EUliiE_EEEEvS7_RKS8_EUlibE_EEviT1_.uses_vcc, 1
	.set _ZN2at6native32elementwise_kernel_manual_unrollILi128ELi4EZNS0_15gpu_kernel_implINS0_13BUnaryFunctorIiiiZNS0_12_GLOBAL__N_121threshold_kernel_implIiEEvRNS_18TensorIteratorBaseET_S8_EUliiE_EEEEvS7_RKS8_EUlibE_EEviT1_.uses_flat_scratch, 0
	.set _ZN2at6native32elementwise_kernel_manual_unrollILi128ELi4EZNS0_15gpu_kernel_implINS0_13BUnaryFunctorIiiiZNS0_12_GLOBAL__N_121threshold_kernel_implIiEEvRNS_18TensorIteratorBaseET_S8_EUliiE_EEEEvS7_RKS8_EUlibE_EEviT1_.has_dyn_sized_stack, 0
	.set _ZN2at6native32elementwise_kernel_manual_unrollILi128ELi4EZNS0_15gpu_kernel_implINS0_13BUnaryFunctorIiiiZNS0_12_GLOBAL__N_121threshold_kernel_implIiEEvRNS_18TensorIteratorBaseET_S8_EUliiE_EEEEvS7_RKS8_EUlibE_EEviT1_.has_recursion, 0
	.set _ZN2at6native32elementwise_kernel_manual_unrollILi128ELi4EZNS0_15gpu_kernel_implINS0_13BUnaryFunctorIiiiZNS0_12_GLOBAL__N_121threshold_kernel_implIiEEvRNS_18TensorIteratorBaseET_S8_EUliiE_EEEEvS7_RKS8_EUlibE_EEviT1_.has_indirect_call, 0
	.section	.AMDGPU.csdata,"",@progbits
; Kernel info:
; codeLenInByte = 29392
; TotalNumSgprs: 52
; NumVgprs: 12
; ScratchSize: 0
; MemoryBound: 1
; FloatMode: 240
; IeeeMode: 1
; LDSByteSize: 0 bytes/workgroup (compile time only)
; SGPRBlocks: 6
; VGPRBlocks: 2
; NumSGPRsForWavesPerEU: 52
; NumVGPRsForWavesPerEU: 12
; Occupancy: 10
; WaveLimiterHint : 0
; COMPUTE_PGM_RSRC2:SCRATCH_EN: 0
; COMPUTE_PGM_RSRC2:USER_SGPR: 6
; COMPUTE_PGM_RSRC2:TRAP_HANDLER: 0
; COMPUTE_PGM_RSRC2:TGID_X_EN: 1
; COMPUTE_PGM_RSRC2:TGID_Y_EN: 0
; COMPUTE_PGM_RSRC2:TGID_Z_EN: 0
; COMPUTE_PGM_RSRC2:TIDIG_COMP_CNT: 0
	.section	.text._ZN2at6native32elementwise_kernel_manual_unrollILi128ELi4EZNS0_15gpu_kernel_implINS0_13BUnaryFunctorIiiiZNS0_12_GLOBAL__N_121threshold_kernel_implIiEEvRNS_18TensorIteratorBaseET_S8_EUliiE_EEEEvS7_RKS8_EUlibE0_EEviT1_,"axG",@progbits,_ZN2at6native32elementwise_kernel_manual_unrollILi128ELi4EZNS0_15gpu_kernel_implINS0_13BUnaryFunctorIiiiZNS0_12_GLOBAL__N_121threshold_kernel_implIiEEvRNS_18TensorIteratorBaseET_S8_EUliiE_EEEEvS7_RKS8_EUlibE0_EEviT1_,comdat
	.globl	_ZN2at6native32elementwise_kernel_manual_unrollILi128ELi4EZNS0_15gpu_kernel_implINS0_13BUnaryFunctorIiiiZNS0_12_GLOBAL__N_121threshold_kernel_implIiEEvRNS_18TensorIteratorBaseET_S8_EUliiE_EEEEvS7_RKS8_EUlibE0_EEviT1_ ; -- Begin function _ZN2at6native32elementwise_kernel_manual_unrollILi128ELi4EZNS0_15gpu_kernel_implINS0_13BUnaryFunctorIiiiZNS0_12_GLOBAL__N_121threshold_kernel_implIiEEvRNS_18TensorIteratorBaseET_S8_EUliiE_EEEEvS7_RKS8_EUlibE0_EEviT1_
	.p2align	8
	.type	_ZN2at6native32elementwise_kernel_manual_unrollILi128ELi4EZNS0_15gpu_kernel_implINS0_13BUnaryFunctorIiiiZNS0_12_GLOBAL__N_121threshold_kernel_implIiEEvRNS_18TensorIteratorBaseET_S8_EUliiE_EEEEvS7_RKS8_EUlibE0_EEviT1_,@function
_ZN2at6native32elementwise_kernel_manual_unrollILi128ELi4EZNS0_15gpu_kernel_implINS0_13BUnaryFunctorIiiiZNS0_12_GLOBAL__N_121threshold_kernel_implIiEEvRNS_18TensorIteratorBaseET_S8_EUliiE_EEEEvS7_RKS8_EUlibE0_EEviT1_: ; @_ZN2at6native32elementwise_kernel_manual_unrollILi128ELi4EZNS0_15gpu_kernel_implINS0_13BUnaryFunctorIiiiZNS0_12_GLOBAL__N_121threshold_kernel_implIiEEvRNS_18TensorIteratorBaseET_S8_EUliiE_EEEEvS7_RKS8_EUlibE0_EEviT1_
; %bb.0:
	s_load_dword s74, s[4:5], 0x0
	s_load_dword s33, s[4:5], 0x8
	s_add_u32 s34, s4, 8
	s_addc_u32 s35, s5, 0
	v_lshl_or_b32 v8, s6, 9, v0
	v_or_b32_e32 v15, 0x180, v8
	s_waitcnt lgkmcnt(0)
	s_add_i32 s76, s33, -1
	s_cmp_gt_u32 s76, 1
	v_cmp_le_i32_e32 vcc, s74, v15
	s_cselect_b64 s[44:45], -1, 0
	s_mov_b64 s[6:7], 0
	s_mov_b64 s[28:29], 0
	s_and_saveexec_b64 s[0:1], vcc
	s_xor_b64 s[46:47], exec, s[0:1]
	s_cbranch_execz .LBB63_1070
; %bb.1:
	s_cmp_lg_u32 s33, 0
	s_load_dwordx4 s[36:39], s[34:35], 0x4
	s_load_dwordx2 s[48:49], s[34:35], 0x14
	s_load_dword s77, s[34:35], 0x164
	s_load_dwordx4 s[40:43], s[34:35], 0xc4
	s_load_dwordx8 s[8:15], s[34:35], 0x148
	s_cselect_b64 s[54:55], -1, 0
	s_add_u32 s52, s34, 0xc4
	s_addc_u32 s53, s35, 0
	s_min_u32 s78, s76, 15
	s_cmp_gt_u32 s33, 1
	s_cselect_b64 s[50:51], -1, 0
	s_waitcnt lgkmcnt(0)
	s_bfe_u32 s15, s77, 0x80008
	v_cmp_gt_i32_e32 vcc, s74, v8
	s_mov_b64 s[2:3], -1
	s_mov_b64 s[64:65], 0
	s_mov_b64 s[58:59], 0
	;; [unrolled: 1-line block ×3, first 2 shown]
	s_and_saveexec_b64 s[60:61], vcc
	s_cbranch_execz .LBB63_262
; %bb.2:
	s_andn2_b64 vcc, exec, s[44:45]
	s_cbranch_vccnz .LBB63_7
; %bb.3:
	s_andn2_b64 vcc, exec, s[54:55]
	s_cbranch_vccnz .LBB63_8
; %bb.4:
	s_add_i32 s63, s78, 1
	s_cmp_eq_u32 s76, 2
	s_cbranch_scc1 .LBB63_9
; %bb.5:
	s_and_b32 s62, s63, 28
	v_mov_b32_e32 v2, 0
	s_mov_b32 s66, 0
	s_mov_b64 s[56:57], s[34:35]
	s_mov_b64 s[58:59], s[52:53]
	v_mov_b32_e32 v0, 0
	v_mov_b32_e32 v1, v8
.LBB63_6:                               ; =>This Inner Loop Header: Depth=1
	s_load_dwordx8 s[24:31], s[56:57], 0x4
	s_load_dwordx4 s[0:3], s[56:57], 0x24
	s_load_dwordx8 s[16:23], s[58:59], 0x0
	s_add_u32 s56, s56, 48
	s_addc_u32 s57, s57, 0
	s_waitcnt lgkmcnt(0)
	v_mul_hi_u32 v3, s25, v1
	s_add_i32 s66, s66, 4
	s_add_u32 s58, s58, 32
	s_addc_u32 s59, s59, 0
	v_add_u32_e32 v3, v1, v3
	v_lshrrev_b32_e32 v3, s26, v3
	v_mul_lo_u32 v4, v3, s24
	v_mul_hi_u32 v5, s28, v3
	s_cmp_lg_u32 s62, s66
	v_sub_u32_e32 v1, v1, v4
	v_add_u32_e32 v4, v3, v5
	v_mul_lo_u32 v5, v1, s16
	v_mul_lo_u32 v6, v1, s17
	v_lshrrev_b32_e32 v1, s29, v4
	v_mul_lo_u32 v4, v1, s27
	v_mul_hi_u32 v7, s31, v1
	v_sub_u32_e32 v3, v3, v4
	v_add_u32_e32 v4, v1, v7
	v_lshrrev_b32_e32 v4, s0, v4
	v_mul_hi_u32 v9, s2, v4
	v_mul_lo_u32 v10, v4, s30
	v_mul_lo_u32 v7, v3, s18
	;; [unrolled: 1-line block ×3, first 2 shown]
	v_sub_u32_e32 v10, v1, v10
	v_add_u32_e32 v1, v4, v9
	v_lshrrev_b32_e32 v1, s3, v1
	v_mul_lo_u32 v9, v1, s1
	v_mul_lo_u32 v11, v10, s20
	;; [unrolled: 1-line block ×3, first 2 shown]
	v_add3_u32 v0, v5, v0, v7
	v_sub_u32_e32 v4, v4, v9
	v_mul_lo_u32 v9, v4, s22
	v_mul_lo_u32 v4, v4, s23
	v_add3_u32 v2, v6, v2, v3
	v_add3_u32 v0, v11, v0, v9
	;; [unrolled: 1-line block ×3, first 2 shown]
	s_cbranch_scc1 .LBB63_6
	s_branch .LBB63_10
.LBB63_7:
                                        ; implicit-def: $vgpr0
                                        ; implicit-def: $vgpr2
	s_branch .LBB63_14
.LBB63_8:
	v_mov_b32_e32 v0, 0
	v_mov_b32_e32 v2, 0
	s_branch .LBB63_13
.LBB63_9:
	s_mov_b32 s62, 0
	v_mov_b32_e32 v0, 0
	v_mov_b32_e32 v2, 0
	v_mov_b32_e32 v1, v8
.LBB63_10:
	s_and_b32 s16, s63, 3
	s_cmp_eq_u32 s16, 0
	s_cbranch_scc1 .LBB63_13
; %bb.11:
	s_lshl_b32 s0, s62, 3
	s_add_u32 s0, s34, s0
	s_addc_u32 s1, s35, 0
	s_add_u32 s0, s0, 0xc4
	s_addc_u32 s1, s1, 0
	s_mul_i32 s2, s62, 12
	s_add_u32 s2, s34, s2
	s_addc_u32 s3, s35, 0
.LBB63_12:                              ; =>This Inner Loop Header: Depth=1
	s_load_dwordx2 s[18:19], s[2:3], 0x4
	s_load_dword s17, s[2:3], 0xc
	s_load_dwordx2 s[20:21], s[0:1], 0x0
	s_add_u32 s2, s2, 12
	s_addc_u32 s3, s3, 0
	s_waitcnt lgkmcnt(0)
	v_mul_hi_u32 v3, s19, v1
	s_add_u32 s0, s0, 8
	s_addc_u32 s1, s1, 0
	s_add_i32 s16, s16, -1
	v_add_u32_e32 v3, v1, v3
	v_lshrrev_b32_e32 v4, s17, v3
	v_mul_lo_u32 v3, v4, s18
	s_cmp_lg_u32 s16, 0
	v_sub_u32_e32 v3, v1, v3
	v_mad_u64_u32 v[0:1], s[18:19], v3, s20, v[0:1]
	v_mad_u64_u32 v[2:3], s[18:19], v3, s21, v[2:3]
	v_mov_b32_e32 v1, v4
	s_cbranch_scc1 .LBB63_12
.LBB63_13:
	s_cbranch_execnz .LBB63_16
.LBB63_14:
	v_mul_hi_u32 v0, s37, v8
	s_andn2_b64 vcc, exec, s[50:51]
	v_add_u32_e32 v0, v8, v0
	v_lshrrev_b32_e32 v1, s38, v0
	v_mul_lo_u32 v0, v1, s36
	v_sub_u32_e32 v2, v8, v0
	v_mul_lo_u32 v0, v2, s40
	v_mul_lo_u32 v2, v2, s41
	s_cbranch_vccnz .LBB63_16
; %bb.15:
	v_mul_hi_u32 v3, s48, v1
	v_add_u32_e32 v3, v1, v3
	v_lshrrev_b32_e32 v3, s49, v3
	v_mul_lo_u32 v3, v3, s39
	v_sub_u32_e32 v3, v1, v3
	v_mad_u64_u32 v[0:1], s[0:1], v3, s42, v[0:1]
	v_mad_u64_u32 v[2:3], s[0:1], v3, s43, v[2:3]
.LBB63_16:
	v_mov_b32_e32 v3, s11
	s_and_b32 s18, 0xffff, s15
	v_add_co_u32_e32 v1, vcc, s10, v2
	s_cmp_lt_i32 s18, 11
	v_addc_co_u32_e32 v2, vcc, 0, v3, vcc
	s_cbranch_scc1 .LBB63_23
; %bb.17:
	s_cmp_gt_i32 s18, 25
	s_cbranch_scc0 .LBB63_32
; %bb.18:
	s_cmp_gt_i32 s18, 28
	s_cbranch_scc0 .LBB63_35
	;; [unrolled: 3-line block ×4, first 2 shown]
; %bb.21:
	s_cmp_eq_u32 s18, 46
	s_mov_b64 s[16:17], 0
	s_cbranch_scc0 .LBB63_41
; %bb.22:
	global_load_dword v3, v[1:2], off
	s_mov_b64 s[0:1], -1
	s_mov_b64 s[2:3], 0
	s_waitcnt vmcnt(0)
	v_lshlrev_b32_e32 v3, 16, v3
	v_cvt_i32_f32_e32 v3, v3
	s_branch .LBB63_43
.LBB63_23:
	s_mov_b64 s[2:3], 0
                                        ; implicit-def: $vgpr3
	s_mov_b64 s[0:1], 0
	s_cbranch_execnz .LBB63_212
.LBB63_24:
	s_andn2_b64 vcc, exec, s[0:1]
	s_cbranch_vccnz .LBB63_259
.LBB63_25:
	v_mov_b32_e32 v1, s13
	v_mov_b32_e32 v2, s14
	s_waitcnt vmcnt(0)
	v_cmp_lt_i32_e32 vcc, s12, v3
	v_cndmask_b32_e32 v1, v1, v2, vcc
	v_mov_b32_e32 v2, s9
	s_and_b32 s22, s77, 0xff
	v_add_co_u32_e32 v3, vcc, s8, v0
	s_cmp_lt_i32 s22, 11
	v_addc_co_u32_e32 v4, vcc, 0, v2, vcc
	s_cbranch_scc1 .LBB63_33
; %bb.26:
	s_and_b32 s23, 0xffff, s22
	s_cmp_gt_i32 s23, 25
	s_cbranch_scc0 .LBB63_36
; %bb.27:
	s_cmp_gt_i32 s23, 28
	s_cbranch_scc0 .LBB63_38
; %bb.28:
	;; [unrolled: 3-line block ×4, first 2 shown]
	s_mov_b64 s[18:19], 0
	s_mov_b64 s[0:1], -1
	s_cmp_eq_u32 s23, 46
	s_mov_b64 s[16:17], 0
	s_cbranch_scc0 .LBB63_47
; %bb.31:
	v_cvt_f32_i32_e32 v0, v1
	s_movk_i32 s0, 0x7fff
	s_mov_b64 s[16:17], -1
	v_bfe_u32 v2, v0, 16, 1
	v_add3_u32 v0, v0, v2, s0
	v_lshrrev_b32_e32 v0, 16, v0
	global_store_dword v[3:4], v0, off
	s_mov_b64 s[0:1], 0
	s_branch .LBB63_47
.LBB63_32:
	s_mov_b64 s[2:3], 0
	s_mov_b64 s[0:1], 0
                                        ; implicit-def: $vgpr3
	s_cbranch_execnz .LBB63_179
	s_branch .LBB63_211
.LBB63_33:
	s_mov_b64 s[0:1], 0
	s_mov_b64 s[16:17], 0
	s_cbranch_execnz .LBB63_116
.LBB63_34:
	s_andn2_b64 vcc, exec, s[16:17]
	s_cbranch_vccnz .LBB63_260
	s_branch .LBB63_154
.LBB63_35:
	s_mov_b64 s[16:17], -1
	s_mov_b64 s[2:3], 0
	s_mov_b64 s[0:1], 0
                                        ; implicit-def: $vgpr3
	s_branch .LBB63_162
.LBB63_36:
	s_mov_b64 s[18:19], -1
	s_mov_b64 s[0:1], 0
	s_mov_b64 s[16:17], 0
	s_branch .LBB63_74
.LBB63_37:
	s_mov_b64 s[16:17], -1
	s_mov_b64 s[2:3], 0
	s_mov_b64 s[0:1], 0
                                        ; implicit-def: $vgpr3
	s_branch .LBB63_157
.LBB63_38:
	s_mov_b64 s[18:19], -1
	s_mov_b64 s[0:1], 0
	s_mov_b64 s[16:17], 0
	s_branch .LBB63_57
.LBB63_39:
	s_mov_b64 s[16:17], -1
	s_mov_b64 s[2:3], 0
	s_branch .LBB63_42
.LBB63_40:
	s_mov_b64 s[18:19], -1
	s_mov_b64 s[0:1], 0
	s_mov_b64 s[16:17], 0
	s_branch .LBB63_53
.LBB63_41:
	s_mov_b64 s[2:3], -1
.LBB63_42:
	s_mov_b64 s[0:1], 0
                                        ; implicit-def: $vgpr3
.LBB63_43:
	s_and_b64 vcc, exec, s[16:17]
	s_cbranch_vccz .LBB63_156
; %bb.44:
	s_cmp_eq_u32 s18, 44
	s_cbranch_scc0 .LBB63_155
; %bb.45:
	global_load_ubyte v3, v[1:2], off
	s_mov_b64 s[0:1], -1
	s_mov_b64 s[2:3], 0
	s_waitcnt vmcnt(0)
	v_lshlrev_b32_e32 v4, 23, v3
	v_cvt_i32_f32_e32 v4, v4
	v_cmp_ne_u32_e32 vcc, 0, v3
	v_cndmask_b32_e32 v3, 0, v4, vcc
	s_branch .LBB63_156
.LBB63_46:
	s_mov_b64 s[18:19], -1
	s_mov_b64 s[0:1], 0
	s_mov_b64 s[16:17], 0
.LBB63_47:
	s_and_b64 vcc, exec, s[18:19]
	s_cbranch_vccz .LBB63_52
; %bb.48:
	s_cmp_eq_u32 s23, 44
	s_mov_b64 s[0:1], -1
	s_cbranch_scc0 .LBB63_52
; %bb.49:
	v_cvt_f32_i32_e32 v0, v1
	s_movk_i32 s0, 0xff
	v_mov_b32_e32 v5, 0xff
	v_bfe_u32 v2, v0, 23, 8
	v_cmp_ne_u32_e32 vcc, s0, v2
	s_and_saveexec_b64 s[16:17], vcc
; %bb.50:
	s_mov_b32 s0, 0x3fffff
	v_lshrrev_b32_e32 v5, 23, v0
	v_and_b32_e32 v6, 0x400000, v0
	v_and_or_b32 v0, v0, s0, v2
	v_cmp_ne_u32_e32 vcc, 0, v6
	v_cmp_ne_u32_e64 s[0:1], 0, v0
	s_and_b64 s[0:1], vcc, s[0:1]
	v_cndmask_b32_e64 v0, 0, 1, s[0:1]
	v_add_u32_e32 v5, v5, v0
; %bb.51:
	s_or_b64 exec, exec, s[16:17]
	s_mov_b64 s[16:17], -1
	s_mov_b64 s[0:1], 0
	global_store_byte v[3:4], v5, off
.LBB63_52:
	s_mov_b64 s[18:19], 0
.LBB63_53:
	s_and_b64 vcc, exec, s[18:19]
	s_cbranch_vccz .LBB63_56
; %bb.54:
	s_cmp_eq_u32 s23, 29
	s_mov_b64 s[0:1], -1
	s_cbranch_scc0 .LBB63_56
; %bb.55:
	v_ashrrev_i32_e32 v2, 31, v1
	global_store_dwordx2 v[3:4], v[1:2], off
	s_mov_b64 s[16:17], -1
	s_mov_b64 s[0:1], 0
.LBB63_56:
	s_mov_b64 s[18:19], 0
.LBB63_57:
	s_and_b64 vcc, exec, s[18:19]
	s_cbranch_vccz .LBB63_73
; %bb.58:
	s_cmp_lt_i32 s23, 27
	s_mov_b64 s[16:17], -1
	s_cbranch_scc1 .LBB63_64
; %bb.59:
	s_cmp_gt_i32 s23, 27
	s_cbranch_scc0 .LBB63_61
; %bb.60:
	s_mov_b64 s[16:17], 0
	global_store_dword v[3:4], v1, off
.LBB63_61:
	s_andn2_b64 vcc, exec, s[16:17]
	s_cbranch_vccnz .LBB63_63
; %bb.62:
	global_store_short v[3:4], v1, off
.LBB63_63:
	s_mov_b64 s[16:17], 0
.LBB63_64:
	s_andn2_b64 vcc, exec, s[16:17]
	s_cbranch_vccnz .LBB63_72
; %bb.65:
	v_cvt_f32_i32_e32 v0, v1
	s_mov_b32 s16, 0x43800000
	v_mov_b32_e32 v5, 0x80
	v_and_b32_e32 v2, 0x7fffffff, v0
	v_cmp_gt_u32_e32 vcc, s16, v2
	s_and_saveexec_b64 s[16:17], vcc
	s_cbranch_execz .LBB63_71
; %bb.66:
	s_mov_b32 s18, 0x3bffffff
	v_cmp_lt_u32_e32 vcc, s18, v2
	s_mov_b64 s[18:19], 0
                                        ; implicit-def: $vgpr2
	s_and_saveexec_b64 s[20:21], vcc
	s_xor_b64 s[20:21], exec, s[20:21]
	s_cbranch_execz .LBB63_303
; %bb.67:
	v_bfe_u32 v2, v0, 20, 1
	s_mov_b32 s24, 0x487ffff
	v_add3_u32 v2, v0, v2, s24
	s_mov_b64 s[18:19], exec
	v_lshrrev_b32_e32 v2, 20, v2
	s_andn2_saveexec_b64 s[20:21], s[20:21]
	s_cbranch_execnz .LBB63_304
.LBB63_68:
	s_or_b64 exec, exec, s[20:21]
	v_mov_b32_e32 v5, 0
	s_and_saveexec_b64 s[20:21], s[18:19]
.LBB63_69:
	v_lshrrev_b32_e32 v0, 24, v0
	s_movk_i32 s18, 0x80
	v_and_or_b32 v5, v0, s18, v2
.LBB63_70:
	s_or_b64 exec, exec, s[20:21]
.LBB63_71:
	s_or_b64 exec, exec, s[16:17]
	global_store_byte v[3:4], v5, off
.LBB63_72:
	s_mov_b64 s[16:17], -1
.LBB63_73:
	s_mov_b64 s[18:19], 0
.LBB63_74:
	s_and_b64 vcc, exec, s[18:19]
	s_cbranch_vccz .LBB63_115
; %bb.75:
	s_cmp_gt_i32 s23, 22
	s_mov_b64 s[18:19], -1
	s_cbranch_scc0 .LBB63_107
; %bb.76:
	s_cmp_lt_i32 s23, 24
	s_mov_b64 s[16:17], -1
	s_cbranch_scc1 .LBB63_96
; %bb.77:
	s_cmp_gt_i32 s23, 24
	s_cbranch_scc0 .LBB63_85
; %bb.78:
	v_cvt_f32_i32_e32 v0, v1
	s_mov_b32 s16, 0x47800000
	v_mov_b32_e32 v5, 0x80
	v_and_b32_e32 v2, 0x7fffffff, v0
	v_cmp_gt_u32_e32 vcc, s16, v2
	s_and_saveexec_b64 s[16:17], vcc
	s_cbranch_execz .LBB63_84
; %bb.79:
	s_mov_b32 s18, 0x37ffffff
	v_cmp_lt_u32_e32 vcc, s18, v2
	s_mov_b64 s[18:19], 0
                                        ; implicit-def: $vgpr2
	s_and_saveexec_b64 s[20:21], vcc
	s_xor_b64 s[20:21], exec, s[20:21]
	s_cbranch_execz .LBB63_307
; %bb.80:
	v_bfe_u32 v2, v0, 21, 1
	s_mov_b32 s24, 0x88fffff
	v_add3_u32 v2, v0, v2, s24
	s_mov_b64 s[18:19], exec
	v_lshrrev_b32_e32 v2, 21, v2
	s_andn2_saveexec_b64 s[20:21], s[20:21]
	s_cbranch_execnz .LBB63_308
.LBB63_81:
	s_or_b64 exec, exec, s[20:21]
	v_mov_b32_e32 v5, 0
	s_and_saveexec_b64 s[20:21], s[18:19]
.LBB63_82:
	v_lshrrev_b32_e32 v0, 24, v0
	s_movk_i32 s18, 0x80
	v_and_or_b32 v5, v0, s18, v2
.LBB63_83:
	s_or_b64 exec, exec, s[20:21]
.LBB63_84:
	s_or_b64 exec, exec, s[16:17]
	s_mov_b64 s[16:17], 0
	global_store_byte v[3:4], v5, off
.LBB63_85:
	s_and_b64 vcc, exec, s[16:17]
	s_cbranch_vccz .LBB63_95
; %bb.86:
	v_cvt_f32_i32_e32 v0, v1
	s_mov_b32 s16, 0x43f00000
                                        ; implicit-def: $vgpr2
	v_and_b32_e32 v5, 0x7fffffff, v0
	v_cmp_gt_u32_e32 vcc, s16, v5
	s_and_saveexec_b64 s[16:17], vcc
	s_xor_b64 s[16:17], exec, s[16:17]
	s_cbranch_execz .LBB63_92
; %bb.87:
	s_mov_b32 s18, 0x3c7fffff
	v_cmp_lt_u32_e32 vcc, s18, v5
                                        ; implicit-def: $vgpr2
	s_and_saveexec_b64 s[18:19], vcc
	s_xor_b64 s[18:19], exec, s[18:19]
; %bb.88:
	v_bfe_u32 v2, v0, 20, 1
	s_mov_b32 s20, 0x407ffff
	v_add3_u32 v2, v0, v2, s20
	v_lshrrev_b32_e32 v5, 20, v2
	v_and_b32_e32 v2, 0xff00000, v2
	s_mov_b32 s20, 0x7f00000
	v_mov_b32_e32 v6, 0x7e
	v_cmp_ne_u32_e32 vcc, s20, v2
	v_cndmask_b32_e32 v2, v6, v5, vcc
; %bb.89:
	s_andn2_saveexec_b64 s[18:19], s[18:19]
; %bb.90:
	s_mov_b32 s20, 0x46800000
	v_add_f32_e64 v2, |v0|, s20
; %bb.91:
	s_or_b64 exec, exec, s[18:19]
                                        ; implicit-def: $vgpr5
.LBB63_92:
	s_andn2_saveexec_b64 s[16:17], s[16:17]
; %bb.93:
	s_mov_b32 s18, 0x7f800000
	v_mov_b32_e32 v2, 0x7e
	v_mov_b32_e32 v6, 0x7f
	v_cmp_lt_u32_e32 vcc, s18, v5
	v_cndmask_b32_e32 v2, v2, v6, vcc
; %bb.94:
	s_or_b64 exec, exec, s[16:17]
	v_lshrrev_b32_e32 v0, 24, v0
	s_movk_i32 s16, 0x80
	v_and_or_b32 v0, v0, s16, v2
	global_store_byte v[3:4], v0, off
.LBB63_95:
	s_mov_b64 s[16:17], 0
.LBB63_96:
	s_andn2_b64 vcc, exec, s[16:17]
	s_cbranch_vccnz .LBB63_106
; %bb.97:
	v_cvt_f32_i32_e32 v0, v1
	s_mov_b32 s16, 0x47800000
                                        ; implicit-def: $vgpr2
	v_and_b32_e32 v5, 0x7fffffff, v0
	v_cmp_gt_u32_e32 vcc, s16, v5
	s_and_saveexec_b64 s[16:17], vcc
	s_xor_b64 s[16:17], exec, s[16:17]
	s_cbranch_execz .LBB63_103
; %bb.98:
	s_mov_b32 s18, 0x387fffff
	v_cmp_lt_u32_e32 vcc, s18, v5
                                        ; implicit-def: $vgpr2
	s_and_saveexec_b64 s[18:19], vcc
	s_xor_b64 s[18:19], exec, s[18:19]
; %bb.99:
	v_bfe_u32 v2, v0, 21, 1
	s_mov_b32 s20, 0x80fffff
	v_add3_u32 v2, v0, v2, s20
	v_lshrrev_b32_e32 v2, 21, v2
; %bb.100:
	s_andn2_saveexec_b64 s[18:19], s[18:19]
; %bb.101:
	s_mov_b32 s20, 0x43000000
	v_add_f32_e64 v2, |v0|, s20
; %bb.102:
	s_or_b64 exec, exec, s[18:19]
                                        ; implicit-def: $vgpr5
.LBB63_103:
	s_andn2_saveexec_b64 s[16:17], s[16:17]
; %bb.104:
	s_mov_b32 s18, 0x7f800000
	v_mov_b32_e32 v2, 0x7c
	v_mov_b32_e32 v6, 0x7f
	v_cmp_lt_u32_e32 vcc, s18, v5
	v_cndmask_b32_e32 v2, v2, v6, vcc
; %bb.105:
	s_or_b64 exec, exec, s[16:17]
	v_lshrrev_b32_e32 v0, 24, v0
	s_movk_i32 s16, 0x80
	v_and_or_b32 v0, v0, s16, v2
	global_store_byte v[3:4], v0, off
.LBB63_106:
	s_mov_b64 s[18:19], 0
	s_mov_b64 s[16:17], -1
.LBB63_107:
	s_andn2_b64 vcc, exec, s[18:19]
	s_cbranch_vccnz .LBB63_115
; %bb.108:
	s_cmp_gt_i32 s23, 14
	s_mov_b64 s[18:19], -1
	s_cbranch_scc0 .LBB63_112
; %bb.109:
	s_cmp_eq_u32 s23, 15
	s_mov_b64 s[0:1], -1
	s_cbranch_scc0 .LBB63_111
; %bb.110:
	v_cvt_f32_i32_e32 v0, v1
	s_movk_i32 s0, 0x7fff
	s_mov_b64 s[16:17], -1
	v_bfe_u32 v2, v0, 16, 1
	v_add3_u32 v0, v0, v2, s0
	global_store_short_d16_hi v[3:4], v0, off
	s_mov_b64 s[0:1], 0
.LBB63_111:
	s_mov_b64 s[18:19], 0
.LBB63_112:
	s_and_b64 vcc, exec, s[18:19]
	s_cbranch_vccz .LBB63_115
; %bb.113:
	s_cmp_eq_u32 s23, 11
	s_mov_b64 s[0:1], -1
	s_cbranch_scc0 .LBB63_115
; %bb.114:
	v_cmp_ne_u32_e32 vcc, 0, v1
	v_cndmask_b32_e64 v0, 0, 1, vcc
	s_mov_b64 s[16:17], -1
	s_mov_b64 s[0:1], 0
	global_store_byte v[3:4], v0, off
.LBB63_115:
	s_branch .LBB63_34
.LBB63_116:
	s_and_b32 s18, 0xffff, s22
	s_cmp_lt_i32 s18, 5
	s_mov_b64 s[16:17], -1
	s_cbranch_scc1 .LBB63_137
; %bb.117:
	s_cmp_lt_i32 s18, 8
	s_cbranch_scc1 .LBB63_127
; %bb.118:
	s_cmp_lt_i32 s18, 9
	s_cbranch_scc1 .LBB63_124
; %bb.119:
	s_cmp_gt_i32 s18, 9
	s_cbranch_scc0 .LBB63_121
; %bb.120:
	v_cvt_f64_i32_e32 v[9:10], v1
	v_mov_b32_e32 v11, 0
	v_mov_b32_e32 v12, v11
	s_mov_b64 s[16:17], 0
	global_store_dwordx4 v[3:4], v[9:12], off
.LBB63_121:
	s_andn2_b64 vcc, exec, s[16:17]
	s_cbranch_vccnz .LBB63_123
; %bb.122:
	v_cvt_f32_i32_e32 v5, v1
	v_mov_b32_e32 v6, 0
	global_store_dwordx2 v[3:4], v[5:6], off
.LBB63_123:
	s_mov_b64 s[16:17], 0
.LBB63_124:
	s_andn2_b64 vcc, exec, s[16:17]
	s_cbranch_vccnz .LBB63_126
; %bb.125:
	v_cvt_f32_i32_e32 v0, v1
	v_cvt_f16_f32_e32 v0, v0
	global_store_dword v[3:4], v0, off
.LBB63_126:
	s_mov_b64 s[16:17], 0
.LBB63_127:
	s_andn2_b64 vcc, exec, s[16:17]
	s_cbranch_vccnz .LBB63_136
; %bb.128:
	s_cmp_lt_i32 s18, 6
	s_mov_b64 s[16:17], -1
	s_cbranch_scc1 .LBB63_134
; %bb.129:
	s_cmp_gt_i32 s18, 6
	s_cbranch_scc0 .LBB63_131
; %bb.130:
	v_cvt_f64_i32_e32 v[5:6], v1
	s_mov_b64 s[16:17], 0
	global_store_dwordx2 v[3:4], v[5:6], off
.LBB63_131:
	s_andn2_b64 vcc, exec, s[16:17]
	s_cbranch_vccnz .LBB63_133
; %bb.132:
	v_cvt_f32_i32_e32 v0, v1
	global_store_dword v[3:4], v0, off
.LBB63_133:
	s_mov_b64 s[16:17], 0
.LBB63_134:
	s_andn2_b64 vcc, exec, s[16:17]
	s_cbranch_vccnz .LBB63_136
; %bb.135:
	v_cvt_f32_i32_e32 v0, v1
	v_cvt_f16_f32_e32 v0, v0
	global_store_short v[3:4], v0, off
.LBB63_136:
	s_mov_b64 s[16:17], 0
.LBB63_137:
	s_andn2_b64 vcc, exec, s[16:17]
	s_cbranch_vccnz .LBB63_153
; %bb.138:
	s_cmp_lt_i32 s18, 2
	s_mov_b64 s[16:17], -1
	s_cbranch_scc1 .LBB63_148
; %bb.139:
	s_cmp_lt_i32 s18, 3
	s_cbranch_scc1 .LBB63_145
; %bb.140:
	s_cmp_gt_i32 s18, 3
	s_cbranch_scc0 .LBB63_142
; %bb.141:
	v_ashrrev_i32_e32 v2, 31, v1
	global_store_dwordx2 v[3:4], v[1:2], off
	s_mov_b64 s[16:17], 0
.LBB63_142:
	s_andn2_b64 vcc, exec, s[16:17]
	s_cbranch_vccnz .LBB63_144
; %bb.143:
	global_store_dword v[3:4], v1, off
.LBB63_144:
	s_mov_b64 s[16:17], 0
.LBB63_145:
	s_andn2_b64 vcc, exec, s[16:17]
	s_cbranch_vccnz .LBB63_147
; %bb.146:
	global_store_short v[3:4], v1, off
.LBB63_147:
	s_mov_b64 s[16:17], 0
.LBB63_148:
	s_andn2_b64 vcc, exec, s[16:17]
	s_cbranch_vccnz .LBB63_153
; %bb.149:
	s_cmp_gt_i32 s18, 0
	s_mov_b64 s[16:17], -1
	s_cbranch_scc0 .LBB63_151
; %bb.150:
	global_store_byte v[3:4], v1, off
	s_mov_b64 s[16:17], 0
.LBB63_151:
	s_andn2_b64 vcc, exec, s[16:17]
	s_cbranch_vccnz .LBB63_153
; %bb.152:
	global_store_byte v[3:4], v1, off
.LBB63_153:
.LBB63_154:
	v_add_u32_e32 v8, 0x80, v8
	s_mov_b64 s[16:17], -1
	s_branch .LBB63_261
.LBB63_155:
	s_mov_b64 s[2:3], -1
                                        ; implicit-def: $vgpr3
.LBB63_156:
	s_mov_b64 s[16:17], 0
.LBB63_157:
	s_and_b64 vcc, exec, s[16:17]
	s_cbranch_vccz .LBB63_161
; %bb.158:
	s_cmp_eq_u32 s18, 29
	s_cbranch_scc0 .LBB63_160
; %bb.159:
	global_load_dword v3, v[1:2], off
	s_mov_b64 s[0:1], -1
	s_mov_b64 s[2:3], 0
	s_branch .LBB63_161
.LBB63_160:
	s_mov_b64 s[2:3], -1
                                        ; implicit-def: $vgpr3
.LBB63_161:
	s_mov_b64 s[16:17], 0
.LBB63_162:
	s_and_b64 vcc, exec, s[16:17]
	s_cbranch_vccz .LBB63_178
; %bb.163:
	s_cmp_lt_i32 s18, 27
	s_cbranch_scc1 .LBB63_166
; %bb.164:
	s_cmp_gt_i32 s18, 27
	s_cbranch_scc0 .LBB63_167
; %bb.165:
	global_load_dword v3, v[1:2], off
	s_mov_b64 s[0:1], 0
	s_branch .LBB63_168
.LBB63_166:
	s_mov_b64 s[0:1], -1
                                        ; implicit-def: $vgpr3
	s_branch .LBB63_171
.LBB63_167:
	s_mov_b64 s[0:1], -1
                                        ; implicit-def: $vgpr3
.LBB63_168:
	s_andn2_b64 vcc, exec, s[0:1]
	s_cbranch_vccnz .LBB63_170
; %bb.169:
	global_load_ushort v3, v[1:2], off
.LBB63_170:
	s_mov_b64 s[0:1], 0
.LBB63_171:
	s_andn2_b64 vcc, exec, s[0:1]
	s_cbranch_vccnz .LBB63_177
; %bb.172:
	global_load_ubyte v4, v[1:2], off
	s_movk_i32 s0, 0x7f
	s_mov_b64 s[16:17], 0
	s_waitcnt vmcnt(0)
	v_cmp_lt_i16_e32 vcc, s0, v4
	s_and_saveexec_b64 s[0:1], vcc
	s_xor_b64 s[0:1], exec, s[0:1]
	s_cbranch_execz .LBB63_188
; %bb.173:
	s_movk_i32 s16, 0x80
	v_cmp_ne_u16_e32 vcc, s16, v4
	s_and_b64 s[16:17], vcc, exec
	s_andn2_saveexec_b64 s[0:1], s[0:1]
	s_cbranch_execnz .LBB63_189
.LBB63_174:
	s_or_b64 exec, exec, s[0:1]
	v_mov_b32_e32 v3, 0
	s_and_saveexec_b64 s[0:1], s[16:17]
	s_cbranch_execz .LBB63_176
.LBB63_175:
	v_lshlrev_b32_e32 v3, 24, v4
	v_and_b32_e32 v4, 0xffff, v4
	v_and_b32_e32 v5, 7, v4
	v_ffbh_u32_e32 v7, v5
	v_min_u32_e32 v7, 32, v7
	v_subrev_u32_e32 v9, 28, v7
	v_bfe_u32 v6, v4, 3, 4
	v_lshlrev_b32_e32 v4, v9, v4
	v_sub_u32_e32 v7, 29, v7
	v_and_b32_e32 v4, 7, v4
	v_cmp_eq_u32_e32 vcc, 0, v6
	v_cndmask_b32_e32 v6, v6, v7, vcc
	v_cndmask_b32_e32 v4, v5, v4, vcc
	v_mov_b32_e32 v5, 0x3b800000
	v_lshlrev_b32_e32 v4, 20, v4
	v_and_b32_e32 v3, 0x80000000, v3
	v_lshl_add_u32 v5, v6, 23, v5
	v_or3_b32 v3, v3, v5, v4
	v_cvt_i32_f32_e32 v3, v3
.LBB63_176:
	s_or_b64 exec, exec, s[0:1]
.LBB63_177:
	s_mov_b64 s[0:1], -1
.LBB63_178:
	s_branch .LBB63_211
.LBB63_179:
	s_cmp_gt_i32 s18, 22
	s_cbranch_scc0 .LBB63_187
; %bb.180:
	s_cmp_lt_i32 s18, 24
	s_cbranch_scc1 .LBB63_190
; %bb.181:
	s_cmp_gt_i32 s18, 24
	s_cbranch_scc0 .LBB63_191
; %bb.182:
	global_load_ubyte v4, v[1:2], off
	s_movk_i32 s0, 0x7f
	s_mov_b64 s[16:17], 0
	s_waitcnt vmcnt(0)
	v_cmp_lt_i16_e32 vcc, s0, v4
	s_and_saveexec_b64 s[0:1], vcc
	s_xor_b64 s[0:1], exec, s[0:1]
	s_cbranch_execz .LBB63_203
; %bb.183:
	s_movk_i32 s16, 0x80
	v_cmp_ne_u16_e32 vcc, s16, v4
	s_and_b64 s[16:17], vcc, exec
	s_andn2_saveexec_b64 s[0:1], s[0:1]
	s_cbranch_execnz .LBB63_204
.LBB63_184:
	s_or_b64 exec, exec, s[0:1]
	v_mov_b32_e32 v3, 0
	s_and_saveexec_b64 s[0:1], s[16:17]
	s_cbranch_execz .LBB63_186
.LBB63_185:
	v_lshlrev_b32_e32 v3, 24, v4
	v_and_b32_e32 v4, 0xffff, v4
	v_and_b32_e32 v5, 3, v4
	v_ffbh_u32_e32 v7, v5
	v_min_u32_e32 v7, 32, v7
	v_subrev_u32_e32 v9, 29, v7
	v_bfe_u32 v6, v4, 2, 5
	v_lshlrev_b32_e32 v4, v9, v4
	v_sub_u32_e32 v7, 30, v7
	v_and_b32_e32 v4, 3, v4
	v_cmp_eq_u32_e32 vcc, 0, v6
	v_cndmask_b32_e32 v6, v6, v7, vcc
	v_cndmask_b32_e32 v4, v5, v4, vcc
	v_mov_b32_e32 v5, 0x37800000
	v_lshlrev_b32_e32 v4, 21, v4
	v_and_b32_e32 v3, 0x80000000, v3
	v_lshl_add_u32 v5, v6, 23, v5
	v_or3_b32 v3, v3, v5, v4
	v_cvt_i32_f32_e32 v3, v3
.LBB63_186:
	s_or_b64 exec, exec, s[0:1]
	s_mov_b64 s[0:1], 0
	s_branch .LBB63_192
.LBB63_187:
	s_mov_b64 s[16:17], -1
                                        ; implicit-def: $vgpr3
	s_branch .LBB63_198
.LBB63_188:
	s_andn2_saveexec_b64 s[0:1], s[0:1]
	s_cbranch_execz .LBB63_174
.LBB63_189:
	v_cmp_ne_u16_e32 vcc, 0, v4
	s_andn2_b64 s[16:17], s[16:17], exec
	s_and_b64 s[20:21], vcc, exec
	s_or_b64 s[16:17], s[16:17], s[20:21]
	s_or_b64 exec, exec, s[0:1]
	v_mov_b32_e32 v3, 0
	s_and_saveexec_b64 s[0:1], s[16:17]
	s_cbranch_execnz .LBB63_175
	s_branch .LBB63_176
.LBB63_190:
	s_mov_b64 s[0:1], -1
                                        ; implicit-def: $vgpr3
	s_branch .LBB63_195
.LBB63_191:
	s_mov_b64 s[0:1], -1
                                        ; implicit-def: $vgpr3
.LBB63_192:
	s_and_b64 vcc, exec, s[0:1]
	s_cbranch_vccz .LBB63_194
; %bb.193:
	global_load_ubyte v3, v[1:2], off
	s_mov_b32 s0, 0x7f800000
	s_waitcnt vmcnt(0)
	v_lshlrev_b32_e32 v3, 24, v3
	v_and_b32_e32 v4, 0x7f000000, v3
	v_ffbh_u32_e32 v5, v4
	v_min_u32_e32 v5, 32, v5
	v_sub_u32_e64 v5, v5, 4 clamp
	v_lshlrev_b32_e32 v7, v5, v4
	v_lshlrev_b32_e32 v5, 23, v5
	v_lshrrev_b32_e32 v7, 4, v7
	v_add_u32_e32 v6, 0x1000000, v4
	v_sub_u32_e32 v5, v7, v5
	v_ashrrev_i32_e32 v6, 8, v6
	v_add_u32_e32 v5, 0x3c000000, v5
	v_and_or_b32 v5, v6, s0, v5
	v_cmp_ne_u32_e32 vcc, 0, v4
	v_cndmask_b32_e32 v4, 0, v5, vcc
	s_brev_b32 s0, 1
	v_and_or_b32 v3, v3, s0, v4
	v_cvt_i32_f32_e32 v3, v3
.LBB63_194:
	s_mov_b64 s[0:1], 0
.LBB63_195:
	s_andn2_b64 vcc, exec, s[0:1]
	s_cbranch_vccnz .LBB63_197
; %bb.196:
	global_load_ubyte v3, v[1:2], off
	s_movk_i32 s0, 0x7f00
	s_brev_b32 s1, 16
	s_waitcnt vmcnt(0)
	v_lshlrev_b16_e32 v4, 8, v3
	v_lshlrev_b32_e32 v3, 25, v3
	v_lshrrev_b32_e32 v5, 4, v3
	v_and_or_b32 v6, v4, s0, 0.5
	v_or_b32_e32 v5, 0x70000000, v5
	v_add_f32_e32 v6, -0.5, v6
	v_mul_f32_e32 v5, 0x7800000, v5
	v_cmp_gt_u32_e32 vcc, s1, v3
	v_bfe_i32 v4, v4, 0, 16
	v_cndmask_b32_e32 v3, v5, v6, vcc
	s_brev_b32 s0, 1
	v_and_or_b32 v3, v4, s0, v3
	v_cvt_i32_f32_e32 v3, v3
.LBB63_197:
	s_mov_b64 s[16:17], 0
	s_mov_b64 s[0:1], -1
.LBB63_198:
	s_andn2_b64 vcc, exec, s[16:17]
	s_cbranch_vccnz .LBB63_211
; %bb.199:
	s_cmp_gt_i32 s18, 14
	s_cbranch_scc0 .LBB63_202
; %bb.200:
	s_cmp_eq_u32 s18, 15
	s_cbranch_scc0 .LBB63_205
; %bb.201:
	global_load_ushort v3, v[1:2], off
	s_mov_b64 s[0:1], -1
	s_mov_b64 s[2:3], 0
	s_waitcnt vmcnt(0)
	v_lshlrev_b32_e32 v3, 16, v3
	v_cvt_i32_f32_e32 v3, v3
	s_branch .LBB63_206
.LBB63_202:
	s_mov_b64 s[16:17], -1
                                        ; implicit-def: $vgpr3
	s_branch .LBB63_207
.LBB63_203:
	s_andn2_saveexec_b64 s[0:1], s[0:1]
	s_cbranch_execz .LBB63_184
.LBB63_204:
	v_cmp_ne_u16_e32 vcc, 0, v4
	s_andn2_b64 s[16:17], s[16:17], exec
	s_and_b64 s[20:21], vcc, exec
	s_or_b64 s[16:17], s[16:17], s[20:21]
	s_or_b64 exec, exec, s[0:1]
	v_mov_b32_e32 v3, 0
	s_and_saveexec_b64 s[0:1], s[16:17]
	s_cbranch_execnz .LBB63_185
	s_branch .LBB63_186
.LBB63_205:
	s_mov_b64 s[2:3], -1
                                        ; implicit-def: $vgpr3
.LBB63_206:
	s_mov_b64 s[16:17], 0
.LBB63_207:
	s_and_b64 vcc, exec, s[16:17]
	s_cbranch_vccz .LBB63_211
; %bb.208:
	s_cmp_eq_u32 s18, 11
	s_cbranch_scc0 .LBB63_210
; %bb.209:
	global_load_ubyte v3, v[1:2], off
	s_mov_b64 s[0:1], -1
	s_mov_b64 s[2:3], 0
	s_waitcnt vmcnt(0)
	v_cmp_ne_u16_e32 vcc, 0, v3
	v_cndmask_b32_e64 v3, 0, 1, vcc
	s_branch .LBB63_211
.LBB63_210:
	s_mov_b64 s[2:3], -1
                                        ; implicit-def: $vgpr3
.LBB63_211:
	s_branch .LBB63_24
.LBB63_212:
	s_cmp_lt_i32 s18, 5
	s_cbranch_scc1 .LBB63_217
; %bb.213:
	s_cmp_lt_i32 s18, 8
	s_cbranch_scc1 .LBB63_218
; %bb.214:
	;; [unrolled: 3-line block ×3, first 2 shown]
	s_cmp_gt_i32 s18, 9
	s_cbranch_scc0 .LBB63_220
; %bb.216:
	global_load_dwordx2 v[3:4], v[1:2], off
	s_mov_b64 s[0:1], 0
	s_waitcnt vmcnt(0)
	v_cvt_i32_f64_e32 v3, v[3:4]
	s_branch .LBB63_221
.LBB63_217:
                                        ; implicit-def: $vgpr3
	s_branch .LBB63_239
.LBB63_218:
	s_mov_b64 s[0:1], -1
                                        ; implicit-def: $vgpr3
	s_branch .LBB63_227
.LBB63_219:
	s_mov_b64 s[0:1], -1
                                        ; implicit-def: $vgpr3
	s_branch .LBB63_224
.LBB63_220:
	s_mov_b64 s[0:1], -1
                                        ; implicit-def: $vgpr3
.LBB63_221:
	s_andn2_b64 vcc, exec, s[0:1]
	s_cbranch_vccnz .LBB63_223
; %bb.222:
	global_load_dword v3, v[1:2], off
	s_waitcnt vmcnt(0)
	v_cvt_i32_f32_e32 v3, v3
.LBB63_223:
	s_mov_b64 s[0:1], 0
.LBB63_224:
	s_andn2_b64 vcc, exec, s[0:1]
	s_cbranch_vccnz .LBB63_226
; %bb.225:
	global_load_dword v3, v[1:2], off
	s_waitcnt vmcnt(0)
	v_cvt_f32_f16_e32 v3, v3
	v_cvt_i32_f32_e32 v3, v3
.LBB63_226:
	s_mov_b64 s[0:1], 0
.LBB63_227:
	s_andn2_b64 vcc, exec, s[0:1]
	s_cbranch_vccnz .LBB63_238
; %bb.228:
	s_cmp_lt_i32 s18, 6
	s_cbranch_scc1 .LBB63_231
; %bb.229:
	s_cmp_gt_i32 s18, 6
	s_cbranch_scc0 .LBB63_232
; %bb.230:
	global_load_dwordx2 v[3:4], v[1:2], off
	s_mov_b64 s[0:1], 0
	s_waitcnt vmcnt(0)
	v_cvt_i32_f64_e32 v3, v[3:4]
	s_branch .LBB63_233
.LBB63_231:
	s_mov_b64 s[0:1], -1
                                        ; implicit-def: $vgpr3
	s_branch .LBB63_236
.LBB63_232:
	s_mov_b64 s[0:1], -1
                                        ; implicit-def: $vgpr3
.LBB63_233:
	s_andn2_b64 vcc, exec, s[0:1]
	s_cbranch_vccnz .LBB63_235
; %bb.234:
	global_load_dword v3, v[1:2], off
	s_waitcnt vmcnt(0)
	v_cvt_i32_f32_e32 v3, v3
.LBB63_235:
	s_mov_b64 s[0:1], 0
.LBB63_236:
	s_andn2_b64 vcc, exec, s[0:1]
	s_cbranch_vccnz .LBB63_238
; %bb.237:
	global_load_ushort v3, v[1:2], off
	s_waitcnt vmcnt(0)
	v_cvt_f32_f16_e32 v3, v3
	v_cvt_i32_f32_e32 v3, v3
.LBB63_238:
	s_cbranch_execnz .LBB63_258
.LBB63_239:
	s_cmp_lt_i32 s18, 2
	s_cbranch_scc1 .LBB63_243
; %bb.240:
	s_cmp_lt_i32 s18, 3
	s_cbranch_scc1 .LBB63_244
; %bb.241:
	s_cmp_gt_i32 s18, 3
	s_cbranch_scc0 .LBB63_245
; %bb.242:
	global_load_dword v3, v[1:2], off
	s_mov_b64 s[0:1], 0
	s_branch .LBB63_246
.LBB63_243:
	s_mov_b64 s[0:1], -1
                                        ; implicit-def: $vgpr3
	s_branch .LBB63_252
.LBB63_244:
	s_mov_b64 s[0:1], -1
                                        ; implicit-def: $vgpr3
	s_branch .LBB63_249
.LBB63_245:
	s_mov_b64 s[0:1], -1
                                        ; implicit-def: $vgpr3
.LBB63_246:
	s_andn2_b64 vcc, exec, s[0:1]
	s_cbranch_vccnz .LBB63_248
; %bb.247:
	global_load_dword v3, v[1:2], off
.LBB63_248:
	s_mov_b64 s[0:1], 0
.LBB63_249:
	s_andn2_b64 vcc, exec, s[0:1]
	s_cbranch_vccnz .LBB63_251
; %bb.250:
	global_load_sshort v3, v[1:2], off
.LBB63_251:
	s_mov_b64 s[0:1], 0
.LBB63_252:
	s_andn2_b64 vcc, exec, s[0:1]
	s_cbranch_vccnz .LBB63_258
; %bb.253:
	s_cmp_gt_i32 s18, 0
	s_cbranch_scc0 .LBB63_255
; %bb.254:
	global_load_sbyte v3, v[1:2], off
	s_mov_b64 s[0:1], 0
	s_branch .LBB63_256
.LBB63_255:
	s_mov_b64 s[0:1], -1
                                        ; implicit-def: $vgpr3
.LBB63_256:
	s_andn2_b64 vcc, exec, s[0:1]
	s_cbranch_vccnz .LBB63_258
; %bb.257:
	global_load_ubyte v3, v[1:2], off
.LBB63_258:
	s_branch .LBB63_25
.LBB63_259:
	s_mov_b64 s[0:1], 0
.LBB63_260:
	s_mov_b64 s[16:17], 0
                                        ; implicit-def: $vgpr8
.LBB63_261:
	s_and_b64 s[56:57], s[0:1], exec
	s_and_b64 s[58:59], s[2:3], exec
	s_orn2_b64 s[2:3], s[16:17], exec
.LBB63_262:
	s_or_b64 exec, exec, s[60:61]
	s_mov_b64 s[16:17], 0
	s_mov_b64 s[0:1], 0
                                        ; implicit-def: $vgpr1_vgpr2
                                        ; implicit-def: $vgpr0
                                        ; implicit-def: $vgpr5
	s_and_saveexec_b64 s[60:61], s[2:3]
	s_cbranch_execz .LBB63_269
; %bb.263:
	v_cmp_gt_i32_e32 vcc, s74, v8
	s_mov_b64 s[0:1], -1
	s_mov_b64 s[62:63], s[58:59]
	s_mov_b64 s[64:65], s[56:57]
	s_and_saveexec_b64 s[66:67], vcc
	s_cbranch_execz .LBB63_534
; %bb.264:
	s_andn2_b64 vcc, exec, s[44:45]
	s_cbranch_vccnz .LBB63_272
; %bb.265:
	s_andn2_b64 vcc, exec, s[54:55]
	s_cbranch_vccnz .LBB63_273
; %bb.266:
	s_add_i32 s69, s78, 1
	s_cmp_eq_u32 s76, 2
	s_cbranch_scc1 .LBB63_274
; %bb.267:
	s_and_b32 s68, s69, 28
	v_mov_b32_e32 v2, 0
	s_mov_b32 s70, 0
	s_mov_b64 s[62:63], s[34:35]
	s_mov_b64 s[64:65], s[52:53]
	v_mov_b32_e32 v0, 0
	v_mov_b32_e32 v1, v8
.LBB63_268:                             ; =>This Inner Loop Header: Depth=1
	s_load_dwordx8 s[24:31], s[62:63], 0x4
	s_load_dwordx4 s[0:3], s[62:63], 0x24
	s_load_dwordx8 s[16:23], s[64:65], 0x0
	s_add_u32 s62, s62, 48
	s_addc_u32 s63, s63, 0
	s_waitcnt vmcnt(0) lgkmcnt(0)
	v_mul_hi_u32 v3, s25, v1
	s_add_i32 s70, s70, 4
	s_add_u32 s64, s64, 32
	s_addc_u32 s65, s65, 0
	v_add_u32_e32 v3, v1, v3
	v_lshrrev_b32_e32 v3, s26, v3
	v_mul_lo_u32 v4, v3, s24
	v_mul_hi_u32 v5, s28, v3
	s_cmp_eq_u32 s68, s70
	v_sub_u32_e32 v1, v1, v4
	v_add_u32_e32 v4, v3, v5
	v_mul_lo_u32 v5, v1, s16
	v_mul_lo_u32 v6, v1, s17
	v_lshrrev_b32_e32 v1, s29, v4
	v_mul_lo_u32 v4, v1, s27
	v_mul_hi_u32 v7, s31, v1
	v_sub_u32_e32 v3, v3, v4
	v_add_u32_e32 v4, v1, v7
	v_lshrrev_b32_e32 v4, s0, v4
	v_mul_hi_u32 v9, s2, v4
	v_mul_lo_u32 v10, v4, s30
	v_mul_lo_u32 v7, v3, s18
	;; [unrolled: 1-line block ×3, first 2 shown]
	v_sub_u32_e32 v10, v1, v10
	v_add_u32_e32 v1, v4, v9
	v_lshrrev_b32_e32 v1, s3, v1
	v_mul_lo_u32 v9, v1, s1
	v_mul_lo_u32 v11, v10, s20
	;; [unrolled: 1-line block ×3, first 2 shown]
	v_add3_u32 v0, v5, v0, v7
	v_sub_u32_e32 v4, v4, v9
	v_mul_lo_u32 v9, v4, s22
	v_mul_lo_u32 v4, v4, s23
	v_add3_u32 v2, v6, v2, v3
	v_add3_u32 v0, v11, v0, v9
	;; [unrolled: 1-line block ×3, first 2 shown]
	s_cbranch_scc0 .LBB63_268
	s_branch .LBB63_275
.LBB63_269:
	s_or_b64 exec, exec, s[60:61]
	s_mov_b64 s[2:3], 0
	s_and_saveexec_b64 s[10:11], s[58:59]
	s_cbranch_execnz .LBB63_902
.LBB63_270:
	s_or_b64 exec, exec, s[10:11]
	s_and_saveexec_b64 s[10:11], s[64:65]
	s_xor_b64 s[10:11], exec, s[10:11]
	s_cbranch_execz .LBB63_903
.LBB63_271:
	global_load_ubyte v3, v[1:2], off
	s_or_b64 s[0:1], s[0:1], exec
	s_waitcnt vmcnt(0)
	v_cmp_ne_u16_e32 vcc, 0, v3
	v_cndmask_b32_e64 v5, 0, 1, vcc
	s_or_b64 exec, exec, s[10:11]
	s_and_saveexec_b64 s[10:11], s[16:17]
	s_cbranch_execz .LBB63_949
	s_branch .LBB63_904
.LBB63_272:
                                        ; implicit-def: $vgpr0
                                        ; implicit-def: $vgpr2
	s_andn2_b64 vcc, exec, s[0:1]
	s_cbranch_vccz .LBB63_279
	s_branch .LBB63_281
.LBB63_273:
	v_mov_b32_e32 v0, 0
	v_mov_b32_e32 v2, 0
	s_branch .LBB63_278
.LBB63_274:
	s_mov_b32 s68, 0
	v_mov_b32_e32 v0, 0
	v_mov_b32_e32 v2, 0
	v_mov_b32_e32 v1, v8
.LBB63_275:
	s_and_b32 s16, s69, 3
	s_cmp_eq_u32 s16, 0
	s_cbranch_scc1 .LBB63_278
; %bb.276:
	s_lshl_b32 s0, s68, 3
	s_add_u32 s0, s34, s0
	s_addc_u32 s1, s35, 0
	s_add_u32 s0, s0, 0xc4
	s_addc_u32 s1, s1, 0
	s_mul_i32 s2, s68, 12
	s_add_u32 s2, s34, s2
	s_addc_u32 s3, s35, 0
.LBB63_277:                             ; =>This Inner Loop Header: Depth=1
	s_load_dwordx2 s[18:19], s[2:3], 0x4
	s_load_dword s17, s[2:3], 0xc
	s_load_dwordx2 s[20:21], s[0:1], 0x0
	s_add_u32 s2, s2, 12
	s_addc_u32 s3, s3, 0
	s_waitcnt vmcnt(0) lgkmcnt(0)
	v_mul_hi_u32 v3, s19, v1
	s_add_u32 s0, s0, 8
	s_addc_u32 s1, s1, 0
	s_add_i32 s16, s16, -1
	v_add_u32_e32 v3, v1, v3
	v_lshrrev_b32_e32 v4, s17, v3
	v_mul_lo_u32 v3, v4, s18
	s_cmp_lg_u32 s16, 0
	v_sub_u32_e32 v3, v1, v3
	v_mad_u64_u32 v[0:1], s[18:19], v3, s20, v[0:1]
	v_mad_u64_u32 v[2:3], s[18:19], v3, s21, v[2:3]
	v_mov_b32_e32 v1, v4
	s_cbranch_scc1 .LBB63_277
.LBB63_278:
	s_cbranch_execnz .LBB63_281
.LBB63_279:
	v_mul_hi_u32 v0, s37, v8
	s_andn2_b64 vcc, exec, s[50:51]
	v_add_u32_e32 v0, v8, v0
	v_lshrrev_b32_e32 v1, s38, v0
	v_mul_lo_u32 v0, v1, s36
	v_sub_u32_e32 v2, v8, v0
	v_mul_lo_u32 v0, v2, s40
	v_mul_lo_u32 v2, v2, s41
	s_cbranch_vccnz .LBB63_281
; %bb.280:
	s_waitcnt vmcnt(0)
	v_mul_hi_u32 v3, s48, v1
	v_add_u32_e32 v3, v1, v3
	v_lshrrev_b32_e32 v3, s49, v3
	v_mul_lo_u32 v3, v3, s39
	v_sub_u32_e32 v3, v1, v3
	v_mad_u64_u32 v[0:1], s[0:1], v3, s42, v[0:1]
	v_mad_u64_u32 v[2:3], s[0:1], v3, s43, v[2:3]
.LBB63_281:
	s_waitcnt vmcnt(0)
	v_mov_b32_e32 v3, s11
	s_and_b32 s18, 0xffff, s15
	v_add_co_u32_e32 v1, vcc, s10, v2
	s_cmp_lt_i32 s18, 11
	v_addc_co_u32_e32 v2, vcc, 0, v3, vcc
	s_cbranch_scc1 .LBB63_288
; %bb.282:
	s_cmp_gt_i32 s18, 25
	s_cbranch_scc0 .LBB63_297
; %bb.283:
	s_cmp_gt_i32 s18, 28
	s_cbranch_scc0 .LBB63_299
; %bb.284:
	s_cmp_gt_i32 s18, 43
	s_cbranch_scc0 .LBB63_301
; %bb.285:
	s_cmp_gt_i32 s18, 45
	s_cbranch_scc0 .LBB63_305
; %bb.286:
	s_cmp_eq_u32 s18, 46
	s_mov_b64 s[16:17], 0
	s_cbranch_scc0 .LBB63_309
; %bb.287:
	global_load_dword v3, v[1:2], off
	s_mov_b64 s[0:1], -1
	s_mov_b64 s[2:3], 0
	s_waitcnt vmcnt(0)
	v_lshlrev_b32_e32 v3, 16, v3
	v_cvt_i32_f32_e32 v3, v3
	s_branch .LBB63_310
.LBB63_288:
	s_mov_b64 s[0:1], 0
                                        ; implicit-def: $vgpr3
	s_mov_b64 s[2:3], s[58:59]
	s_cbranch_execnz .LBB63_483
.LBB63_289:
	s_andn2_b64 vcc, exec, s[0:1]
	s_cbranch_vccnz .LBB63_531
.LBB63_290:
	v_mov_b32_e32 v1, s13
	v_mov_b32_e32 v2, s14
	s_waitcnt vmcnt(0)
	v_cmp_lt_i32_e32 vcc, s12, v3
	v_cndmask_b32_e32 v1, v1, v2, vcc
	v_mov_b32_e32 v2, s9
	s_and_b32 s22, s77, 0xff
	v_add_co_u32_e32 v3, vcc, s8, v0
	s_cmp_lt_i32 s22, 11
	v_addc_co_u32_e32 v4, vcc, 0, v2, vcc
	s_cbranch_scc1 .LBB63_298
; %bb.291:
	s_and_b32 s23, 0xffff, s22
	s_cmp_gt_i32 s23, 25
	s_cbranch_scc0 .LBB63_300
; %bb.292:
	s_cmp_gt_i32 s23, 28
	s_cbranch_scc0 .LBB63_302
; %bb.293:
	;; [unrolled: 3-line block ×4, first 2 shown]
	s_mov_b64 s[18:19], 0
	s_mov_b64 s[0:1], -1
	s_cmp_eq_u32 s23, 46
	s_mov_b64 s[16:17], 0
	s_cbranch_scc0 .LBB63_314
; %bb.296:
	v_cvt_f32_i32_e32 v0, v1
	s_movk_i32 s0, 0x7fff
	s_mov_b64 s[16:17], -1
	v_bfe_u32 v2, v0, 16, 1
	v_add3_u32 v0, v0, v2, s0
	v_lshrrev_b32_e32 v0, 16, v0
	global_store_dword v[3:4], v0, off
	s_mov_b64 s[0:1], 0
	s_branch .LBB63_314
.LBB63_297:
	s_mov_b64 s[16:17], -1
	s_mov_b64 s[0:1], 0
	s_mov_b64 s[2:3], s[58:59]
                                        ; implicit-def: $vgpr3
	s_branch .LBB63_449
.LBB63_298:
	s_mov_b64 s[18:19], -1
	s_mov_b64 s[16:17], 0
	s_mov_b64 s[0:1], s[56:57]
	s_branch .LBB63_383
.LBB63_299:
	s_mov_b64 s[16:17], -1
	s_mov_b64 s[0:1], 0
	s_mov_b64 s[2:3], s[58:59]
                                        ; implicit-def: $vgpr3
	s_branch .LBB63_432
.LBB63_300:
	s_mov_b64 s[18:19], -1
	s_mov_b64 s[16:17], 0
	s_mov_b64 s[0:1], s[56:57]
	s_branch .LBB63_341
.LBB63_301:
	s_mov_b64 s[16:17], -1
	s_mov_b64 s[0:1], 0
	s_mov_b64 s[2:3], s[58:59]
                                        ; implicit-def: $vgpr3
	s_branch .LBB63_427
.LBB63_302:
	s_mov_b64 s[18:19], -1
	s_mov_b64 s[16:17], 0
	s_mov_b64 s[0:1], s[56:57]
	s_branch .LBB63_324
.LBB63_303:
	s_andn2_saveexec_b64 s[20:21], s[20:21]
	s_cbranch_execz .LBB63_68
.LBB63_304:
	s_mov_b32 s24, 0x46000000
	v_add_f32_e64 v2, |v0|, s24
	v_and_b32_e32 v2, 0xff, v2
	v_cmp_ne_u32_e32 vcc, 0, v2
	s_andn2_b64 s[18:19], s[18:19], exec
	s_and_b64 s[24:25], vcc, exec
	s_or_b64 s[18:19], s[18:19], s[24:25]
	s_or_b64 exec, exec, s[20:21]
	v_mov_b32_e32 v5, 0
	s_and_saveexec_b64 s[20:21], s[18:19]
	s_cbranch_execnz .LBB63_69
	s_branch .LBB63_70
.LBB63_305:
	s_mov_b64 s[16:17], -1
	s_mov_b64 s[0:1], 0
	s_mov_b64 s[2:3], s[58:59]
                                        ; implicit-def: $vgpr3
	s_branch .LBB63_310
.LBB63_306:
	s_mov_b64 s[18:19], -1
	s_mov_b64 s[16:17], 0
	s_mov_b64 s[0:1], s[56:57]
	s_branch .LBB63_320
.LBB63_307:
	s_andn2_saveexec_b64 s[20:21], s[20:21]
	s_cbranch_execz .LBB63_81
.LBB63_308:
	s_mov_b32 s24, 0x42800000
	v_add_f32_e64 v2, |v0|, s24
	v_and_b32_e32 v2, 0xff, v2
	v_cmp_ne_u32_e32 vcc, 0, v2
	s_andn2_b64 s[18:19], s[18:19], exec
	s_and_b64 s[24:25], vcc, exec
	s_or_b64 s[18:19], s[18:19], s[24:25]
	s_or_b64 exec, exec, s[20:21]
	v_mov_b32_e32 v5, 0
	s_and_saveexec_b64 s[20:21], s[18:19]
	s_cbranch_execnz .LBB63_82
	s_branch .LBB63_83
.LBB63_309:
	s_mov_b64 s[2:3], -1
                                        ; implicit-def: $vgpr3
	s_mov_b64 s[0:1], 0
.LBB63_310:
	s_and_b64 vcc, exec, s[16:17]
	s_cbranch_vccz .LBB63_426
; %bb.311:
	s_cmp_eq_u32 s18, 44
	s_cbranch_scc0 .LBB63_425
; %bb.312:
	global_load_ubyte v3, v[1:2], off
	s_mov_b64 s[0:1], -1
	s_mov_b64 s[2:3], 0
	s_waitcnt vmcnt(0)
	v_lshlrev_b32_e32 v4, 23, v3
	v_cvt_i32_f32_e32 v4, v4
	v_cmp_ne_u32_e32 vcc, 0, v3
	v_cndmask_b32_e32 v3, 0, v4, vcc
	s_branch .LBB63_426
.LBB63_313:
	s_mov_b64 s[18:19], -1
	s_mov_b64 s[16:17], 0
	s_mov_b64 s[0:1], s[56:57]
.LBB63_314:
	s_and_b64 vcc, exec, s[18:19]
	s_cbranch_vccz .LBB63_319
; %bb.315:
	s_cmp_eq_u32 s23, 44
	s_mov_b64 s[0:1], -1
	s_cbranch_scc0 .LBB63_319
; %bb.316:
	v_cvt_f32_i32_e32 v0, v1
	s_movk_i32 s0, 0xff
	v_mov_b32_e32 v5, 0xff
	v_bfe_u32 v2, v0, 23, 8
	v_cmp_ne_u32_e32 vcc, s0, v2
	s_and_saveexec_b64 s[16:17], vcc
; %bb.317:
	s_mov_b32 s0, 0x3fffff
	v_lshrrev_b32_e32 v5, 23, v0
	v_and_b32_e32 v6, 0x400000, v0
	v_and_or_b32 v0, v0, s0, v2
	v_cmp_ne_u32_e32 vcc, 0, v6
	v_cmp_ne_u32_e64 s[0:1], 0, v0
	s_and_b64 s[0:1], vcc, s[0:1]
	v_cndmask_b32_e64 v0, 0, 1, s[0:1]
	v_add_u32_e32 v5, v5, v0
; %bb.318:
	s_or_b64 exec, exec, s[16:17]
	s_mov_b64 s[16:17], -1
	s_mov_b64 s[0:1], 0
	global_store_byte v[3:4], v5, off
.LBB63_319:
	s_mov_b64 s[18:19], 0
.LBB63_320:
	s_and_b64 vcc, exec, s[18:19]
	s_cbranch_vccz .LBB63_323
; %bb.321:
	s_cmp_eq_u32 s23, 29
	s_mov_b64 s[0:1], -1
	s_cbranch_scc0 .LBB63_323
; %bb.322:
	v_ashrrev_i32_e32 v2, 31, v1
	global_store_dwordx2 v[3:4], v[1:2], off
	s_mov_b64 s[16:17], -1
	s_mov_b64 s[0:1], 0
.LBB63_323:
	s_mov_b64 s[18:19], 0
.LBB63_324:
	s_and_b64 vcc, exec, s[18:19]
	s_cbranch_vccz .LBB63_340
; %bb.325:
	s_cmp_lt_i32 s23, 27
	s_mov_b64 s[16:17], -1
	s_cbranch_scc1 .LBB63_331
; %bb.326:
	s_cmp_gt_i32 s23, 27
	s_cbranch_scc0 .LBB63_328
; %bb.327:
	s_mov_b64 s[16:17], 0
	global_store_dword v[3:4], v1, off
.LBB63_328:
	s_andn2_b64 vcc, exec, s[16:17]
	s_cbranch_vccnz .LBB63_330
; %bb.329:
	global_store_short v[3:4], v1, off
.LBB63_330:
	s_mov_b64 s[16:17], 0
.LBB63_331:
	s_andn2_b64 vcc, exec, s[16:17]
	s_cbranch_vccnz .LBB63_339
; %bb.332:
	v_cvt_f32_i32_e32 v0, v1
	s_mov_b32 s16, 0x43800000
	v_mov_b32_e32 v5, 0x80
	v_and_b32_e32 v2, 0x7fffffff, v0
	v_cmp_gt_u32_e32 vcc, s16, v2
	s_and_saveexec_b64 s[16:17], vcc
	s_cbranch_execz .LBB63_338
; %bb.333:
	s_mov_b32 s18, 0x3bffffff
	v_cmp_lt_u32_e32 vcc, s18, v2
	s_mov_b64 s[18:19], 0
                                        ; implicit-def: $vgpr2
	s_and_saveexec_b64 s[20:21], vcc
	s_xor_b64 s[20:21], exec, s[20:21]
	s_cbranch_execz .LBB63_562
; %bb.334:
	v_bfe_u32 v2, v0, 20, 1
	s_mov_b32 s24, 0x487ffff
	v_add3_u32 v2, v0, v2, s24
	s_mov_b64 s[18:19], exec
	v_lshrrev_b32_e32 v2, 20, v2
	s_andn2_saveexec_b64 s[20:21], s[20:21]
	s_cbranch_execnz .LBB63_563
.LBB63_335:
	s_or_b64 exec, exec, s[20:21]
	v_mov_b32_e32 v5, 0
	s_and_saveexec_b64 s[20:21], s[18:19]
.LBB63_336:
	v_lshrrev_b32_e32 v0, 24, v0
	s_movk_i32 s18, 0x80
	v_and_or_b32 v5, v0, s18, v2
.LBB63_337:
	s_or_b64 exec, exec, s[20:21]
.LBB63_338:
	s_or_b64 exec, exec, s[16:17]
	global_store_byte v[3:4], v5, off
.LBB63_339:
	s_mov_b64 s[16:17], -1
.LBB63_340:
	s_mov_b64 s[18:19], 0
.LBB63_341:
	s_and_b64 vcc, exec, s[18:19]
	s_cbranch_vccz .LBB63_382
; %bb.342:
	s_cmp_gt_i32 s23, 22
	s_mov_b64 s[18:19], -1
	s_cbranch_scc0 .LBB63_374
; %bb.343:
	s_cmp_lt_i32 s23, 24
	s_mov_b64 s[16:17], -1
	s_cbranch_scc1 .LBB63_363
; %bb.344:
	s_cmp_gt_i32 s23, 24
	s_cbranch_scc0 .LBB63_352
; %bb.345:
	v_cvt_f32_i32_e32 v0, v1
	s_mov_b32 s16, 0x47800000
	v_mov_b32_e32 v5, 0x80
	v_and_b32_e32 v2, 0x7fffffff, v0
	v_cmp_gt_u32_e32 vcc, s16, v2
	s_and_saveexec_b64 s[16:17], vcc
	s_cbranch_execz .LBB63_351
; %bb.346:
	s_mov_b32 s18, 0x37ffffff
	v_cmp_lt_u32_e32 vcc, s18, v2
	s_mov_b64 s[18:19], 0
                                        ; implicit-def: $vgpr2
	s_and_saveexec_b64 s[20:21], vcc
	s_xor_b64 s[20:21], exec, s[20:21]
	s_cbranch_execz .LBB63_565
; %bb.347:
	v_bfe_u32 v2, v0, 21, 1
	s_mov_b32 s24, 0x88fffff
	v_add3_u32 v2, v0, v2, s24
	s_mov_b64 s[18:19], exec
	v_lshrrev_b32_e32 v2, 21, v2
	s_andn2_saveexec_b64 s[20:21], s[20:21]
	s_cbranch_execnz .LBB63_566
.LBB63_348:
	s_or_b64 exec, exec, s[20:21]
	v_mov_b32_e32 v5, 0
	s_and_saveexec_b64 s[20:21], s[18:19]
.LBB63_349:
	v_lshrrev_b32_e32 v0, 24, v0
	s_movk_i32 s18, 0x80
	v_and_or_b32 v5, v0, s18, v2
.LBB63_350:
	s_or_b64 exec, exec, s[20:21]
.LBB63_351:
	s_or_b64 exec, exec, s[16:17]
	s_mov_b64 s[16:17], 0
	global_store_byte v[3:4], v5, off
.LBB63_352:
	s_and_b64 vcc, exec, s[16:17]
	s_cbranch_vccz .LBB63_362
; %bb.353:
	v_cvt_f32_i32_e32 v0, v1
	s_mov_b32 s16, 0x43f00000
                                        ; implicit-def: $vgpr2
	v_and_b32_e32 v5, 0x7fffffff, v0
	v_cmp_gt_u32_e32 vcc, s16, v5
	s_and_saveexec_b64 s[16:17], vcc
	s_xor_b64 s[16:17], exec, s[16:17]
	s_cbranch_execz .LBB63_359
; %bb.354:
	s_mov_b32 s18, 0x3c7fffff
	v_cmp_lt_u32_e32 vcc, s18, v5
                                        ; implicit-def: $vgpr2
	s_and_saveexec_b64 s[18:19], vcc
	s_xor_b64 s[18:19], exec, s[18:19]
; %bb.355:
	v_bfe_u32 v2, v0, 20, 1
	s_mov_b32 s20, 0x407ffff
	v_add3_u32 v2, v0, v2, s20
	v_lshrrev_b32_e32 v5, 20, v2
	v_and_b32_e32 v2, 0xff00000, v2
	s_mov_b32 s20, 0x7f00000
	v_mov_b32_e32 v6, 0x7e
	v_cmp_ne_u32_e32 vcc, s20, v2
	v_cndmask_b32_e32 v2, v6, v5, vcc
; %bb.356:
	s_andn2_saveexec_b64 s[18:19], s[18:19]
; %bb.357:
	s_mov_b32 s20, 0x46800000
	v_add_f32_e64 v2, |v0|, s20
; %bb.358:
	s_or_b64 exec, exec, s[18:19]
                                        ; implicit-def: $vgpr5
.LBB63_359:
	s_andn2_saveexec_b64 s[16:17], s[16:17]
; %bb.360:
	s_mov_b32 s18, 0x7f800000
	v_mov_b32_e32 v2, 0x7e
	v_mov_b32_e32 v6, 0x7f
	v_cmp_lt_u32_e32 vcc, s18, v5
	v_cndmask_b32_e32 v2, v2, v6, vcc
; %bb.361:
	s_or_b64 exec, exec, s[16:17]
	v_lshrrev_b32_e32 v0, 24, v0
	s_movk_i32 s16, 0x80
	v_and_or_b32 v0, v0, s16, v2
	global_store_byte v[3:4], v0, off
.LBB63_362:
	s_mov_b64 s[16:17], 0
.LBB63_363:
	s_andn2_b64 vcc, exec, s[16:17]
	s_cbranch_vccnz .LBB63_373
; %bb.364:
	v_cvt_f32_i32_e32 v0, v1
	s_mov_b32 s16, 0x47800000
                                        ; implicit-def: $vgpr2
	v_and_b32_e32 v5, 0x7fffffff, v0
	v_cmp_gt_u32_e32 vcc, s16, v5
	s_and_saveexec_b64 s[16:17], vcc
	s_xor_b64 s[16:17], exec, s[16:17]
	s_cbranch_execz .LBB63_370
; %bb.365:
	s_mov_b32 s18, 0x387fffff
	v_cmp_lt_u32_e32 vcc, s18, v5
                                        ; implicit-def: $vgpr2
	s_and_saveexec_b64 s[18:19], vcc
	s_xor_b64 s[18:19], exec, s[18:19]
; %bb.366:
	v_bfe_u32 v2, v0, 21, 1
	s_mov_b32 s20, 0x80fffff
	v_add3_u32 v2, v0, v2, s20
	v_lshrrev_b32_e32 v2, 21, v2
; %bb.367:
	s_andn2_saveexec_b64 s[18:19], s[18:19]
; %bb.368:
	s_mov_b32 s20, 0x43000000
	v_add_f32_e64 v2, |v0|, s20
; %bb.369:
	s_or_b64 exec, exec, s[18:19]
                                        ; implicit-def: $vgpr5
.LBB63_370:
	s_andn2_saveexec_b64 s[16:17], s[16:17]
; %bb.371:
	s_mov_b32 s18, 0x7f800000
	v_mov_b32_e32 v2, 0x7c
	v_mov_b32_e32 v6, 0x7f
	v_cmp_lt_u32_e32 vcc, s18, v5
	v_cndmask_b32_e32 v2, v2, v6, vcc
; %bb.372:
	s_or_b64 exec, exec, s[16:17]
	v_lshrrev_b32_e32 v0, 24, v0
	s_movk_i32 s16, 0x80
	v_and_or_b32 v0, v0, s16, v2
	global_store_byte v[3:4], v0, off
.LBB63_373:
	s_mov_b64 s[18:19], 0
	s_mov_b64 s[16:17], -1
.LBB63_374:
	s_andn2_b64 vcc, exec, s[18:19]
	s_cbranch_vccnz .LBB63_382
; %bb.375:
	s_cmp_gt_i32 s23, 14
	s_mov_b64 s[18:19], -1
	s_cbranch_scc0 .LBB63_379
; %bb.376:
	s_cmp_eq_u32 s23, 15
	s_mov_b64 s[0:1], -1
	s_cbranch_scc0 .LBB63_378
; %bb.377:
	v_cvt_f32_i32_e32 v0, v1
	s_movk_i32 s0, 0x7fff
	s_mov_b64 s[16:17], -1
	v_bfe_u32 v2, v0, 16, 1
	v_add3_u32 v0, v0, v2, s0
	global_store_short_d16_hi v[3:4], v0, off
	s_mov_b64 s[0:1], 0
.LBB63_378:
	s_mov_b64 s[18:19], 0
.LBB63_379:
	s_and_b64 vcc, exec, s[18:19]
	s_cbranch_vccz .LBB63_382
; %bb.380:
	s_cmp_eq_u32 s23, 11
	s_mov_b64 s[0:1], -1
	s_cbranch_scc0 .LBB63_382
; %bb.381:
	v_cmp_ne_u32_e32 vcc, 0, v1
	v_cndmask_b32_e64 v0, 0, 1, vcc
	s_mov_b64 s[16:17], -1
	s_mov_b64 s[0:1], 0
	global_store_byte v[3:4], v0, off
.LBB63_382:
	s_mov_b64 s[18:19], 0
.LBB63_383:
	s_and_b64 vcc, exec, s[18:19]
	s_cbranch_vccz .LBB63_422
; %bb.384:
	s_and_b32 s18, 0xffff, s22
	s_cmp_lt_i32 s18, 5
	s_mov_b64 s[16:17], -1
	s_cbranch_scc1 .LBB63_405
; %bb.385:
	s_cmp_lt_i32 s18, 8
	s_cbranch_scc1 .LBB63_395
; %bb.386:
	s_cmp_lt_i32 s18, 9
	s_cbranch_scc1 .LBB63_392
; %bb.387:
	s_cmp_gt_i32 s18, 9
	s_cbranch_scc0 .LBB63_389
; %bb.388:
	v_cvt_f64_i32_e32 v[9:10], v1
	v_mov_b32_e32 v11, 0
	v_mov_b32_e32 v12, v11
	s_mov_b64 s[16:17], 0
	global_store_dwordx4 v[3:4], v[9:12], off
.LBB63_389:
	s_andn2_b64 vcc, exec, s[16:17]
	s_cbranch_vccnz .LBB63_391
; %bb.390:
	v_cvt_f32_i32_e32 v5, v1
	v_mov_b32_e32 v6, 0
	global_store_dwordx2 v[3:4], v[5:6], off
.LBB63_391:
	s_mov_b64 s[16:17], 0
.LBB63_392:
	s_andn2_b64 vcc, exec, s[16:17]
	s_cbranch_vccnz .LBB63_394
; %bb.393:
	v_cvt_f32_i32_e32 v0, v1
	v_cvt_f16_f32_e32 v0, v0
	global_store_dword v[3:4], v0, off
.LBB63_394:
	s_mov_b64 s[16:17], 0
.LBB63_395:
	s_andn2_b64 vcc, exec, s[16:17]
	s_cbranch_vccnz .LBB63_404
; %bb.396:
	s_cmp_lt_i32 s18, 6
	s_mov_b64 s[16:17], -1
	s_cbranch_scc1 .LBB63_402
; %bb.397:
	s_cmp_gt_i32 s18, 6
	s_cbranch_scc0 .LBB63_399
; %bb.398:
	v_cvt_f64_i32_e32 v[5:6], v1
	s_mov_b64 s[16:17], 0
	global_store_dwordx2 v[3:4], v[5:6], off
.LBB63_399:
	s_andn2_b64 vcc, exec, s[16:17]
	s_cbranch_vccnz .LBB63_401
; %bb.400:
	v_cvt_f32_i32_e32 v0, v1
	global_store_dword v[3:4], v0, off
.LBB63_401:
	s_mov_b64 s[16:17], 0
.LBB63_402:
	s_andn2_b64 vcc, exec, s[16:17]
	s_cbranch_vccnz .LBB63_404
; %bb.403:
	v_cvt_f32_i32_e32 v0, v1
	v_cvt_f16_f32_e32 v0, v0
	global_store_short v[3:4], v0, off
.LBB63_404:
	s_mov_b64 s[16:17], 0
.LBB63_405:
	s_andn2_b64 vcc, exec, s[16:17]
	s_cbranch_vccnz .LBB63_421
; %bb.406:
	s_cmp_lt_i32 s18, 2
	s_mov_b64 s[16:17], -1
	s_cbranch_scc1 .LBB63_416
; %bb.407:
	s_cmp_lt_i32 s18, 3
	s_cbranch_scc1 .LBB63_413
; %bb.408:
	s_cmp_gt_i32 s18, 3
	s_cbranch_scc0 .LBB63_410
; %bb.409:
	v_ashrrev_i32_e32 v2, 31, v1
	s_mov_b64 s[16:17], 0
	global_store_dwordx2 v[3:4], v[1:2], off
.LBB63_410:
	s_andn2_b64 vcc, exec, s[16:17]
	s_cbranch_vccnz .LBB63_412
; %bb.411:
	global_store_dword v[3:4], v1, off
.LBB63_412:
	s_mov_b64 s[16:17], 0
.LBB63_413:
	s_andn2_b64 vcc, exec, s[16:17]
	s_cbranch_vccnz .LBB63_415
; %bb.414:
	global_store_short v[3:4], v1, off
.LBB63_415:
	s_mov_b64 s[16:17], 0
.LBB63_416:
	s_andn2_b64 vcc, exec, s[16:17]
	s_cbranch_vccnz .LBB63_421
; %bb.417:
	s_cmp_gt_i32 s18, 0
	s_mov_b64 s[16:17], -1
	s_cbranch_scc0 .LBB63_419
; %bb.418:
	s_mov_b64 s[16:17], 0
	global_store_byte v[3:4], v1, off
.LBB63_419:
	s_andn2_b64 vcc, exec, s[16:17]
	s_cbranch_vccnz .LBB63_421
; %bb.420:
	global_store_byte v[3:4], v1, off
.LBB63_421:
	s_mov_b64 s[16:17], -1
.LBB63_422:
	s_andn2_b64 vcc, exec, s[16:17]
	s_cbranch_vccnz .LBB63_424
; %bb.423:
	v_add_u32_e32 v8, 0x80, v8
	s_mov_b64 s[16:17], -1
	s_branch .LBB63_533
.LBB63_424:
	s_mov_b64 s[16:17], 0
	s_branch .LBB63_532
.LBB63_425:
	s_mov_b64 s[2:3], -1
                                        ; implicit-def: $vgpr3
.LBB63_426:
	s_mov_b64 s[16:17], 0
.LBB63_427:
	s_and_b64 vcc, exec, s[16:17]
	s_cbranch_vccz .LBB63_431
; %bb.428:
	s_cmp_eq_u32 s18, 29
	s_cbranch_scc0 .LBB63_430
; %bb.429:
	global_load_dword v3, v[1:2], off
	s_mov_b64 s[0:1], -1
	s_mov_b64 s[2:3], 0
	s_branch .LBB63_431
.LBB63_430:
	s_mov_b64 s[2:3], -1
                                        ; implicit-def: $vgpr3
.LBB63_431:
	s_mov_b64 s[16:17], 0
.LBB63_432:
	s_and_b64 vcc, exec, s[16:17]
	s_cbranch_vccz .LBB63_448
; %bb.433:
	s_cmp_lt_i32 s18, 27
	s_cbranch_scc1 .LBB63_436
; %bb.434:
	s_cmp_gt_i32 s18, 27
	s_cbranch_scc0 .LBB63_437
; %bb.435:
	global_load_dword v3, v[1:2], off
	s_mov_b64 s[0:1], 0
	s_branch .LBB63_438
.LBB63_436:
	s_mov_b64 s[0:1], -1
                                        ; implicit-def: $vgpr3
	s_branch .LBB63_441
.LBB63_437:
	s_mov_b64 s[0:1], -1
                                        ; implicit-def: $vgpr3
.LBB63_438:
	s_andn2_b64 vcc, exec, s[0:1]
	s_cbranch_vccnz .LBB63_440
; %bb.439:
	global_load_ushort v3, v[1:2], off
.LBB63_440:
	s_mov_b64 s[0:1], 0
.LBB63_441:
	s_andn2_b64 vcc, exec, s[0:1]
	s_cbranch_vccnz .LBB63_447
; %bb.442:
	global_load_ubyte v4, v[1:2], off
	s_movk_i32 s0, 0x7f
	s_mov_b64 s[16:17], 0
	s_waitcnt vmcnt(0)
	v_cmp_lt_i16_e32 vcc, s0, v4
	s_and_saveexec_b64 s[0:1], vcc
	s_xor_b64 s[0:1], exec, s[0:1]
	s_cbranch_execz .LBB63_459
; %bb.443:
	s_movk_i32 s16, 0x80
	v_cmp_ne_u16_e32 vcc, s16, v4
	s_and_b64 s[16:17], vcc, exec
	s_andn2_saveexec_b64 s[0:1], s[0:1]
	s_cbranch_execnz .LBB63_460
.LBB63_444:
	s_or_b64 exec, exec, s[0:1]
	v_mov_b32_e32 v3, 0
	s_and_saveexec_b64 s[0:1], s[16:17]
	s_cbranch_execz .LBB63_446
.LBB63_445:
	v_lshlrev_b32_e32 v3, 24, v4
	v_and_b32_e32 v4, 0xffff, v4
	v_and_b32_e32 v5, 7, v4
	v_ffbh_u32_e32 v7, v5
	v_min_u32_e32 v7, 32, v7
	v_subrev_u32_e32 v9, 28, v7
	v_bfe_u32 v6, v4, 3, 4
	v_lshlrev_b32_e32 v4, v9, v4
	v_sub_u32_e32 v7, 29, v7
	v_and_b32_e32 v4, 7, v4
	v_cmp_eq_u32_e32 vcc, 0, v6
	v_cndmask_b32_e32 v6, v6, v7, vcc
	v_cndmask_b32_e32 v4, v5, v4, vcc
	v_mov_b32_e32 v5, 0x3b800000
	v_lshlrev_b32_e32 v4, 20, v4
	v_and_b32_e32 v3, 0x80000000, v3
	v_lshl_add_u32 v5, v6, 23, v5
	v_or3_b32 v3, v3, v5, v4
	v_cvt_i32_f32_e32 v3, v3
.LBB63_446:
	s_or_b64 exec, exec, s[0:1]
.LBB63_447:
	s_mov_b64 s[0:1], -1
.LBB63_448:
	s_mov_b64 s[16:17], 0
.LBB63_449:
	s_and_b64 vcc, exec, s[16:17]
	s_cbranch_vccz .LBB63_482
; %bb.450:
	s_cmp_gt_i32 s18, 22
	s_cbranch_scc0 .LBB63_458
; %bb.451:
	s_cmp_lt_i32 s18, 24
	s_cbranch_scc1 .LBB63_461
; %bb.452:
	s_cmp_gt_i32 s18, 24
	s_cbranch_scc0 .LBB63_462
; %bb.453:
	global_load_ubyte v4, v[1:2], off
	s_movk_i32 s0, 0x7f
	s_mov_b64 s[16:17], 0
	s_waitcnt vmcnt(0)
	v_cmp_lt_i16_e32 vcc, s0, v4
	s_and_saveexec_b64 s[0:1], vcc
	s_xor_b64 s[0:1], exec, s[0:1]
	s_cbranch_execz .LBB63_474
; %bb.454:
	s_movk_i32 s16, 0x80
	v_cmp_ne_u16_e32 vcc, s16, v4
	s_and_b64 s[16:17], vcc, exec
	s_andn2_saveexec_b64 s[0:1], s[0:1]
	s_cbranch_execnz .LBB63_475
.LBB63_455:
	s_or_b64 exec, exec, s[0:1]
	v_mov_b32_e32 v3, 0
	s_and_saveexec_b64 s[0:1], s[16:17]
	s_cbranch_execz .LBB63_457
.LBB63_456:
	v_lshlrev_b32_e32 v3, 24, v4
	v_and_b32_e32 v4, 0xffff, v4
	v_and_b32_e32 v5, 3, v4
	v_ffbh_u32_e32 v7, v5
	v_min_u32_e32 v7, 32, v7
	v_subrev_u32_e32 v9, 29, v7
	v_bfe_u32 v6, v4, 2, 5
	v_lshlrev_b32_e32 v4, v9, v4
	v_sub_u32_e32 v7, 30, v7
	v_and_b32_e32 v4, 3, v4
	v_cmp_eq_u32_e32 vcc, 0, v6
	v_cndmask_b32_e32 v6, v6, v7, vcc
	v_cndmask_b32_e32 v4, v5, v4, vcc
	v_mov_b32_e32 v5, 0x37800000
	v_lshlrev_b32_e32 v4, 21, v4
	v_and_b32_e32 v3, 0x80000000, v3
	v_lshl_add_u32 v5, v6, 23, v5
	v_or3_b32 v3, v3, v5, v4
	v_cvt_i32_f32_e32 v3, v3
.LBB63_457:
	s_or_b64 exec, exec, s[0:1]
	s_mov_b64 s[0:1], 0
	s_branch .LBB63_463
.LBB63_458:
	s_mov_b64 s[16:17], -1
                                        ; implicit-def: $vgpr3
	s_branch .LBB63_469
.LBB63_459:
	s_andn2_saveexec_b64 s[0:1], s[0:1]
	s_cbranch_execz .LBB63_444
.LBB63_460:
	v_cmp_ne_u16_e32 vcc, 0, v4
	s_andn2_b64 s[16:17], s[16:17], exec
	s_and_b64 s[20:21], vcc, exec
	s_or_b64 s[16:17], s[16:17], s[20:21]
	s_or_b64 exec, exec, s[0:1]
	v_mov_b32_e32 v3, 0
	s_and_saveexec_b64 s[0:1], s[16:17]
	s_cbranch_execnz .LBB63_445
	s_branch .LBB63_446
.LBB63_461:
	s_mov_b64 s[0:1], -1
                                        ; implicit-def: $vgpr3
	s_branch .LBB63_466
.LBB63_462:
	s_mov_b64 s[0:1], -1
                                        ; implicit-def: $vgpr3
.LBB63_463:
	s_and_b64 vcc, exec, s[0:1]
	s_cbranch_vccz .LBB63_465
; %bb.464:
	global_load_ubyte v3, v[1:2], off
	s_mov_b32 s0, 0x7f800000
	s_waitcnt vmcnt(0)
	v_lshlrev_b32_e32 v3, 24, v3
	v_and_b32_e32 v4, 0x7f000000, v3
	v_ffbh_u32_e32 v5, v4
	v_min_u32_e32 v5, 32, v5
	v_sub_u32_e64 v5, v5, 4 clamp
	v_lshlrev_b32_e32 v7, v5, v4
	v_lshlrev_b32_e32 v5, 23, v5
	v_lshrrev_b32_e32 v7, 4, v7
	v_add_u32_e32 v6, 0x1000000, v4
	v_sub_u32_e32 v5, v7, v5
	v_ashrrev_i32_e32 v6, 8, v6
	v_add_u32_e32 v5, 0x3c000000, v5
	v_and_or_b32 v5, v6, s0, v5
	v_cmp_ne_u32_e32 vcc, 0, v4
	v_cndmask_b32_e32 v4, 0, v5, vcc
	s_brev_b32 s0, 1
	v_and_or_b32 v3, v3, s0, v4
	v_cvt_i32_f32_e32 v3, v3
.LBB63_465:
	s_mov_b64 s[0:1], 0
.LBB63_466:
	s_andn2_b64 vcc, exec, s[0:1]
	s_cbranch_vccnz .LBB63_468
; %bb.467:
	global_load_ubyte v3, v[1:2], off
	s_movk_i32 s0, 0x7f00
	s_brev_b32 s1, 16
	s_waitcnt vmcnt(0)
	v_lshlrev_b16_e32 v4, 8, v3
	v_lshlrev_b32_e32 v3, 25, v3
	v_lshrrev_b32_e32 v5, 4, v3
	v_and_or_b32 v6, v4, s0, 0.5
	v_or_b32_e32 v5, 0x70000000, v5
	v_add_f32_e32 v6, -0.5, v6
	v_mul_f32_e32 v5, 0x7800000, v5
	v_cmp_gt_u32_e32 vcc, s1, v3
	v_bfe_i32 v4, v4, 0, 16
	v_cndmask_b32_e32 v3, v5, v6, vcc
	s_brev_b32 s0, 1
	v_and_or_b32 v3, v4, s0, v3
	v_cvt_i32_f32_e32 v3, v3
.LBB63_468:
	s_mov_b64 s[16:17], 0
	s_mov_b64 s[0:1], -1
.LBB63_469:
	s_andn2_b64 vcc, exec, s[16:17]
	s_cbranch_vccnz .LBB63_482
; %bb.470:
	s_cmp_gt_i32 s18, 14
	s_cbranch_scc0 .LBB63_473
; %bb.471:
	s_cmp_eq_u32 s18, 15
	s_cbranch_scc0 .LBB63_476
; %bb.472:
	global_load_ushort v3, v[1:2], off
	s_mov_b64 s[0:1], -1
	s_mov_b64 s[2:3], 0
	s_waitcnt vmcnt(0)
	v_lshlrev_b32_e32 v3, 16, v3
	v_cvt_i32_f32_e32 v3, v3
	s_branch .LBB63_477
.LBB63_473:
	s_mov_b64 s[16:17], -1
                                        ; implicit-def: $vgpr3
	s_branch .LBB63_478
.LBB63_474:
	s_andn2_saveexec_b64 s[0:1], s[0:1]
	s_cbranch_execz .LBB63_455
.LBB63_475:
	v_cmp_ne_u16_e32 vcc, 0, v4
	s_andn2_b64 s[16:17], s[16:17], exec
	s_and_b64 s[20:21], vcc, exec
	s_or_b64 s[16:17], s[16:17], s[20:21]
	s_or_b64 exec, exec, s[0:1]
	v_mov_b32_e32 v3, 0
	s_and_saveexec_b64 s[0:1], s[16:17]
	s_cbranch_execnz .LBB63_456
	s_branch .LBB63_457
.LBB63_476:
	s_mov_b64 s[2:3], -1
                                        ; implicit-def: $vgpr3
.LBB63_477:
	s_mov_b64 s[16:17], 0
.LBB63_478:
	s_and_b64 vcc, exec, s[16:17]
	s_cbranch_vccz .LBB63_482
; %bb.479:
	s_cmp_eq_u32 s18, 11
	s_cbranch_scc0 .LBB63_481
; %bb.480:
	global_load_ubyte v3, v[1:2], off
	s_mov_b64 s[0:1], -1
	s_mov_b64 s[2:3], 0
	s_waitcnt vmcnt(0)
	v_cmp_ne_u16_e32 vcc, 0, v3
	v_cndmask_b32_e64 v3, 0, 1, vcc
	s_branch .LBB63_482
.LBB63_481:
	s_mov_b64 s[2:3], -1
                                        ; implicit-def: $vgpr3
.LBB63_482:
	s_branch .LBB63_289
.LBB63_483:
	s_cmp_lt_i32 s18, 5
	s_cbranch_scc1 .LBB63_488
; %bb.484:
	s_cmp_lt_i32 s18, 8
	s_cbranch_scc1 .LBB63_489
; %bb.485:
	s_cmp_lt_i32 s18, 9
	s_cbranch_scc1 .LBB63_490
; %bb.486:
	s_cmp_gt_i32 s18, 9
	s_cbranch_scc0 .LBB63_491
; %bb.487:
	global_load_dwordx2 v[3:4], v[1:2], off
	s_mov_b64 s[0:1], 0
	s_waitcnt vmcnt(0)
	v_cvt_i32_f64_e32 v3, v[3:4]
	s_branch .LBB63_492
.LBB63_488:
	s_mov_b64 s[0:1], -1
                                        ; implicit-def: $vgpr3
	s_branch .LBB63_510
.LBB63_489:
	s_mov_b64 s[0:1], -1
                                        ; implicit-def: $vgpr3
	s_branch .LBB63_498
.LBB63_490:
	s_mov_b64 s[0:1], -1
                                        ; implicit-def: $vgpr3
	s_branch .LBB63_495
.LBB63_491:
	s_mov_b64 s[0:1], -1
                                        ; implicit-def: $vgpr3
.LBB63_492:
	s_andn2_b64 vcc, exec, s[0:1]
	s_cbranch_vccnz .LBB63_494
; %bb.493:
	global_load_dword v3, v[1:2], off
	s_waitcnt vmcnt(0)
	v_cvt_i32_f32_e32 v3, v3
.LBB63_494:
	s_mov_b64 s[0:1], 0
.LBB63_495:
	s_andn2_b64 vcc, exec, s[0:1]
	s_cbranch_vccnz .LBB63_497
; %bb.496:
	global_load_dword v3, v[1:2], off
	s_waitcnt vmcnt(0)
	v_cvt_f32_f16_e32 v3, v3
	v_cvt_i32_f32_e32 v3, v3
.LBB63_497:
	s_mov_b64 s[0:1], 0
.LBB63_498:
	s_andn2_b64 vcc, exec, s[0:1]
	s_cbranch_vccnz .LBB63_509
; %bb.499:
	s_cmp_lt_i32 s18, 6
	s_cbranch_scc1 .LBB63_502
; %bb.500:
	s_cmp_gt_i32 s18, 6
	s_cbranch_scc0 .LBB63_503
; %bb.501:
	global_load_dwordx2 v[3:4], v[1:2], off
	s_mov_b64 s[0:1], 0
	s_waitcnt vmcnt(0)
	v_cvt_i32_f64_e32 v3, v[3:4]
	s_branch .LBB63_504
.LBB63_502:
	s_mov_b64 s[0:1], -1
                                        ; implicit-def: $vgpr3
	s_branch .LBB63_507
.LBB63_503:
	s_mov_b64 s[0:1], -1
                                        ; implicit-def: $vgpr3
.LBB63_504:
	s_andn2_b64 vcc, exec, s[0:1]
	s_cbranch_vccnz .LBB63_506
; %bb.505:
	global_load_dword v3, v[1:2], off
	s_waitcnt vmcnt(0)
	v_cvt_i32_f32_e32 v3, v3
.LBB63_506:
	s_mov_b64 s[0:1], 0
.LBB63_507:
	s_andn2_b64 vcc, exec, s[0:1]
	s_cbranch_vccnz .LBB63_509
; %bb.508:
	global_load_ushort v3, v[1:2], off
	s_waitcnt vmcnt(0)
	v_cvt_f32_f16_e32 v3, v3
	v_cvt_i32_f32_e32 v3, v3
.LBB63_509:
	s_mov_b64 s[0:1], 0
.LBB63_510:
	s_andn2_b64 vcc, exec, s[0:1]
	s_cbranch_vccnz .LBB63_530
; %bb.511:
	s_cmp_lt_i32 s18, 2
	s_cbranch_scc1 .LBB63_515
; %bb.512:
	s_cmp_lt_i32 s18, 3
	s_cbranch_scc1 .LBB63_516
; %bb.513:
	s_cmp_gt_i32 s18, 3
	s_cbranch_scc0 .LBB63_517
; %bb.514:
	global_load_dword v3, v[1:2], off
	s_mov_b64 s[0:1], 0
	s_branch .LBB63_518
.LBB63_515:
	s_mov_b64 s[0:1], -1
                                        ; implicit-def: $vgpr3
	s_branch .LBB63_524
.LBB63_516:
	s_mov_b64 s[0:1], -1
                                        ; implicit-def: $vgpr3
	s_branch .LBB63_521
.LBB63_517:
	s_mov_b64 s[0:1], -1
                                        ; implicit-def: $vgpr3
.LBB63_518:
	s_andn2_b64 vcc, exec, s[0:1]
	s_cbranch_vccnz .LBB63_520
; %bb.519:
	global_load_dword v3, v[1:2], off
.LBB63_520:
	s_mov_b64 s[0:1], 0
.LBB63_521:
	s_andn2_b64 vcc, exec, s[0:1]
	s_cbranch_vccnz .LBB63_523
; %bb.522:
	global_load_sshort v3, v[1:2], off
.LBB63_523:
	s_mov_b64 s[0:1], 0
.LBB63_524:
	s_andn2_b64 vcc, exec, s[0:1]
	s_cbranch_vccnz .LBB63_530
; %bb.525:
	s_cmp_gt_i32 s18, 0
	s_cbranch_scc0 .LBB63_527
; %bb.526:
	global_load_sbyte v3, v[1:2], off
	s_mov_b64 s[0:1], 0
	s_branch .LBB63_528
.LBB63_527:
	s_mov_b64 s[0:1], -1
                                        ; implicit-def: $vgpr3
.LBB63_528:
	s_andn2_b64 vcc, exec, s[0:1]
	s_cbranch_vccnz .LBB63_530
; %bb.529:
	global_load_ubyte v3, v[1:2], off
.LBB63_530:
	s_branch .LBB63_290
.LBB63_531:
	s_mov_b64 s[16:17], 0
	s_mov_b64 s[0:1], s[56:57]
.LBB63_532:
                                        ; implicit-def: $vgpr8
.LBB63_533:
	s_andn2_b64 s[18:19], s[56:57], exec
	s_and_b64 s[0:1], s[0:1], exec
	s_or_b64 s[64:65], s[18:19], s[0:1]
	s_andn2_b64 s[0:1], s[58:59], exec
	s_and_b64 s[2:3], s[2:3], exec
	s_or_b64 s[62:63], s[0:1], s[2:3]
	s_orn2_b64 s[0:1], s[16:17], exec
.LBB63_534:
	s_or_b64 exec, exec, s[66:67]
	s_mov_b64 s[2:3], 0
	s_mov_b64 s[16:17], 0
	;; [unrolled: 1-line block ×3, first 2 shown]
                                        ; implicit-def: $vgpr1_vgpr2
                                        ; implicit-def: $vgpr0
                                        ; implicit-def: $vgpr5
	s_and_saveexec_b64 s[66:67], s[0:1]
	s_cbranch_execz .LBB63_901
; %bb.535:
	v_cmp_gt_i32_e32 vcc, s74, v8
	s_mov_b64 s[2:3], -1
	s_mov_b64 s[70:71], s[62:63]
	s_mov_b64 s[72:73], s[64:65]
	s_and_saveexec_b64 s[68:69], vcc
	s_cbranch_execz .LBB63_805
; %bb.536:
	s_andn2_b64 vcc, exec, s[44:45]
	s_cbranch_vccnz .LBB63_541
; %bb.537:
	s_andn2_b64 vcc, exec, s[54:55]
	s_cbranch_vccnz .LBB63_542
; %bb.538:
	s_add_i32 s79, s78, 1
	s_cmp_eq_u32 s76, 2
	s_cbranch_scc1 .LBB63_543
; %bb.539:
	s_and_b32 s75, s79, 28
	v_mov_b32_e32 v2, 0
	s_mov_b32 s80, 0
	s_mov_b64 s[70:71], s[34:35]
	s_mov_b64 s[72:73], s[52:53]
	v_mov_b32_e32 v0, 0
	v_mov_b32_e32 v1, v8
.LBB63_540:                             ; =>This Inner Loop Header: Depth=1
	s_load_dwordx8 s[24:31], s[70:71], 0x4
	s_load_dwordx4 s[0:3], s[70:71], 0x24
	s_load_dwordx8 s[16:23], s[72:73], 0x0
	s_add_u32 s70, s70, 48
	s_addc_u32 s71, s71, 0
	s_waitcnt vmcnt(0) lgkmcnt(0)
	v_mul_hi_u32 v3, s25, v1
	s_add_i32 s80, s80, 4
	s_add_u32 s72, s72, 32
	s_addc_u32 s73, s73, 0
	v_add_u32_e32 v3, v1, v3
	v_lshrrev_b32_e32 v3, s26, v3
	v_mul_lo_u32 v4, v3, s24
	v_mul_hi_u32 v5, s28, v3
	s_cmp_eq_u32 s75, s80
	v_sub_u32_e32 v1, v1, v4
	v_add_u32_e32 v4, v3, v5
	v_mul_lo_u32 v5, v1, s16
	v_mul_lo_u32 v6, v1, s17
	v_lshrrev_b32_e32 v1, s29, v4
	v_mul_lo_u32 v4, v1, s27
	v_mul_hi_u32 v7, s31, v1
	v_sub_u32_e32 v3, v3, v4
	v_add_u32_e32 v4, v1, v7
	v_lshrrev_b32_e32 v4, s0, v4
	v_mul_hi_u32 v9, s2, v4
	v_mul_lo_u32 v10, v4, s30
	v_mul_lo_u32 v7, v3, s18
	;; [unrolled: 1-line block ×3, first 2 shown]
	v_sub_u32_e32 v10, v1, v10
	v_add_u32_e32 v1, v4, v9
	v_lshrrev_b32_e32 v1, s3, v1
	v_mul_lo_u32 v9, v1, s1
	v_mul_lo_u32 v11, v10, s20
	;; [unrolled: 1-line block ×3, first 2 shown]
	v_add3_u32 v0, v5, v0, v7
	v_sub_u32_e32 v4, v4, v9
	v_mul_lo_u32 v9, v4, s22
	v_mul_lo_u32 v4, v4, s23
	v_add3_u32 v2, v6, v2, v3
	v_add3_u32 v0, v11, v0, v9
	;; [unrolled: 1-line block ×3, first 2 shown]
	s_cbranch_scc0 .LBB63_540
	s_branch .LBB63_544
.LBB63_541:
	s_mov_b64 s[0:1], -1
                                        ; implicit-def: $vgpr0
                                        ; implicit-def: $vgpr2
	s_branch .LBB63_548
.LBB63_542:
	v_mov_b32_e32 v0, 0
	v_mov_b32_e32 v2, 0
	s_branch .LBB63_547
.LBB63_543:
	s_mov_b32 s75, 0
	v_mov_b32_e32 v0, 0
	v_mov_b32_e32 v2, 0
	;; [unrolled: 1-line block ×3, first 2 shown]
.LBB63_544:
	s_and_b32 s16, s79, 3
	s_cmp_eq_u32 s16, 0
	s_cbranch_scc1 .LBB63_547
; %bb.545:
	s_lshl_b32 s0, s75, 3
	s_add_u32 s0, s34, s0
	s_addc_u32 s1, s35, 0
	s_add_u32 s0, s0, 0xc4
	s_addc_u32 s1, s1, 0
	s_mul_i32 s2, s75, 12
	s_add_u32 s2, s34, s2
	s_addc_u32 s3, s35, 0
.LBB63_546:                             ; =>This Inner Loop Header: Depth=1
	s_load_dwordx2 s[18:19], s[2:3], 0x4
	s_load_dword s17, s[2:3], 0xc
	s_load_dwordx2 s[20:21], s[0:1], 0x0
	s_add_u32 s2, s2, 12
	s_addc_u32 s3, s3, 0
	s_waitcnt vmcnt(0) lgkmcnt(0)
	v_mul_hi_u32 v3, s19, v1
	s_add_u32 s0, s0, 8
	s_addc_u32 s1, s1, 0
	s_add_i32 s16, s16, -1
	v_add_u32_e32 v3, v1, v3
	v_lshrrev_b32_e32 v4, s17, v3
	v_mul_lo_u32 v3, v4, s18
	s_cmp_lg_u32 s16, 0
	v_sub_u32_e32 v3, v1, v3
	v_mad_u64_u32 v[0:1], s[18:19], v3, s20, v[0:1]
	v_mad_u64_u32 v[2:3], s[18:19], v3, s21, v[2:3]
	v_mov_b32_e32 v1, v4
	s_cbranch_scc1 .LBB63_546
.LBB63_547:
	s_mov_b64 s[0:1], 0
.LBB63_548:
	s_andn2_b64 vcc, exec, s[0:1]
	s_cbranch_vccnz .LBB63_551
; %bb.549:
	v_mul_hi_u32 v0, s37, v8
	s_andn2_b64 vcc, exec, s[50:51]
	v_add_u32_e32 v0, v8, v0
	v_lshrrev_b32_e32 v1, s38, v0
	v_mul_lo_u32 v0, v1, s36
	v_sub_u32_e32 v2, v8, v0
	v_mul_lo_u32 v0, v2, s40
	v_mul_lo_u32 v2, v2, s41
	s_cbranch_vccnz .LBB63_551
; %bb.550:
	s_waitcnt vmcnt(0)
	v_mul_hi_u32 v3, s48, v1
	v_add_u32_e32 v3, v1, v3
	v_lshrrev_b32_e32 v3, s49, v3
	v_mul_lo_u32 v3, v3, s39
	v_sub_u32_e32 v3, v1, v3
	v_mad_u64_u32 v[0:1], s[0:1], v3, s42, v[0:1]
	v_mad_u64_u32 v[2:3], s[0:1], v3, s43, v[2:3]
.LBB63_551:
	s_waitcnt vmcnt(0)
	v_mov_b32_e32 v3, s11
	s_and_b32 s18, 0xffff, s15
	v_add_co_u32_e32 v1, vcc, s10, v2
	s_cmp_lt_i32 s18, 11
	v_addc_co_u32_e32 v2, vcc, 0, v3, vcc
	s_cbranch_scc1 .LBB63_558
; %bb.552:
	s_cmp_gt_i32 s18, 25
	s_cbranch_scc0 .LBB63_559
; %bb.553:
	s_cmp_gt_i32 s18, 28
	s_cbranch_scc0 .LBB63_560
	;; [unrolled: 3-line block ×4, first 2 shown]
; %bb.556:
	s_cmp_eq_u32 s18, 46
	s_mov_b64 s[16:17], 0
	s_cbranch_scc0 .LBB63_567
; %bb.557:
	global_load_dword v3, v[1:2], off
	s_mov_b64 s[0:1], -1
	s_mov_b64 s[2:3], 0
	s_waitcnt vmcnt(0)
	v_lshlrev_b32_e32 v3, 16, v3
	v_cvt_i32_f32_e32 v3, v3
	s_branch .LBB63_568
.LBB63_558:
	s_mov_b64 s[16:17], -1
	s_mov_b64 s[0:1], 0
                                        ; implicit-def: $vgpr3
	s_mov_b64 s[2:3], s[62:63]
	s_branch .LBB63_629
.LBB63_559:
	s_mov_b64 s[16:17], -1
	s_mov_b64 s[0:1], 0
	s_mov_b64 s[2:3], s[62:63]
                                        ; implicit-def: $vgpr3
	s_branch .LBB63_595
.LBB63_560:
	s_mov_b64 s[16:17], -1
	s_mov_b64 s[0:1], 0
	s_mov_b64 s[2:3], s[62:63]
                                        ; implicit-def: $vgpr3
	s_branch .LBB63_578
.LBB63_561:
	s_mov_b64 s[16:17], -1
	s_mov_b64 s[0:1], 0
	s_mov_b64 s[2:3], s[62:63]
                                        ; implicit-def: $vgpr3
	s_branch .LBB63_573
.LBB63_562:
	s_andn2_saveexec_b64 s[20:21], s[20:21]
	s_cbranch_execz .LBB63_335
.LBB63_563:
	s_mov_b32 s24, 0x46000000
	v_add_f32_e64 v2, |v0|, s24
	v_and_b32_e32 v2, 0xff, v2
	v_cmp_ne_u32_e32 vcc, 0, v2
	s_andn2_b64 s[18:19], s[18:19], exec
	s_and_b64 s[24:25], vcc, exec
	s_or_b64 s[18:19], s[18:19], s[24:25]
	s_or_b64 exec, exec, s[20:21]
	v_mov_b32_e32 v5, 0
	s_and_saveexec_b64 s[20:21], s[18:19]
	s_cbranch_execnz .LBB63_336
	s_branch .LBB63_337
.LBB63_564:
	s_mov_b64 s[16:17], -1
	s_mov_b64 s[0:1], 0
	s_mov_b64 s[2:3], s[62:63]
                                        ; implicit-def: $vgpr3
	s_branch .LBB63_568
.LBB63_565:
	s_andn2_saveexec_b64 s[20:21], s[20:21]
	s_cbranch_execz .LBB63_348
.LBB63_566:
	s_mov_b32 s24, 0x42800000
	v_add_f32_e64 v2, |v0|, s24
	v_and_b32_e32 v2, 0xff, v2
	v_cmp_ne_u32_e32 vcc, 0, v2
	s_andn2_b64 s[18:19], s[18:19], exec
	s_and_b64 s[24:25], vcc, exec
	s_or_b64 s[18:19], s[18:19], s[24:25]
	s_or_b64 exec, exec, s[20:21]
	v_mov_b32_e32 v5, 0
	s_and_saveexec_b64 s[20:21], s[18:19]
	s_cbranch_execnz .LBB63_349
	s_branch .LBB63_350
.LBB63_567:
	s_mov_b64 s[2:3], -1
                                        ; implicit-def: $vgpr3
	s_mov_b64 s[0:1], 0
.LBB63_568:
	s_and_b64 vcc, exec, s[16:17]
	s_cbranch_vccz .LBB63_572
; %bb.569:
	s_cmp_eq_u32 s18, 44
	s_cbranch_scc0 .LBB63_571
; %bb.570:
	global_load_ubyte v3, v[1:2], off
	s_mov_b64 s[0:1], -1
	s_mov_b64 s[2:3], 0
	s_waitcnt vmcnt(0)
	v_lshlrev_b32_e32 v4, 23, v3
	v_cvt_i32_f32_e32 v4, v4
	v_cmp_ne_u32_e32 vcc, 0, v3
	v_cndmask_b32_e32 v3, 0, v4, vcc
	s_branch .LBB63_572
.LBB63_571:
	s_mov_b64 s[2:3], -1
                                        ; implicit-def: $vgpr3
.LBB63_572:
	s_mov_b64 s[16:17], 0
.LBB63_573:
	s_and_b64 vcc, exec, s[16:17]
	s_cbranch_vccz .LBB63_577
; %bb.574:
	s_cmp_eq_u32 s18, 29
	s_cbranch_scc0 .LBB63_576
; %bb.575:
	global_load_dword v3, v[1:2], off
	s_mov_b64 s[0:1], -1
	s_mov_b64 s[2:3], 0
	s_branch .LBB63_577
.LBB63_576:
	s_mov_b64 s[2:3], -1
                                        ; implicit-def: $vgpr3
.LBB63_577:
	s_mov_b64 s[16:17], 0
.LBB63_578:
	s_and_b64 vcc, exec, s[16:17]
	s_cbranch_vccz .LBB63_594
; %bb.579:
	s_cmp_lt_i32 s18, 27
	s_cbranch_scc1 .LBB63_582
; %bb.580:
	s_cmp_gt_i32 s18, 27
	s_cbranch_scc0 .LBB63_583
; %bb.581:
	global_load_dword v3, v[1:2], off
	s_mov_b64 s[0:1], 0
	s_branch .LBB63_584
.LBB63_582:
	s_mov_b64 s[0:1], -1
                                        ; implicit-def: $vgpr3
	s_branch .LBB63_587
.LBB63_583:
	s_mov_b64 s[0:1], -1
                                        ; implicit-def: $vgpr3
.LBB63_584:
	s_andn2_b64 vcc, exec, s[0:1]
	s_cbranch_vccnz .LBB63_586
; %bb.585:
	global_load_ushort v3, v[1:2], off
.LBB63_586:
	s_mov_b64 s[0:1], 0
.LBB63_587:
	s_andn2_b64 vcc, exec, s[0:1]
	s_cbranch_vccnz .LBB63_593
; %bb.588:
	global_load_ubyte v4, v[1:2], off
	s_movk_i32 s0, 0x7f
	s_mov_b64 s[16:17], 0
	s_waitcnt vmcnt(0)
	v_cmp_lt_i16_e32 vcc, s0, v4
	s_and_saveexec_b64 s[0:1], vcc
	s_xor_b64 s[0:1], exec, s[0:1]
	s_cbranch_execz .LBB63_605
; %bb.589:
	s_movk_i32 s16, 0x80
	v_cmp_ne_u16_e32 vcc, s16, v4
	s_and_b64 s[16:17], vcc, exec
	s_andn2_saveexec_b64 s[0:1], s[0:1]
	s_cbranch_execnz .LBB63_606
.LBB63_590:
	s_or_b64 exec, exec, s[0:1]
	v_mov_b32_e32 v3, 0
	s_and_saveexec_b64 s[0:1], s[16:17]
	s_cbranch_execz .LBB63_592
.LBB63_591:
	v_lshlrev_b32_e32 v3, 24, v4
	v_and_b32_e32 v4, 0xffff, v4
	v_and_b32_e32 v5, 7, v4
	v_ffbh_u32_e32 v7, v5
	v_min_u32_e32 v7, 32, v7
	v_subrev_u32_e32 v9, 28, v7
	v_bfe_u32 v6, v4, 3, 4
	v_lshlrev_b32_e32 v4, v9, v4
	v_sub_u32_e32 v7, 29, v7
	v_and_b32_e32 v4, 7, v4
	v_cmp_eq_u32_e32 vcc, 0, v6
	v_cndmask_b32_e32 v6, v6, v7, vcc
	v_cndmask_b32_e32 v4, v5, v4, vcc
	v_mov_b32_e32 v5, 0x3b800000
	v_lshlrev_b32_e32 v4, 20, v4
	v_and_b32_e32 v3, 0x80000000, v3
	v_lshl_add_u32 v5, v6, 23, v5
	v_or3_b32 v3, v3, v5, v4
	v_cvt_i32_f32_e32 v3, v3
.LBB63_592:
	s_or_b64 exec, exec, s[0:1]
.LBB63_593:
	s_mov_b64 s[0:1], -1
.LBB63_594:
	s_mov_b64 s[16:17], 0
.LBB63_595:
	s_and_b64 vcc, exec, s[16:17]
	s_cbranch_vccz .LBB63_628
; %bb.596:
	s_cmp_gt_i32 s18, 22
	s_cbranch_scc0 .LBB63_604
; %bb.597:
	s_cmp_lt_i32 s18, 24
	s_cbranch_scc1 .LBB63_607
; %bb.598:
	s_cmp_gt_i32 s18, 24
	s_cbranch_scc0 .LBB63_608
; %bb.599:
	global_load_ubyte v4, v[1:2], off
	s_movk_i32 s0, 0x7f
	s_mov_b64 s[16:17], 0
	s_waitcnt vmcnt(0)
	v_cmp_lt_i16_e32 vcc, s0, v4
	s_and_saveexec_b64 s[0:1], vcc
	s_xor_b64 s[0:1], exec, s[0:1]
	s_cbranch_execz .LBB63_620
; %bb.600:
	s_movk_i32 s16, 0x80
	v_cmp_ne_u16_e32 vcc, s16, v4
	s_and_b64 s[16:17], vcc, exec
	s_andn2_saveexec_b64 s[0:1], s[0:1]
	s_cbranch_execnz .LBB63_621
.LBB63_601:
	s_or_b64 exec, exec, s[0:1]
	v_mov_b32_e32 v3, 0
	s_and_saveexec_b64 s[0:1], s[16:17]
	s_cbranch_execz .LBB63_603
.LBB63_602:
	v_lshlrev_b32_e32 v3, 24, v4
	v_and_b32_e32 v4, 0xffff, v4
	v_and_b32_e32 v5, 3, v4
	v_ffbh_u32_e32 v7, v5
	v_min_u32_e32 v7, 32, v7
	v_subrev_u32_e32 v9, 29, v7
	v_bfe_u32 v6, v4, 2, 5
	v_lshlrev_b32_e32 v4, v9, v4
	v_sub_u32_e32 v7, 30, v7
	v_and_b32_e32 v4, 3, v4
	v_cmp_eq_u32_e32 vcc, 0, v6
	v_cndmask_b32_e32 v6, v6, v7, vcc
	v_cndmask_b32_e32 v4, v5, v4, vcc
	v_mov_b32_e32 v5, 0x37800000
	v_lshlrev_b32_e32 v4, 21, v4
	v_and_b32_e32 v3, 0x80000000, v3
	v_lshl_add_u32 v5, v6, 23, v5
	v_or3_b32 v3, v3, v5, v4
	v_cvt_i32_f32_e32 v3, v3
.LBB63_603:
	s_or_b64 exec, exec, s[0:1]
	s_mov_b64 s[0:1], 0
	s_branch .LBB63_609
.LBB63_604:
	s_mov_b64 s[16:17], -1
                                        ; implicit-def: $vgpr3
	s_branch .LBB63_615
.LBB63_605:
	s_andn2_saveexec_b64 s[0:1], s[0:1]
	s_cbranch_execz .LBB63_590
.LBB63_606:
	v_cmp_ne_u16_e32 vcc, 0, v4
	s_andn2_b64 s[16:17], s[16:17], exec
	s_and_b64 s[20:21], vcc, exec
	s_or_b64 s[16:17], s[16:17], s[20:21]
	s_or_b64 exec, exec, s[0:1]
	v_mov_b32_e32 v3, 0
	s_and_saveexec_b64 s[0:1], s[16:17]
	s_cbranch_execnz .LBB63_591
	s_branch .LBB63_592
.LBB63_607:
	s_mov_b64 s[0:1], -1
                                        ; implicit-def: $vgpr3
	s_branch .LBB63_612
.LBB63_608:
	s_mov_b64 s[0:1], -1
                                        ; implicit-def: $vgpr3
.LBB63_609:
	s_and_b64 vcc, exec, s[0:1]
	s_cbranch_vccz .LBB63_611
; %bb.610:
	global_load_ubyte v3, v[1:2], off
	s_mov_b32 s0, 0x7f800000
	s_waitcnt vmcnt(0)
	v_lshlrev_b32_e32 v3, 24, v3
	v_and_b32_e32 v4, 0x7f000000, v3
	v_ffbh_u32_e32 v5, v4
	v_min_u32_e32 v5, 32, v5
	v_sub_u32_e64 v5, v5, 4 clamp
	v_lshlrev_b32_e32 v7, v5, v4
	v_lshlrev_b32_e32 v5, 23, v5
	v_lshrrev_b32_e32 v7, 4, v7
	v_add_u32_e32 v6, 0x1000000, v4
	v_sub_u32_e32 v5, v7, v5
	v_ashrrev_i32_e32 v6, 8, v6
	v_add_u32_e32 v5, 0x3c000000, v5
	v_and_or_b32 v5, v6, s0, v5
	v_cmp_ne_u32_e32 vcc, 0, v4
	v_cndmask_b32_e32 v4, 0, v5, vcc
	s_brev_b32 s0, 1
	v_and_or_b32 v3, v3, s0, v4
	v_cvt_i32_f32_e32 v3, v3
.LBB63_611:
	s_mov_b64 s[0:1], 0
.LBB63_612:
	s_andn2_b64 vcc, exec, s[0:1]
	s_cbranch_vccnz .LBB63_614
; %bb.613:
	global_load_ubyte v3, v[1:2], off
	s_movk_i32 s0, 0x7f00
	s_brev_b32 s1, 16
	s_waitcnt vmcnt(0)
	v_lshlrev_b16_e32 v4, 8, v3
	v_lshlrev_b32_e32 v3, 25, v3
	v_lshrrev_b32_e32 v5, 4, v3
	v_and_or_b32 v6, v4, s0, 0.5
	v_or_b32_e32 v5, 0x70000000, v5
	v_add_f32_e32 v6, -0.5, v6
	v_mul_f32_e32 v5, 0x7800000, v5
	v_cmp_gt_u32_e32 vcc, s1, v3
	v_bfe_i32 v4, v4, 0, 16
	v_cndmask_b32_e32 v3, v5, v6, vcc
	s_brev_b32 s0, 1
	v_and_or_b32 v3, v4, s0, v3
	v_cvt_i32_f32_e32 v3, v3
.LBB63_614:
	s_mov_b64 s[16:17], 0
	s_mov_b64 s[0:1], -1
.LBB63_615:
	s_andn2_b64 vcc, exec, s[16:17]
	s_cbranch_vccnz .LBB63_628
; %bb.616:
	s_cmp_gt_i32 s18, 14
	s_cbranch_scc0 .LBB63_619
; %bb.617:
	s_cmp_eq_u32 s18, 15
	s_cbranch_scc0 .LBB63_622
; %bb.618:
	global_load_ushort v3, v[1:2], off
	s_mov_b64 s[0:1], -1
	s_mov_b64 s[2:3], 0
	s_waitcnt vmcnt(0)
	v_lshlrev_b32_e32 v3, 16, v3
	v_cvt_i32_f32_e32 v3, v3
	s_branch .LBB63_623
.LBB63_619:
	s_mov_b64 s[16:17], -1
                                        ; implicit-def: $vgpr3
	s_branch .LBB63_624
.LBB63_620:
	s_andn2_saveexec_b64 s[0:1], s[0:1]
	s_cbranch_execz .LBB63_601
.LBB63_621:
	v_cmp_ne_u16_e32 vcc, 0, v4
	s_andn2_b64 s[16:17], s[16:17], exec
	s_and_b64 s[20:21], vcc, exec
	s_or_b64 s[16:17], s[16:17], s[20:21]
	s_or_b64 exec, exec, s[0:1]
	v_mov_b32_e32 v3, 0
	s_and_saveexec_b64 s[0:1], s[16:17]
	s_cbranch_execnz .LBB63_602
	s_branch .LBB63_603
.LBB63_622:
	s_mov_b64 s[2:3], -1
                                        ; implicit-def: $vgpr3
.LBB63_623:
	s_mov_b64 s[16:17], 0
.LBB63_624:
	s_and_b64 vcc, exec, s[16:17]
	s_cbranch_vccz .LBB63_628
; %bb.625:
	s_cmp_eq_u32 s18, 11
	s_cbranch_scc0 .LBB63_627
; %bb.626:
	global_load_ubyte v3, v[1:2], off
	s_mov_b64 s[0:1], -1
	s_mov_b64 s[2:3], 0
	s_waitcnt vmcnt(0)
	v_cmp_ne_u16_e32 vcc, 0, v3
	v_cndmask_b32_e64 v3, 0, 1, vcc
	s_branch .LBB63_628
.LBB63_627:
	s_mov_b64 s[2:3], -1
                                        ; implicit-def: $vgpr3
.LBB63_628:
	s_mov_b64 s[16:17], 0
.LBB63_629:
	s_and_b64 vcc, exec, s[16:17]
	s_cbranch_vccz .LBB63_678
; %bb.630:
	s_cmp_lt_i32 s18, 5
	s_cbranch_scc1 .LBB63_635
; %bb.631:
	s_cmp_lt_i32 s18, 8
	s_cbranch_scc1 .LBB63_636
	;; [unrolled: 3-line block ×3, first 2 shown]
; %bb.633:
	s_cmp_gt_i32 s18, 9
	s_cbranch_scc0 .LBB63_638
; %bb.634:
	global_load_dwordx2 v[3:4], v[1:2], off
	s_mov_b64 s[0:1], 0
	s_waitcnt vmcnt(0)
	v_cvt_i32_f64_e32 v3, v[3:4]
	s_branch .LBB63_639
.LBB63_635:
	s_mov_b64 s[0:1], -1
                                        ; implicit-def: $vgpr3
	s_branch .LBB63_657
.LBB63_636:
	s_mov_b64 s[0:1], -1
                                        ; implicit-def: $vgpr3
	s_branch .LBB63_645
.LBB63_637:
	s_mov_b64 s[0:1], -1
                                        ; implicit-def: $vgpr3
	s_branch .LBB63_642
.LBB63_638:
	s_mov_b64 s[0:1], -1
                                        ; implicit-def: $vgpr3
.LBB63_639:
	s_andn2_b64 vcc, exec, s[0:1]
	s_cbranch_vccnz .LBB63_641
; %bb.640:
	global_load_dword v3, v[1:2], off
	s_waitcnt vmcnt(0)
	v_cvt_i32_f32_e32 v3, v3
.LBB63_641:
	s_mov_b64 s[0:1], 0
.LBB63_642:
	s_andn2_b64 vcc, exec, s[0:1]
	s_cbranch_vccnz .LBB63_644
; %bb.643:
	global_load_dword v3, v[1:2], off
	s_waitcnt vmcnt(0)
	v_cvt_f32_f16_e32 v3, v3
	v_cvt_i32_f32_e32 v3, v3
.LBB63_644:
	s_mov_b64 s[0:1], 0
.LBB63_645:
	s_andn2_b64 vcc, exec, s[0:1]
	s_cbranch_vccnz .LBB63_656
; %bb.646:
	s_cmp_lt_i32 s18, 6
	s_cbranch_scc1 .LBB63_649
; %bb.647:
	s_cmp_gt_i32 s18, 6
	s_cbranch_scc0 .LBB63_650
; %bb.648:
	global_load_dwordx2 v[3:4], v[1:2], off
	s_mov_b64 s[0:1], 0
	s_waitcnt vmcnt(0)
	v_cvt_i32_f64_e32 v3, v[3:4]
	s_branch .LBB63_651
.LBB63_649:
	s_mov_b64 s[0:1], -1
                                        ; implicit-def: $vgpr3
	s_branch .LBB63_654
.LBB63_650:
	s_mov_b64 s[0:1], -1
                                        ; implicit-def: $vgpr3
.LBB63_651:
	s_andn2_b64 vcc, exec, s[0:1]
	s_cbranch_vccnz .LBB63_653
; %bb.652:
	global_load_dword v3, v[1:2], off
	s_waitcnt vmcnt(0)
	v_cvt_i32_f32_e32 v3, v3
.LBB63_653:
	s_mov_b64 s[0:1], 0
.LBB63_654:
	s_andn2_b64 vcc, exec, s[0:1]
	s_cbranch_vccnz .LBB63_656
; %bb.655:
	global_load_ushort v3, v[1:2], off
	s_waitcnt vmcnt(0)
	v_cvt_f32_f16_e32 v3, v3
	v_cvt_i32_f32_e32 v3, v3
.LBB63_656:
	s_mov_b64 s[0:1], 0
.LBB63_657:
	s_andn2_b64 vcc, exec, s[0:1]
	s_cbranch_vccnz .LBB63_677
; %bb.658:
	s_cmp_lt_i32 s18, 2
	s_cbranch_scc1 .LBB63_662
; %bb.659:
	s_cmp_lt_i32 s18, 3
	s_cbranch_scc1 .LBB63_663
; %bb.660:
	s_cmp_gt_i32 s18, 3
	s_cbranch_scc0 .LBB63_664
; %bb.661:
	global_load_dword v3, v[1:2], off
	s_mov_b64 s[0:1], 0
	s_branch .LBB63_665
.LBB63_662:
	s_mov_b64 s[0:1], -1
                                        ; implicit-def: $vgpr3
	s_branch .LBB63_671
.LBB63_663:
	s_mov_b64 s[0:1], -1
                                        ; implicit-def: $vgpr3
	s_branch .LBB63_668
.LBB63_664:
	s_mov_b64 s[0:1], -1
                                        ; implicit-def: $vgpr3
.LBB63_665:
	s_andn2_b64 vcc, exec, s[0:1]
	s_cbranch_vccnz .LBB63_667
; %bb.666:
	global_load_dword v3, v[1:2], off
.LBB63_667:
	s_mov_b64 s[0:1], 0
.LBB63_668:
	s_andn2_b64 vcc, exec, s[0:1]
	s_cbranch_vccnz .LBB63_670
; %bb.669:
	global_load_sshort v3, v[1:2], off
.LBB63_670:
	s_mov_b64 s[0:1], 0
.LBB63_671:
	s_andn2_b64 vcc, exec, s[0:1]
	s_cbranch_vccnz .LBB63_677
; %bb.672:
	s_cmp_gt_i32 s18, 0
	s_cbranch_scc0 .LBB63_674
; %bb.673:
	global_load_sbyte v3, v[1:2], off
	s_mov_b64 s[0:1], 0
	s_branch .LBB63_675
.LBB63_674:
	s_mov_b64 s[0:1], -1
                                        ; implicit-def: $vgpr3
.LBB63_675:
	s_andn2_b64 vcc, exec, s[0:1]
	s_cbranch_vccnz .LBB63_677
; %bb.676:
	global_load_ubyte v3, v[1:2], off
.LBB63_677:
	s_mov_b64 s[0:1], -1
.LBB63_678:
	s_andn2_b64 vcc, exec, s[0:1]
	s_cbranch_vccnz .LBB63_686
; %bb.679:
	v_mov_b32_e32 v1, s13
	v_mov_b32_e32 v2, s14
	s_waitcnt vmcnt(0)
	v_cmp_lt_i32_e32 vcc, s12, v3
	v_cndmask_b32_e32 v1, v1, v2, vcc
	v_mov_b32_e32 v2, s9
	s_and_b32 s22, s77, 0xff
	v_add_co_u32_e32 v3, vcc, s8, v0
	s_cmp_lt_i32 s22, 11
	v_addc_co_u32_e32 v4, vcc, 0, v2, vcc
	s_cbranch_scc1 .LBB63_687
; %bb.680:
	s_and_b32 s23, 0xffff, s22
	s_cmp_gt_i32 s23, 25
	s_cbranch_scc0 .LBB63_688
; %bb.681:
	s_cmp_gt_i32 s23, 28
	s_cbranch_scc0 .LBB63_689
; %bb.682:
	s_cmp_gt_i32 s23, 43
	s_cbranch_scc0 .LBB63_690
; %bb.683:
	s_cmp_gt_i32 s23, 45
	s_cbranch_scc0 .LBB63_691
; %bb.684:
	s_mov_b64 s[18:19], 0
	s_mov_b64 s[0:1], -1
	s_cmp_eq_u32 s23, 46
	s_mov_b64 s[16:17], 0
	s_cbranch_scc0 .LBB63_692
; %bb.685:
	v_cvt_f32_i32_e32 v0, v1
	s_movk_i32 s0, 0x7fff
	s_mov_b64 s[16:17], -1
	v_bfe_u32 v2, v0, 16, 1
	v_add3_u32 v0, v0, v2, s0
	v_lshrrev_b32_e32 v0, 16, v0
	global_store_dword v[3:4], v0, off
	s_mov_b64 s[0:1], 0
	s_branch .LBB63_692
.LBB63_686:
	s_mov_b64 s[16:17], 0
	s_mov_b64 s[0:1], s[64:65]
	s_branch .LBB63_803
.LBB63_687:
	s_mov_b64 s[18:19], -1
	s_mov_b64 s[16:17], 0
	s_mov_b64 s[0:1], s[64:65]
	s_branch .LBB63_761
.LBB63_688:
	s_mov_b64 s[18:19], -1
	s_mov_b64 s[16:17], 0
	s_mov_b64 s[0:1], s[64:65]
	s_branch .LBB63_719
.LBB63_689:
	s_mov_b64 s[18:19], -1
	s_mov_b64 s[16:17], 0
	s_mov_b64 s[0:1], s[64:65]
	s_branch .LBB63_702
.LBB63_690:
	s_mov_b64 s[18:19], -1
	s_mov_b64 s[16:17], 0
	s_mov_b64 s[0:1], s[64:65]
	s_branch .LBB63_698
.LBB63_691:
	s_mov_b64 s[18:19], -1
	s_mov_b64 s[16:17], 0
	s_mov_b64 s[0:1], s[64:65]
.LBB63_692:
	s_and_b64 vcc, exec, s[18:19]
	s_cbranch_vccz .LBB63_697
; %bb.693:
	s_cmp_eq_u32 s23, 44
	s_mov_b64 s[0:1], -1
	s_cbranch_scc0 .LBB63_697
; %bb.694:
	v_cvt_f32_i32_e32 v0, v1
	s_movk_i32 s0, 0xff
	v_mov_b32_e32 v5, 0xff
	v_bfe_u32 v2, v0, 23, 8
	v_cmp_ne_u32_e32 vcc, s0, v2
	s_and_saveexec_b64 s[16:17], vcc
; %bb.695:
	s_mov_b32 s0, 0x3fffff
	v_lshrrev_b32_e32 v5, 23, v0
	v_and_b32_e32 v6, 0x400000, v0
	v_and_or_b32 v0, v0, s0, v2
	v_cmp_ne_u32_e32 vcc, 0, v6
	v_cmp_ne_u32_e64 s[0:1], 0, v0
	s_and_b64 s[0:1], vcc, s[0:1]
	v_cndmask_b32_e64 v0, 0, 1, s[0:1]
	v_add_u32_e32 v5, v5, v0
; %bb.696:
	s_or_b64 exec, exec, s[16:17]
	s_mov_b64 s[16:17], -1
	s_mov_b64 s[0:1], 0
	global_store_byte v[3:4], v5, off
.LBB63_697:
	s_mov_b64 s[18:19], 0
.LBB63_698:
	s_and_b64 vcc, exec, s[18:19]
	s_cbranch_vccz .LBB63_701
; %bb.699:
	s_cmp_eq_u32 s23, 29
	s_mov_b64 s[0:1], -1
	s_cbranch_scc0 .LBB63_701
; %bb.700:
	v_ashrrev_i32_e32 v2, 31, v1
	global_store_dwordx2 v[3:4], v[1:2], off
	s_mov_b64 s[16:17], -1
	s_mov_b64 s[0:1], 0
.LBB63_701:
	s_mov_b64 s[18:19], 0
.LBB63_702:
	s_and_b64 vcc, exec, s[18:19]
	s_cbranch_vccz .LBB63_718
; %bb.703:
	s_cmp_lt_i32 s23, 27
	s_mov_b64 s[16:17], -1
	s_cbranch_scc1 .LBB63_709
; %bb.704:
	s_cmp_gt_i32 s23, 27
	s_cbranch_scc0 .LBB63_706
; %bb.705:
	s_mov_b64 s[16:17], 0
	global_store_dword v[3:4], v1, off
.LBB63_706:
	s_andn2_b64 vcc, exec, s[16:17]
	s_cbranch_vccnz .LBB63_708
; %bb.707:
	global_store_short v[3:4], v1, off
.LBB63_708:
	s_mov_b64 s[16:17], 0
.LBB63_709:
	s_andn2_b64 vcc, exec, s[16:17]
	s_cbranch_vccnz .LBB63_717
; %bb.710:
	v_cvt_f32_i32_e32 v0, v1
	s_mov_b32 s16, 0x43800000
	v_mov_b32_e32 v5, 0x80
	v_and_b32_e32 v2, 0x7fffffff, v0
	v_cmp_gt_u32_e32 vcc, s16, v2
	s_and_saveexec_b64 s[16:17], vcc
	s_cbranch_execz .LBB63_716
; %bb.711:
	s_mov_b32 s18, 0x3bffffff
	v_cmp_lt_u32_e32 vcc, s18, v2
	s_mov_b64 s[18:19], 0
                                        ; implicit-def: $vgpr2
	s_and_saveexec_b64 s[20:21], vcc
	s_xor_b64 s[20:21], exec, s[20:21]
	s_cbranch_execz .LBB63_833
; %bb.712:
	v_bfe_u32 v2, v0, 20, 1
	s_mov_b32 s24, 0x487ffff
	v_add3_u32 v2, v0, v2, s24
	s_mov_b64 s[18:19], exec
	v_lshrrev_b32_e32 v2, 20, v2
	s_andn2_saveexec_b64 s[20:21], s[20:21]
	s_cbranch_execnz .LBB63_834
.LBB63_713:
	s_or_b64 exec, exec, s[20:21]
	v_mov_b32_e32 v5, 0
	s_and_saveexec_b64 s[20:21], s[18:19]
.LBB63_714:
	v_lshrrev_b32_e32 v0, 24, v0
	s_movk_i32 s18, 0x80
	v_and_or_b32 v5, v0, s18, v2
.LBB63_715:
	s_or_b64 exec, exec, s[20:21]
.LBB63_716:
	s_or_b64 exec, exec, s[16:17]
	global_store_byte v[3:4], v5, off
.LBB63_717:
	s_mov_b64 s[16:17], -1
.LBB63_718:
	s_mov_b64 s[18:19], 0
.LBB63_719:
	s_and_b64 vcc, exec, s[18:19]
	s_cbranch_vccz .LBB63_760
; %bb.720:
	s_cmp_gt_i32 s23, 22
	s_mov_b64 s[18:19], -1
	s_cbranch_scc0 .LBB63_752
; %bb.721:
	s_cmp_lt_i32 s23, 24
	s_mov_b64 s[16:17], -1
	s_cbranch_scc1 .LBB63_741
; %bb.722:
	s_cmp_gt_i32 s23, 24
	s_cbranch_scc0 .LBB63_730
; %bb.723:
	v_cvt_f32_i32_e32 v0, v1
	s_mov_b32 s16, 0x47800000
	v_mov_b32_e32 v5, 0x80
	v_and_b32_e32 v2, 0x7fffffff, v0
	v_cmp_gt_u32_e32 vcc, s16, v2
	s_and_saveexec_b64 s[16:17], vcc
	s_cbranch_execz .LBB63_729
; %bb.724:
	s_mov_b32 s18, 0x37ffffff
	v_cmp_lt_u32_e32 vcc, s18, v2
	s_mov_b64 s[18:19], 0
                                        ; implicit-def: $vgpr2
	s_and_saveexec_b64 s[20:21], vcc
	s_xor_b64 s[20:21], exec, s[20:21]
	s_cbranch_execz .LBB63_836
; %bb.725:
	v_bfe_u32 v2, v0, 21, 1
	s_mov_b32 s24, 0x88fffff
	v_add3_u32 v2, v0, v2, s24
	s_mov_b64 s[18:19], exec
	v_lshrrev_b32_e32 v2, 21, v2
	s_andn2_saveexec_b64 s[20:21], s[20:21]
	s_cbranch_execnz .LBB63_837
.LBB63_726:
	s_or_b64 exec, exec, s[20:21]
	v_mov_b32_e32 v5, 0
	s_and_saveexec_b64 s[20:21], s[18:19]
.LBB63_727:
	v_lshrrev_b32_e32 v0, 24, v0
	s_movk_i32 s18, 0x80
	v_and_or_b32 v5, v0, s18, v2
.LBB63_728:
	s_or_b64 exec, exec, s[20:21]
.LBB63_729:
	s_or_b64 exec, exec, s[16:17]
	s_mov_b64 s[16:17], 0
	global_store_byte v[3:4], v5, off
.LBB63_730:
	s_and_b64 vcc, exec, s[16:17]
	s_cbranch_vccz .LBB63_740
; %bb.731:
	v_cvt_f32_i32_e32 v0, v1
	s_mov_b32 s16, 0x43f00000
                                        ; implicit-def: $vgpr2
	v_and_b32_e32 v5, 0x7fffffff, v0
	v_cmp_gt_u32_e32 vcc, s16, v5
	s_and_saveexec_b64 s[16:17], vcc
	s_xor_b64 s[16:17], exec, s[16:17]
	s_cbranch_execz .LBB63_737
; %bb.732:
	s_mov_b32 s18, 0x3c7fffff
	v_cmp_lt_u32_e32 vcc, s18, v5
                                        ; implicit-def: $vgpr2
	s_and_saveexec_b64 s[18:19], vcc
	s_xor_b64 s[18:19], exec, s[18:19]
; %bb.733:
	v_bfe_u32 v2, v0, 20, 1
	s_mov_b32 s20, 0x407ffff
	v_add3_u32 v2, v0, v2, s20
	v_lshrrev_b32_e32 v5, 20, v2
	v_and_b32_e32 v2, 0xff00000, v2
	s_mov_b32 s20, 0x7f00000
	v_mov_b32_e32 v6, 0x7e
	v_cmp_ne_u32_e32 vcc, s20, v2
	v_cndmask_b32_e32 v2, v6, v5, vcc
; %bb.734:
	s_andn2_saveexec_b64 s[18:19], s[18:19]
; %bb.735:
	s_mov_b32 s20, 0x46800000
	v_add_f32_e64 v2, |v0|, s20
; %bb.736:
	s_or_b64 exec, exec, s[18:19]
                                        ; implicit-def: $vgpr5
.LBB63_737:
	s_andn2_saveexec_b64 s[16:17], s[16:17]
; %bb.738:
	s_mov_b32 s18, 0x7f800000
	v_mov_b32_e32 v2, 0x7e
	v_mov_b32_e32 v6, 0x7f
	v_cmp_lt_u32_e32 vcc, s18, v5
	v_cndmask_b32_e32 v2, v2, v6, vcc
; %bb.739:
	s_or_b64 exec, exec, s[16:17]
	v_lshrrev_b32_e32 v0, 24, v0
	s_movk_i32 s16, 0x80
	v_and_or_b32 v0, v0, s16, v2
	global_store_byte v[3:4], v0, off
.LBB63_740:
	s_mov_b64 s[16:17], 0
.LBB63_741:
	s_andn2_b64 vcc, exec, s[16:17]
	s_cbranch_vccnz .LBB63_751
; %bb.742:
	v_cvt_f32_i32_e32 v0, v1
	s_mov_b32 s16, 0x47800000
                                        ; implicit-def: $vgpr2
	v_and_b32_e32 v5, 0x7fffffff, v0
	v_cmp_gt_u32_e32 vcc, s16, v5
	s_and_saveexec_b64 s[16:17], vcc
	s_xor_b64 s[16:17], exec, s[16:17]
	s_cbranch_execz .LBB63_748
; %bb.743:
	s_mov_b32 s18, 0x387fffff
	v_cmp_lt_u32_e32 vcc, s18, v5
                                        ; implicit-def: $vgpr2
	s_and_saveexec_b64 s[18:19], vcc
	s_xor_b64 s[18:19], exec, s[18:19]
; %bb.744:
	v_bfe_u32 v2, v0, 21, 1
	s_mov_b32 s20, 0x80fffff
	v_add3_u32 v2, v0, v2, s20
	v_lshrrev_b32_e32 v2, 21, v2
; %bb.745:
	s_andn2_saveexec_b64 s[18:19], s[18:19]
; %bb.746:
	s_mov_b32 s20, 0x43000000
	v_add_f32_e64 v2, |v0|, s20
; %bb.747:
	s_or_b64 exec, exec, s[18:19]
                                        ; implicit-def: $vgpr5
.LBB63_748:
	s_andn2_saveexec_b64 s[16:17], s[16:17]
; %bb.749:
	s_mov_b32 s18, 0x7f800000
	v_mov_b32_e32 v2, 0x7c
	v_mov_b32_e32 v6, 0x7f
	v_cmp_lt_u32_e32 vcc, s18, v5
	v_cndmask_b32_e32 v2, v2, v6, vcc
; %bb.750:
	s_or_b64 exec, exec, s[16:17]
	v_lshrrev_b32_e32 v0, 24, v0
	s_movk_i32 s16, 0x80
	v_and_or_b32 v0, v0, s16, v2
	global_store_byte v[3:4], v0, off
.LBB63_751:
	s_mov_b64 s[18:19], 0
	s_mov_b64 s[16:17], -1
.LBB63_752:
	s_andn2_b64 vcc, exec, s[18:19]
	s_cbranch_vccnz .LBB63_760
; %bb.753:
	s_cmp_gt_i32 s23, 14
	s_mov_b64 s[18:19], -1
	s_cbranch_scc0 .LBB63_757
; %bb.754:
	s_cmp_eq_u32 s23, 15
	s_mov_b64 s[0:1], -1
	s_cbranch_scc0 .LBB63_756
; %bb.755:
	v_cvt_f32_i32_e32 v0, v1
	s_movk_i32 s0, 0x7fff
	s_mov_b64 s[16:17], -1
	v_bfe_u32 v2, v0, 16, 1
	v_add3_u32 v0, v0, v2, s0
	global_store_short_d16_hi v[3:4], v0, off
	s_mov_b64 s[0:1], 0
.LBB63_756:
	s_mov_b64 s[18:19], 0
.LBB63_757:
	s_and_b64 vcc, exec, s[18:19]
	s_cbranch_vccz .LBB63_760
; %bb.758:
	s_cmp_eq_u32 s23, 11
	s_mov_b64 s[0:1], -1
	s_cbranch_scc0 .LBB63_760
; %bb.759:
	v_cmp_ne_u32_e32 vcc, 0, v1
	v_cndmask_b32_e64 v0, 0, 1, vcc
	s_mov_b64 s[16:17], -1
	s_mov_b64 s[0:1], 0
	global_store_byte v[3:4], v0, off
.LBB63_760:
	s_mov_b64 s[18:19], 0
.LBB63_761:
	s_and_b64 vcc, exec, s[18:19]
	s_cbranch_vccz .LBB63_800
; %bb.762:
	s_and_b32 s18, 0xffff, s22
	s_cmp_lt_i32 s18, 5
	s_mov_b64 s[16:17], -1
	s_cbranch_scc1 .LBB63_783
; %bb.763:
	s_cmp_lt_i32 s18, 8
	s_cbranch_scc1 .LBB63_773
; %bb.764:
	s_cmp_lt_i32 s18, 9
	s_cbranch_scc1 .LBB63_770
; %bb.765:
	s_cmp_gt_i32 s18, 9
	s_cbranch_scc0 .LBB63_767
; %bb.766:
	v_cvt_f64_i32_e32 v[9:10], v1
	v_mov_b32_e32 v11, 0
	v_mov_b32_e32 v12, v11
	s_mov_b64 s[16:17], 0
	global_store_dwordx4 v[3:4], v[9:12], off
.LBB63_767:
	s_andn2_b64 vcc, exec, s[16:17]
	s_cbranch_vccnz .LBB63_769
; %bb.768:
	v_cvt_f32_i32_e32 v5, v1
	v_mov_b32_e32 v6, 0
	global_store_dwordx2 v[3:4], v[5:6], off
.LBB63_769:
	s_mov_b64 s[16:17], 0
.LBB63_770:
	s_andn2_b64 vcc, exec, s[16:17]
	s_cbranch_vccnz .LBB63_772
; %bb.771:
	v_cvt_f32_i32_e32 v0, v1
	v_cvt_f16_f32_e32 v0, v0
	global_store_dword v[3:4], v0, off
.LBB63_772:
	s_mov_b64 s[16:17], 0
.LBB63_773:
	s_andn2_b64 vcc, exec, s[16:17]
	s_cbranch_vccnz .LBB63_782
; %bb.774:
	s_cmp_lt_i32 s18, 6
	s_mov_b64 s[16:17], -1
	s_cbranch_scc1 .LBB63_780
; %bb.775:
	s_cmp_gt_i32 s18, 6
	s_cbranch_scc0 .LBB63_777
; %bb.776:
	v_cvt_f64_i32_e32 v[5:6], v1
	s_mov_b64 s[16:17], 0
	global_store_dwordx2 v[3:4], v[5:6], off
.LBB63_777:
	s_andn2_b64 vcc, exec, s[16:17]
	s_cbranch_vccnz .LBB63_779
; %bb.778:
	v_cvt_f32_i32_e32 v0, v1
	global_store_dword v[3:4], v0, off
.LBB63_779:
	s_mov_b64 s[16:17], 0
.LBB63_780:
	s_andn2_b64 vcc, exec, s[16:17]
	s_cbranch_vccnz .LBB63_782
; %bb.781:
	v_cvt_f32_i32_e32 v0, v1
	v_cvt_f16_f32_e32 v0, v0
	global_store_short v[3:4], v0, off
.LBB63_782:
	s_mov_b64 s[16:17], 0
.LBB63_783:
	s_andn2_b64 vcc, exec, s[16:17]
	s_cbranch_vccnz .LBB63_799
; %bb.784:
	s_cmp_lt_i32 s18, 2
	s_mov_b64 s[16:17], -1
	s_cbranch_scc1 .LBB63_794
; %bb.785:
	s_cmp_lt_i32 s18, 3
	s_cbranch_scc1 .LBB63_791
; %bb.786:
	s_cmp_gt_i32 s18, 3
	s_cbranch_scc0 .LBB63_788
; %bb.787:
	v_ashrrev_i32_e32 v2, 31, v1
	s_mov_b64 s[16:17], 0
	global_store_dwordx2 v[3:4], v[1:2], off
.LBB63_788:
	s_andn2_b64 vcc, exec, s[16:17]
	s_cbranch_vccnz .LBB63_790
; %bb.789:
	global_store_dword v[3:4], v1, off
.LBB63_790:
	s_mov_b64 s[16:17], 0
.LBB63_791:
	s_andn2_b64 vcc, exec, s[16:17]
	s_cbranch_vccnz .LBB63_793
; %bb.792:
	global_store_short v[3:4], v1, off
.LBB63_793:
	s_mov_b64 s[16:17], 0
.LBB63_794:
	s_andn2_b64 vcc, exec, s[16:17]
	s_cbranch_vccnz .LBB63_799
; %bb.795:
	s_cmp_gt_i32 s18, 0
	s_mov_b64 s[16:17], -1
	s_cbranch_scc0 .LBB63_797
; %bb.796:
	s_mov_b64 s[16:17], 0
	global_store_byte v[3:4], v1, off
.LBB63_797:
	s_andn2_b64 vcc, exec, s[16:17]
	s_cbranch_vccnz .LBB63_799
; %bb.798:
	global_store_byte v[3:4], v1, off
.LBB63_799:
	s_mov_b64 s[16:17], -1
.LBB63_800:
	s_andn2_b64 vcc, exec, s[16:17]
	s_cbranch_vccnz .LBB63_802
; %bb.801:
	v_add_u32_e32 v8, 0x80, v8
	s_mov_b64 s[16:17], -1
	s_branch .LBB63_804
.LBB63_802:
	s_mov_b64 s[16:17], 0
.LBB63_803:
                                        ; implicit-def: $vgpr8
.LBB63_804:
	s_andn2_b64 s[18:19], s[64:65], exec
	s_and_b64 s[0:1], s[0:1], exec
	s_or_b64 s[72:73], s[18:19], s[0:1]
	s_andn2_b64 s[0:1], s[62:63], exec
	s_and_b64 s[2:3], s[2:3], exec
	s_or_b64 s[70:71], s[0:1], s[2:3]
	s_orn2_b64 s[2:3], s[16:17], exec
.LBB63_805:
	s_or_b64 exec, exec, s[68:69]
	s_mov_b64 s[0:1], 0
	s_mov_b64 s[16:17], 0
	;; [unrolled: 1-line block ×3, first 2 shown]
                                        ; implicit-def: $vgpr1_vgpr2
                                        ; implicit-def: $vgpr0
                                        ; implicit-def: $vgpr5
	s_and_saveexec_b64 s[68:69], s[2:3]
	s_cbranch_execz .LBB63_900
; %bb.806:
	v_cmp_gt_i32_e32 vcc, s74, v8
	s_mov_b64 s[2:3], 0
	s_mov_b64 s[20:21], s[70:71]
                                        ; implicit-def: $vgpr1_vgpr2
                                        ; implicit-def: $vgpr0
                                        ; implicit-def: $vgpr5
	s_and_saveexec_b64 s[74:75], vcc
	s_cbranch_execz .LBB63_899
; %bb.807:
	s_andn2_b64 vcc, exec, s[44:45]
	s_cbranch_vccnz .LBB63_812
; %bb.808:
	s_andn2_b64 vcc, exec, s[54:55]
	s_cbranch_vccnz .LBB63_813
; %bb.809:
	s_add_i32 s79, s78, 1
	s_cmp_eq_u32 s76, 2
	s_cbranch_scc1 .LBB63_814
; %bb.810:
	s_and_b32 s78, s79, 28
	v_mov_b32_e32 v2, 0
	s_mov_b32 s80, 0
	s_mov_b64 s[54:55], s[34:35]
	v_mov_b32_e32 v0, 0
	v_mov_b32_e32 v1, v8
.LBB63_811:                             ; =>This Inner Loop Header: Depth=1
	s_load_dwordx8 s[24:31], s[54:55], 0x4
	s_load_dwordx4 s[0:3], s[54:55], 0x24
	s_load_dwordx8 s[16:23], s[52:53], 0x0
	s_add_u32 s54, s54, 48
	s_addc_u32 s55, s55, 0
	s_waitcnt vmcnt(0) lgkmcnt(0)
	v_mul_hi_u32 v3, s25, v1
	s_add_i32 s80, s80, 4
	s_add_u32 s52, s52, 32
	s_addc_u32 s53, s53, 0
	v_add_u32_e32 v3, v1, v3
	v_lshrrev_b32_e32 v3, s26, v3
	v_mul_lo_u32 v4, v3, s24
	v_mul_hi_u32 v5, s28, v3
	s_cmp_eq_u32 s78, s80
	v_sub_u32_e32 v1, v1, v4
	v_add_u32_e32 v4, v3, v5
	v_mul_lo_u32 v5, v1, s16
	v_mul_lo_u32 v6, v1, s17
	v_lshrrev_b32_e32 v1, s29, v4
	v_mul_lo_u32 v4, v1, s27
	v_mul_hi_u32 v7, s31, v1
	v_sub_u32_e32 v3, v3, v4
	v_add_u32_e32 v4, v1, v7
	v_lshrrev_b32_e32 v4, s0, v4
	v_mul_hi_u32 v9, s2, v4
	v_mul_lo_u32 v10, v4, s30
	v_mul_lo_u32 v7, v3, s18
	;; [unrolled: 1-line block ×3, first 2 shown]
	v_sub_u32_e32 v10, v1, v10
	v_add_u32_e32 v1, v4, v9
	v_lshrrev_b32_e32 v1, s3, v1
	v_mul_lo_u32 v9, v1, s1
	v_mul_lo_u32 v11, v10, s20
	;; [unrolled: 1-line block ×3, first 2 shown]
	v_add3_u32 v0, v5, v0, v7
	v_sub_u32_e32 v4, v4, v9
	v_mul_lo_u32 v9, v4, s22
	v_mul_lo_u32 v4, v4, s23
	v_add3_u32 v2, v6, v2, v3
	v_add3_u32 v0, v11, v0, v9
	;; [unrolled: 1-line block ×3, first 2 shown]
	s_cbranch_scc0 .LBB63_811
	s_branch .LBB63_815
.LBB63_812:
	s_mov_b64 s[0:1], -1
                                        ; implicit-def: $vgpr0
                                        ; implicit-def: $vgpr2
	s_branch .LBB63_819
.LBB63_813:
	v_mov_b32_e32 v0, 0
	v_mov_b32_e32 v2, 0
	s_branch .LBB63_818
.LBB63_814:
	s_mov_b32 s78, 0
	v_mov_b32_e32 v0, 0
	v_mov_b32_e32 v2, 0
	;; [unrolled: 1-line block ×3, first 2 shown]
.LBB63_815:
	s_and_b32 s16, s79, 3
	s_cmp_eq_u32 s16, 0
	s_cbranch_scc1 .LBB63_818
; %bb.816:
	s_lshl_b32 s0, s78, 3
	s_add_u32 s0, s34, s0
	s_addc_u32 s1, s35, 0
	s_add_u32 s0, s0, 0xc4
	s_addc_u32 s1, s1, 0
	s_mul_i32 s2, s78, 12
	s_add_u32 s2, s34, s2
	s_addc_u32 s3, s35, 0
.LBB63_817:                             ; =>This Inner Loop Header: Depth=1
	s_load_dwordx2 s[18:19], s[2:3], 0x4
	s_load_dword s17, s[2:3], 0xc
	s_load_dwordx2 s[20:21], s[0:1], 0x0
	s_add_u32 s2, s2, 12
	s_addc_u32 s3, s3, 0
	s_waitcnt vmcnt(0) lgkmcnt(0)
	v_mul_hi_u32 v3, s19, v1
	s_add_u32 s0, s0, 8
	s_addc_u32 s1, s1, 0
	s_add_i32 s16, s16, -1
	v_add_u32_e32 v3, v1, v3
	v_lshrrev_b32_e32 v4, s17, v3
	v_mul_lo_u32 v3, v4, s18
	s_cmp_lg_u32 s16, 0
	v_sub_u32_e32 v3, v1, v3
	v_mad_u64_u32 v[0:1], s[18:19], v3, s20, v[0:1]
	v_mad_u64_u32 v[2:3], s[18:19], v3, s21, v[2:3]
	v_mov_b32_e32 v1, v4
	s_cbranch_scc1 .LBB63_817
.LBB63_818:
	s_mov_b64 s[0:1], 0
.LBB63_819:
	s_andn2_b64 vcc, exec, s[0:1]
	s_cbranch_vccnz .LBB63_822
; %bb.820:
	v_mul_hi_u32 v0, s37, v8
	s_andn2_b64 vcc, exec, s[50:51]
	v_add_u32_e32 v0, v8, v0
	v_lshrrev_b32_e32 v1, s38, v0
	v_mul_lo_u32 v0, v1, s36
	v_sub_u32_e32 v2, v8, v0
	v_mul_lo_u32 v0, v2, s40
	v_mul_lo_u32 v2, v2, s41
	s_cbranch_vccnz .LBB63_822
; %bb.821:
	s_waitcnt vmcnt(0)
	v_mul_hi_u32 v3, s48, v1
	v_add_u32_e32 v3, v1, v3
	v_lshrrev_b32_e32 v3, s49, v3
	v_mul_lo_u32 v3, v3, s39
	v_sub_u32_e32 v3, v1, v3
	v_mad_u64_u32 v[0:1], s[0:1], v3, s42, v[0:1]
	v_mad_u64_u32 v[2:3], s[0:1], v3, s43, v[2:3]
.LBB63_822:
	s_waitcnt vmcnt(0)
	v_mov_b32_e32 v3, s11
	s_and_b32 s18, 0xffff, s15
	v_add_co_u32_e32 v1, vcc, s10, v2
	s_cmp_lt_i32 s18, 11
	v_addc_co_u32_e32 v2, vcc, 0, v3, vcc
	s_cbranch_scc1 .LBB63_829
; %bb.823:
	s_cmp_gt_i32 s18, 25
	s_mov_b64 s[2:3], 0
	s_cbranch_scc0 .LBB63_830
; %bb.824:
	s_cmp_gt_i32 s18, 28
	s_cbranch_scc0 .LBB63_831
; %bb.825:
	s_cmp_gt_i32 s18, 43
	s_cbranch_scc0 .LBB63_832
; %bb.826:
	s_cmp_gt_i32 s18, 45
	s_cbranch_scc0 .LBB63_835
; %bb.827:
	s_cmp_eq_u32 s18, 46
	s_mov_b64 s[16:17], 0
	s_cbranch_scc0 .LBB63_838
; %bb.828:
	global_load_dword v3, v[1:2], off
	s_mov_b64 s[0:1], 0
	s_mov_b64 s[10:11], -1
	s_waitcnt vmcnt(0)
	v_lshlrev_b32_e32 v3, 16, v3
	v_cvt_i32_f32_e32 v5, v3
	s_branch .LBB63_839
.LBB63_829:
	s_mov_b64 s[16:17], -1
	s_mov_b64 s[10:11], 0
	s_mov_b64 s[2:3], 0
	;; [unrolled: 1-line block ×3, first 2 shown]
                                        ; implicit-def: $vgpr5
	s_branch .LBB63_898
.LBB63_830:
	s_mov_b64 s[16:17], -1
	s_mov_b64 s[10:11], 0
	s_mov_b64 s[0:1], s[70:71]
                                        ; implicit-def: $vgpr5
	s_branch .LBB63_866
.LBB63_831:
	s_mov_b64 s[16:17], -1
	s_mov_b64 s[10:11], 0
	s_mov_b64 s[0:1], s[70:71]
                                        ; implicit-def: $vgpr5
	s_branch .LBB63_849
.LBB63_832:
	s_mov_b64 s[16:17], -1
	s_mov_b64 s[10:11], 0
	s_mov_b64 s[0:1], s[70:71]
                                        ; implicit-def: $vgpr5
	s_branch .LBB63_844
.LBB63_833:
	s_andn2_saveexec_b64 s[20:21], s[20:21]
	s_cbranch_execz .LBB63_713
.LBB63_834:
	s_mov_b32 s24, 0x46000000
	v_add_f32_e64 v2, |v0|, s24
	v_and_b32_e32 v2, 0xff, v2
	v_cmp_ne_u32_e32 vcc, 0, v2
	s_andn2_b64 s[18:19], s[18:19], exec
	s_and_b64 s[24:25], vcc, exec
	s_or_b64 s[18:19], s[18:19], s[24:25]
	s_or_b64 exec, exec, s[20:21]
	v_mov_b32_e32 v5, 0
	s_and_saveexec_b64 s[20:21], s[18:19]
	s_cbranch_execnz .LBB63_714
	s_branch .LBB63_715
.LBB63_835:
	s_mov_b64 s[16:17], -1
	s_mov_b64 s[10:11], 0
	s_mov_b64 s[0:1], s[70:71]
                                        ; implicit-def: $vgpr5
	s_branch .LBB63_839
.LBB63_836:
	s_andn2_saveexec_b64 s[20:21], s[20:21]
	s_cbranch_execz .LBB63_726
.LBB63_837:
	s_mov_b32 s24, 0x42800000
	v_add_f32_e64 v2, |v0|, s24
	v_and_b32_e32 v2, 0xff, v2
	v_cmp_ne_u32_e32 vcc, 0, v2
	s_andn2_b64 s[18:19], s[18:19], exec
	s_and_b64 s[24:25], vcc, exec
	s_or_b64 s[18:19], s[18:19], s[24:25]
	s_or_b64 exec, exec, s[20:21]
	v_mov_b32_e32 v5, 0
	s_and_saveexec_b64 s[20:21], s[18:19]
	s_cbranch_execnz .LBB63_727
	s_branch .LBB63_728
.LBB63_838:
	s_mov_b64 s[0:1], -1
                                        ; implicit-def: $vgpr5
	s_mov_b64 s[10:11], 0
.LBB63_839:
	s_and_b64 vcc, exec, s[16:17]
	s_cbranch_vccz .LBB63_843
; %bb.840:
	s_cmp_eq_u32 s18, 44
	s_cbranch_scc0 .LBB63_842
; %bb.841:
	global_load_ubyte v3, v[1:2], off
	s_mov_b64 s[0:1], 0
	s_mov_b64 s[10:11], -1
	s_waitcnt vmcnt(0)
	v_lshlrev_b32_e32 v4, 23, v3
	v_cvt_i32_f32_e32 v4, v4
	v_cmp_ne_u32_e32 vcc, 0, v3
	v_cndmask_b32_e32 v5, 0, v4, vcc
	s_branch .LBB63_843
.LBB63_842:
	s_mov_b64 s[0:1], -1
                                        ; implicit-def: $vgpr5
.LBB63_843:
	s_mov_b64 s[16:17], 0
.LBB63_844:
	s_and_b64 vcc, exec, s[16:17]
	s_cbranch_vccz .LBB63_848
; %bb.845:
	s_cmp_eq_u32 s18, 29
	s_cbranch_scc0 .LBB63_847
; %bb.846:
	global_load_dword v5, v[1:2], off
	s_mov_b64 s[0:1], 0
	s_mov_b64 s[10:11], -1
	s_branch .LBB63_848
.LBB63_847:
	s_mov_b64 s[0:1], -1
                                        ; implicit-def: $vgpr5
.LBB63_848:
	s_mov_b64 s[16:17], 0
.LBB63_849:
	s_and_b64 vcc, exec, s[16:17]
	s_cbranch_vccz .LBB63_865
; %bb.850:
	s_cmp_lt_i32 s18, 27
	s_cbranch_scc1 .LBB63_853
; %bb.851:
	s_cmp_gt_i32 s18, 27
	s_cbranch_scc0 .LBB63_854
; %bb.852:
	global_load_dword v5, v[1:2], off
	s_mov_b64 s[10:11], 0
	s_branch .LBB63_855
.LBB63_853:
	s_mov_b64 s[10:11], -1
                                        ; implicit-def: $vgpr5
	s_branch .LBB63_858
.LBB63_854:
	s_mov_b64 s[10:11], -1
                                        ; implicit-def: $vgpr5
.LBB63_855:
	s_andn2_b64 vcc, exec, s[10:11]
	s_cbranch_vccnz .LBB63_857
; %bb.856:
	global_load_ushort v5, v[1:2], off
.LBB63_857:
	s_mov_b64 s[10:11], 0
.LBB63_858:
	s_andn2_b64 vcc, exec, s[10:11]
	s_cbranch_vccnz .LBB63_864
; %bb.859:
	global_load_ubyte v3, v[1:2], off
	s_movk_i32 s10, 0x7f
	s_mov_b64 s[16:17], 0
	s_waitcnt vmcnt(0)
	v_cmp_lt_i16_e32 vcc, s10, v3
	s_and_saveexec_b64 s[10:11], vcc
	s_xor_b64 s[10:11], exec, s[10:11]
	s_cbranch_execz .LBB63_876
; %bb.860:
	s_movk_i32 s16, 0x80
	v_cmp_ne_u16_e32 vcc, s16, v3
	s_and_b64 s[16:17], vcc, exec
	s_andn2_saveexec_b64 s[10:11], s[10:11]
	s_cbranch_execnz .LBB63_877
.LBB63_861:
	s_or_b64 exec, exec, s[10:11]
	v_mov_b32_e32 v5, 0
	s_and_saveexec_b64 s[10:11], s[16:17]
	s_cbranch_execz .LBB63_863
.LBB63_862:
	v_lshlrev_b32_e32 v4, 24, v3
	v_and_b32_e32 v3, 0xffff, v3
	v_and_b32_e32 v5, 7, v3
	v_ffbh_u32_e32 v7, v5
	v_min_u32_e32 v7, 32, v7
	v_subrev_u32_e32 v8, 28, v7
	v_bfe_u32 v6, v3, 3, 4
	v_lshlrev_b32_e32 v3, v8, v3
	v_sub_u32_e32 v7, 29, v7
	v_and_b32_e32 v3, 7, v3
	v_cmp_eq_u32_e32 vcc, 0, v6
	v_cndmask_b32_e32 v6, v6, v7, vcc
	v_cndmask_b32_e32 v3, v5, v3, vcc
	v_mov_b32_e32 v5, 0x3b800000
	v_lshlrev_b32_e32 v3, 20, v3
	v_and_b32_e32 v4, 0x80000000, v4
	v_lshl_add_u32 v5, v6, 23, v5
	v_or3_b32 v3, v4, v5, v3
	v_cvt_i32_f32_e32 v5, v3
.LBB63_863:
	s_or_b64 exec, exec, s[10:11]
.LBB63_864:
	s_mov_b64 s[10:11], -1
.LBB63_865:
	s_mov_b64 s[16:17], 0
.LBB63_866:
	s_and_b64 vcc, exec, s[16:17]
	s_cbranch_vccz .LBB63_897
; %bb.867:
	s_cmp_gt_i32 s18, 22
	s_cbranch_scc0 .LBB63_875
; %bb.868:
	s_cmp_lt_i32 s18, 24
	s_cbranch_scc1 .LBB63_878
; %bb.869:
	s_cmp_gt_i32 s18, 24
	s_cbranch_scc0 .LBB63_879
; %bb.870:
	global_load_ubyte v3, v[1:2], off
	s_movk_i32 s2, 0x7f
	s_mov_b64 s[10:11], 0
	s_waitcnt vmcnt(0)
	v_cmp_lt_i16_e32 vcc, s2, v3
	s_and_saveexec_b64 s[2:3], vcc
	s_xor_b64 s[2:3], exec, s[2:3]
	s_cbranch_execz .LBB63_891
; %bb.871:
	s_movk_i32 s10, 0x80
	v_cmp_ne_u16_e32 vcc, s10, v3
	s_and_b64 s[10:11], vcc, exec
	s_andn2_saveexec_b64 s[2:3], s[2:3]
	s_cbranch_execnz .LBB63_892
.LBB63_872:
	s_or_b64 exec, exec, s[2:3]
	v_mov_b32_e32 v5, 0
	s_and_saveexec_b64 s[2:3], s[10:11]
	s_cbranch_execz .LBB63_874
.LBB63_873:
	v_lshlrev_b32_e32 v4, 24, v3
	v_and_b32_e32 v3, 0xffff, v3
	v_and_b32_e32 v5, 3, v3
	v_ffbh_u32_e32 v7, v5
	v_min_u32_e32 v7, 32, v7
	v_subrev_u32_e32 v8, 29, v7
	v_bfe_u32 v6, v3, 2, 5
	v_lshlrev_b32_e32 v3, v8, v3
	v_sub_u32_e32 v7, 30, v7
	v_and_b32_e32 v3, 3, v3
	v_cmp_eq_u32_e32 vcc, 0, v6
	v_cndmask_b32_e32 v6, v6, v7, vcc
	v_cndmask_b32_e32 v3, v5, v3, vcc
	v_mov_b32_e32 v5, 0x37800000
	v_lshlrev_b32_e32 v3, 21, v3
	v_and_b32_e32 v4, 0x80000000, v4
	v_lshl_add_u32 v5, v6, 23, v5
	v_or3_b32 v3, v4, v5, v3
	v_cvt_i32_f32_e32 v5, v3
.LBB63_874:
	s_or_b64 exec, exec, s[2:3]
	s_mov_b64 s[2:3], 0
	s_branch .LBB63_880
.LBB63_875:
	s_mov_b64 s[2:3], -1
                                        ; implicit-def: $vgpr5
	s_branch .LBB63_886
.LBB63_876:
	s_andn2_saveexec_b64 s[10:11], s[10:11]
	s_cbranch_execz .LBB63_861
.LBB63_877:
	v_cmp_ne_u16_e32 vcc, 0, v3
	s_andn2_b64 s[16:17], s[16:17], exec
	s_and_b64 s[20:21], vcc, exec
	s_or_b64 s[16:17], s[16:17], s[20:21]
	s_or_b64 exec, exec, s[10:11]
	v_mov_b32_e32 v5, 0
	s_and_saveexec_b64 s[10:11], s[16:17]
	s_cbranch_execnz .LBB63_862
	s_branch .LBB63_863
.LBB63_878:
	s_mov_b64 s[2:3], -1
                                        ; implicit-def: $vgpr5
	s_branch .LBB63_883
.LBB63_879:
	s_mov_b64 s[2:3], -1
                                        ; implicit-def: $vgpr5
.LBB63_880:
	s_and_b64 vcc, exec, s[2:3]
	s_cbranch_vccz .LBB63_882
; %bb.881:
	global_load_ubyte v3, v[1:2], off
	s_mov_b32 s2, 0x7f800000
	s_waitcnt vmcnt(0)
	v_lshlrev_b32_e32 v3, 24, v3
	v_and_b32_e32 v4, 0x7f000000, v3
	v_ffbh_u32_e32 v5, v4
	v_min_u32_e32 v5, 32, v5
	v_sub_u32_e64 v5, v5, 4 clamp
	v_lshlrev_b32_e32 v7, v5, v4
	v_lshlrev_b32_e32 v5, 23, v5
	v_lshrrev_b32_e32 v7, 4, v7
	v_add_u32_e32 v6, 0x1000000, v4
	v_sub_u32_e32 v5, v7, v5
	v_ashrrev_i32_e32 v6, 8, v6
	v_add_u32_e32 v5, 0x3c000000, v5
	v_and_or_b32 v5, v6, s2, v5
	v_cmp_ne_u32_e32 vcc, 0, v4
	v_cndmask_b32_e32 v4, 0, v5, vcc
	s_brev_b32 s2, 1
	v_and_or_b32 v3, v3, s2, v4
	v_cvt_i32_f32_e32 v5, v3
.LBB63_882:
	s_mov_b64 s[2:3], 0
.LBB63_883:
	s_andn2_b64 vcc, exec, s[2:3]
	s_cbranch_vccnz .LBB63_885
; %bb.884:
	global_load_ubyte v3, v[1:2], off
	s_movk_i32 s2, 0x7f00
	s_brev_b32 s3, 16
	s_waitcnt vmcnt(0)
	v_lshlrev_b16_e32 v4, 8, v3
	v_lshlrev_b32_e32 v3, 25, v3
	v_lshrrev_b32_e32 v5, 4, v3
	v_and_or_b32 v6, v4, s2, 0.5
	v_or_b32_e32 v5, 0x70000000, v5
	v_add_f32_e32 v6, -0.5, v6
	v_mul_f32_e32 v5, 0x7800000, v5
	v_cmp_gt_u32_e32 vcc, s3, v3
	v_bfe_i32 v4, v4, 0, 16
	v_cndmask_b32_e32 v3, v5, v6, vcc
	s_brev_b32 s2, 1
	v_and_or_b32 v3, v4, s2, v3
	v_cvt_i32_f32_e32 v5, v3
.LBB63_885:
	s_mov_b64 s[2:3], 0
	s_mov_b64 s[10:11], -1
.LBB63_886:
	s_andn2_b64 vcc, exec, s[2:3]
	s_mov_b64 s[2:3], 0
	s_cbranch_vccnz .LBB63_897
; %bb.887:
	s_cmp_gt_i32 s18, 14
	s_cbranch_scc0 .LBB63_890
; %bb.888:
	s_cmp_eq_u32 s18, 15
	s_cbranch_scc0 .LBB63_893
; %bb.889:
	global_load_ushort v3, v[1:2], off
	s_mov_b64 s[0:1], 0
	s_mov_b64 s[10:11], -1
	s_waitcnt vmcnt(0)
	v_lshlrev_b32_e32 v3, 16, v3
	v_cvt_i32_f32_e32 v5, v3
	s_branch .LBB63_894
.LBB63_890:
	s_mov_b64 s[16:17], -1
                                        ; implicit-def: $vgpr5
	s_branch .LBB63_895
.LBB63_891:
	s_andn2_saveexec_b64 s[2:3], s[2:3]
	s_cbranch_execz .LBB63_872
.LBB63_892:
	v_cmp_ne_u16_e32 vcc, 0, v3
	s_andn2_b64 s[10:11], s[10:11], exec
	s_and_b64 s[16:17], vcc, exec
	s_or_b64 s[10:11], s[10:11], s[16:17]
	s_or_b64 exec, exec, s[2:3]
	v_mov_b32_e32 v5, 0
	s_and_saveexec_b64 s[2:3], s[10:11]
	s_cbranch_execnz .LBB63_873
	s_branch .LBB63_874
.LBB63_893:
	s_mov_b64 s[0:1], -1
                                        ; implicit-def: $vgpr5
.LBB63_894:
	s_mov_b64 s[16:17], 0
.LBB63_895:
	s_and_b64 vcc, exec, s[16:17]
	s_cbranch_vccz .LBB63_897
; %bb.896:
	s_cmp_lg_u32 s18, 11
	s_cselect_b64 s[16:17], -1, 0
	s_andn2_b64 s[0:1], s[0:1], exec
	s_and_b64 s[16:17], s[16:17], exec
	s_mov_b64 s[2:3], -1
	s_or_b64 s[0:1], s[0:1], s[16:17]
.LBB63_897:
	s_mov_b64 s[16:17], 0
.LBB63_898:
	s_and_b64 s[18:19], s[10:11], exec
	s_andn2_b64 s[10:11], s[70:71], exec
	s_and_b64 s[0:1], s[0:1], exec
	s_and_b64 s[16:17], s[16:17], exec
	;; [unrolled: 1-line block ×3, first 2 shown]
	s_or_b64 s[20:21], s[10:11], s[0:1]
.LBB63_899:
	s_or_b64 exec, exec, s[74:75]
	s_and_b64 s[0:1], s[2:3], exec
	s_andn2_b64 s[2:3], s[70:71], exec
	s_and_b64 s[10:11], s[20:21], exec
	s_and_b64 s[18:19], s[18:19], exec
	;; [unrolled: 1-line block ×3, first 2 shown]
	s_or_b64 s[70:71], s[2:3], s[10:11]
.LBB63_900:
	s_or_b64 exec, exec, s[68:69]
	s_andn2_b64 s[2:3], s[64:65], exec
	s_and_b64 s[10:11], s[72:73], exec
	s_or_b64 s[64:65], s[2:3], s[10:11]
	s_and_b64 s[2:3], s[0:1], exec
	s_andn2_b64 s[0:1], s[62:63], exec
	s_and_b64 s[10:11], s[70:71], exec
	s_and_b64 s[18:19], s[18:19], exec
	;; [unrolled: 1-line block ×3, first 2 shown]
	s_or_b64 s[62:63], s[0:1], s[10:11]
.LBB63_901:
	s_or_b64 exec, exec, s[66:67]
	s_andn2_b64 s[0:1], s[56:57], exec
	s_and_b64 s[10:11], s[64:65], exec
	s_or_b64 s[56:57], s[0:1], s[10:11]
	s_and_b64 s[64:65], s[2:3], exec
	s_andn2_b64 s[2:3], s[58:59], exec
	s_and_b64 s[10:11], s[62:63], exec
	s_and_b64 s[0:1], s[18:19], exec
	s_and_b64 s[16:17], s[16:17], exec
	s_or_b64 s[58:59], s[2:3], s[10:11]
	s_or_b64 exec, exec, s[60:61]
	s_mov_b64 s[2:3], 0
	s_and_saveexec_b64 s[10:11], s[58:59]
	s_cbranch_execz .LBB63_270
.LBB63_902:
	s_mov_b64 s[2:3], exec
	s_andn2_b64 s[64:65], s[64:65], exec
	s_trap 2
	s_or_b64 exec, exec, s[10:11]
	s_and_saveexec_b64 s[10:11], s[64:65]
	s_xor_b64 s[10:11], exec, s[10:11]
	s_cbranch_execnz .LBB63_271
.LBB63_903:
	s_or_b64 exec, exec, s[10:11]
	s_and_saveexec_b64 s[10:11], s[16:17]
	s_cbranch_execz .LBB63_949
.LBB63_904:
	s_sext_i32_i16 s16, s15
	s_cmp_lt_i32 s16, 5
	s_cbranch_scc1 .LBB63_909
; %bb.905:
	s_cmp_lt_i32 s16, 8
	s_cbranch_scc1 .LBB63_910
; %bb.906:
	;; [unrolled: 3-line block ×3, first 2 shown]
	s_cmp_gt_i32 s16, 9
	s_cbranch_scc0 .LBB63_912
; %bb.908:
	global_load_dwordx2 v[3:4], v[1:2], off
	s_mov_b64 s[16:17], 0
	s_waitcnt vmcnt(0)
	v_cvt_i32_f64_e32 v5, v[3:4]
	s_branch .LBB63_913
.LBB63_909:
                                        ; implicit-def: $vgpr5
	s_branch .LBB63_930
.LBB63_910:
                                        ; implicit-def: $vgpr5
	s_branch .LBB63_919
.LBB63_911:
	s_mov_b64 s[16:17], -1
                                        ; implicit-def: $vgpr5
	s_branch .LBB63_916
.LBB63_912:
	s_mov_b64 s[16:17], -1
                                        ; implicit-def: $vgpr5
.LBB63_913:
	s_andn2_b64 vcc, exec, s[16:17]
	s_cbranch_vccnz .LBB63_915
; %bb.914:
	global_load_dword v3, v[1:2], off
	s_waitcnt vmcnt(0)
	v_cvt_i32_f32_e32 v5, v3
.LBB63_915:
	s_mov_b64 s[16:17], 0
.LBB63_916:
	s_andn2_b64 vcc, exec, s[16:17]
	s_cbranch_vccnz .LBB63_918
; %bb.917:
	global_load_dword v3, v[1:2], off
	s_waitcnt vmcnt(0)
	v_cvt_f32_f16_e32 v3, v3
	v_cvt_i32_f32_e32 v5, v3
.LBB63_918:
	s_cbranch_execnz .LBB63_929
.LBB63_919:
	s_sext_i32_i16 s16, s15
	s_cmp_lt_i32 s16, 6
	s_cbranch_scc1 .LBB63_922
; %bb.920:
	s_cmp_gt_i32 s16, 6
	s_cbranch_scc0 .LBB63_923
; %bb.921:
	global_load_dwordx2 v[3:4], v[1:2], off
	s_mov_b64 s[16:17], 0
	s_waitcnt vmcnt(0)
	v_cvt_i32_f64_e32 v5, v[3:4]
	s_branch .LBB63_924
.LBB63_922:
	s_mov_b64 s[16:17], -1
                                        ; implicit-def: $vgpr5
	s_branch .LBB63_927
.LBB63_923:
	s_mov_b64 s[16:17], -1
                                        ; implicit-def: $vgpr5
.LBB63_924:
	s_andn2_b64 vcc, exec, s[16:17]
	s_cbranch_vccnz .LBB63_926
; %bb.925:
	global_load_dword v3, v[1:2], off
	s_waitcnt vmcnt(0)
	v_cvt_i32_f32_e32 v5, v3
.LBB63_926:
	s_mov_b64 s[16:17], 0
.LBB63_927:
	s_andn2_b64 vcc, exec, s[16:17]
	s_cbranch_vccnz .LBB63_929
; %bb.928:
	global_load_ushort v3, v[1:2], off
	s_waitcnt vmcnt(0)
	v_cvt_f32_f16_e32 v3, v3
	v_cvt_i32_f32_e32 v5, v3
.LBB63_929:
	s_cbranch_execnz .LBB63_948
.LBB63_930:
	s_sext_i32_i16 s16, s15
	s_cmp_lt_i32 s16, 2
	s_cbranch_scc1 .LBB63_934
; %bb.931:
	s_cmp_lt_i32 s16, 3
	s_cbranch_scc1 .LBB63_935
; %bb.932:
	s_cmp_gt_i32 s16, 3
	s_cbranch_scc0 .LBB63_936
; %bb.933:
	global_load_dword v5, v[1:2], off
	s_mov_b64 s[16:17], 0
	s_branch .LBB63_937
.LBB63_934:
                                        ; implicit-def: $vgpr5
	s_branch .LBB63_943
.LBB63_935:
	s_mov_b64 s[16:17], -1
                                        ; implicit-def: $vgpr5
	s_branch .LBB63_940
.LBB63_936:
	s_mov_b64 s[16:17], -1
                                        ; implicit-def: $vgpr5
.LBB63_937:
	s_andn2_b64 vcc, exec, s[16:17]
	s_cbranch_vccnz .LBB63_939
; %bb.938:
	global_load_dword v5, v[1:2], off
.LBB63_939:
	s_mov_b64 s[16:17], 0
.LBB63_940:
	s_andn2_b64 vcc, exec, s[16:17]
	s_cbranch_vccnz .LBB63_942
; %bb.941:
	global_load_sshort v5, v[1:2], off
.LBB63_942:
	s_cbranch_execnz .LBB63_948
.LBB63_943:
	s_sext_i32_i16 s15, s15
	s_cmp_gt_i32 s15, 0
	s_cbranch_scc0 .LBB63_945
; %bb.944:
	global_load_sbyte v5, v[1:2], off
	s_mov_b64 s[16:17], 0
	s_branch .LBB63_946
.LBB63_945:
	s_mov_b64 s[16:17], -1
                                        ; implicit-def: $vgpr5
.LBB63_946:
	s_andn2_b64 vcc, exec, s[16:17]
	s_cbranch_vccnz .LBB63_948
; %bb.947:
	global_load_ubyte v5, v[1:2], off
.LBB63_948:
	s_or_b64 s[0:1], s[0:1], exec
.LBB63_949:
	s_or_b64 exec, exec, s[10:11]
	s_mov_b64 s[18:19], 0
	s_mov_b64 s[16:17], 0
                                        ; implicit-def: $sgpr20
                                        ; implicit-def: $vgpr3_vgpr4
                                        ; implicit-def: $vgpr1
	s_and_saveexec_b64 s[10:11], s[0:1]
	s_cbranch_execz .LBB63_957
; %bb.950:
	v_mov_b32_e32 v1, s13
	v_mov_b32_e32 v2, s14
	s_waitcnt vmcnt(0)
	v_cmp_lt_i32_e32 vcc, s12, v5
	v_cndmask_b32_e32 v1, v1, v2, vcc
	v_mov_b32_e32 v2, s9
	s_and_b32 s20, s77, 0xff
	v_add_co_u32_e32 v3, vcc, s8, v0
	s_cmp_lt_i32 s20, 11
	v_addc_co_u32_e32 v4, vcc, 0, v2, vcc
	s_cbranch_scc1 .LBB63_960
; %bb.951:
	s_and_b32 s18, 0xffff, s20
	s_mov_b64 s[12:13], -1
	s_cmp_gt_i32 s18, 25
	s_mov_b64 s[0:1], s[56:57]
	s_cbranch_scc0 .LBB63_988
; %bb.952:
	s_mov_b64 s[8:9], -1
	s_cmp_gt_i32 s18, 28
	s_mov_b64 s[0:1], s[56:57]
	s_cbranch_scc0 .LBB63_972
; %bb.953:
	s_cmp_gt_i32 s18, 43
	s_mov_b64 s[0:1], s[56:57]
	s_cbranch_scc0 .LBB63_968
; %bb.954:
	;; [unrolled: 4-line block ×3, first 2 shown]
	s_cmp_eq_u32 s18, 46
	s_mov_b64 s[0:1], -1
	s_cbranch_scc0 .LBB63_961
; %bb.956:
	v_cvt_f32_i32_e32 v0, v1
	s_movk_i32 s0, 0x7fff
	s_mov_b64 s[8:9], 0
	v_bfe_u32 v2, v0, 16, 1
	v_add3_u32 v0, v0, v2, s0
	v_lshrrev_b32_e32 v0, 16, v0
	global_store_dword v[3:4], v0, off
	s_mov_b64 s[0:1], 0
	s_branch .LBB63_962
.LBB63_957:
	s_or_b64 exec, exec, s[10:11]
	s_and_saveexec_b64 s[0:1], s[56:57]
	s_cbranch_execnz .LBB63_1030
.LBB63_958:
	s_or_b64 exec, exec, s[0:1]
	s_and_saveexec_b64 s[0:1], s[18:19]
	s_xor_b64 s[0:1], exec, s[0:1]
	s_cbranch_execz .LBB63_1031
.LBB63_959:
	v_cmp_ne_u32_e32 vcc, 0, v1
	v_cndmask_b32_e64 v0, 0, 1, vcc
	s_waitcnt vmcnt(0)
	global_store_byte v[3:4], v0, off
	s_or_b64 exec, exec, s[0:1]
	s_and_saveexec_b64 s[0:1], s[16:17]
	s_xor_b64 s[0:1], exec, s[0:1]
	s_cbranch_execz .LBB63_1069
	s_branch .LBB63_1032
.LBB63_960:
	s_mov_b64 s[12:13], 0
	s_mov_b64 s[8:9], -1
	s_mov_b64 s[0:1], s[56:57]
	s_branch .LBB63_1029
.LBB63_961:
	s_mov_b64 s[8:9], 0
.LBB63_962:
	s_and_b64 vcc, exec, s[8:9]
	s_cbranch_vccz .LBB63_967
; %bb.963:
	s_cmp_eq_u32 s18, 44
	s_mov_b64 s[0:1], -1
	s_cbranch_scc0 .LBB63_967
; %bb.964:
	v_cvt_f32_i32_e32 v0, v1
	s_movk_i32 s0, 0xff
	v_mov_b32_e32 v5, 0xff
	v_bfe_u32 v2, v0, 23, 8
	v_cmp_ne_u32_e32 vcc, s0, v2
	s_and_saveexec_b64 s[8:9], vcc
; %bb.965:
	s_mov_b32 s0, 0x3fffff
	v_lshrrev_b32_e32 v5, 23, v0
	v_and_b32_e32 v6, 0x400000, v0
	v_and_or_b32 v0, v0, s0, v2
	v_cmp_ne_u32_e32 vcc, 0, v6
	v_cmp_ne_u32_e64 s[0:1], 0, v0
	s_and_b64 s[0:1], vcc, s[0:1]
	v_cndmask_b32_e64 v0, 0, 1, s[0:1]
	v_add_u32_e32 v5, v5, v0
; %bb.966:
	s_or_b64 exec, exec, s[8:9]
	s_mov_b64 s[0:1], 0
	global_store_byte v[3:4], v5, off
.LBB63_967:
	s_mov_b64 s[8:9], 0
.LBB63_968:
	s_and_b64 vcc, exec, s[8:9]
	s_cbranch_vccz .LBB63_971
; %bb.969:
	s_cmp_eq_u32 s18, 29
	s_mov_b64 s[0:1], -1
	s_cbranch_scc0 .LBB63_971
; %bb.970:
	v_ashrrev_i32_e32 v2, 31, v1
	global_store_dwordx2 v[3:4], v[1:2], off
	s_mov_b64 s[0:1], 0
.LBB63_971:
	s_mov_b64 s[8:9], 0
.LBB63_972:
	s_and_b64 vcc, exec, s[8:9]
	s_cbranch_vccz .LBB63_987
; %bb.973:
	s_cmp_lt_i32 s18, 27
	s_mov_b64 s[8:9], -1
	s_cbranch_scc1 .LBB63_979
; %bb.974:
	s_cmp_gt_i32 s18, 27
	s_cbranch_scc0 .LBB63_976
; %bb.975:
	s_mov_b64 s[8:9], 0
	global_store_dword v[3:4], v1, off
.LBB63_976:
	s_andn2_b64 vcc, exec, s[8:9]
	s_cbranch_vccnz .LBB63_978
; %bb.977:
	global_store_short v[3:4], v1, off
.LBB63_978:
	s_mov_b64 s[8:9], 0
.LBB63_979:
	s_andn2_b64 vcc, exec, s[8:9]
	s_cbranch_vccnz .LBB63_987
; %bb.980:
	v_cvt_f32_i32_e32 v0, v1
	s_mov_b32 s8, 0x43800000
	v_mov_b32_e32 v5, 0x80
	v_and_b32_e32 v2, 0x7fffffff, v0
	v_cmp_gt_u32_e32 vcc, s8, v2
	s_and_saveexec_b64 s[8:9], vcc
	s_cbranch_execz .LBB63_986
; %bb.981:
	s_mov_b32 s12, 0x3bffffff
	v_cmp_lt_u32_e32 vcc, s12, v2
	s_mov_b64 s[12:13], 0
                                        ; implicit-def: $vgpr2
	s_and_saveexec_b64 s[14:15], vcc
	s_xor_b64 s[14:15], exec, s[14:15]
	s_cbranch_execz .LBB63_1140
; %bb.982:
	v_bfe_u32 v2, v0, 20, 1
	s_mov_b32 s16, 0x487ffff
	v_add3_u32 v2, v0, v2, s16
	s_mov_b64 s[12:13], exec
	v_lshrrev_b32_e32 v2, 20, v2
	s_andn2_saveexec_b64 s[14:15], s[14:15]
	s_cbranch_execnz .LBB63_1141
.LBB63_983:
	s_or_b64 exec, exec, s[14:15]
	v_mov_b32_e32 v5, 0
	s_and_saveexec_b64 s[14:15], s[12:13]
.LBB63_984:
	v_lshrrev_b32_e32 v0, 24, v0
	s_movk_i32 s12, 0x80
	v_and_or_b32 v5, v0, s12, v2
.LBB63_985:
	s_or_b64 exec, exec, s[14:15]
.LBB63_986:
	s_or_b64 exec, exec, s[8:9]
	global_store_byte v[3:4], v5, off
.LBB63_987:
	s_mov_b64 s[12:13], 0
.LBB63_988:
	s_mov_b64 s[8:9], 0
	s_and_b64 vcc, exec, s[12:13]
	s_cbranch_vccz .LBB63_1028
; %bb.989:
	s_cmp_gt_i32 s18, 22
	s_mov_b64 s[12:13], -1
	s_cbranch_scc0 .LBB63_1021
; %bb.990:
	s_cmp_lt_i32 s18, 24
	s_cbranch_scc1 .LBB63_1010
; %bb.991:
	s_cmp_gt_i32 s18, 24
	s_cbranch_scc0 .LBB63_999
; %bb.992:
	v_cvt_f32_i32_e32 v0, v1
	s_mov_b32 s12, 0x47800000
	v_mov_b32_e32 v5, 0x80
	v_and_b32_e32 v2, 0x7fffffff, v0
	v_cmp_gt_u32_e32 vcc, s12, v2
	s_and_saveexec_b64 s[12:13], vcc
	s_cbranch_execz .LBB63_998
; %bb.993:
	s_mov_b32 s14, 0x37ffffff
	v_cmp_lt_u32_e32 vcc, s14, v2
	s_mov_b64 s[14:15], 0
                                        ; implicit-def: $vgpr2
	s_and_saveexec_b64 s[16:17], vcc
	s_xor_b64 s[16:17], exec, s[16:17]
	s_cbranch_execz .LBB63_1260
; %bb.994:
	v_bfe_u32 v2, v0, 21, 1
	s_mov_b32 s19, 0x88fffff
	v_add3_u32 v2, v0, v2, s19
	s_mov_b64 s[14:15], exec
	v_lshrrev_b32_e32 v2, 21, v2
	s_andn2_saveexec_b64 s[16:17], s[16:17]
	s_cbranch_execnz .LBB63_1261
.LBB63_995:
	s_or_b64 exec, exec, s[16:17]
	v_mov_b32_e32 v5, 0
	s_and_saveexec_b64 s[16:17], s[14:15]
.LBB63_996:
	v_lshrrev_b32_e32 v0, 24, v0
	s_movk_i32 s14, 0x80
	v_and_or_b32 v5, v0, s14, v2
.LBB63_997:
	s_or_b64 exec, exec, s[16:17]
.LBB63_998:
	s_or_b64 exec, exec, s[12:13]
	s_mov_b64 s[12:13], 0
	global_store_byte v[3:4], v5, off
.LBB63_999:
	s_and_b64 vcc, exec, s[12:13]
	s_cbranch_vccz .LBB63_1009
; %bb.1000:
	v_cvt_f32_i32_e32 v0, v1
	s_mov_b32 s12, 0x43f00000
                                        ; implicit-def: $vgpr2
	v_and_b32_e32 v5, 0x7fffffff, v0
	v_cmp_gt_u32_e32 vcc, s12, v5
	s_and_saveexec_b64 s[12:13], vcc
	s_xor_b64 s[12:13], exec, s[12:13]
	s_cbranch_execz .LBB63_1006
; %bb.1001:
	s_mov_b32 s14, 0x3c7fffff
	v_cmp_lt_u32_e32 vcc, s14, v5
                                        ; implicit-def: $vgpr2
	s_and_saveexec_b64 s[14:15], vcc
	s_xor_b64 s[14:15], exec, s[14:15]
; %bb.1002:
	v_bfe_u32 v2, v0, 20, 1
	s_mov_b32 s16, 0x407ffff
	v_add3_u32 v2, v0, v2, s16
	v_lshrrev_b32_e32 v5, 20, v2
	v_and_b32_e32 v2, 0xff00000, v2
	s_mov_b32 s16, 0x7f00000
	v_mov_b32_e32 v6, 0x7e
	v_cmp_ne_u32_e32 vcc, s16, v2
	v_cndmask_b32_e32 v2, v6, v5, vcc
; %bb.1003:
	s_andn2_saveexec_b64 s[14:15], s[14:15]
; %bb.1004:
	s_mov_b32 s16, 0x46800000
	v_add_f32_e64 v2, |v0|, s16
; %bb.1005:
	s_or_b64 exec, exec, s[14:15]
                                        ; implicit-def: $vgpr5
.LBB63_1006:
	s_andn2_saveexec_b64 s[12:13], s[12:13]
; %bb.1007:
	s_mov_b32 s14, 0x7f800000
	v_mov_b32_e32 v2, 0x7e
	v_mov_b32_e32 v6, 0x7f
	v_cmp_lt_u32_e32 vcc, s14, v5
	v_cndmask_b32_e32 v2, v2, v6, vcc
; %bb.1008:
	s_or_b64 exec, exec, s[12:13]
	v_lshrrev_b32_e32 v0, 24, v0
	s_movk_i32 s12, 0x80
	v_and_or_b32 v0, v0, s12, v2
	global_store_byte v[3:4], v0, off
.LBB63_1009:
	s_mov_b64 s[12:13], 0
.LBB63_1010:
	s_andn2_b64 vcc, exec, s[12:13]
	s_cbranch_vccnz .LBB63_1020
; %bb.1011:
	v_cvt_f32_i32_e32 v0, v1
	s_mov_b32 s12, 0x47800000
                                        ; implicit-def: $vgpr2
	v_and_b32_e32 v5, 0x7fffffff, v0
	v_cmp_gt_u32_e32 vcc, s12, v5
	s_and_saveexec_b64 s[12:13], vcc
	s_xor_b64 s[12:13], exec, s[12:13]
	s_cbranch_execz .LBB63_1017
; %bb.1012:
	s_mov_b32 s14, 0x387fffff
	v_cmp_lt_u32_e32 vcc, s14, v5
                                        ; implicit-def: $vgpr2
	s_and_saveexec_b64 s[14:15], vcc
	s_xor_b64 s[14:15], exec, s[14:15]
; %bb.1013:
	v_bfe_u32 v2, v0, 21, 1
	s_mov_b32 s16, 0x80fffff
	v_add3_u32 v2, v0, v2, s16
	v_lshrrev_b32_e32 v2, 21, v2
; %bb.1014:
	s_andn2_saveexec_b64 s[14:15], s[14:15]
; %bb.1015:
	s_mov_b32 s16, 0x43000000
	v_add_f32_e64 v2, |v0|, s16
; %bb.1016:
	s_or_b64 exec, exec, s[14:15]
                                        ; implicit-def: $vgpr5
.LBB63_1017:
	s_andn2_saveexec_b64 s[12:13], s[12:13]
; %bb.1018:
	s_mov_b32 s14, 0x7f800000
	v_mov_b32_e32 v2, 0x7c
	v_mov_b32_e32 v6, 0x7f
	v_cmp_lt_u32_e32 vcc, s14, v5
	v_cndmask_b32_e32 v2, v2, v6, vcc
; %bb.1019:
	s_or_b64 exec, exec, s[12:13]
	v_lshrrev_b32_e32 v0, 24, v0
	s_movk_i32 s12, 0x80
	v_and_or_b32 v0, v0, s12, v2
	global_store_byte v[3:4], v0, off
.LBB63_1020:
	s_mov_b64 s[12:13], 0
.LBB63_1021:
	s_andn2_b64 vcc, exec, s[12:13]
	s_mov_b64 s[12:13], 0
	s_cbranch_vccnz .LBB63_1029
; %bb.1022:
	s_cmp_gt_i32 s18, 14
	s_mov_b64 s[14:15], -1
	s_cbranch_scc0 .LBB63_1026
; %bb.1023:
	s_cmp_eq_u32 s18, 15
	s_mov_b64 s[0:1], -1
	s_cbranch_scc0 .LBB63_1025
; %bb.1024:
	v_cvt_f32_i32_e32 v0, v1
	s_movk_i32 s0, 0x7fff
	v_bfe_u32 v2, v0, 16, 1
	v_add3_u32 v0, v0, v2, s0
	global_store_short_d16_hi v[3:4], v0, off
	s_mov_b64 s[0:1], 0
.LBB63_1025:
	s_mov_b64 s[14:15], 0
.LBB63_1026:
	s_and_b64 vcc, exec, s[14:15]
	s_cbranch_vccz .LBB63_1029
; %bb.1027:
	s_cmp_lg_u32 s18, 11
	s_cselect_b64 s[14:15], -1, 0
	s_andn2_b64 s[0:1], s[0:1], exec
	s_and_b64 s[14:15], s[14:15], exec
	s_mov_b64 s[12:13], -1
	s_or_b64 s[0:1], s[0:1], s[14:15]
	s_branch .LBB63_1029
.LBB63_1028:
	s_mov_b64 s[12:13], 0
.LBB63_1029:
	s_and_b64 s[16:17], s[8:9], exec
	s_andn2_b64 s[8:9], s[56:57], exec
	s_and_b64 s[0:1], s[0:1], exec
	s_and_b64 s[18:19], s[12:13], exec
	s_or_b64 s[56:57], s[8:9], s[0:1]
	s_or_b64 exec, exec, s[10:11]
	s_and_saveexec_b64 s[0:1], s[56:57]
	s_cbranch_execz .LBB63_958
.LBB63_1030:
	s_or_b64 s[2:3], s[2:3], exec
	s_andn2_b64 s[18:19], s[18:19], exec
	s_trap 2
	s_or_b64 exec, exec, s[0:1]
	s_and_saveexec_b64 s[0:1], s[18:19]
	s_xor_b64 s[0:1], exec, s[0:1]
	s_cbranch_execnz .LBB63_959
.LBB63_1031:
	s_or_b64 exec, exec, s[0:1]
	s_and_saveexec_b64 s[0:1], s[16:17]
	s_xor_b64 s[0:1], exec, s[0:1]
	s_cbranch_execz .LBB63_1069
.LBB63_1032:
	s_sext_i32_i16 s10, s20
	s_cmp_lt_i32 s10, 5
	s_mov_b64 s[8:9], -1
	s_cbranch_scc1 .LBB63_1053
; %bb.1033:
	s_cmp_lt_i32 s10, 8
	s_cbranch_scc1 .LBB63_1043
; %bb.1034:
	s_cmp_lt_i32 s10, 9
	s_cbranch_scc1 .LBB63_1040
; %bb.1035:
	s_cmp_gt_i32 s10, 9
	s_cbranch_scc0 .LBB63_1037
; %bb.1036:
	s_waitcnt vmcnt(0)
	v_cvt_f64_i32_e32 v[5:6], v1
	v_mov_b32_e32 v7, 0
	v_mov_b32_e32 v8, v7
	s_mov_b64 s[8:9], 0
	global_store_dwordx4 v[3:4], v[5:8], off
.LBB63_1037:
	s_andn2_b64 vcc, exec, s[8:9]
	s_cbranch_vccnz .LBB63_1039
; %bb.1038:
	s_waitcnt vmcnt(0)
	v_cvt_f32_i32_e32 v5, v1
	v_mov_b32_e32 v6, 0
	global_store_dwordx2 v[3:4], v[5:6], off
.LBB63_1039:
	s_mov_b64 s[8:9], 0
.LBB63_1040:
	s_andn2_b64 vcc, exec, s[8:9]
	s_cbranch_vccnz .LBB63_1042
; %bb.1041:
	v_cvt_f32_i32_e32 v0, v1
	v_cvt_f16_f32_e32 v0, v0
	s_waitcnt vmcnt(0)
	global_store_dword v[3:4], v0, off
.LBB63_1042:
	s_mov_b64 s[8:9], 0
.LBB63_1043:
	s_andn2_b64 vcc, exec, s[8:9]
	s_cbranch_vccnz .LBB63_1052
; %bb.1044:
	s_sext_i32_i16 s10, s20
	s_cmp_lt_i32 s10, 6
	s_mov_b64 s[8:9], -1
	s_cbranch_scc1 .LBB63_1050
; %bb.1045:
	s_cmp_gt_i32 s10, 6
	s_cbranch_scc0 .LBB63_1047
; %bb.1046:
	s_waitcnt vmcnt(0)
	v_cvt_f64_i32_e32 v[5:6], v1
	s_mov_b64 s[8:9], 0
	global_store_dwordx2 v[3:4], v[5:6], off
.LBB63_1047:
	s_andn2_b64 vcc, exec, s[8:9]
	s_cbranch_vccnz .LBB63_1049
; %bb.1048:
	v_cvt_f32_i32_e32 v0, v1
	s_waitcnt vmcnt(0)
	global_store_dword v[3:4], v0, off
.LBB63_1049:
	s_mov_b64 s[8:9], 0
.LBB63_1050:
	s_andn2_b64 vcc, exec, s[8:9]
	s_cbranch_vccnz .LBB63_1052
; %bb.1051:
	v_cvt_f32_i32_e32 v0, v1
	v_cvt_f16_f32_e32 v0, v0
	s_waitcnt vmcnt(0)
	global_store_short v[3:4], v0, off
.LBB63_1052:
	s_mov_b64 s[8:9], 0
.LBB63_1053:
	s_andn2_b64 vcc, exec, s[8:9]
	s_cbranch_vccnz .LBB63_1069
; %bb.1054:
	s_sext_i32_i16 s10, s20
	s_cmp_lt_i32 s10, 2
	s_mov_b64 s[8:9], -1
	s_cbranch_scc1 .LBB63_1064
; %bb.1055:
	s_cmp_lt_i32 s10, 3
	s_cbranch_scc1 .LBB63_1061
; %bb.1056:
	s_cmp_gt_i32 s10, 3
	s_cbranch_scc0 .LBB63_1058
; %bb.1057:
	v_ashrrev_i32_e32 v2, 31, v1
	s_mov_b64 s[8:9], 0
	s_waitcnt vmcnt(0)
	global_store_dwordx2 v[3:4], v[1:2], off
.LBB63_1058:
	s_andn2_b64 vcc, exec, s[8:9]
	s_cbranch_vccnz .LBB63_1060
; %bb.1059:
	s_waitcnt vmcnt(0)
	global_store_dword v[3:4], v1, off
.LBB63_1060:
	s_mov_b64 s[8:9], 0
.LBB63_1061:
	s_andn2_b64 vcc, exec, s[8:9]
	s_cbranch_vccnz .LBB63_1063
; %bb.1062:
	s_waitcnt vmcnt(0)
	global_store_short v[3:4], v1, off
.LBB63_1063:
	s_mov_b64 s[8:9], 0
.LBB63_1064:
	s_andn2_b64 vcc, exec, s[8:9]
	s_cbranch_vccnz .LBB63_1069
; %bb.1065:
	s_sext_i32_i16 s8, s20
	s_cmp_gt_i32 s8, 0
	s_mov_b64 s[8:9], -1
	s_cbranch_scc0 .LBB63_1067
; %bb.1066:
	s_mov_b64 s[8:9], 0
	s_waitcnt vmcnt(0)
	global_store_byte v[3:4], v1, off
.LBB63_1067:
	s_andn2_b64 vcc, exec, s[8:9]
	s_cbranch_vccnz .LBB63_1069
; %bb.1068:
	s_waitcnt vmcnt(0)
	global_store_byte v[3:4], v1, off
.LBB63_1069:
	s_or_b64 exec, exec, s[0:1]
	s_and_b64 s[28:29], s[2:3], exec
                                        ; implicit-def: $vgpr15
                                        ; implicit-def: $vgpr8
.LBB63_1070:
	s_or_saveexec_b64 s[30:31], s[46:47]
	s_mov_b64 s[0:1], 0
                                        ; implicit-def: $vgpr0_vgpr1
                                        ; implicit-def: $sgpr18
                                        ; implicit-def: $vgpr2
	s_xor_b64 exec, exec, s[30:31]
	s_cbranch_execz .LBB63_2057
; %bb.1071:
	v_cndmask_b32_e64 v0, 0, 1, s[44:45]
	v_cmp_ne_u32_e64 s[0:1], 1, v0
	s_andn2_b64 vcc, exec, s[44:45]
	s_cbranch_vccnz .LBB63_1077
; %bb.1072:
	s_cmp_lg_u32 s33, 0
	s_mov_b32 s36, 0
	s_cbranch_scc0 .LBB63_1078
; %bb.1073:
	s_min_u32 s37, s76, 15
	s_add_i32 s37, s37, 1
	s_cmp_eq_u32 s76, 2
	s_cbranch_scc1 .LBB63_1079
; %bb.1074:
	s_and_b32 s36, s37, 28
	s_add_u32 s2, s34, 0xc4
	s_addc_u32 s3, s35, 0
	v_mov_b32_e32 v13, 0
	s_mov_b32 s38, 0
	s_mov_b64 s[6:7], s[34:35]
	v_mov_b32_e32 v6, 0
	v_mov_b32_e32 v0, v8
.LBB63_1075:                            ; =>This Inner Loop Header: Depth=1
	s_load_dwordx8 s[16:23], s[6:7], 0x4
	s_load_dwordx4 s[24:27], s[6:7], 0x24
	s_load_dwordx8 s[8:15], s[2:3], 0x0
	s_add_u32 s6, s6, 48
	s_addc_u32 s7, s7, 0
	s_waitcnt lgkmcnt(0)
	v_mul_hi_u32 v1, s17, v0
	s_add_i32 s38, s38, 4
	s_add_u32 s2, s2, 32
	s_addc_u32 s3, s3, 0
	v_add_u32_e32 v1, v0, v1
	v_lshrrev_b32_e32 v1, s18, v1
	v_mul_lo_u32 v2, v1, s16
	s_waitcnt vmcnt(0)
	v_mul_hi_u32 v3, s20, v1
	s_cmp_lg_u32 s36, s38
	v_sub_u32_e32 v0, v0, v2
	v_add_u32_e32 v2, v1, v3
	v_mul_lo_u32 v3, v0, s8
	v_mul_lo_u32 v4, v0, s9
	v_lshrrev_b32_e32 v0, s21, v2
	v_mul_lo_u32 v2, v0, s19
	v_mul_hi_u32 v5, s23, v0
	v_sub_u32_e32 v1, v1, v2
	v_add_u32_e32 v2, v0, v5
	v_lshrrev_b32_e32 v2, s24, v2
	v_mul_hi_u32 v7, s26, v2
	v_mul_lo_u32 v9, v2, s22
	v_mul_lo_u32 v5, v1, s10
	;; [unrolled: 1-line block ×3, first 2 shown]
	v_sub_u32_e32 v9, v0, v9
	v_add_u32_e32 v0, v2, v7
	v_lshrrev_b32_e32 v0, s27, v0
	v_mul_lo_u32 v7, v0, s25
	v_mul_lo_u32 v10, v9, s12
	;; [unrolled: 1-line block ×3, first 2 shown]
	v_add3_u32 v3, v3, v6, v5
	v_sub_u32_e32 v2, v2, v7
	v_mul_lo_u32 v7, v2, s14
	v_mul_lo_u32 v2, v2, s15
	v_add3_u32 v1, v4, v13, v1
	v_add3_u32 v6, v10, v3, v7
	;; [unrolled: 1-line block ×3, first 2 shown]
	s_cbranch_scc1 .LBB63_1075
; %bb.1076:
	s_and_b32 s8, s37, 3
	s_cmp_eq_u32 s8, 0
	s_cbranch_scc0 .LBB63_1080
	s_branch .LBB63_1082
.LBB63_1077:
                                        ; implicit-def: $vgpr6
                                        ; implicit-def: $vgpr13
	s_branch .LBB63_1083
.LBB63_1078:
	v_mov_b32_e32 v6, 0
	v_mov_b32_e32 v13, 0
	s_branch .LBB63_1082
.LBB63_1079:
	v_mov_b32_e32 v6, 0
	v_mov_b32_e32 v13, 0
	;; [unrolled: 1-line block ×3, first 2 shown]
	s_and_b32 s8, s37, 3
	s_cmp_eq_u32 s8, 0
	s_cbranch_scc1 .LBB63_1082
.LBB63_1080:
	s_lshl_b32 s2, s36, 3
	s_add_u32 s2, s34, s2
	s_addc_u32 s3, s35, 0
	s_add_u32 s2, s2, 0xc4
	s_addc_u32 s3, s3, 0
	s_mul_i32 s6, s36, 12
	s_add_u32 s6, s34, s6
	s_addc_u32 s7, s35, 0
.LBB63_1081:                            ; =>This Inner Loop Header: Depth=1
	s_load_dwordx2 s[10:11], s[6:7], 0x4
	s_load_dword s9, s[6:7], 0xc
	s_load_dwordx2 s[12:13], s[2:3], 0x0
	s_add_u32 s6, s6, 12
	s_addc_u32 s7, s7, 0
	s_waitcnt lgkmcnt(0)
	v_mul_hi_u32 v1, s11, v0
	s_add_u32 s2, s2, 8
	s_addc_u32 s3, s3, 0
	s_add_i32 s8, s8, -1
	v_add_u32_e32 v1, v0, v1
	v_lshrrev_b32_e32 v1, s9, v1
	v_mul_lo_u32 v2, v1, s10
	s_cmp_lg_u32 s8, 0
	v_sub_u32_e32 v0, v0, v2
	v_mad_u64_u32 v[6:7], s[10:11], v0, s12, v[6:7]
	v_mad_u64_u32 v[13:14], s[10:11], v0, s13, v[13:14]
	v_mov_b32_e32 v0, v1
	s_cbranch_scc1 .LBB63_1081
.LBB63_1082:
	s_cbranch_execnz .LBB63_1085
.LBB63_1083:
	s_load_dwordx4 s[8:11], s[34:35], 0x4
	s_load_dwordx2 s[2:3], s[34:35], 0xc4
	s_cmp_lt_u32 s33, 2
	s_waitcnt lgkmcnt(0)
	v_mul_hi_u32 v0, s9, v8
	v_add_u32_e32 v0, v8, v0
	v_lshrrev_b32_e32 v0, s10, v0
	v_mul_lo_u32 v1, v0, s8
	v_sub_u32_e32 v1, v8, v1
	v_mul_lo_u32 v6, v1, s2
	v_mul_lo_u32 v13, v1, s3
	s_cbranch_scc1 .LBB63_1085
; %bb.1084:
	s_load_dwordx4 s[8:11], s[34:35], 0x10
	s_load_dwordx2 s[2:3], s[34:35], 0xcc
	s_waitcnt lgkmcnt(0)
	v_mul_hi_u32 v1, s9, v0
	v_add_u32_e32 v1, v0, v1
	v_lshrrev_b32_e32 v1, s10, v1
	v_mul_lo_u32 v1, v1, s8
	v_sub_u32_e32 v0, v0, v1
	v_mad_u64_u32 v[6:7], s[6:7], v0, s2, v[6:7]
	v_mad_u64_u32 v[13:14], s[2:3], v0, s3, v[13:14]
.LBB63_1085:
	s_and_b64 vcc, exec, s[0:1]
	v_add_u32_e32 v0, 0x80, v8
	s_cbranch_vccnz .LBB63_1091
; %bb.1086:
	s_cmp_lg_u32 s33, 0
	s_mov_b32 s36, 0
	s_cbranch_scc0 .LBB63_1092
; %bb.1087:
	s_min_u32 s37, s76, 15
	s_add_i32 s37, s37, 1
	s_cmp_eq_u32 s76, 2
	s_cbranch_scc1 .LBB63_1093
; %bb.1088:
	s_and_b32 s36, s37, 28
	s_add_u32 s2, s34, 0xc4
	s_addc_u32 s3, s35, 0
	v_mov_b32_e32 v11, 0
	s_mov_b32 s38, 0
	s_mov_b64 s[6:7], s[34:35]
	v_mov_b32_e32 v4, 0
	v_mov_b32_e32 v1, v0
.LBB63_1089:                            ; =>This Inner Loop Header: Depth=1
	s_load_dwordx8 s[16:23], s[6:7], 0x4
	s_load_dwordx4 s[24:27], s[6:7], 0x24
	s_load_dwordx8 s[8:15], s[2:3], 0x0
	s_add_u32 s6, s6, 48
	s_addc_u32 s7, s7, 0
	s_waitcnt lgkmcnt(0)
	v_mul_hi_u32 v2, s17, v1
	s_add_i32 s38, s38, 4
	s_add_u32 s2, s2, 32
	s_addc_u32 s3, s3, 0
	v_add_u32_e32 v2, v1, v2
	v_lshrrev_b32_e32 v2, s18, v2
	s_waitcnt vmcnt(0)
	v_mul_lo_u32 v3, v2, s16
	v_mul_hi_u32 v5, s20, v2
	s_cmp_lg_u32 s36, s38
	v_sub_u32_e32 v1, v1, v3
	v_add_u32_e32 v3, v2, v5
	v_mul_lo_u32 v5, v1, s8
	v_mul_lo_u32 v7, v1, s9
	v_lshrrev_b32_e32 v1, s21, v3
	v_mul_lo_u32 v3, v1, s19
	v_mul_hi_u32 v9, s23, v1
	v_sub_u32_e32 v2, v2, v3
	v_add_u32_e32 v3, v1, v9
	v_lshrrev_b32_e32 v3, s24, v3
	v_mul_hi_u32 v10, s26, v3
	v_mul_lo_u32 v12, v3, s22
	v_mul_lo_u32 v9, v2, s10
	;; [unrolled: 1-line block ×3, first 2 shown]
	v_sub_u32_e32 v12, v1, v12
	v_add_u32_e32 v1, v3, v10
	v_lshrrev_b32_e32 v1, s27, v1
	v_mul_lo_u32 v10, v1, s25
	v_mul_lo_u32 v14, v12, s12
	;; [unrolled: 1-line block ×3, first 2 shown]
	v_add3_u32 v4, v5, v4, v9
	v_sub_u32_e32 v3, v3, v10
	v_mul_lo_u32 v10, v3, s14
	v_mul_lo_u32 v3, v3, s15
	v_add3_u32 v2, v7, v11, v2
	v_add3_u32 v4, v14, v4, v10
	;; [unrolled: 1-line block ×3, first 2 shown]
	s_cbranch_scc1 .LBB63_1089
; %bb.1090:
	s_and_b32 s8, s37, 3
	s_cmp_eq_u32 s8, 0
	s_cbranch_scc0 .LBB63_1094
	s_branch .LBB63_1096
.LBB63_1091:
                                        ; implicit-def: $vgpr4
                                        ; implicit-def: $vgpr11
	s_branch .LBB63_1097
.LBB63_1092:
	v_mov_b32_e32 v4, 0
	v_mov_b32_e32 v11, 0
	s_branch .LBB63_1096
.LBB63_1093:
	v_mov_b32_e32 v4, 0
	v_mov_b32_e32 v11, 0
	;; [unrolled: 1-line block ×3, first 2 shown]
	s_and_b32 s8, s37, 3
	s_cmp_eq_u32 s8, 0
	s_cbranch_scc1 .LBB63_1096
.LBB63_1094:
	s_lshl_b32 s2, s36, 3
	s_add_u32 s2, s34, s2
	s_addc_u32 s3, s35, 0
	s_add_u32 s2, s2, 0xc4
	s_addc_u32 s3, s3, 0
	s_mul_i32 s6, s36, 12
	s_add_u32 s6, s34, s6
	s_addc_u32 s7, s35, 0
.LBB63_1095:                            ; =>This Inner Loop Header: Depth=1
	s_load_dwordx2 s[10:11], s[6:7], 0x4
	s_load_dword s9, s[6:7], 0xc
	s_load_dwordx2 s[12:13], s[2:3], 0x0
	s_add_u32 s6, s6, 12
	s_addc_u32 s7, s7, 0
	s_waitcnt lgkmcnt(0)
	v_mul_hi_u32 v2, s11, v1
	s_add_u32 s2, s2, 8
	s_addc_u32 s3, s3, 0
	s_add_i32 s8, s8, -1
	v_add_u32_e32 v2, v1, v2
	v_lshrrev_b32_e32 v2, s9, v2
	s_waitcnt vmcnt(0)
	v_mul_lo_u32 v3, v2, s10
	s_cmp_lg_u32 s8, 0
	v_sub_u32_e32 v1, v1, v3
	v_mad_u64_u32 v[4:5], s[10:11], v1, s12, v[4:5]
	v_mad_u64_u32 v[11:12], s[10:11], v1, s13, v[11:12]
	v_mov_b32_e32 v1, v2
	s_cbranch_scc1 .LBB63_1095
.LBB63_1096:
	s_cbranch_execnz .LBB63_1099
.LBB63_1097:
	s_load_dwordx4 s[8:11], s[34:35], 0x4
	s_load_dwordx2 s[2:3], s[34:35], 0xc4
	s_cmp_lt_u32 s33, 2
	s_waitcnt lgkmcnt(0)
	v_mul_hi_u32 v1, s9, v0
	v_add_u32_e32 v1, v0, v1
	v_lshrrev_b32_e32 v1, s10, v1
	v_mul_lo_u32 v2, v1, s8
	v_sub_u32_e32 v0, v0, v2
	v_mul_lo_u32 v4, v0, s2
	v_mul_lo_u32 v11, v0, s3
	s_cbranch_scc1 .LBB63_1099
; %bb.1098:
	s_load_dwordx4 s[8:11], s[34:35], 0x10
	s_load_dwordx2 s[2:3], s[34:35], 0xcc
	s_waitcnt lgkmcnt(0)
	v_mul_hi_u32 v0, s9, v1
	v_add_u32_e32 v0, v1, v0
	v_lshrrev_b32_e32 v0, s10, v0
	v_mul_lo_u32 v0, v0, s8
	v_sub_u32_e32 v0, v1, v0
	s_waitcnt vmcnt(0)
	v_mad_u64_u32 v[4:5], s[6:7], v0, s2, v[4:5]
	v_mad_u64_u32 v[11:12], s[2:3], v0, s3, v[11:12]
.LBB63_1099:
	s_and_b64 vcc, exec, s[0:1]
	v_add_u32_e32 v0, 0x100, v8
	s_cbranch_vccnz .LBB63_1105
; %bb.1100:
	s_cmp_lg_u32 s33, 0
	s_mov_b32 s36, 0
	s_cbranch_scc0 .LBB63_1106
; %bb.1101:
	s_min_u32 s37, s76, 15
	s_add_i32 s37, s37, 1
	s_cmp_eq_u32 s76, 2
	s_cbranch_scc1 .LBB63_1107
; %bb.1102:
	s_and_b32 s36, s37, 28
	s_add_u32 s2, s34, 0xc4
	s_addc_u32 s3, s35, 0
	v_mov_b32_e32 v9, 0
	s_mov_b32 s38, 0
	s_mov_b64 s[6:7], s[34:35]
	v_mov_b32_e32 v2, 0
	v_mov_b32_e32 v1, v0
.LBB63_1103:                            ; =>This Inner Loop Header: Depth=1
	s_load_dwordx8 s[16:23], s[6:7], 0x4
	s_load_dwordx4 s[24:27], s[6:7], 0x24
	s_load_dwordx8 s[8:15], s[2:3], 0x0
	s_add_u32 s6, s6, 48
	s_addc_u32 s7, s7, 0
	s_waitcnt vmcnt(0) lgkmcnt(0)
	v_mul_hi_u32 v3, s17, v1
	s_add_i32 s38, s38, 4
	s_add_u32 s2, s2, 32
	s_addc_u32 s3, s3, 0
	v_add_u32_e32 v3, v1, v3
	v_lshrrev_b32_e32 v3, s18, v3
	v_mul_lo_u32 v5, v3, s16
	v_mul_hi_u32 v7, s20, v3
	s_cmp_lg_u32 s36, s38
	v_sub_u32_e32 v1, v1, v5
	v_add_u32_e32 v5, v3, v7
	v_mul_lo_u32 v7, v1, s8
	v_mul_lo_u32 v8, v1, s9
	v_lshrrev_b32_e32 v1, s21, v5
	v_mul_lo_u32 v5, v1, s19
	v_mul_hi_u32 v10, s23, v1
	v_sub_u32_e32 v3, v3, v5
	v_add_u32_e32 v5, v1, v10
	v_lshrrev_b32_e32 v5, s24, v5
	v_mul_hi_u32 v12, s26, v5
	v_mul_lo_u32 v14, v5, s22
	v_mul_lo_u32 v10, v3, s10
	;; [unrolled: 1-line block ×3, first 2 shown]
	v_sub_u32_e32 v14, v1, v14
	v_add_u32_e32 v1, v5, v12
	v_lshrrev_b32_e32 v1, s27, v1
	v_mul_lo_u32 v12, v1, s25
	v_mul_lo_u32 v16, v14, s12
	;; [unrolled: 1-line block ×3, first 2 shown]
	v_add3_u32 v2, v7, v2, v10
	v_sub_u32_e32 v5, v5, v12
	v_mul_lo_u32 v12, v5, s14
	v_mul_lo_u32 v5, v5, s15
	v_add3_u32 v3, v8, v9, v3
	v_add3_u32 v2, v16, v2, v12
	;; [unrolled: 1-line block ×3, first 2 shown]
	s_cbranch_scc1 .LBB63_1103
; %bb.1104:
	s_and_b32 s8, s37, 3
	s_cmp_eq_u32 s8, 0
	s_cbranch_scc0 .LBB63_1108
	s_branch .LBB63_1110
.LBB63_1105:
                                        ; implicit-def: $vgpr2
                                        ; implicit-def: $vgpr9
	s_branch .LBB63_1111
.LBB63_1106:
	v_mov_b32_e32 v2, 0
	v_mov_b32_e32 v9, 0
	s_branch .LBB63_1110
.LBB63_1107:
	v_mov_b32_e32 v2, 0
	v_mov_b32_e32 v9, 0
	;; [unrolled: 1-line block ×3, first 2 shown]
	s_and_b32 s8, s37, 3
	s_cmp_eq_u32 s8, 0
	s_cbranch_scc1 .LBB63_1110
.LBB63_1108:
	s_lshl_b32 s2, s36, 3
	s_add_u32 s2, s34, s2
	s_addc_u32 s3, s35, 0
	s_add_u32 s2, s2, 0xc4
	s_addc_u32 s3, s3, 0
	s_mul_i32 s6, s36, 12
	s_add_u32 s6, s34, s6
	s_addc_u32 s7, s35, 0
.LBB63_1109:                            ; =>This Inner Loop Header: Depth=1
	s_load_dwordx2 s[10:11], s[6:7], 0x4
	s_load_dword s9, s[6:7], 0xc
	s_load_dwordx2 s[12:13], s[2:3], 0x0
	s_add_u32 s6, s6, 12
	s_addc_u32 s7, s7, 0
	s_waitcnt vmcnt(0) lgkmcnt(0)
	v_mul_hi_u32 v3, s11, v1
	s_add_u32 s2, s2, 8
	s_addc_u32 s3, s3, 0
	s_add_i32 s8, s8, -1
	v_add_u32_e32 v3, v1, v3
	v_lshrrev_b32_e32 v5, s9, v3
	v_mul_lo_u32 v3, v5, s10
	s_cmp_lg_u32 s8, 0
	v_sub_u32_e32 v1, v1, v3
	v_mad_u64_u32 v[2:3], s[10:11], v1, s12, v[2:3]
	v_mad_u64_u32 v[9:10], s[10:11], v1, s13, v[9:10]
	v_mov_b32_e32 v1, v5
	s_cbranch_scc1 .LBB63_1109
.LBB63_1110:
	s_cbranch_execnz .LBB63_1113
.LBB63_1111:
	s_load_dwordx4 s[8:11], s[34:35], 0x4
	s_load_dwordx2 s[2:3], s[34:35], 0xc4
	s_cmp_lt_u32 s33, 2
	s_waitcnt lgkmcnt(0)
	v_mul_hi_u32 v1, s9, v0
	v_add_u32_e32 v1, v0, v1
	v_lshrrev_b32_e32 v1, s10, v1
	v_mul_lo_u32 v2, v1, s8
	v_sub_u32_e32 v0, v0, v2
	v_mul_lo_u32 v2, v0, s2
	v_mul_lo_u32 v9, v0, s3
	s_cbranch_scc1 .LBB63_1113
; %bb.1112:
	s_load_dwordx4 s[8:11], s[34:35], 0x10
	s_load_dwordx2 s[2:3], s[34:35], 0xcc
	s_waitcnt lgkmcnt(0)
	v_mul_hi_u32 v0, s9, v1
	v_add_u32_e32 v0, v1, v0
	v_lshrrev_b32_e32 v0, s10, v0
	v_mul_lo_u32 v0, v0, s8
	v_sub_u32_e32 v0, v1, v0
	s_waitcnt vmcnt(0)
	v_mad_u64_u32 v[2:3], s[6:7], v0, s2, v[2:3]
	v_mad_u64_u32 v[9:10], s[2:3], v0, s3, v[9:10]
.LBB63_1113:
	s_and_b64 vcc, exec, s[0:1]
	s_cbranch_vccnz .LBB63_1119
; %bb.1114:
	s_cmp_lg_u32 s33, 0
	s_mov_b32 s26, 0
	s_cbranch_scc0 .LBB63_1120
; %bb.1115:
	s_min_u32 s27, s76, 15
	s_add_i32 s27, s27, 1
	s_cmp_eq_u32 s76, 2
	s_cbranch_scc1 .LBB63_1121
; %bb.1116:
	s_and_b32 s26, s27, 28
	s_add_u32 s6, s34, 0xc4
	s_addc_u32 s7, s35, 0
	v_mov_b32_e32 v7, 0
	s_mov_b32 s36, 0
	s_mov_b64 s[24:25], s[34:35]
	v_mov_b32_e32 v0, 0
	v_mov_b32_e32 v1, v15
.LBB63_1117:                            ; =>This Inner Loop Header: Depth=1
	s_load_dwordx8 s[16:23], s[24:25], 0x4
	s_load_dwordx4 s[0:3], s[24:25], 0x24
	s_load_dwordx8 s[8:15], s[6:7], 0x0
	s_add_u32 s24, s24, 48
	s_addc_u32 s25, s25, 0
	s_waitcnt vmcnt(0) lgkmcnt(0)
	v_mul_hi_u32 v3, s17, v1
	s_add_i32 s36, s36, 4
	s_add_u32 s6, s6, 32
	s_addc_u32 s7, s7, 0
	v_add_u32_e32 v3, v1, v3
	v_lshrrev_b32_e32 v3, s18, v3
	v_mul_lo_u32 v5, v3, s16
	v_mul_hi_u32 v8, s20, v3
	s_cmp_lg_u32 s26, s36
	v_sub_u32_e32 v1, v1, v5
	v_add_u32_e32 v5, v3, v8
	v_mul_lo_u32 v8, v1, s8
	v_mul_lo_u32 v10, v1, s9
	v_lshrrev_b32_e32 v1, s21, v5
	v_mul_lo_u32 v5, v1, s19
	v_mul_hi_u32 v12, s23, v1
	v_sub_u32_e32 v3, v3, v5
	v_add_u32_e32 v5, v1, v12
	v_lshrrev_b32_e32 v5, s0, v5
	v_mul_hi_u32 v14, s2, v5
	v_mul_lo_u32 v16, v5, s22
	v_mul_lo_u32 v12, v3, s10
	;; [unrolled: 1-line block ×3, first 2 shown]
	v_sub_u32_e32 v16, v1, v16
	v_add_u32_e32 v1, v5, v14
	v_lshrrev_b32_e32 v1, s3, v1
	v_mul_lo_u32 v14, v1, s1
	v_mul_lo_u32 v17, v16, s12
	;; [unrolled: 1-line block ×3, first 2 shown]
	v_add3_u32 v0, v8, v0, v12
	v_sub_u32_e32 v5, v5, v14
	v_mul_lo_u32 v14, v5, s14
	v_mul_lo_u32 v5, v5, s15
	v_add3_u32 v3, v10, v7, v3
	v_add3_u32 v0, v17, v0, v14
	;; [unrolled: 1-line block ×3, first 2 shown]
	s_cbranch_scc1 .LBB63_1117
; %bb.1118:
	s_and_b32 s6, s27, 3
	s_cmp_eq_u32 s6, 0
	s_cbranch_scc0 .LBB63_1122
	s_branch .LBB63_1124
.LBB63_1119:
                                        ; implicit-def: $vgpr0
                                        ; implicit-def: $vgpr7
	s_branch .LBB63_1125
.LBB63_1120:
	v_mov_b32_e32 v0, 0
	v_mov_b32_e32 v7, 0
	s_branch .LBB63_1124
.LBB63_1121:
	v_mov_b32_e32 v0, 0
	v_mov_b32_e32 v7, 0
	;; [unrolled: 1-line block ×3, first 2 shown]
	s_and_b32 s6, s27, 3
	s_cmp_eq_u32 s6, 0
	s_cbranch_scc1 .LBB63_1124
.LBB63_1122:
	s_lshl_b32 s0, s26, 3
	s_add_u32 s0, s34, s0
	s_addc_u32 s1, s35, 0
	s_add_u32 s0, s0, 0xc4
	s_addc_u32 s1, s1, 0
	s_mul_i32 s2, s26, 12
	s_add_u32 s2, s34, s2
	s_addc_u32 s3, s35, 0
.LBB63_1123:                            ; =>This Inner Loop Header: Depth=1
	s_load_dwordx2 s[8:9], s[2:3], 0x4
	s_load_dword s7, s[2:3], 0xc
	s_load_dwordx2 s[10:11], s[0:1], 0x0
	s_add_u32 s2, s2, 12
	s_addc_u32 s3, s3, 0
	s_waitcnt vmcnt(0) lgkmcnt(0)
	v_mul_hi_u32 v3, s9, v1
	s_add_u32 s0, s0, 8
	s_addc_u32 s1, s1, 0
	s_add_i32 s6, s6, -1
	v_add_u32_e32 v3, v1, v3
	v_lshrrev_b32_e32 v3, s7, v3
	v_mul_lo_u32 v5, v3, s8
	s_cmp_lg_u32 s6, 0
	v_sub_u32_e32 v5, v1, v5
	v_mad_u64_u32 v[0:1], s[8:9], v5, s10, v[0:1]
	v_mad_u64_u32 v[7:8], s[8:9], v5, s11, v[7:8]
	v_mov_b32_e32 v1, v3
	s_cbranch_scc1 .LBB63_1123
.LBB63_1124:
	s_cbranch_execnz .LBB63_1127
.LBB63_1125:
	s_load_dwordx4 s[0:3], s[34:35], 0x4
	s_load_dwordx2 s[6:7], s[34:35], 0xc4
	s_cmp_lt_u32 s33, 2
	s_waitcnt lgkmcnt(0)
	v_mul_hi_u32 v0, s1, v15
	v_add_u32_e32 v0, v15, v0
	v_lshrrev_b32_e32 v1, s2, v0
	v_mul_lo_u32 v0, v1, s0
	s_waitcnt vmcnt(0)
	v_sub_u32_e32 v3, v15, v0
	v_mul_lo_u32 v0, v3, s6
	v_mul_lo_u32 v7, v3, s7
	s_cbranch_scc1 .LBB63_1127
; %bb.1126:
	s_load_dwordx4 s[0:3], s[34:35], 0x10
	s_load_dwordx2 s[6:7], s[34:35], 0xcc
	s_waitcnt lgkmcnt(0)
	v_mul_hi_u32 v3, s1, v1
	v_add_u32_e32 v3, v1, v3
	v_lshrrev_b32_e32 v3, s2, v3
	v_mul_lo_u32 v3, v3, s0
	v_sub_u32_e32 v3, v1, v3
	v_mad_u64_u32 v[0:1], s[0:1], v3, s6, v[0:1]
	v_mad_u64_u32 v[7:8], s[0:1], v3, s7, v[7:8]
.LBB63_1127:
	s_load_dwordx4 s[8:11], s[34:35], 0x148
	s_load_dword s12, s[4:5], 0x16c
	s_waitcnt lgkmcnt(0)
	v_mov_b32_e32 v1, s11
	s_bfe_u32 s13, s12, 0x80008
	v_add_co_u32_e32 v12, vcc, s10, v13
	s_cmp_lt_i32 s13, 11
	v_addc_co_u32_e32 v13, vcc, 0, v1, vcc
	s_cbranch_scc1 .LBB63_1134
; %bb.1128:
	s_and_b32 s14, 0xffff, s13
	s_cmp_gt_i32 s14, 25
	s_mov_b64 s[4:5], 0
	s_cbranch_scc0 .LBB63_1136
; %bb.1129:
	s_cmp_gt_i32 s14, 28
	s_cbranch_scc0 .LBB63_1137
; %bb.1130:
	s_cmp_gt_i32 s14, 43
	;; [unrolled: 3-line block ×3, first 2 shown]
	s_cbranch_scc0 .LBB63_1139
; %bb.1132:
	s_cmp_eq_u32 s14, 46
	s_mov_b64 s[2:3], 0
	s_cbranch_scc0 .LBB63_1142
; %bb.1133:
	global_load_dword v1, v[12:13], off
	s_mov_b64 s[0:1], 0
	s_mov_b64 s[6:7], -1
	s_waitcnt vmcnt(0)
	v_lshlrev_b32_e32 v1, 16, v1
	v_cvt_i32_f32_e32 v5, v1
	s_branch .LBB63_1143
.LBB63_1134:
	s_mov_b64 s[6:7], 0
                                        ; implicit-def: $vgpr5
	s_mov_b64 s[2:3], s[28:29]
	s_cbranch_execnz .LBB63_1201
.LBB63_1135:
	s_andn2_b64 vcc, exec, s[6:7]
	s_cbranch_vccz .LBB63_1246
	s_branch .LBB63_2055
.LBB63_1136:
	s_mov_b64 s[6:7], 0
	s_mov_b64 s[0:1], 0
                                        ; implicit-def: $vgpr5
	s_cbranch_execnz .LBB63_1168
	s_branch .LBB63_1197
.LBB63_1137:
	s_mov_b64 s[6:7], 0
	s_mov_b64 s[0:1], 0
                                        ; implicit-def: $vgpr5
	s_cbranch_execz .LBB63_1167
	s_branch .LBB63_1152
.LBB63_1138:
	s_mov_b64 s[6:7], 0
	s_mov_b64 s[0:1], 0
                                        ; implicit-def: $vgpr5
	s_cbranch_execnz .LBB63_1148
	s_branch .LBB63_1151
.LBB63_1139:
	s_mov_b64 s[2:3], -1
	s_mov_b64 s[6:7], 0
	s_mov_b64 s[0:1], 0
                                        ; implicit-def: $vgpr5
	s_branch .LBB63_1143
.LBB63_1140:
	s_andn2_saveexec_b64 s[14:15], s[14:15]
	s_cbranch_execz .LBB63_983
.LBB63_1141:
	s_mov_b32 s16, 0x46000000
	v_add_f32_e64 v2, |v0|, s16
	v_and_b32_e32 v2, 0xff, v2
	v_cmp_ne_u32_e32 vcc, 0, v2
	s_andn2_b64 s[12:13], s[12:13], exec
	s_and_b64 s[16:17], vcc, exec
	s_or_b64 s[12:13], s[12:13], s[16:17]
	s_or_b64 exec, exec, s[14:15]
	v_mov_b32_e32 v5, 0
	s_and_saveexec_b64 s[14:15], s[12:13]
	s_cbranch_execnz .LBB63_984
	s_branch .LBB63_985
.LBB63_1142:
	s_mov_b64 s[0:1], -1
                                        ; implicit-def: $vgpr5
	s_mov_b64 s[6:7], 0
.LBB63_1143:
	s_and_b64 vcc, exec, s[2:3]
	s_cbranch_vccz .LBB63_1146
; %bb.1144:
	s_cmp_eq_u32 s14, 44
	s_cbranch_scc0 .LBB63_1147
; %bb.1145:
	global_load_ubyte v1, v[12:13], off
	s_mov_b64 s[0:1], 0
	s_mov_b64 s[6:7], -1
	s_waitcnt vmcnt(0)
	v_lshlrev_b32_e32 v3, 23, v1
	v_cvt_i32_f32_e32 v3, v3
	v_cmp_ne_u32_e32 vcc, 0, v1
	v_cndmask_b32_e32 v5, 0, v3, vcc
.LBB63_1146:
	s_branch .LBB63_1151
.LBB63_1147:
	s_mov_b64 s[0:1], -1
                                        ; implicit-def: $vgpr5
	s_branch .LBB63_1151
.LBB63_1148:
	s_cmp_eq_u32 s14, 29
	s_cbranch_scc0 .LBB63_1150
; %bb.1149:
	global_load_dword v5, v[12:13], off
	s_mov_b64 s[0:1], 0
	s_mov_b64 s[6:7], -1
	s_branch .LBB63_1151
.LBB63_1150:
	s_mov_b64 s[0:1], -1
                                        ; implicit-def: $vgpr5
.LBB63_1151:
	s_branch .LBB63_1167
.LBB63_1152:
	s_cmp_lt_i32 s14, 27
	s_cbranch_scc1 .LBB63_1155
; %bb.1153:
	s_cmp_gt_i32 s14, 27
	s_cbranch_scc0 .LBB63_1156
; %bb.1154:
	global_load_dword v5, v[12:13], off
	s_mov_b64 s[2:3], 0
	s_branch .LBB63_1157
.LBB63_1155:
	s_mov_b64 s[2:3], -1
                                        ; implicit-def: $vgpr5
	s_branch .LBB63_1160
.LBB63_1156:
	s_mov_b64 s[2:3], -1
                                        ; implicit-def: $vgpr5
.LBB63_1157:
	s_andn2_b64 vcc, exec, s[2:3]
	s_cbranch_vccnz .LBB63_1159
; %bb.1158:
	global_load_ushort v5, v[12:13], off
.LBB63_1159:
	s_mov_b64 s[2:3], 0
.LBB63_1160:
	s_andn2_b64 vcc, exec, s[2:3]
	s_cbranch_vccnz .LBB63_1166
; %bb.1161:
	global_load_ubyte v1, v[12:13], off
	s_movk_i32 s2, 0x7f
	s_mov_b64 s[6:7], 0
	s_waitcnt vmcnt(0)
	v_cmp_lt_i16_e32 vcc, s2, v1
	s_and_saveexec_b64 s[2:3], vcc
	s_xor_b64 s[2:3], exec, s[2:3]
	s_cbranch_execz .LBB63_1177
; %bb.1162:
	s_movk_i32 s6, 0x80
	v_cmp_ne_u16_e32 vcc, s6, v1
	s_and_b64 s[6:7], vcc, exec
	s_andn2_saveexec_b64 s[2:3], s[2:3]
	s_cbranch_execnz .LBB63_1178
.LBB63_1163:
	s_or_b64 exec, exec, s[2:3]
	v_mov_b32_e32 v5, 0
	s_and_saveexec_b64 s[2:3], s[6:7]
	s_cbranch_execz .LBB63_1165
.LBB63_1164:
	v_lshlrev_b32_e32 v3, 24, v1
	v_and_b32_e32 v1, 0xffff, v1
	v_and_b32_e32 v5, 7, v1
	v_ffbh_u32_e32 v10, v5
	v_min_u32_e32 v10, 32, v10
	v_subrev_u32_e32 v14, 28, v10
	v_bfe_u32 v8, v1, 3, 4
	v_lshlrev_b32_e32 v1, v14, v1
	v_sub_u32_e32 v10, 29, v10
	v_and_b32_e32 v1, 7, v1
	v_cmp_eq_u32_e32 vcc, 0, v8
	v_cndmask_b32_e32 v8, v8, v10, vcc
	v_cndmask_b32_e32 v1, v5, v1, vcc
	v_mov_b32_e32 v5, 0x3b800000
	v_lshlrev_b32_e32 v1, 20, v1
	v_and_b32_e32 v3, 0x80000000, v3
	v_lshl_add_u32 v5, v8, 23, v5
	v_or3_b32 v1, v3, v5, v1
	v_cvt_i32_f32_e32 v5, v1
.LBB63_1165:
	s_or_b64 exec, exec, s[2:3]
.LBB63_1166:
	s_mov_b64 s[6:7], -1
.LBB63_1167:
	s_branch .LBB63_1197
.LBB63_1168:
	s_cmp_gt_i32 s14, 22
	s_cbranch_scc0 .LBB63_1176
; %bb.1169:
	s_cmp_lt_i32 s14, 24
	s_cbranch_scc1 .LBB63_1179
; %bb.1170:
	s_cmp_gt_i32 s14, 24
	s_cbranch_scc0 .LBB63_1180
; %bb.1171:
	global_load_ubyte v1, v[12:13], off
	s_movk_i32 s2, 0x7f
	s_waitcnt vmcnt(0)
	v_cmp_lt_i16_e32 vcc, s2, v1
	s_and_saveexec_b64 s[2:3], vcc
	s_xor_b64 s[2:3], exec, s[2:3]
	s_cbranch_execz .LBB63_1191
; %bb.1172:
	s_movk_i32 s4, 0x80
	v_cmp_ne_u16_e32 vcc, s4, v1
	s_and_b64 s[4:5], vcc, exec
	s_andn2_saveexec_b64 s[2:3], s[2:3]
	s_cbranch_execnz .LBB63_1192
.LBB63_1173:
	s_or_b64 exec, exec, s[2:3]
	v_mov_b32_e32 v5, 0
	s_and_saveexec_b64 s[2:3], s[4:5]
	s_cbranch_execz .LBB63_1175
.LBB63_1174:
	v_lshlrev_b32_e32 v3, 24, v1
	v_and_b32_e32 v1, 0xffff, v1
	v_and_b32_e32 v5, 3, v1
	v_ffbh_u32_e32 v10, v5
	v_min_u32_e32 v10, 32, v10
	v_subrev_u32_e32 v14, 29, v10
	v_bfe_u32 v8, v1, 2, 5
	v_lshlrev_b32_e32 v1, v14, v1
	v_sub_u32_e32 v10, 30, v10
	v_and_b32_e32 v1, 3, v1
	v_cmp_eq_u32_e32 vcc, 0, v8
	v_cndmask_b32_e32 v8, v8, v10, vcc
	v_cndmask_b32_e32 v1, v5, v1, vcc
	v_mov_b32_e32 v5, 0x37800000
	v_lshlrev_b32_e32 v1, 21, v1
	v_and_b32_e32 v3, 0x80000000, v3
	v_lshl_add_u32 v5, v8, 23, v5
	v_or3_b32 v1, v3, v5, v1
	v_cvt_i32_f32_e32 v5, v1
.LBB63_1175:
	s_or_b64 exec, exec, s[2:3]
	s_mov_b64 s[2:3], 0
	s_branch .LBB63_1181
.LBB63_1176:
                                        ; implicit-def: $vgpr5
	s_mov_b64 s[4:5], 0
	s_branch .LBB63_1187
.LBB63_1177:
	s_andn2_saveexec_b64 s[2:3], s[2:3]
	s_cbranch_execz .LBB63_1163
.LBB63_1178:
	v_cmp_ne_u16_e32 vcc, 0, v1
	s_andn2_b64 s[6:7], s[6:7], exec
	s_and_b64 s[16:17], vcc, exec
	s_or_b64 s[6:7], s[6:7], s[16:17]
	s_or_b64 exec, exec, s[2:3]
	v_mov_b32_e32 v5, 0
	s_and_saveexec_b64 s[2:3], s[6:7]
	s_cbranch_execnz .LBB63_1164
	s_branch .LBB63_1165
.LBB63_1179:
	s_mov_b64 s[2:3], -1
                                        ; implicit-def: $vgpr5
	s_branch .LBB63_1184
.LBB63_1180:
	s_mov_b64 s[2:3], -1
                                        ; implicit-def: $vgpr5
.LBB63_1181:
	s_and_b64 vcc, exec, s[2:3]
	s_cbranch_vccz .LBB63_1183
; %bb.1182:
	global_load_ubyte v1, v[12:13], off
	s_mov_b32 s2, 0x7f800000
	s_waitcnt vmcnt(0)
	v_lshlrev_b32_e32 v1, 24, v1
	v_and_b32_e32 v3, 0x7f000000, v1
	v_ffbh_u32_e32 v5, v3
	v_min_u32_e32 v5, 32, v5
	v_sub_u32_e64 v5, v5, 4 clamp
	v_lshlrev_b32_e32 v10, v5, v3
	v_lshlrev_b32_e32 v5, 23, v5
	v_lshrrev_b32_e32 v10, 4, v10
	v_add_u32_e32 v8, 0x1000000, v3
	v_sub_u32_e32 v5, v10, v5
	v_ashrrev_i32_e32 v8, 8, v8
	v_add_u32_e32 v5, 0x3c000000, v5
	v_and_or_b32 v5, v8, s2, v5
	v_cmp_ne_u32_e32 vcc, 0, v3
	v_cndmask_b32_e32 v3, 0, v5, vcc
	s_brev_b32 s2, 1
	v_and_or_b32 v1, v1, s2, v3
	v_cvt_i32_f32_e32 v5, v1
.LBB63_1183:
	s_mov_b64 s[2:3], 0
.LBB63_1184:
	s_andn2_b64 vcc, exec, s[2:3]
	s_cbranch_vccnz .LBB63_1186
; %bb.1185:
	global_load_ubyte v1, v[12:13], off
	s_movk_i32 s2, 0x7f00
	s_brev_b32 s3, 16
	s_waitcnt vmcnt(0)
	v_lshlrev_b16_e32 v3, 8, v1
	v_lshlrev_b32_e32 v1, 25, v1
	v_lshrrev_b32_e32 v5, 4, v1
	v_and_or_b32 v8, v3, s2, 0.5
	v_or_b32_e32 v5, 0x70000000, v5
	v_add_f32_e32 v8, -0.5, v8
	v_mul_f32_e32 v5, 0x7800000, v5
	v_cmp_gt_u32_e32 vcc, s3, v1
	v_bfe_i32 v3, v3, 0, 16
	v_cndmask_b32_e32 v1, v5, v8, vcc
	s_brev_b32 s2, 1
	v_and_or_b32 v1, v3, s2, v1
	v_cvt_i32_f32_e32 v5, v1
.LBB63_1186:
	s_mov_b64 s[6:7], -1
	s_mov_b64 s[4:5], 0
	s_cbranch_execnz .LBB63_1197
.LBB63_1187:
	s_cmp_gt_i32 s14, 14
	s_cbranch_scc0 .LBB63_1190
; %bb.1188:
	s_cmp_eq_u32 s14, 15
	s_cbranch_scc0 .LBB63_1193
; %bb.1189:
	global_load_ushort v1, v[12:13], off
	s_mov_b64 s[0:1], 0
	s_mov_b64 s[6:7], -1
	s_waitcnt vmcnt(0)
	v_lshlrev_b32_e32 v1, 16, v1
	v_cvt_i32_f32_e32 v5, v1
	s_branch .LBB63_1194
.LBB63_1190:
	s_mov_b64 s[2:3], -1
                                        ; implicit-def: $vgpr5
	s_branch .LBB63_1195
.LBB63_1191:
	s_andn2_saveexec_b64 s[2:3], s[2:3]
	s_cbranch_execz .LBB63_1173
.LBB63_1192:
	v_cmp_ne_u16_e32 vcc, 0, v1
	s_andn2_b64 s[4:5], s[4:5], exec
	s_and_b64 s[6:7], vcc, exec
	s_or_b64 s[4:5], s[4:5], s[6:7]
	s_or_b64 exec, exec, s[2:3]
	v_mov_b32_e32 v5, 0
	s_and_saveexec_b64 s[2:3], s[4:5]
	s_cbranch_execnz .LBB63_1174
	s_branch .LBB63_1175
.LBB63_1193:
	s_mov_b64 s[0:1], -1
                                        ; implicit-def: $vgpr5
.LBB63_1194:
	s_mov_b64 s[2:3], 0
.LBB63_1195:
	s_and_b64 vcc, exec, s[2:3]
	s_cbranch_vccz .LBB63_1197
; %bb.1196:
	s_cmp_lg_u32 s14, 11
	s_mov_b64 s[4:5], -1
	s_cselect_b64 s[0:1], -1, 0
.LBB63_1197:
	s_and_b64 vcc, exec, s[0:1]
	s_mov_b64 s[2:3], s[28:29]
	s_cbranch_vccnz .LBB63_1258
; %bb.1198:
	s_andn2_b64 vcc, exec, s[4:5]
	s_cbranch_vccnz .LBB63_1200
.LBB63_1199:
	global_load_ubyte v1, v[12:13], off
	s_mov_b64 s[6:7], -1
	s_waitcnt vmcnt(0)
	v_cmp_ne_u16_e32 vcc, 0, v1
	v_cndmask_b32_e64 v5, 0, 1, vcc
.LBB63_1200:
	s_branch .LBB63_1135
.LBB63_1201:
	s_and_b32 s4, 0xffff, s13
	s_cmp_lt_i32 s4, 5
	s_cbranch_scc1 .LBB63_1206
; %bb.1202:
	s_cmp_lt_i32 s4, 8
	s_cbranch_scc1 .LBB63_1207
; %bb.1203:
	;; [unrolled: 3-line block ×3, first 2 shown]
	s_cmp_gt_i32 s4, 9
	s_cbranch_scc0 .LBB63_1209
; %bb.1205:
	global_load_dwordx2 v[14:15], v[12:13], off
	s_mov_b64 s[0:1], 0
	s_waitcnt vmcnt(0)
	v_cvt_i32_f64_e32 v5, v[14:15]
	s_branch .LBB63_1210
.LBB63_1206:
                                        ; implicit-def: $vgpr5
	s_branch .LBB63_1227
.LBB63_1207:
                                        ; implicit-def: $vgpr5
	s_branch .LBB63_1216
.LBB63_1208:
	s_mov_b64 s[0:1], -1
                                        ; implicit-def: $vgpr5
	s_branch .LBB63_1213
.LBB63_1209:
	s_mov_b64 s[0:1], -1
                                        ; implicit-def: $vgpr5
.LBB63_1210:
	s_andn2_b64 vcc, exec, s[0:1]
	s_cbranch_vccnz .LBB63_1212
; %bb.1211:
	global_load_dword v1, v[12:13], off
	s_waitcnt vmcnt(0)
	v_cvt_i32_f32_e32 v5, v1
.LBB63_1212:
	s_mov_b64 s[0:1], 0
.LBB63_1213:
	s_andn2_b64 vcc, exec, s[0:1]
	s_cbranch_vccnz .LBB63_1215
; %bb.1214:
	global_load_dword v1, v[12:13], off
	s_waitcnt vmcnt(0)
	v_cvt_f32_f16_e32 v1, v1
	v_cvt_i32_f32_e32 v5, v1
.LBB63_1215:
	s_cbranch_execnz .LBB63_1226
.LBB63_1216:
	s_cmp_lt_i32 s4, 6
	s_cbranch_scc1 .LBB63_1219
; %bb.1217:
	s_cmp_gt_i32 s4, 6
	s_cbranch_scc0 .LBB63_1220
; %bb.1218:
	global_load_dwordx2 v[14:15], v[12:13], off
	s_mov_b64 s[0:1], 0
	s_waitcnt vmcnt(0)
	v_cvt_i32_f64_e32 v5, v[14:15]
	s_branch .LBB63_1221
.LBB63_1219:
	s_mov_b64 s[0:1], -1
                                        ; implicit-def: $vgpr5
	s_branch .LBB63_1224
.LBB63_1220:
	s_mov_b64 s[0:1], -1
                                        ; implicit-def: $vgpr5
.LBB63_1221:
	s_andn2_b64 vcc, exec, s[0:1]
	s_cbranch_vccnz .LBB63_1223
; %bb.1222:
	global_load_dword v1, v[12:13], off
	s_waitcnt vmcnt(0)
	v_cvt_i32_f32_e32 v5, v1
.LBB63_1223:
	s_mov_b64 s[0:1], 0
.LBB63_1224:
	s_andn2_b64 vcc, exec, s[0:1]
	s_cbranch_vccnz .LBB63_1226
; %bb.1225:
	global_load_ushort v1, v[12:13], off
	s_waitcnt vmcnt(0)
	v_cvt_f32_f16_e32 v1, v1
	v_cvt_i32_f32_e32 v5, v1
.LBB63_1226:
	s_cbranch_execnz .LBB63_1245
.LBB63_1227:
	s_cmp_lt_i32 s4, 2
	s_cbranch_scc1 .LBB63_1231
; %bb.1228:
	s_cmp_lt_i32 s4, 3
	s_cbranch_scc1 .LBB63_1232
; %bb.1229:
	s_cmp_gt_i32 s4, 3
	s_cbranch_scc0 .LBB63_1233
; %bb.1230:
	global_load_dword v5, v[12:13], off
	s_mov_b64 s[0:1], 0
	s_branch .LBB63_1234
.LBB63_1231:
                                        ; implicit-def: $vgpr5
	s_branch .LBB63_1240
.LBB63_1232:
	s_mov_b64 s[0:1], -1
                                        ; implicit-def: $vgpr5
	s_branch .LBB63_1237
.LBB63_1233:
	s_mov_b64 s[0:1], -1
                                        ; implicit-def: $vgpr5
.LBB63_1234:
	s_andn2_b64 vcc, exec, s[0:1]
	s_cbranch_vccnz .LBB63_1236
; %bb.1235:
	global_load_dword v5, v[12:13], off
.LBB63_1236:
	s_mov_b64 s[0:1], 0
.LBB63_1237:
	s_andn2_b64 vcc, exec, s[0:1]
	s_cbranch_vccnz .LBB63_1239
; %bb.1238:
	global_load_sshort v5, v[12:13], off
.LBB63_1239:
	s_cbranch_execnz .LBB63_1245
.LBB63_1240:
	s_cmp_gt_i32 s4, 0
	s_cbranch_scc0 .LBB63_1242
; %bb.1241:
	global_load_sbyte v5, v[12:13], off
	s_mov_b64 s[0:1], 0
	s_branch .LBB63_1243
.LBB63_1242:
	s_mov_b64 s[0:1], -1
                                        ; implicit-def: $vgpr5
.LBB63_1243:
	s_andn2_b64 vcc, exec, s[0:1]
	s_cbranch_vccnz .LBB63_1245
; %bb.1244:
	global_load_ubyte v5, v[12:13], off
.LBB63_1245:
.LBB63_1246:
	s_lshr_b32 s0, s12, 8
	v_mov_b32_e32 v1, s11
	s_and_b32 s14, s0, 0xff
	v_add_co_u32_e32 v10, vcc, s10, v11
	s_cmp_lt_i32 s14, 11
	v_addc_co_u32_e32 v11, vcc, 0, v1, vcc
	s_cbranch_scc1 .LBB63_1253
; %bb.1247:
	s_and_b32 s15, 0xffff, s14
	s_cmp_gt_i32 s15, 25
	s_mov_b64 s[4:5], 0
	s_cbranch_scc0 .LBB63_1255
; %bb.1248:
	s_cmp_gt_i32 s15, 28
	s_cbranch_scc0 .LBB63_1256
; %bb.1249:
	s_cmp_gt_i32 s15, 43
	;; [unrolled: 3-line block ×3, first 2 shown]
	s_cbranch_scc0 .LBB63_1259
; %bb.1251:
	s_cmp_eq_u32 s15, 46
	s_mov_b64 s[12:13], 0
	s_cbranch_scc0 .LBB63_1262
; %bb.1252:
	global_load_dword v1, v[10:11], off
	s_mov_b64 s[0:1], 0
	s_mov_b64 s[6:7], -1
	s_waitcnt vmcnt(0)
	v_lshlrev_b32_e32 v1, 16, v1
	v_cvt_i32_f32_e32 v3, v1
	s_branch .LBB63_1263
.LBB63_1253:
	s_mov_b64 s[6:7], 0
                                        ; implicit-def: $vgpr3
	s_cbranch_execnz .LBB63_1324
.LBB63_1254:
	s_andn2_b64 vcc, exec, s[6:7]
	s_cbranch_vccnz .LBB63_2055
	s_branch .LBB63_1371
.LBB63_1255:
	s_mov_b64 s[6:7], 0
	s_mov_b64 s[0:1], 0
                                        ; implicit-def: $vgpr3
	s_cbranch_execnz .LBB63_1290
	s_branch .LBB63_1320
.LBB63_1256:
	s_mov_b64 s[12:13], -1
	s_mov_b64 s[6:7], 0
	s_mov_b64 s[0:1], 0
                                        ; implicit-def: $vgpr3
	s_branch .LBB63_1273
.LBB63_1257:
	s_mov_b64 s[12:13], -1
	s_mov_b64 s[6:7], 0
	s_mov_b64 s[0:1], 0
                                        ; implicit-def: $vgpr3
	s_branch .LBB63_1268
.LBB63_1258:
	s_or_b64 s[2:3], s[28:29], exec
	s_trap 2
	s_cbranch_execz .LBB63_1199
	s_branch .LBB63_1200
.LBB63_1259:
	s_mov_b64 s[12:13], -1
	s_mov_b64 s[6:7], 0
	s_mov_b64 s[0:1], 0
                                        ; implicit-def: $vgpr3
	s_branch .LBB63_1263
.LBB63_1260:
	s_andn2_saveexec_b64 s[16:17], s[16:17]
	s_cbranch_execz .LBB63_995
.LBB63_1261:
	s_mov_b32 s19, 0x42800000
	v_add_f32_e64 v2, |v0|, s19
	v_and_b32_e32 v2, 0xff, v2
	v_cmp_ne_u32_e32 vcc, 0, v2
	s_andn2_b64 s[14:15], s[14:15], exec
	s_and_b64 s[22:23], vcc, exec
	s_or_b64 s[14:15], s[14:15], s[22:23]
	s_or_b64 exec, exec, s[16:17]
	v_mov_b32_e32 v5, 0
	s_and_saveexec_b64 s[16:17], s[14:15]
	s_cbranch_execnz .LBB63_996
	s_branch .LBB63_997
.LBB63_1262:
	s_mov_b64 s[0:1], -1
                                        ; implicit-def: $vgpr3
	s_mov_b64 s[6:7], 0
.LBB63_1263:
	s_and_b64 vcc, exec, s[12:13]
	s_cbranch_vccz .LBB63_1267
; %bb.1264:
	s_cmp_eq_u32 s15, 44
	s_cbranch_scc0 .LBB63_1266
; %bb.1265:
	global_load_ubyte v1, v[10:11], off
	s_mov_b64 s[0:1], 0
	s_mov_b64 s[6:7], -1
	s_waitcnt vmcnt(0)
	v_lshlrev_b32_e32 v3, 23, v1
	v_cvt_i32_f32_e32 v3, v3
	v_cmp_ne_u32_e32 vcc, 0, v1
	v_cndmask_b32_e32 v3, 0, v3, vcc
	s_branch .LBB63_1267
.LBB63_1266:
	s_mov_b64 s[0:1], -1
                                        ; implicit-def: $vgpr3
.LBB63_1267:
	s_mov_b64 s[12:13], 0
.LBB63_1268:
	s_and_b64 vcc, exec, s[12:13]
	s_cbranch_vccz .LBB63_1272
; %bb.1269:
	s_cmp_eq_u32 s15, 29
	s_cbranch_scc0 .LBB63_1271
; %bb.1270:
	global_load_dword v3, v[10:11], off
	s_mov_b64 s[0:1], 0
	s_mov_b64 s[6:7], -1
	s_branch .LBB63_1272
.LBB63_1271:
	s_mov_b64 s[0:1], -1
                                        ; implicit-def: $vgpr3
.LBB63_1272:
	s_mov_b64 s[12:13], 0
.LBB63_1273:
	s_and_b64 vcc, exec, s[12:13]
	s_cbranch_vccz .LBB63_1289
; %bb.1274:
	s_cmp_lt_i32 s15, 27
	s_cbranch_scc1 .LBB63_1277
; %bb.1275:
	s_cmp_gt_i32 s15, 27
	s_cbranch_scc0 .LBB63_1278
; %bb.1276:
	global_load_dword v3, v[10:11], off
	s_mov_b64 s[6:7], 0
	s_branch .LBB63_1279
.LBB63_1277:
	s_mov_b64 s[6:7], -1
                                        ; implicit-def: $vgpr3
	s_branch .LBB63_1282
.LBB63_1278:
	s_mov_b64 s[6:7], -1
                                        ; implicit-def: $vgpr3
.LBB63_1279:
	s_andn2_b64 vcc, exec, s[6:7]
	s_cbranch_vccnz .LBB63_1281
; %bb.1280:
	global_load_ushort v3, v[10:11], off
.LBB63_1281:
	s_mov_b64 s[6:7], 0
.LBB63_1282:
	s_andn2_b64 vcc, exec, s[6:7]
	s_cbranch_vccnz .LBB63_1288
; %bb.1283:
	global_load_ubyte v1, v[10:11], off
	s_movk_i32 s6, 0x7f
	s_mov_b64 s[12:13], 0
	s_waitcnt vmcnt(0)
	v_cmp_lt_i16_e32 vcc, s6, v1
	s_and_saveexec_b64 s[6:7], vcc
	s_xor_b64 s[6:7], exec, s[6:7]
	s_cbranch_execz .LBB63_1299
; %bb.1284:
	s_movk_i32 s12, 0x80
	v_cmp_ne_u16_e32 vcc, s12, v1
	s_and_b64 s[12:13], vcc, exec
	s_andn2_saveexec_b64 s[6:7], s[6:7]
	s_cbranch_execnz .LBB63_1300
.LBB63_1285:
	s_or_b64 exec, exec, s[6:7]
	v_mov_b32_e32 v3, 0
	s_and_saveexec_b64 s[6:7], s[12:13]
	s_cbranch_execz .LBB63_1287
.LBB63_1286:
	v_lshlrev_b32_e32 v3, 24, v1
	v_and_b32_e32 v1, 0xffff, v1
	v_and_b32_e32 v8, 7, v1
	v_ffbh_u32_e32 v13, v8
	v_min_u32_e32 v13, 32, v13
	v_subrev_u32_e32 v14, 28, v13
	v_bfe_u32 v12, v1, 3, 4
	v_lshlrev_b32_e32 v1, v14, v1
	v_sub_u32_e32 v13, 29, v13
	v_and_b32_e32 v1, 7, v1
	v_cmp_eq_u32_e32 vcc, 0, v12
	v_cndmask_b32_e32 v12, v12, v13, vcc
	v_cndmask_b32_e32 v1, v8, v1, vcc
	v_mov_b32_e32 v8, 0x3b800000
	v_lshlrev_b32_e32 v1, 20, v1
	v_and_b32_e32 v3, 0x80000000, v3
	v_lshl_add_u32 v8, v12, 23, v8
	v_or3_b32 v1, v3, v8, v1
	v_cvt_i32_f32_e32 v3, v1
.LBB63_1287:
	s_or_b64 exec, exec, s[6:7]
.LBB63_1288:
	s_mov_b64 s[6:7], -1
.LBB63_1289:
	s_branch .LBB63_1320
.LBB63_1290:
	s_cmp_gt_i32 s15, 22
	s_cbranch_scc0 .LBB63_1298
; %bb.1291:
	s_cmp_lt_i32 s15, 24
	s_cbranch_scc1 .LBB63_1301
; %bb.1292:
	s_cmp_gt_i32 s15, 24
	s_cbranch_scc0 .LBB63_1302
; %bb.1293:
	global_load_ubyte v1, v[10:11], off
	s_movk_i32 s4, 0x7f
	s_mov_b64 s[6:7], 0
	s_waitcnt vmcnt(0)
	v_cmp_lt_i16_e32 vcc, s4, v1
	s_and_saveexec_b64 s[4:5], vcc
	s_xor_b64 s[4:5], exec, s[4:5]
	s_cbranch_execz .LBB63_1314
; %bb.1294:
	s_movk_i32 s6, 0x80
	v_cmp_ne_u16_e32 vcc, s6, v1
	s_and_b64 s[6:7], vcc, exec
	s_andn2_saveexec_b64 s[4:5], s[4:5]
	s_cbranch_execnz .LBB63_1315
.LBB63_1295:
	s_or_b64 exec, exec, s[4:5]
	v_mov_b32_e32 v3, 0
	s_and_saveexec_b64 s[4:5], s[6:7]
	s_cbranch_execz .LBB63_1297
.LBB63_1296:
	v_lshlrev_b32_e32 v3, 24, v1
	v_and_b32_e32 v1, 0xffff, v1
	v_and_b32_e32 v8, 3, v1
	v_ffbh_u32_e32 v13, v8
	v_min_u32_e32 v13, 32, v13
	v_subrev_u32_e32 v14, 29, v13
	v_bfe_u32 v12, v1, 2, 5
	v_lshlrev_b32_e32 v1, v14, v1
	v_sub_u32_e32 v13, 30, v13
	v_and_b32_e32 v1, 3, v1
	v_cmp_eq_u32_e32 vcc, 0, v12
	v_cndmask_b32_e32 v12, v12, v13, vcc
	v_cndmask_b32_e32 v1, v8, v1, vcc
	v_mov_b32_e32 v8, 0x37800000
	v_lshlrev_b32_e32 v1, 21, v1
	v_and_b32_e32 v3, 0x80000000, v3
	v_lshl_add_u32 v8, v12, 23, v8
	v_or3_b32 v1, v3, v8, v1
	v_cvt_i32_f32_e32 v3, v1
.LBB63_1297:
	s_or_b64 exec, exec, s[4:5]
	s_mov_b64 s[4:5], 0
	s_branch .LBB63_1303
.LBB63_1298:
	s_mov_b64 s[4:5], -1
                                        ; implicit-def: $vgpr3
	s_branch .LBB63_1309
.LBB63_1299:
	s_andn2_saveexec_b64 s[6:7], s[6:7]
	s_cbranch_execz .LBB63_1285
.LBB63_1300:
	v_cmp_ne_u16_e32 vcc, 0, v1
	s_andn2_b64 s[12:13], s[12:13], exec
	s_and_b64 s[16:17], vcc, exec
	s_or_b64 s[12:13], s[12:13], s[16:17]
	s_or_b64 exec, exec, s[6:7]
	v_mov_b32_e32 v3, 0
	s_and_saveexec_b64 s[6:7], s[12:13]
	s_cbranch_execnz .LBB63_1286
	s_branch .LBB63_1287
.LBB63_1301:
	s_mov_b64 s[4:5], -1
                                        ; implicit-def: $vgpr3
	s_branch .LBB63_1306
.LBB63_1302:
	s_mov_b64 s[4:5], -1
                                        ; implicit-def: $vgpr3
.LBB63_1303:
	s_and_b64 vcc, exec, s[4:5]
	s_cbranch_vccz .LBB63_1305
; %bb.1304:
	global_load_ubyte v1, v[10:11], off
	s_mov_b32 s4, 0x7f800000
	s_waitcnt vmcnt(0)
	v_lshlrev_b32_e32 v1, 24, v1
	v_and_b32_e32 v3, 0x7f000000, v1
	v_ffbh_u32_e32 v8, v3
	v_min_u32_e32 v8, 32, v8
	v_sub_u32_e64 v8, v8, 4 clamp
	v_lshlrev_b32_e32 v13, v8, v3
	v_lshlrev_b32_e32 v8, 23, v8
	v_lshrrev_b32_e32 v13, 4, v13
	v_add_u32_e32 v12, 0x1000000, v3
	v_sub_u32_e32 v8, v13, v8
	v_ashrrev_i32_e32 v12, 8, v12
	v_add_u32_e32 v8, 0x3c000000, v8
	v_and_or_b32 v8, v12, s4, v8
	v_cmp_ne_u32_e32 vcc, 0, v3
	v_cndmask_b32_e32 v3, 0, v8, vcc
	s_brev_b32 s4, 1
	v_and_or_b32 v1, v1, s4, v3
	v_cvt_i32_f32_e32 v3, v1
.LBB63_1305:
	s_mov_b64 s[4:5], 0
.LBB63_1306:
	s_andn2_b64 vcc, exec, s[4:5]
	s_cbranch_vccnz .LBB63_1308
; %bb.1307:
	global_load_ubyte v1, v[10:11], off
	s_movk_i32 s4, 0x7f00
	s_brev_b32 s5, 16
	s_waitcnt vmcnt(0)
	v_lshlrev_b16_e32 v3, 8, v1
	v_lshlrev_b32_e32 v1, 25, v1
	v_lshrrev_b32_e32 v8, 4, v1
	v_and_or_b32 v12, v3, s4, 0.5
	v_or_b32_e32 v8, 0x70000000, v8
	v_add_f32_e32 v12, -0.5, v12
	v_mul_f32_e32 v8, 0x7800000, v8
	v_cmp_gt_u32_e32 vcc, s5, v1
	v_bfe_i32 v3, v3, 0, 16
	v_cndmask_b32_e32 v1, v8, v12, vcc
	s_brev_b32 s4, 1
	v_and_or_b32 v1, v3, s4, v1
	v_cvt_i32_f32_e32 v3, v1
.LBB63_1308:
	s_mov_b64 s[4:5], 0
	s_mov_b64 s[6:7], -1
.LBB63_1309:
	s_andn2_b64 vcc, exec, s[4:5]
	s_mov_b64 s[4:5], 0
	s_cbranch_vccnz .LBB63_1320
; %bb.1310:
	s_cmp_gt_i32 s15, 14
	s_cbranch_scc0 .LBB63_1313
; %bb.1311:
	s_cmp_eq_u32 s15, 15
	s_cbranch_scc0 .LBB63_1316
; %bb.1312:
	global_load_ushort v1, v[10:11], off
	s_mov_b64 s[0:1], 0
	s_mov_b64 s[6:7], -1
	s_waitcnt vmcnt(0)
	v_lshlrev_b32_e32 v1, 16, v1
	v_cvt_i32_f32_e32 v3, v1
	s_branch .LBB63_1317
.LBB63_1313:
	s_mov_b64 s[12:13], -1
                                        ; implicit-def: $vgpr3
	s_branch .LBB63_1318
.LBB63_1314:
	s_andn2_saveexec_b64 s[4:5], s[4:5]
	s_cbranch_execz .LBB63_1295
.LBB63_1315:
	v_cmp_ne_u16_e32 vcc, 0, v1
	s_andn2_b64 s[6:7], s[6:7], exec
	s_and_b64 s[12:13], vcc, exec
	s_or_b64 s[6:7], s[6:7], s[12:13]
	s_or_b64 exec, exec, s[4:5]
	v_mov_b32_e32 v3, 0
	s_and_saveexec_b64 s[4:5], s[6:7]
	s_cbranch_execnz .LBB63_1296
	s_branch .LBB63_1297
.LBB63_1316:
	s_mov_b64 s[0:1], -1
                                        ; implicit-def: $vgpr3
.LBB63_1317:
	s_mov_b64 s[12:13], 0
.LBB63_1318:
	s_and_b64 vcc, exec, s[12:13]
	s_cbranch_vccz .LBB63_1320
; %bb.1319:
	s_cmp_lg_u32 s15, 11
	s_mov_b64 s[4:5], -1
	s_cselect_b64 s[0:1], -1, 0
.LBB63_1320:
	s_and_b64 vcc, exec, s[0:1]
	s_cbranch_vccnz .LBB63_1383
; %bb.1321:
	s_andn2_b64 vcc, exec, s[4:5]
	s_cbranch_vccnz .LBB63_1323
.LBB63_1322:
	global_load_ubyte v1, v[10:11], off
	s_mov_b64 s[6:7], -1
	s_waitcnt vmcnt(0)
	v_cmp_ne_u16_e32 vcc, 0, v1
	v_cndmask_b32_e64 v3, 0, 1, vcc
.LBB63_1323:
	s_branch .LBB63_1254
.LBB63_1324:
	s_and_b32 s4, 0xffff, s14
	s_cmp_lt_i32 s4, 5
	s_cbranch_scc1 .LBB63_1329
; %bb.1325:
	s_cmp_lt_i32 s4, 8
	s_cbranch_scc1 .LBB63_1330
; %bb.1326:
	;; [unrolled: 3-line block ×3, first 2 shown]
	s_cmp_gt_i32 s4, 9
	s_cbranch_scc0 .LBB63_1332
; %bb.1328:
	global_load_dwordx2 v[12:13], v[10:11], off
	s_mov_b64 s[0:1], 0
	s_waitcnt vmcnt(0)
	v_cvt_i32_f64_e32 v3, v[12:13]
	s_branch .LBB63_1333
.LBB63_1329:
                                        ; implicit-def: $vgpr3
	s_branch .LBB63_1351
.LBB63_1330:
	s_mov_b64 s[0:1], -1
                                        ; implicit-def: $vgpr3
	s_branch .LBB63_1339
.LBB63_1331:
	s_mov_b64 s[0:1], -1
                                        ; implicit-def: $vgpr3
	s_branch .LBB63_1336
.LBB63_1332:
	s_mov_b64 s[0:1], -1
                                        ; implicit-def: $vgpr3
.LBB63_1333:
	s_andn2_b64 vcc, exec, s[0:1]
	s_cbranch_vccnz .LBB63_1335
; %bb.1334:
	global_load_dword v1, v[10:11], off
	s_waitcnt vmcnt(0)
	v_cvt_i32_f32_e32 v3, v1
.LBB63_1335:
	s_mov_b64 s[0:1], 0
.LBB63_1336:
	s_andn2_b64 vcc, exec, s[0:1]
	s_cbranch_vccnz .LBB63_1338
; %bb.1337:
	global_load_dword v1, v[10:11], off
	s_waitcnt vmcnt(0)
	v_cvt_f32_f16_e32 v1, v1
	v_cvt_i32_f32_e32 v3, v1
.LBB63_1338:
	s_mov_b64 s[0:1], 0
.LBB63_1339:
	s_andn2_b64 vcc, exec, s[0:1]
	s_cbranch_vccnz .LBB63_1350
; %bb.1340:
	s_cmp_lt_i32 s4, 6
	s_cbranch_scc1 .LBB63_1343
; %bb.1341:
	s_cmp_gt_i32 s4, 6
	s_cbranch_scc0 .LBB63_1344
; %bb.1342:
	global_load_dwordx2 v[12:13], v[10:11], off
	s_mov_b64 s[0:1], 0
	s_waitcnt vmcnt(0)
	v_cvt_i32_f64_e32 v3, v[12:13]
	s_branch .LBB63_1345
.LBB63_1343:
	s_mov_b64 s[0:1], -1
                                        ; implicit-def: $vgpr3
	s_branch .LBB63_1348
.LBB63_1344:
	s_mov_b64 s[0:1], -1
                                        ; implicit-def: $vgpr3
.LBB63_1345:
	s_andn2_b64 vcc, exec, s[0:1]
	s_cbranch_vccnz .LBB63_1347
; %bb.1346:
	global_load_dword v1, v[10:11], off
	s_waitcnt vmcnt(0)
	v_cvt_i32_f32_e32 v3, v1
.LBB63_1347:
	s_mov_b64 s[0:1], 0
.LBB63_1348:
	s_andn2_b64 vcc, exec, s[0:1]
	s_cbranch_vccnz .LBB63_1350
; %bb.1349:
	global_load_ushort v1, v[10:11], off
	s_waitcnt vmcnt(0)
	v_cvt_f32_f16_e32 v1, v1
	v_cvt_i32_f32_e32 v3, v1
.LBB63_1350:
	s_cbranch_execnz .LBB63_1370
.LBB63_1351:
	s_cmp_lt_i32 s4, 2
	s_cbranch_scc1 .LBB63_1355
; %bb.1352:
	s_cmp_lt_i32 s4, 3
	s_cbranch_scc1 .LBB63_1356
; %bb.1353:
	s_cmp_gt_i32 s4, 3
	s_cbranch_scc0 .LBB63_1357
; %bb.1354:
	global_load_dword v3, v[10:11], off
	s_mov_b64 s[0:1], 0
	s_branch .LBB63_1358
.LBB63_1355:
	s_mov_b64 s[0:1], -1
                                        ; implicit-def: $vgpr3
	s_branch .LBB63_1364
.LBB63_1356:
	s_mov_b64 s[0:1], -1
                                        ; implicit-def: $vgpr3
	s_branch .LBB63_1361
.LBB63_1357:
	s_mov_b64 s[0:1], -1
                                        ; implicit-def: $vgpr3
.LBB63_1358:
	s_andn2_b64 vcc, exec, s[0:1]
	s_cbranch_vccnz .LBB63_1360
; %bb.1359:
	global_load_dword v3, v[10:11], off
.LBB63_1360:
	s_mov_b64 s[0:1], 0
.LBB63_1361:
	s_andn2_b64 vcc, exec, s[0:1]
	s_cbranch_vccnz .LBB63_1363
; %bb.1362:
	global_load_sshort v3, v[10:11], off
.LBB63_1363:
	s_mov_b64 s[0:1], 0
.LBB63_1364:
	s_andn2_b64 vcc, exec, s[0:1]
	s_cbranch_vccnz .LBB63_1370
; %bb.1365:
	s_cmp_gt_i32 s4, 0
	s_cbranch_scc0 .LBB63_1367
; %bb.1366:
	global_load_sbyte v3, v[10:11], off
	s_mov_b64 s[0:1], 0
	s_branch .LBB63_1368
.LBB63_1367:
	s_mov_b64 s[0:1], -1
                                        ; implicit-def: $vgpr3
.LBB63_1368:
	s_andn2_b64 vcc, exec, s[0:1]
	s_cbranch_vccnz .LBB63_1370
; %bb.1369:
	global_load_ubyte v3, v[10:11], off
.LBB63_1370:
.LBB63_1371:
	v_mov_b32_e32 v1, s11
	v_add_co_u32_e32 v8, vcc, s10, v9
	s_cmp_lt_i32 s14, 11
	v_addc_co_u32_e32 v9, vcc, 0, v1, vcc
	s_cbranch_scc1 .LBB63_1378
; %bb.1372:
	s_and_b32 s15, 0xffff, s14
	s_cmp_gt_i32 s15, 25
	s_mov_b64 s[4:5], 0
	s_cbranch_scc0 .LBB63_1380
; %bb.1373:
	s_cmp_gt_i32 s15, 28
	s_cbranch_scc0 .LBB63_1381
; %bb.1374:
	s_cmp_gt_i32 s15, 43
	;; [unrolled: 3-line block ×3, first 2 shown]
	s_cbranch_scc0 .LBB63_1384
; %bb.1376:
	s_cmp_eq_u32 s15, 46
	s_mov_b64 s[12:13], 0
	s_cbranch_scc0 .LBB63_1385
; %bb.1377:
	global_load_dword v1, v[8:9], off
	s_mov_b64 s[0:1], 0
	s_mov_b64 s[6:7], -1
	s_waitcnt vmcnt(0)
	v_lshlrev_b32_e32 v1, 16, v1
	v_cvt_i32_f32_e32 v1, v1
	s_branch .LBB63_1386
.LBB63_1378:
	s_mov_b64 s[6:7], 0
                                        ; implicit-def: $vgpr1
	s_cbranch_execnz .LBB63_1448
.LBB63_1379:
	s_andn2_b64 vcc, exec, s[6:7]
	s_cbranch_vccnz .LBB63_2055
	s_branch .LBB63_1496
.LBB63_1380:
	s_mov_b64 s[12:13], -1
	s_mov_b64 s[6:7], 0
	s_mov_b64 s[0:1], 0
                                        ; implicit-def: $vgpr1
	s_branch .LBB63_1413
.LBB63_1381:
	s_mov_b64 s[12:13], -1
	s_mov_b64 s[6:7], 0
	s_mov_b64 s[0:1], 0
                                        ; implicit-def: $vgpr1
	s_branch .LBB63_1396
.LBB63_1382:
	s_mov_b64 s[12:13], -1
	s_mov_b64 s[6:7], 0
	s_mov_b64 s[0:1], 0
                                        ; implicit-def: $vgpr1
	s_branch .LBB63_1391
.LBB63_1383:
	s_trap 2
	s_or_b64 s[2:3], s[2:3], exec
	s_cbranch_execz .LBB63_1322
	s_branch .LBB63_1323
.LBB63_1384:
	s_mov_b64 s[12:13], -1
	s_mov_b64 s[6:7], 0
	s_mov_b64 s[0:1], 0
                                        ; implicit-def: $vgpr1
	s_branch .LBB63_1386
.LBB63_1385:
	s_mov_b64 s[0:1], -1
                                        ; implicit-def: $vgpr1
	s_mov_b64 s[6:7], 0
.LBB63_1386:
	s_and_b64 vcc, exec, s[12:13]
	s_cbranch_vccz .LBB63_1390
; %bb.1387:
	s_cmp_eq_u32 s15, 44
	s_cbranch_scc0 .LBB63_1389
; %bb.1388:
	global_load_ubyte v1, v[8:9], off
	s_mov_b64 s[0:1], 0
	s_mov_b64 s[6:7], -1
	s_waitcnt vmcnt(0)
	v_lshlrev_b32_e32 v10, 23, v1
	v_cvt_i32_f32_e32 v10, v10
	v_cmp_ne_u32_e32 vcc, 0, v1
	v_cndmask_b32_e32 v1, 0, v10, vcc
	s_branch .LBB63_1390
.LBB63_1389:
	s_mov_b64 s[0:1], -1
                                        ; implicit-def: $vgpr1
.LBB63_1390:
	s_mov_b64 s[12:13], 0
.LBB63_1391:
	s_and_b64 vcc, exec, s[12:13]
	s_cbranch_vccz .LBB63_1395
; %bb.1392:
	s_cmp_eq_u32 s15, 29
	s_cbranch_scc0 .LBB63_1394
; %bb.1393:
	global_load_dword v1, v[8:9], off
	s_mov_b64 s[0:1], 0
	s_mov_b64 s[6:7], -1
	s_branch .LBB63_1395
.LBB63_1394:
	s_mov_b64 s[0:1], -1
                                        ; implicit-def: $vgpr1
.LBB63_1395:
	s_mov_b64 s[12:13], 0
.LBB63_1396:
	s_and_b64 vcc, exec, s[12:13]
	s_cbranch_vccz .LBB63_1412
; %bb.1397:
	s_cmp_lt_i32 s15, 27
	s_cbranch_scc1 .LBB63_1400
; %bb.1398:
	s_cmp_gt_i32 s15, 27
	s_cbranch_scc0 .LBB63_1401
; %bb.1399:
	global_load_dword v1, v[8:9], off
	s_mov_b64 s[6:7], 0
	s_branch .LBB63_1402
.LBB63_1400:
	s_mov_b64 s[6:7], -1
                                        ; implicit-def: $vgpr1
	s_branch .LBB63_1405
.LBB63_1401:
	s_mov_b64 s[6:7], -1
                                        ; implicit-def: $vgpr1
.LBB63_1402:
	s_andn2_b64 vcc, exec, s[6:7]
	s_cbranch_vccnz .LBB63_1404
; %bb.1403:
	global_load_ushort v1, v[8:9], off
.LBB63_1404:
	s_mov_b64 s[6:7], 0
.LBB63_1405:
	s_andn2_b64 vcc, exec, s[6:7]
	s_cbranch_vccnz .LBB63_1411
; %bb.1406:
	global_load_ubyte v10, v[8:9], off
	s_movk_i32 s6, 0x7f
	s_mov_b64 s[12:13], 0
	s_waitcnt vmcnt(0)
	v_cmp_lt_i16_e32 vcc, s6, v10
	s_and_saveexec_b64 s[6:7], vcc
	s_xor_b64 s[6:7], exec, s[6:7]
	s_cbranch_execz .LBB63_1423
; %bb.1407:
	s_movk_i32 s12, 0x80
	v_cmp_ne_u16_e32 vcc, s12, v10
	s_and_b64 s[12:13], vcc, exec
	s_andn2_saveexec_b64 s[6:7], s[6:7]
	s_cbranch_execnz .LBB63_1424
.LBB63_1408:
	s_or_b64 exec, exec, s[6:7]
	v_mov_b32_e32 v1, 0
	s_and_saveexec_b64 s[6:7], s[12:13]
	s_cbranch_execz .LBB63_1410
.LBB63_1409:
	v_lshlrev_b32_e32 v1, 24, v10
	v_and_b32_e32 v10, 0xffff, v10
	v_and_b32_e32 v11, 7, v10
	v_ffbh_u32_e32 v13, v11
	v_min_u32_e32 v13, 32, v13
	v_subrev_u32_e32 v14, 28, v13
	v_bfe_u32 v12, v10, 3, 4
	v_lshlrev_b32_e32 v10, v14, v10
	v_sub_u32_e32 v13, 29, v13
	v_and_b32_e32 v10, 7, v10
	v_cmp_eq_u32_e32 vcc, 0, v12
	v_cndmask_b32_e32 v12, v12, v13, vcc
	v_cndmask_b32_e32 v10, v11, v10, vcc
	v_mov_b32_e32 v11, 0x3b800000
	v_lshlrev_b32_e32 v10, 20, v10
	v_and_b32_e32 v1, 0x80000000, v1
	v_lshl_add_u32 v11, v12, 23, v11
	v_or3_b32 v1, v1, v11, v10
	v_cvt_i32_f32_e32 v1, v1
.LBB63_1410:
	s_or_b64 exec, exec, s[6:7]
.LBB63_1411:
	s_mov_b64 s[6:7], -1
.LBB63_1412:
	s_mov_b64 s[12:13], 0
.LBB63_1413:
	s_and_b64 vcc, exec, s[12:13]
	s_cbranch_vccz .LBB63_1444
; %bb.1414:
	s_cmp_gt_i32 s15, 22
	s_cbranch_scc0 .LBB63_1422
; %bb.1415:
	s_cmp_lt_i32 s15, 24
	s_cbranch_scc1 .LBB63_1425
; %bb.1416:
	s_cmp_gt_i32 s15, 24
	s_cbranch_scc0 .LBB63_1426
; %bb.1417:
	global_load_ubyte v10, v[8:9], off
	s_movk_i32 s4, 0x7f
	s_mov_b64 s[6:7], 0
	s_waitcnt vmcnt(0)
	v_cmp_lt_i16_e32 vcc, s4, v10
	s_and_saveexec_b64 s[4:5], vcc
	s_xor_b64 s[4:5], exec, s[4:5]
	s_cbranch_execz .LBB63_1438
; %bb.1418:
	s_movk_i32 s6, 0x80
	v_cmp_ne_u16_e32 vcc, s6, v10
	s_and_b64 s[6:7], vcc, exec
	s_andn2_saveexec_b64 s[4:5], s[4:5]
	s_cbranch_execnz .LBB63_1439
.LBB63_1419:
	s_or_b64 exec, exec, s[4:5]
	v_mov_b32_e32 v1, 0
	s_and_saveexec_b64 s[4:5], s[6:7]
	s_cbranch_execz .LBB63_1421
.LBB63_1420:
	v_lshlrev_b32_e32 v1, 24, v10
	v_and_b32_e32 v10, 0xffff, v10
	v_and_b32_e32 v11, 3, v10
	v_ffbh_u32_e32 v13, v11
	v_min_u32_e32 v13, 32, v13
	v_subrev_u32_e32 v14, 29, v13
	v_bfe_u32 v12, v10, 2, 5
	v_lshlrev_b32_e32 v10, v14, v10
	v_sub_u32_e32 v13, 30, v13
	v_and_b32_e32 v10, 3, v10
	v_cmp_eq_u32_e32 vcc, 0, v12
	v_cndmask_b32_e32 v12, v12, v13, vcc
	v_cndmask_b32_e32 v10, v11, v10, vcc
	v_mov_b32_e32 v11, 0x37800000
	v_lshlrev_b32_e32 v10, 21, v10
	v_and_b32_e32 v1, 0x80000000, v1
	v_lshl_add_u32 v11, v12, 23, v11
	v_or3_b32 v1, v1, v11, v10
	v_cvt_i32_f32_e32 v1, v1
.LBB63_1421:
	s_or_b64 exec, exec, s[4:5]
	s_mov_b64 s[4:5], 0
	s_branch .LBB63_1427
.LBB63_1422:
	s_mov_b64 s[4:5], -1
                                        ; implicit-def: $vgpr1
	s_branch .LBB63_1433
.LBB63_1423:
	s_andn2_saveexec_b64 s[6:7], s[6:7]
	s_cbranch_execz .LBB63_1408
.LBB63_1424:
	v_cmp_ne_u16_e32 vcc, 0, v10
	s_andn2_b64 s[12:13], s[12:13], exec
	s_and_b64 s[16:17], vcc, exec
	s_or_b64 s[12:13], s[12:13], s[16:17]
	s_or_b64 exec, exec, s[6:7]
	v_mov_b32_e32 v1, 0
	s_and_saveexec_b64 s[6:7], s[12:13]
	s_cbranch_execnz .LBB63_1409
	s_branch .LBB63_1410
.LBB63_1425:
	s_mov_b64 s[4:5], -1
                                        ; implicit-def: $vgpr1
	s_branch .LBB63_1430
.LBB63_1426:
	s_mov_b64 s[4:5], -1
                                        ; implicit-def: $vgpr1
.LBB63_1427:
	s_and_b64 vcc, exec, s[4:5]
	s_cbranch_vccz .LBB63_1429
; %bb.1428:
	global_load_ubyte v1, v[8:9], off
	s_mov_b32 s4, 0x7f800000
	s_waitcnt vmcnt(0)
	v_lshlrev_b32_e32 v1, 24, v1
	v_and_b32_e32 v10, 0x7f000000, v1
	v_ffbh_u32_e32 v11, v10
	v_min_u32_e32 v11, 32, v11
	v_sub_u32_e64 v11, v11, 4 clamp
	v_lshlrev_b32_e32 v13, v11, v10
	v_lshlrev_b32_e32 v11, 23, v11
	v_lshrrev_b32_e32 v13, 4, v13
	v_add_u32_e32 v12, 0x1000000, v10
	v_sub_u32_e32 v11, v13, v11
	v_ashrrev_i32_e32 v12, 8, v12
	v_add_u32_e32 v11, 0x3c000000, v11
	v_and_or_b32 v11, v12, s4, v11
	v_cmp_ne_u32_e32 vcc, 0, v10
	v_cndmask_b32_e32 v10, 0, v11, vcc
	s_brev_b32 s4, 1
	v_and_or_b32 v1, v1, s4, v10
	v_cvt_i32_f32_e32 v1, v1
.LBB63_1429:
	s_mov_b64 s[4:5], 0
.LBB63_1430:
	s_andn2_b64 vcc, exec, s[4:5]
	s_cbranch_vccnz .LBB63_1432
; %bb.1431:
	global_load_ubyte v1, v[8:9], off
	s_movk_i32 s4, 0x7f00
	s_brev_b32 s5, 16
	s_waitcnt vmcnt(0)
	v_lshlrev_b16_e32 v10, 8, v1
	v_lshlrev_b32_e32 v1, 25, v1
	v_lshrrev_b32_e32 v11, 4, v1
	v_and_or_b32 v12, v10, s4, 0.5
	v_or_b32_e32 v11, 0x70000000, v11
	v_add_f32_e32 v12, -0.5, v12
	v_mul_f32_e32 v11, 0x7800000, v11
	v_cmp_gt_u32_e32 vcc, s5, v1
	v_bfe_i32 v10, v10, 0, 16
	v_cndmask_b32_e32 v1, v11, v12, vcc
	s_brev_b32 s4, 1
	v_and_or_b32 v1, v10, s4, v1
	v_cvt_i32_f32_e32 v1, v1
.LBB63_1432:
	s_mov_b64 s[4:5], 0
	s_mov_b64 s[6:7], -1
.LBB63_1433:
	s_andn2_b64 vcc, exec, s[4:5]
	s_mov_b64 s[4:5], 0
	s_cbranch_vccnz .LBB63_1444
; %bb.1434:
	s_cmp_gt_i32 s15, 14
	s_cbranch_scc0 .LBB63_1437
; %bb.1435:
	s_cmp_eq_u32 s15, 15
	s_cbranch_scc0 .LBB63_1440
; %bb.1436:
	global_load_ushort v1, v[8:9], off
	s_mov_b64 s[0:1], 0
	s_mov_b64 s[6:7], -1
	s_waitcnt vmcnt(0)
	v_lshlrev_b32_e32 v1, 16, v1
	v_cvt_i32_f32_e32 v1, v1
	s_branch .LBB63_1441
.LBB63_1437:
	s_mov_b64 s[12:13], -1
                                        ; implicit-def: $vgpr1
	s_branch .LBB63_1442
.LBB63_1438:
	s_andn2_saveexec_b64 s[4:5], s[4:5]
	s_cbranch_execz .LBB63_1419
.LBB63_1439:
	v_cmp_ne_u16_e32 vcc, 0, v10
	s_andn2_b64 s[6:7], s[6:7], exec
	s_and_b64 s[12:13], vcc, exec
	s_or_b64 s[6:7], s[6:7], s[12:13]
	s_or_b64 exec, exec, s[4:5]
	v_mov_b32_e32 v1, 0
	s_and_saveexec_b64 s[4:5], s[6:7]
	s_cbranch_execnz .LBB63_1420
	s_branch .LBB63_1421
.LBB63_1440:
	s_mov_b64 s[0:1], -1
                                        ; implicit-def: $vgpr1
.LBB63_1441:
	s_mov_b64 s[12:13], 0
.LBB63_1442:
	s_and_b64 vcc, exec, s[12:13]
	s_cbranch_vccz .LBB63_1444
; %bb.1443:
	s_cmp_lg_u32 s15, 11
	s_mov_b64 s[4:5], -1
	s_cselect_b64 s[0:1], -1, 0
.LBB63_1444:
	s_and_b64 vcc, exec, s[0:1]
	s_cbranch_vccnz .LBB63_1507
; %bb.1445:
	s_andn2_b64 vcc, exec, s[4:5]
	s_cbranch_vccnz .LBB63_1447
.LBB63_1446:
	global_load_ubyte v1, v[8:9], off
	s_mov_b64 s[6:7], -1
	s_waitcnt vmcnt(0)
	v_cmp_ne_u16_e32 vcc, 0, v1
	v_cndmask_b32_e64 v1, 0, 1, vcc
.LBB63_1447:
	s_branch .LBB63_1379
.LBB63_1448:
	s_and_b32 s4, 0xffff, s14
	s_cmp_lt_i32 s4, 5
	s_cbranch_scc1 .LBB63_1453
; %bb.1449:
	s_cmp_lt_i32 s4, 8
	s_cbranch_scc1 .LBB63_1454
; %bb.1450:
	;; [unrolled: 3-line block ×3, first 2 shown]
	s_cmp_gt_i32 s4, 9
	s_cbranch_scc0 .LBB63_1456
; %bb.1452:
	global_load_dwordx2 v[10:11], v[8:9], off
	s_mov_b64 s[0:1], 0
	s_waitcnt vmcnt(0)
	v_cvt_i32_f64_e32 v1, v[10:11]
	s_branch .LBB63_1457
.LBB63_1453:
	s_mov_b64 s[0:1], -1
                                        ; implicit-def: $vgpr1
	s_branch .LBB63_1475
.LBB63_1454:
	s_mov_b64 s[0:1], -1
                                        ; implicit-def: $vgpr1
	s_branch .LBB63_1463
.LBB63_1455:
	s_mov_b64 s[0:1], -1
                                        ; implicit-def: $vgpr1
	s_branch .LBB63_1460
.LBB63_1456:
	s_mov_b64 s[0:1], -1
                                        ; implicit-def: $vgpr1
.LBB63_1457:
	s_andn2_b64 vcc, exec, s[0:1]
	s_cbranch_vccnz .LBB63_1459
; %bb.1458:
	global_load_dword v1, v[8:9], off
	s_waitcnt vmcnt(0)
	v_cvt_i32_f32_e32 v1, v1
.LBB63_1459:
	s_mov_b64 s[0:1], 0
.LBB63_1460:
	s_andn2_b64 vcc, exec, s[0:1]
	s_cbranch_vccnz .LBB63_1462
; %bb.1461:
	global_load_dword v1, v[8:9], off
	s_waitcnt vmcnt(0)
	v_cvt_f32_f16_e32 v1, v1
	v_cvt_i32_f32_e32 v1, v1
.LBB63_1462:
	s_mov_b64 s[0:1], 0
.LBB63_1463:
	s_andn2_b64 vcc, exec, s[0:1]
	s_cbranch_vccnz .LBB63_1474
; %bb.1464:
	s_cmp_lt_i32 s4, 6
	s_cbranch_scc1 .LBB63_1467
; %bb.1465:
	s_cmp_gt_i32 s4, 6
	s_cbranch_scc0 .LBB63_1468
; %bb.1466:
	global_load_dwordx2 v[10:11], v[8:9], off
	s_mov_b64 s[0:1], 0
	s_waitcnt vmcnt(0)
	v_cvt_i32_f64_e32 v1, v[10:11]
	s_branch .LBB63_1469
.LBB63_1467:
	s_mov_b64 s[0:1], -1
                                        ; implicit-def: $vgpr1
	s_branch .LBB63_1472
.LBB63_1468:
	s_mov_b64 s[0:1], -1
                                        ; implicit-def: $vgpr1
.LBB63_1469:
	s_andn2_b64 vcc, exec, s[0:1]
	s_cbranch_vccnz .LBB63_1471
; %bb.1470:
	global_load_dword v1, v[8:9], off
	s_waitcnt vmcnt(0)
	v_cvt_i32_f32_e32 v1, v1
.LBB63_1471:
	s_mov_b64 s[0:1], 0
.LBB63_1472:
	s_andn2_b64 vcc, exec, s[0:1]
	s_cbranch_vccnz .LBB63_1474
; %bb.1473:
	global_load_ushort v1, v[8:9], off
	s_waitcnt vmcnt(0)
	v_cvt_f32_f16_e32 v1, v1
	v_cvt_i32_f32_e32 v1, v1
.LBB63_1474:
	s_mov_b64 s[0:1], 0
.LBB63_1475:
	s_andn2_b64 vcc, exec, s[0:1]
	s_cbranch_vccnz .LBB63_1495
; %bb.1476:
	s_cmp_lt_i32 s4, 2
	s_cbranch_scc1 .LBB63_1480
; %bb.1477:
	s_cmp_lt_i32 s4, 3
	s_cbranch_scc1 .LBB63_1481
; %bb.1478:
	s_cmp_gt_i32 s4, 3
	s_cbranch_scc0 .LBB63_1482
; %bb.1479:
	global_load_dword v1, v[8:9], off
	s_mov_b64 s[0:1], 0
	s_branch .LBB63_1483
.LBB63_1480:
	s_mov_b64 s[0:1], -1
                                        ; implicit-def: $vgpr1
	s_branch .LBB63_1489
.LBB63_1481:
	s_mov_b64 s[0:1], -1
                                        ; implicit-def: $vgpr1
	s_branch .LBB63_1486
.LBB63_1482:
	s_mov_b64 s[0:1], -1
                                        ; implicit-def: $vgpr1
.LBB63_1483:
	s_andn2_b64 vcc, exec, s[0:1]
	s_cbranch_vccnz .LBB63_1485
; %bb.1484:
	global_load_dword v1, v[8:9], off
.LBB63_1485:
	s_mov_b64 s[0:1], 0
.LBB63_1486:
	s_andn2_b64 vcc, exec, s[0:1]
	s_cbranch_vccnz .LBB63_1488
; %bb.1487:
	global_load_sshort v1, v[8:9], off
.LBB63_1488:
	s_mov_b64 s[0:1], 0
.LBB63_1489:
	s_andn2_b64 vcc, exec, s[0:1]
	s_cbranch_vccnz .LBB63_1495
; %bb.1490:
	s_cmp_gt_i32 s4, 0
	s_cbranch_scc0 .LBB63_1492
; %bb.1491:
	global_load_sbyte v1, v[8:9], off
	s_mov_b64 s[0:1], 0
	s_branch .LBB63_1493
.LBB63_1492:
	s_mov_b64 s[0:1], -1
                                        ; implicit-def: $vgpr1
.LBB63_1493:
	s_andn2_b64 vcc, exec, s[0:1]
	s_cbranch_vccnz .LBB63_1495
; %bb.1494:
	global_load_ubyte v1, v[8:9], off
.LBB63_1495:
.LBB63_1496:
	v_mov_b32_e32 v8, s11
	v_add_co_u32_e32 v7, vcc, s10, v7
	s_cmp_lt_i32 s14, 11
	v_addc_co_u32_e32 v8, vcc, 0, v8, vcc
	s_cbranch_scc1 .LBB63_1503
; %bb.1497:
	s_and_b32 s12, 0xffff, s14
	s_cmp_gt_i32 s12, 25
	s_mov_b64 s[4:5], 0
	s_cbranch_scc0 .LBB63_1504
; %bb.1498:
	s_cmp_gt_i32 s12, 28
	s_cbranch_scc0 .LBB63_1505
; %bb.1499:
	s_cmp_gt_i32 s12, 43
	;; [unrolled: 3-line block ×3, first 2 shown]
	s_cbranch_scc0 .LBB63_1508
; %bb.1501:
	s_cmp_eq_u32 s12, 46
	s_mov_b64 s[10:11], 0
	s_cbranch_scc0 .LBB63_1509
; %bb.1502:
	global_load_dword v9, v[7:8], off
	s_mov_b64 s[0:1], 0
	s_mov_b64 s[6:7], -1
	s_waitcnt vmcnt(0)
	v_lshlrev_b32_e32 v9, 16, v9
	v_cvt_i32_f32_e32 v9, v9
	s_branch .LBB63_1510
.LBB63_1503:
	s_mov_b64 s[0:1], -1
	s_mov_b64 s[6:7], 0
                                        ; implicit-def: $vgpr9
	s_branch .LBB63_1572
.LBB63_1504:
	s_mov_b64 s[10:11], -1
	s_mov_b64 s[6:7], 0
	s_mov_b64 s[0:1], 0
                                        ; implicit-def: $vgpr9
	s_branch .LBB63_1537
.LBB63_1505:
	s_mov_b64 s[10:11], -1
	s_mov_b64 s[6:7], 0
	s_mov_b64 s[0:1], 0
                                        ; implicit-def: $vgpr9
	s_branch .LBB63_1520
.LBB63_1506:
	s_mov_b64 s[10:11], -1
	s_mov_b64 s[6:7], 0
	s_mov_b64 s[0:1], 0
                                        ; implicit-def: $vgpr9
	s_branch .LBB63_1515
.LBB63_1507:
	s_trap 2
	s_or_b64 s[2:3], s[2:3], exec
	s_cbranch_execz .LBB63_1446
	s_branch .LBB63_1447
.LBB63_1508:
	s_mov_b64 s[10:11], -1
	s_mov_b64 s[6:7], 0
	s_mov_b64 s[0:1], 0
                                        ; implicit-def: $vgpr9
	s_branch .LBB63_1510
.LBB63_1509:
	s_mov_b64 s[0:1], -1
                                        ; implicit-def: $vgpr9
	s_mov_b64 s[6:7], 0
.LBB63_1510:
	s_and_b64 vcc, exec, s[10:11]
	s_cbranch_vccz .LBB63_1514
; %bb.1511:
	s_cmp_eq_u32 s12, 44
	s_cbranch_scc0 .LBB63_1513
; %bb.1512:
	global_load_ubyte v9, v[7:8], off
	s_mov_b64 s[0:1], 0
	s_mov_b64 s[6:7], -1
	s_waitcnt vmcnt(0)
	v_lshlrev_b32_e32 v10, 23, v9
	v_cvt_i32_f32_e32 v10, v10
	v_cmp_ne_u32_e32 vcc, 0, v9
	v_cndmask_b32_e32 v9, 0, v10, vcc
	s_branch .LBB63_1514
.LBB63_1513:
	s_mov_b64 s[0:1], -1
                                        ; implicit-def: $vgpr9
.LBB63_1514:
	s_mov_b64 s[10:11], 0
.LBB63_1515:
	s_and_b64 vcc, exec, s[10:11]
	s_cbranch_vccz .LBB63_1519
; %bb.1516:
	s_cmp_eq_u32 s12, 29
	s_cbranch_scc0 .LBB63_1518
; %bb.1517:
	global_load_dword v9, v[7:8], off
	s_mov_b64 s[0:1], 0
	s_mov_b64 s[6:7], -1
	s_branch .LBB63_1519
.LBB63_1518:
	s_mov_b64 s[0:1], -1
                                        ; implicit-def: $vgpr9
.LBB63_1519:
	s_mov_b64 s[10:11], 0
.LBB63_1520:
	s_and_b64 vcc, exec, s[10:11]
	s_cbranch_vccz .LBB63_1536
; %bb.1521:
	s_cmp_lt_i32 s12, 27
	s_cbranch_scc1 .LBB63_1524
; %bb.1522:
	s_cmp_gt_i32 s12, 27
	s_cbranch_scc0 .LBB63_1525
; %bb.1523:
	global_load_dword v9, v[7:8], off
	s_mov_b64 s[6:7], 0
	s_branch .LBB63_1526
.LBB63_1524:
	s_mov_b64 s[6:7], -1
                                        ; implicit-def: $vgpr9
	s_branch .LBB63_1529
.LBB63_1525:
	s_mov_b64 s[6:7], -1
                                        ; implicit-def: $vgpr9
.LBB63_1526:
	s_andn2_b64 vcc, exec, s[6:7]
	s_cbranch_vccnz .LBB63_1528
; %bb.1527:
	global_load_ushort v9, v[7:8], off
.LBB63_1528:
	s_mov_b64 s[6:7], 0
.LBB63_1529:
	s_andn2_b64 vcc, exec, s[6:7]
	s_cbranch_vccnz .LBB63_1535
; %bb.1530:
	global_load_ubyte v10, v[7:8], off
	s_movk_i32 s6, 0x7f
	s_mov_b64 s[10:11], 0
	s_waitcnt vmcnt(0)
	v_cmp_lt_i16_e32 vcc, s6, v10
	s_and_saveexec_b64 s[6:7], vcc
	s_xor_b64 s[6:7], exec, s[6:7]
	s_cbranch_execz .LBB63_1547
; %bb.1531:
	s_movk_i32 s10, 0x80
	v_cmp_ne_u16_e32 vcc, s10, v10
	s_and_b64 s[10:11], vcc, exec
	s_andn2_saveexec_b64 s[6:7], s[6:7]
	s_cbranch_execnz .LBB63_1548
.LBB63_1532:
	s_or_b64 exec, exec, s[6:7]
	v_mov_b32_e32 v9, 0
	s_and_saveexec_b64 s[6:7], s[10:11]
	s_cbranch_execz .LBB63_1534
.LBB63_1533:
	v_lshlrev_b32_e32 v9, 24, v10
	v_and_b32_e32 v10, 0xffff, v10
	v_and_b32_e32 v11, 7, v10
	v_ffbh_u32_e32 v13, v11
	v_min_u32_e32 v13, 32, v13
	v_subrev_u32_e32 v14, 28, v13
	v_bfe_u32 v12, v10, 3, 4
	v_lshlrev_b32_e32 v10, v14, v10
	v_sub_u32_e32 v13, 29, v13
	v_and_b32_e32 v10, 7, v10
	v_cmp_eq_u32_e32 vcc, 0, v12
	v_cndmask_b32_e32 v12, v12, v13, vcc
	v_cndmask_b32_e32 v10, v11, v10, vcc
	v_mov_b32_e32 v11, 0x3b800000
	v_lshlrev_b32_e32 v10, 20, v10
	v_and_b32_e32 v9, 0x80000000, v9
	v_lshl_add_u32 v11, v12, 23, v11
	v_or3_b32 v9, v9, v11, v10
	v_cvt_i32_f32_e32 v9, v9
.LBB63_1534:
	s_or_b64 exec, exec, s[6:7]
.LBB63_1535:
	s_mov_b64 s[6:7], -1
.LBB63_1536:
	s_mov_b64 s[10:11], 0
.LBB63_1537:
	s_and_b64 vcc, exec, s[10:11]
	s_cbranch_vccz .LBB63_1568
; %bb.1538:
	s_cmp_gt_i32 s12, 22
	s_cbranch_scc0 .LBB63_1546
; %bb.1539:
	s_cmp_lt_i32 s12, 24
	s_cbranch_scc1 .LBB63_1549
; %bb.1540:
	s_cmp_gt_i32 s12, 24
	s_cbranch_scc0 .LBB63_1550
; %bb.1541:
	global_load_ubyte v10, v[7:8], off
	s_movk_i32 s4, 0x7f
	s_mov_b64 s[6:7], 0
	s_waitcnt vmcnt(0)
	v_cmp_lt_i16_e32 vcc, s4, v10
	s_and_saveexec_b64 s[4:5], vcc
	s_xor_b64 s[4:5], exec, s[4:5]
	s_cbranch_execz .LBB63_1562
; %bb.1542:
	s_movk_i32 s6, 0x80
	v_cmp_ne_u16_e32 vcc, s6, v10
	s_and_b64 s[6:7], vcc, exec
	s_andn2_saveexec_b64 s[4:5], s[4:5]
	s_cbranch_execnz .LBB63_1563
.LBB63_1543:
	s_or_b64 exec, exec, s[4:5]
	v_mov_b32_e32 v9, 0
	s_and_saveexec_b64 s[4:5], s[6:7]
	s_cbranch_execz .LBB63_1545
.LBB63_1544:
	v_lshlrev_b32_e32 v9, 24, v10
	v_and_b32_e32 v10, 0xffff, v10
	v_and_b32_e32 v11, 3, v10
	v_ffbh_u32_e32 v13, v11
	v_min_u32_e32 v13, 32, v13
	v_subrev_u32_e32 v14, 29, v13
	v_bfe_u32 v12, v10, 2, 5
	v_lshlrev_b32_e32 v10, v14, v10
	v_sub_u32_e32 v13, 30, v13
	v_and_b32_e32 v10, 3, v10
	v_cmp_eq_u32_e32 vcc, 0, v12
	v_cndmask_b32_e32 v12, v12, v13, vcc
	v_cndmask_b32_e32 v10, v11, v10, vcc
	v_mov_b32_e32 v11, 0x37800000
	v_lshlrev_b32_e32 v10, 21, v10
	v_and_b32_e32 v9, 0x80000000, v9
	v_lshl_add_u32 v11, v12, 23, v11
	v_or3_b32 v9, v9, v11, v10
	v_cvt_i32_f32_e32 v9, v9
.LBB63_1545:
	s_or_b64 exec, exec, s[4:5]
	s_mov_b64 s[4:5], 0
	s_branch .LBB63_1551
.LBB63_1546:
	s_mov_b64 s[4:5], -1
                                        ; implicit-def: $vgpr9
	s_branch .LBB63_1557
.LBB63_1547:
	s_andn2_saveexec_b64 s[6:7], s[6:7]
	s_cbranch_execz .LBB63_1532
.LBB63_1548:
	v_cmp_ne_u16_e32 vcc, 0, v10
	s_andn2_b64 s[10:11], s[10:11], exec
	s_and_b64 s[16:17], vcc, exec
	s_or_b64 s[10:11], s[10:11], s[16:17]
	s_or_b64 exec, exec, s[6:7]
	v_mov_b32_e32 v9, 0
	s_and_saveexec_b64 s[6:7], s[10:11]
	s_cbranch_execnz .LBB63_1533
	s_branch .LBB63_1534
.LBB63_1549:
	s_mov_b64 s[4:5], -1
                                        ; implicit-def: $vgpr9
	s_branch .LBB63_1554
.LBB63_1550:
	s_mov_b64 s[4:5], -1
                                        ; implicit-def: $vgpr9
.LBB63_1551:
	s_and_b64 vcc, exec, s[4:5]
	s_cbranch_vccz .LBB63_1553
; %bb.1552:
	global_load_ubyte v9, v[7:8], off
	s_mov_b32 s4, 0x7f800000
	s_waitcnt vmcnt(0)
	v_lshlrev_b32_e32 v9, 24, v9
	v_and_b32_e32 v10, 0x7f000000, v9
	v_ffbh_u32_e32 v11, v10
	v_min_u32_e32 v11, 32, v11
	v_sub_u32_e64 v11, v11, 4 clamp
	v_lshlrev_b32_e32 v13, v11, v10
	v_lshlrev_b32_e32 v11, 23, v11
	v_lshrrev_b32_e32 v13, 4, v13
	v_add_u32_e32 v12, 0x1000000, v10
	v_sub_u32_e32 v11, v13, v11
	v_ashrrev_i32_e32 v12, 8, v12
	v_add_u32_e32 v11, 0x3c000000, v11
	v_and_or_b32 v11, v12, s4, v11
	v_cmp_ne_u32_e32 vcc, 0, v10
	v_cndmask_b32_e32 v10, 0, v11, vcc
	s_brev_b32 s4, 1
	v_and_or_b32 v9, v9, s4, v10
	v_cvt_i32_f32_e32 v9, v9
.LBB63_1553:
	s_mov_b64 s[4:5], 0
.LBB63_1554:
	s_andn2_b64 vcc, exec, s[4:5]
	s_cbranch_vccnz .LBB63_1556
; %bb.1555:
	global_load_ubyte v9, v[7:8], off
	s_movk_i32 s4, 0x7f00
	s_brev_b32 s5, 16
	s_waitcnt vmcnt(0)
	v_lshlrev_b16_e32 v10, 8, v9
	v_lshlrev_b32_e32 v9, 25, v9
	v_lshrrev_b32_e32 v11, 4, v9
	v_and_or_b32 v12, v10, s4, 0.5
	v_or_b32_e32 v11, 0x70000000, v11
	v_add_f32_e32 v12, -0.5, v12
	v_mul_f32_e32 v11, 0x7800000, v11
	v_cmp_gt_u32_e32 vcc, s5, v9
	v_bfe_i32 v10, v10, 0, 16
	v_cndmask_b32_e32 v9, v11, v12, vcc
	s_brev_b32 s4, 1
	v_and_or_b32 v9, v10, s4, v9
	v_cvt_i32_f32_e32 v9, v9
.LBB63_1556:
	s_mov_b64 s[4:5], 0
	s_mov_b64 s[6:7], -1
.LBB63_1557:
	s_andn2_b64 vcc, exec, s[4:5]
	s_mov_b64 s[4:5], 0
	s_cbranch_vccnz .LBB63_1568
; %bb.1558:
	s_cmp_gt_i32 s12, 14
	s_cbranch_scc0 .LBB63_1561
; %bb.1559:
	s_cmp_eq_u32 s12, 15
	s_cbranch_scc0 .LBB63_1564
; %bb.1560:
	global_load_ushort v9, v[7:8], off
	s_mov_b64 s[0:1], 0
	s_mov_b64 s[6:7], -1
	s_waitcnt vmcnt(0)
	v_lshlrev_b32_e32 v9, 16, v9
	v_cvt_i32_f32_e32 v9, v9
	s_branch .LBB63_1565
.LBB63_1561:
	s_mov_b64 s[10:11], -1
                                        ; implicit-def: $vgpr9
	s_branch .LBB63_1566
.LBB63_1562:
	s_andn2_saveexec_b64 s[4:5], s[4:5]
	s_cbranch_execz .LBB63_1543
.LBB63_1563:
	v_cmp_ne_u16_e32 vcc, 0, v10
	s_andn2_b64 s[6:7], s[6:7], exec
	s_and_b64 s[10:11], vcc, exec
	s_or_b64 s[6:7], s[6:7], s[10:11]
	s_or_b64 exec, exec, s[4:5]
	v_mov_b32_e32 v9, 0
	s_and_saveexec_b64 s[4:5], s[6:7]
	s_cbranch_execnz .LBB63_1544
	s_branch .LBB63_1545
.LBB63_1564:
	s_mov_b64 s[0:1], -1
                                        ; implicit-def: $vgpr9
.LBB63_1565:
	s_mov_b64 s[10:11], 0
.LBB63_1566:
	s_and_b64 vcc, exec, s[10:11]
	s_cbranch_vccz .LBB63_1568
; %bb.1567:
	s_cmp_lg_u32 s12, 11
	s_mov_b64 s[4:5], -1
	s_cselect_b64 s[0:1], -1, 0
.LBB63_1568:
	s_and_b64 vcc, exec, s[0:1]
	s_cbranch_vccnz .LBB63_2101
; %bb.1569:
	s_andn2_b64 vcc, exec, s[4:5]
	s_cbranch_vccnz .LBB63_1571
.LBB63_1570:
	global_load_ubyte v9, v[7:8], off
	s_mov_b64 s[6:7], -1
	s_waitcnt vmcnt(0)
	v_cmp_ne_u16_e32 vcc, 0, v9
	v_cndmask_b32_e64 v9, 0, 1, vcc
.LBB63_1571:
	s_mov_b64 s[0:1], 0
.LBB63_1572:
	s_and_b64 vcc, exec, s[0:1]
	s_cbranch_vccz .LBB63_1621
; %bb.1573:
	s_and_b32 s4, 0xffff, s14
	s_cmp_lt_i32 s4, 5
	s_cbranch_scc1 .LBB63_1578
; %bb.1574:
	s_cmp_lt_i32 s4, 8
	s_cbranch_scc1 .LBB63_1579
; %bb.1575:
	;; [unrolled: 3-line block ×3, first 2 shown]
	s_cmp_gt_i32 s4, 9
	s_cbranch_scc0 .LBB63_1581
; %bb.1577:
	global_load_dwordx2 v[9:10], v[7:8], off
	s_mov_b64 s[0:1], 0
	s_waitcnt vmcnt(0)
	v_cvt_i32_f64_e32 v9, v[9:10]
	s_branch .LBB63_1582
.LBB63_1578:
	s_mov_b64 s[0:1], -1
                                        ; implicit-def: $vgpr9
	s_branch .LBB63_1600
.LBB63_1579:
	s_mov_b64 s[0:1], -1
                                        ; implicit-def: $vgpr9
	s_branch .LBB63_1588
.LBB63_1580:
	s_mov_b64 s[0:1], -1
                                        ; implicit-def: $vgpr9
	s_branch .LBB63_1585
.LBB63_1581:
	s_mov_b64 s[0:1], -1
                                        ; implicit-def: $vgpr9
.LBB63_1582:
	s_andn2_b64 vcc, exec, s[0:1]
	s_cbranch_vccnz .LBB63_1584
; %bb.1583:
	global_load_dword v9, v[7:8], off
	s_waitcnt vmcnt(0)
	v_cvt_i32_f32_e32 v9, v9
.LBB63_1584:
	s_mov_b64 s[0:1], 0
.LBB63_1585:
	s_andn2_b64 vcc, exec, s[0:1]
	s_cbranch_vccnz .LBB63_1587
; %bb.1586:
	global_load_dword v9, v[7:8], off
	s_waitcnt vmcnt(0)
	v_cvt_f32_f16_e32 v9, v9
	v_cvt_i32_f32_e32 v9, v9
.LBB63_1587:
	s_mov_b64 s[0:1], 0
.LBB63_1588:
	s_andn2_b64 vcc, exec, s[0:1]
	s_cbranch_vccnz .LBB63_1599
; %bb.1589:
	s_cmp_lt_i32 s4, 6
	s_cbranch_scc1 .LBB63_1592
; %bb.1590:
	s_cmp_gt_i32 s4, 6
	s_cbranch_scc0 .LBB63_1593
; %bb.1591:
	global_load_dwordx2 v[9:10], v[7:8], off
	s_mov_b64 s[0:1], 0
	s_waitcnt vmcnt(0)
	v_cvt_i32_f64_e32 v9, v[9:10]
	s_branch .LBB63_1594
.LBB63_1592:
	s_mov_b64 s[0:1], -1
                                        ; implicit-def: $vgpr9
	s_branch .LBB63_1597
.LBB63_1593:
	s_mov_b64 s[0:1], -1
                                        ; implicit-def: $vgpr9
.LBB63_1594:
	s_andn2_b64 vcc, exec, s[0:1]
	s_cbranch_vccnz .LBB63_1596
; %bb.1595:
	global_load_dword v9, v[7:8], off
	s_waitcnt vmcnt(0)
	v_cvt_i32_f32_e32 v9, v9
.LBB63_1596:
	s_mov_b64 s[0:1], 0
.LBB63_1597:
	s_andn2_b64 vcc, exec, s[0:1]
	s_cbranch_vccnz .LBB63_1599
; %bb.1598:
	global_load_ushort v9, v[7:8], off
	s_waitcnt vmcnt(0)
	v_cvt_f32_f16_e32 v9, v9
	v_cvt_i32_f32_e32 v9, v9
.LBB63_1599:
	s_mov_b64 s[0:1], 0
.LBB63_1600:
	s_andn2_b64 vcc, exec, s[0:1]
	s_cbranch_vccnz .LBB63_1620
; %bb.1601:
	s_cmp_lt_i32 s4, 2
	s_cbranch_scc1 .LBB63_1605
; %bb.1602:
	s_cmp_lt_i32 s4, 3
	s_cbranch_scc1 .LBB63_1606
; %bb.1603:
	s_cmp_gt_i32 s4, 3
	s_cbranch_scc0 .LBB63_1607
; %bb.1604:
	global_load_dword v9, v[7:8], off
	s_mov_b64 s[0:1], 0
	s_branch .LBB63_1608
.LBB63_1605:
	s_mov_b64 s[0:1], -1
                                        ; implicit-def: $vgpr9
	s_branch .LBB63_1614
.LBB63_1606:
	s_mov_b64 s[0:1], -1
                                        ; implicit-def: $vgpr9
	s_branch .LBB63_1611
.LBB63_1607:
	s_mov_b64 s[0:1], -1
                                        ; implicit-def: $vgpr9
.LBB63_1608:
	s_andn2_b64 vcc, exec, s[0:1]
	s_cbranch_vccnz .LBB63_1610
; %bb.1609:
	global_load_dword v9, v[7:8], off
.LBB63_1610:
	s_mov_b64 s[0:1], 0
.LBB63_1611:
	s_andn2_b64 vcc, exec, s[0:1]
	s_cbranch_vccnz .LBB63_1613
; %bb.1612:
	global_load_sshort v9, v[7:8], off
.LBB63_1613:
	s_mov_b64 s[0:1], 0
.LBB63_1614:
	s_andn2_b64 vcc, exec, s[0:1]
	s_cbranch_vccnz .LBB63_1620
; %bb.1615:
	s_cmp_gt_i32 s4, 0
	s_cbranch_scc0 .LBB63_1617
; %bb.1616:
	global_load_sbyte v9, v[7:8], off
	s_mov_b64 s[0:1], 0
	s_branch .LBB63_1618
.LBB63_1617:
	s_mov_b64 s[0:1], -1
                                        ; implicit-def: $vgpr9
.LBB63_1618:
	s_andn2_b64 vcc, exec, s[0:1]
	s_cbranch_vccnz .LBB63_1620
; %bb.1619:
	global_load_ubyte v9, v[7:8], off
.LBB63_1620:
	s_mov_b64 s[6:7], -1
.LBB63_1621:
	s_andn2_b64 vcc, exec, s[6:7]
	s_cbranch_vccnz .LBB63_2055
; %bb.1622:
	s_load_dword s0, s[34:35], 0x164
	s_load_dwordx4 s[4:7], s[34:35], 0x158
	s_waitcnt lgkmcnt(0)
	s_and_b32 s18, s0, 0xff
	v_mov_b32_e32 v7, s5
	v_mov_b32_e32 v8, s6
	s_waitcnt vmcnt(0)
	v_cmp_lt_i32_e32 vcc, s4, v5
	v_cndmask_b32_e32 v5, v7, v8, vcc
	v_mov_b32_e32 v8, s9
	v_add_co_u32_e32 v7, vcc, s8, v6
	s_cmp_lt_i32 s18, 11
	v_addc_co_u32_e32 v8, vcc, 0, v8, vcc
	s_cbranch_scc1 .LBB63_1700
; %bb.1623:
	s_and_b32 s7, 0xffff, s18
	s_mov_b64 s[14:15], -1
	s_mov_b64 s[10:11], 0
	s_cmp_gt_i32 s7, 25
	s_mov_b64 s[12:13], 0
	s_mov_b64 s[0:1], 0
	s_cbranch_scc0 .LBB63_1656
; %bb.1624:
	s_cmp_gt_i32 s7, 28
	s_cbranch_scc0 .LBB63_1639
; %bb.1625:
	s_cmp_gt_i32 s7, 43
	;; [unrolled: 3-line block ×3, first 2 shown]
	s_cbranch_scc0 .LBB63_1629
; %bb.1627:
	s_mov_b64 s[0:1], -1
	s_mov_b64 s[14:15], 0
	s_cmp_eq_u32 s7, 46
	s_cbranch_scc0 .LBB63_1629
; %bb.1628:
	v_cvt_f32_i32_e32 v6, v5
	s_movk_i32 s12, 0x7fff
	s_mov_b64 s[0:1], 0
	v_bfe_u32 v10, v6, 16, 1
	v_add3_u32 v6, v6, v10, s12
	v_lshrrev_b32_e32 v6, 16, v6
	global_store_dword v[7:8], v6, off
	s_mov_b64 s[12:13], -1
.LBB63_1629:
	s_and_b64 vcc, exec, s[14:15]
	s_cbranch_vccz .LBB63_1634
; %bb.1630:
	s_cmp_eq_u32 s7, 44
	s_mov_b64 s[0:1], -1
	s_cbranch_scc0 .LBB63_1634
; %bb.1631:
	v_cvt_f32_i32_e32 v6, v5
	s_movk_i32 s0, 0xff
	v_mov_b32_e32 v11, 0xff
	v_bfe_u32 v10, v6, 23, 8
	v_cmp_ne_u32_e32 vcc, s0, v10
	s_and_saveexec_b64 s[12:13], vcc
; %bb.1632:
	s_mov_b32 s0, 0x3fffff
	v_lshrrev_b32_e32 v11, 23, v6
	v_and_b32_e32 v12, 0x400000, v6
	v_and_or_b32 v6, v6, s0, v10
	v_cmp_ne_u32_e32 vcc, 0, v12
	v_cmp_ne_u32_e64 s[0:1], 0, v6
	s_and_b64 s[0:1], vcc, s[0:1]
	v_cndmask_b32_e64 v6, 0, 1, s[0:1]
	v_add_u32_e32 v11, v11, v6
; %bb.1633:
	s_or_b64 exec, exec, s[12:13]
	s_mov_b64 s[0:1], 0
	s_mov_b64 s[12:13], -1
	global_store_byte v[7:8], v11, off
.LBB63_1634:
	s_mov_b64 s[14:15], 0
.LBB63_1635:
	s_and_b64 vcc, exec, s[14:15]
	s_cbranch_vccz .LBB63_1638
; %bb.1636:
	s_cmp_eq_u32 s7, 29
	s_mov_b64 s[0:1], -1
	s_cbranch_scc0 .LBB63_1638
; %bb.1637:
	v_ashrrev_i32_e32 v6, 31, v5
	global_store_dwordx2 v[7:8], v[5:6], off
	s_mov_b64 s[0:1], 0
	s_mov_b64 s[12:13], -1
.LBB63_1638:
	s_mov_b64 s[14:15], 0
.LBB63_1639:
	s_and_b64 vcc, exec, s[14:15]
	s_cbranch_vccz .LBB63_1655
; %bb.1640:
	s_cmp_lt_i32 s7, 27
	s_mov_b64 s[12:13], -1
	s_cbranch_scc1 .LBB63_1646
; %bb.1641:
	s_cmp_gt_i32 s7, 27
	s_cbranch_scc0 .LBB63_1643
; %bb.1642:
	s_mov_b64 s[12:13], 0
	global_store_dword v[7:8], v5, off
.LBB63_1643:
	s_andn2_b64 vcc, exec, s[12:13]
	s_cbranch_vccnz .LBB63_1645
; %bb.1644:
	global_store_short v[7:8], v5, off
.LBB63_1645:
	s_mov_b64 s[12:13], 0
.LBB63_1646:
	s_andn2_b64 vcc, exec, s[12:13]
	s_cbranch_vccnz .LBB63_1654
; %bb.1647:
	v_cvt_f32_i32_e32 v6, v5
	s_mov_b32 s12, 0x43800000
	v_mov_b32_e32 v11, 0x80
	v_and_b32_e32 v10, 0x7fffffff, v6
	v_cmp_gt_u32_e32 vcc, s12, v10
	s_and_saveexec_b64 s[12:13], vcc
	s_cbranch_execz .LBB63_1653
; %bb.1648:
	s_mov_b32 s14, 0x3bffffff
	v_cmp_lt_u32_e32 vcc, s14, v10
	s_mov_b64 s[14:15], 0
                                        ; implicit-def: $vgpr10
	s_and_saveexec_b64 s[16:17], vcc
	s_xor_b64 s[16:17], exec, s[16:17]
	s_cbranch_execz .LBB63_2102
; %bb.1649:
	v_bfe_u32 v10, v6, 20, 1
	s_mov_b32 s19, 0x487ffff
	v_add3_u32 v10, v6, v10, s19
	s_mov_b64 s[14:15], exec
	v_lshrrev_b32_e32 v10, 20, v10
	s_andn2_saveexec_b64 s[16:17], s[16:17]
	s_cbranch_execnz .LBB63_2103
.LBB63_1650:
	s_or_b64 exec, exec, s[16:17]
	v_mov_b32_e32 v11, 0
	s_and_saveexec_b64 s[16:17], s[14:15]
.LBB63_1651:
	v_lshrrev_b32_e32 v6, 24, v6
	s_movk_i32 s14, 0x80
	v_and_or_b32 v11, v6, s14, v10
.LBB63_1652:
	s_or_b64 exec, exec, s[16:17]
.LBB63_1653:
	s_or_b64 exec, exec, s[12:13]
	global_store_byte v[7:8], v11, off
.LBB63_1654:
	s_mov_b64 s[12:13], -1
.LBB63_1655:
	s_mov_b64 s[14:15], 0
.LBB63_1656:
	s_and_b64 vcc, exec, s[14:15]
	s_cbranch_vccz .LBB63_1696
; %bb.1657:
	s_cmp_gt_i32 s7, 22
	s_mov_b64 s[10:11], -1
	s_cbranch_scc0 .LBB63_1689
; %bb.1658:
	s_cmp_lt_i32 s7, 24
	s_cbranch_scc1 .LBB63_1678
; %bb.1659:
	s_cmp_gt_i32 s7, 24
	s_cbranch_scc0 .LBB63_1667
; %bb.1660:
	v_cvt_f32_i32_e32 v6, v5
	s_mov_b32 s10, 0x47800000
	v_mov_b32_e32 v11, 0x80
	v_and_b32_e32 v10, 0x7fffffff, v6
	v_cmp_gt_u32_e32 vcc, s10, v10
	s_and_saveexec_b64 s[10:11], vcc
	s_cbranch_execz .LBB63_1666
; %bb.1661:
	s_mov_b32 s12, 0x37ffffff
	v_cmp_lt_u32_e32 vcc, s12, v10
	s_mov_b64 s[12:13], 0
                                        ; implicit-def: $vgpr10
	s_and_saveexec_b64 s[14:15], vcc
	s_xor_b64 s[14:15], exec, s[14:15]
	s_cbranch_execz .LBB63_2105
; %bb.1662:
	v_bfe_u32 v10, v6, 21, 1
	s_mov_b32 s16, 0x88fffff
	v_add3_u32 v10, v6, v10, s16
	s_mov_b64 s[12:13], exec
	v_lshrrev_b32_e32 v10, 21, v10
	s_andn2_saveexec_b64 s[14:15], s[14:15]
	s_cbranch_execnz .LBB63_2106
.LBB63_1663:
	s_or_b64 exec, exec, s[14:15]
	v_mov_b32_e32 v11, 0
	s_and_saveexec_b64 s[14:15], s[12:13]
.LBB63_1664:
	v_lshrrev_b32_e32 v6, 24, v6
	s_movk_i32 s12, 0x80
	v_and_or_b32 v11, v6, s12, v10
.LBB63_1665:
	s_or_b64 exec, exec, s[14:15]
.LBB63_1666:
	s_or_b64 exec, exec, s[10:11]
	s_mov_b64 s[10:11], 0
	global_store_byte v[7:8], v11, off
.LBB63_1667:
	s_and_b64 vcc, exec, s[10:11]
	s_cbranch_vccz .LBB63_1677
; %bb.1668:
	v_cvt_f32_i32_e32 v6, v5
	s_mov_b32 s10, 0x43f00000
                                        ; implicit-def: $vgpr10
	v_and_b32_e32 v11, 0x7fffffff, v6
	v_cmp_gt_u32_e32 vcc, s10, v11
	s_and_saveexec_b64 s[10:11], vcc
	s_xor_b64 s[10:11], exec, s[10:11]
	s_cbranch_execz .LBB63_1674
; %bb.1669:
	s_mov_b32 s12, 0x3c7fffff
	v_cmp_lt_u32_e32 vcc, s12, v11
                                        ; implicit-def: $vgpr10
	s_and_saveexec_b64 s[12:13], vcc
	s_xor_b64 s[12:13], exec, s[12:13]
; %bb.1670:
	v_bfe_u32 v10, v6, 20, 1
	s_mov_b32 s14, 0x407ffff
	v_add3_u32 v10, v6, v10, s14
	v_lshrrev_b32_e32 v11, 20, v10
	v_and_b32_e32 v10, 0xff00000, v10
	s_mov_b32 s14, 0x7f00000
	v_mov_b32_e32 v12, 0x7e
	v_cmp_ne_u32_e32 vcc, s14, v10
	v_cndmask_b32_e32 v10, v12, v11, vcc
; %bb.1671:
	s_andn2_saveexec_b64 s[12:13], s[12:13]
; %bb.1672:
	s_mov_b32 s14, 0x46800000
	v_add_f32_e64 v10, |v6|, s14
; %bb.1673:
	s_or_b64 exec, exec, s[12:13]
                                        ; implicit-def: $vgpr11
.LBB63_1674:
	s_andn2_saveexec_b64 s[10:11], s[10:11]
; %bb.1675:
	s_mov_b32 s12, 0x7f800000
	v_mov_b32_e32 v10, 0x7e
	v_mov_b32_e32 v12, 0x7f
	v_cmp_lt_u32_e32 vcc, s12, v11
	v_cndmask_b32_e32 v10, v10, v12, vcc
; %bb.1676:
	s_or_b64 exec, exec, s[10:11]
	v_lshrrev_b32_e32 v6, 24, v6
	s_movk_i32 s10, 0x80
	v_and_or_b32 v6, v6, s10, v10
	global_store_byte v[7:8], v6, off
.LBB63_1677:
	s_mov_b64 s[10:11], 0
.LBB63_1678:
	s_andn2_b64 vcc, exec, s[10:11]
	s_cbranch_vccnz .LBB63_1688
; %bb.1679:
	v_cvt_f32_i32_e32 v6, v5
	s_mov_b32 s10, 0x47800000
                                        ; implicit-def: $vgpr10
	v_and_b32_e32 v11, 0x7fffffff, v6
	v_cmp_gt_u32_e32 vcc, s10, v11
	s_and_saveexec_b64 s[10:11], vcc
	s_xor_b64 s[10:11], exec, s[10:11]
	s_cbranch_execz .LBB63_1685
; %bb.1680:
	s_mov_b32 s12, 0x387fffff
	v_cmp_lt_u32_e32 vcc, s12, v11
                                        ; implicit-def: $vgpr10
	s_and_saveexec_b64 s[12:13], vcc
	s_xor_b64 s[12:13], exec, s[12:13]
; %bb.1681:
	v_bfe_u32 v10, v6, 21, 1
	s_mov_b32 s14, 0x80fffff
	v_add3_u32 v10, v6, v10, s14
	v_lshrrev_b32_e32 v10, 21, v10
; %bb.1682:
	s_andn2_saveexec_b64 s[12:13], s[12:13]
; %bb.1683:
	s_mov_b32 s14, 0x43000000
	v_add_f32_e64 v10, |v6|, s14
; %bb.1684:
	s_or_b64 exec, exec, s[12:13]
                                        ; implicit-def: $vgpr11
.LBB63_1685:
	s_andn2_saveexec_b64 s[10:11], s[10:11]
; %bb.1686:
	s_mov_b32 s12, 0x7f800000
	v_mov_b32_e32 v10, 0x7c
	v_mov_b32_e32 v12, 0x7f
	v_cmp_lt_u32_e32 vcc, s12, v11
	v_cndmask_b32_e32 v10, v10, v12, vcc
; %bb.1687:
	s_or_b64 exec, exec, s[10:11]
	v_lshrrev_b32_e32 v6, 24, v6
	s_movk_i32 s10, 0x80
	v_and_or_b32 v6, v6, s10, v10
	global_store_byte v[7:8], v6, off
.LBB63_1688:
	s_mov_b64 s[10:11], 0
	s_mov_b64 s[12:13], -1
.LBB63_1689:
	s_andn2_b64 vcc, exec, s[10:11]
	s_mov_b64 s[10:11], 0
	s_cbranch_vccnz .LBB63_1696
; %bb.1690:
	s_cmp_gt_i32 s7, 14
	s_mov_b64 s[14:15], -1
	s_cbranch_scc0 .LBB63_1694
; %bb.1691:
	s_cmp_eq_u32 s7, 15
	s_mov_b64 s[0:1], -1
	s_cbranch_scc0 .LBB63_1693
; %bb.1692:
	v_cvt_f32_i32_e32 v6, v5
	s_movk_i32 s10, 0x7fff
	s_mov_b64 s[0:1], 0
	s_mov_b64 s[12:13], -1
	v_bfe_u32 v10, v6, 16, 1
	v_add3_u32 v6, v6, v10, s10
	global_store_short_d16_hi v[7:8], v6, off
.LBB63_1693:
	s_mov_b64 s[14:15], 0
.LBB63_1694:
	s_mov_b64 s[10:11], 0
	s_and_b64 vcc, exec, s[14:15]
	s_cbranch_vccz .LBB63_1696
; %bb.1695:
	s_cmp_lg_u32 s7, 11
	s_mov_b64 s[10:11], -1
	s_cselect_b64 s[0:1], -1, 0
.LBB63_1696:
	s_and_b64 vcc, exec, s[0:1]
	s_cbranch_vccnz .LBB63_2104
; %bb.1697:
	s_andn2_b64 vcc, exec, s[10:11]
	s_cbranch_vccnz .LBB63_1699
.LBB63_1698:
	v_cmp_ne_u32_e32 vcc, 0, v5
	v_cndmask_b32_e64 v6, 0, 1, vcc
	s_mov_b64 s[12:13], -1
	global_store_byte v[7:8], v6, off
.LBB63_1699:
	s_mov_b64 s[0:1], 0
	s_branch .LBB63_1701
.LBB63_1700:
	s_mov_b64 s[0:1], -1
	s_mov_b64 s[12:13], 0
.LBB63_1701:
	s_and_b64 vcc, exec, s[0:1]
	s_cbranch_vccz .LBB63_1740
; %bb.1702:
	s_and_b32 s7, 0xffff, s18
	s_cmp_lt_i32 s7, 5
	s_mov_b64 s[0:1], -1
	s_cbranch_scc1 .LBB63_1723
; %bb.1703:
	s_cmp_lt_i32 s7, 8
	s_cbranch_scc1 .LBB63_1713
; %bb.1704:
	s_cmp_lt_i32 s7, 9
	s_cbranch_scc1 .LBB63_1710
; %bb.1705:
	s_cmp_gt_i32 s7, 9
	s_cbranch_scc0 .LBB63_1707
; %bb.1706:
	v_cvt_f64_i32_e32 v[10:11], v5
	v_mov_b32_e32 v12, 0
	v_mov_b32_e32 v13, v12
	s_mov_b64 s[0:1], 0
	global_store_dwordx4 v[7:8], v[10:13], off
.LBB63_1707:
	s_andn2_b64 vcc, exec, s[0:1]
	s_cbranch_vccnz .LBB63_1709
; %bb.1708:
	v_cvt_f32_i32_e32 v10, v5
	v_mov_b32_e32 v11, 0
	global_store_dwordx2 v[7:8], v[10:11], off
.LBB63_1709:
	s_mov_b64 s[0:1], 0
.LBB63_1710:
	s_andn2_b64 vcc, exec, s[0:1]
	s_cbranch_vccnz .LBB63_1712
; %bb.1711:
	v_cvt_f32_i32_e32 v6, v5
	v_cvt_f16_f32_e32 v6, v6
	global_store_dword v[7:8], v6, off
.LBB63_1712:
	s_mov_b64 s[0:1], 0
.LBB63_1713:
	s_andn2_b64 vcc, exec, s[0:1]
	s_cbranch_vccnz .LBB63_1722
; %bb.1714:
	s_cmp_lt_i32 s7, 6
	s_mov_b64 s[0:1], -1
	s_cbranch_scc1 .LBB63_1720
; %bb.1715:
	s_cmp_gt_i32 s7, 6
	s_cbranch_scc0 .LBB63_1717
; %bb.1716:
	v_cvt_f64_i32_e32 v[10:11], v5
	s_mov_b64 s[0:1], 0
	global_store_dwordx2 v[7:8], v[10:11], off
.LBB63_1717:
	s_andn2_b64 vcc, exec, s[0:1]
	s_cbranch_vccnz .LBB63_1719
; %bb.1718:
	v_cvt_f32_i32_e32 v6, v5
	global_store_dword v[7:8], v6, off
.LBB63_1719:
	s_mov_b64 s[0:1], 0
.LBB63_1720:
	s_andn2_b64 vcc, exec, s[0:1]
	s_cbranch_vccnz .LBB63_1722
; %bb.1721:
	v_cvt_f32_i32_e32 v6, v5
	v_cvt_f16_f32_e32 v6, v6
	global_store_short v[7:8], v6, off
.LBB63_1722:
	s_mov_b64 s[0:1], 0
.LBB63_1723:
	s_andn2_b64 vcc, exec, s[0:1]
	s_cbranch_vccnz .LBB63_1739
; %bb.1724:
	s_cmp_lt_i32 s7, 2
	s_mov_b64 s[0:1], -1
	s_cbranch_scc1 .LBB63_1734
; %bb.1725:
	s_cmp_lt_i32 s7, 3
	s_cbranch_scc1 .LBB63_1731
; %bb.1726:
	s_cmp_gt_i32 s7, 3
	s_cbranch_scc0 .LBB63_1728
; %bb.1727:
	v_ashrrev_i32_e32 v6, 31, v5
	global_store_dwordx2 v[7:8], v[5:6], off
	s_mov_b64 s[0:1], 0
.LBB63_1728:
	s_andn2_b64 vcc, exec, s[0:1]
	s_cbranch_vccnz .LBB63_1730
; %bb.1729:
	global_store_dword v[7:8], v5, off
.LBB63_1730:
	s_mov_b64 s[0:1], 0
.LBB63_1731:
	s_andn2_b64 vcc, exec, s[0:1]
	s_cbranch_vccnz .LBB63_1733
; %bb.1732:
	global_store_short v[7:8], v5, off
.LBB63_1733:
	s_mov_b64 s[0:1], 0
.LBB63_1734:
	s_andn2_b64 vcc, exec, s[0:1]
	s_cbranch_vccnz .LBB63_1739
; %bb.1735:
	s_cmp_gt_i32 s7, 0
	s_mov_b64 s[0:1], -1
	s_cbranch_scc0 .LBB63_1737
; %bb.1736:
	global_store_byte v[7:8], v5, off
	s_mov_b64 s[0:1], 0
.LBB63_1737:
	s_andn2_b64 vcc, exec, s[0:1]
	s_cbranch_vccnz .LBB63_1739
; %bb.1738:
	global_store_byte v[7:8], v5, off
.LBB63_1739:
	s_mov_b64 s[12:13], -1
.LBB63_1740:
	s_andn2_b64 vcc, exec, s[12:13]
	s_cbranch_vccnz .LBB63_2055
; %bb.1741:
	v_mov_b32_e32 v5, s5
	v_mov_b32_e32 v6, s6
	v_cmp_lt_i32_e32 vcc, s4, v3
	v_cndmask_b32_e32 v3, v5, v6, vcc
	v_mov_b32_e32 v6, s9
	s_and_b32 s19, 0xffff, s18
	v_add_co_u32_e32 v5, vcc, s8, v4
	s_cmp_lt_i32 s19, 11
	v_addc_co_u32_e32 v6, vcc, 0, v6, vcc
	s_cbranch_scc1 .LBB63_1819
; %bb.1742:
	s_mov_b64 s[14:15], -1
	s_mov_b64 s[10:11], 0
	s_cmp_gt_i32 s19, 25
	s_mov_b64 s[12:13], 0
	s_mov_b64 s[0:1], 0
	s_cbranch_scc0 .LBB63_1775
; %bb.1743:
	s_cmp_gt_i32 s19, 28
	s_cbranch_scc0 .LBB63_1758
; %bb.1744:
	s_cmp_gt_i32 s19, 43
	;; [unrolled: 3-line block ×3, first 2 shown]
	s_cbranch_scc0 .LBB63_1748
; %bb.1746:
	s_mov_b64 s[0:1], -1
	s_mov_b64 s[14:15], 0
	s_cmp_eq_u32 s19, 46
	s_cbranch_scc0 .LBB63_1748
; %bb.1747:
	v_cvt_f32_i32_e32 v4, v3
	s_movk_i32 s7, 0x7fff
	s_mov_b64 s[0:1], 0
	s_mov_b64 s[12:13], -1
	v_bfe_u32 v7, v4, 16, 1
	v_add3_u32 v4, v4, v7, s7
	v_lshrrev_b32_e32 v4, 16, v4
	global_store_dword v[5:6], v4, off
.LBB63_1748:
	s_and_b64 vcc, exec, s[14:15]
	s_cbranch_vccz .LBB63_1753
; %bb.1749:
	s_cmp_eq_u32 s19, 44
	s_mov_b64 s[0:1], -1
	s_cbranch_scc0 .LBB63_1753
; %bb.1750:
	v_cvt_f32_i32_e32 v4, v3
	s_movk_i32 s0, 0xff
	v_mov_b32_e32 v8, 0xff
	v_bfe_u32 v7, v4, 23, 8
	v_cmp_ne_u32_e32 vcc, s0, v7
	s_and_saveexec_b64 s[12:13], vcc
; %bb.1751:
	s_mov_b32 s0, 0x3fffff
	v_lshrrev_b32_e32 v8, 23, v4
	v_and_b32_e32 v10, 0x400000, v4
	v_and_or_b32 v4, v4, s0, v7
	v_cmp_ne_u32_e32 vcc, 0, v10
	v_cmp_ne_u32_e64 s[0:1], 0, v4
	s_and_b64 s[0:1], vcc, s[0:1]
	v_cndmask_b32_e64 v4, 0, 1, s[0:1]
	v_add_u32_e32 v8, v8, v4
; %bb.1752:
	s_or_b64 exec, exec, s[12:13]
	s_mov_b64 s[0:1], 0
	s_mov_b64 s[12:13], -1
	global_store_byte v[5:6], v8, off
.LBB63_1753:
	s_mov_b64 s[14:15], 0
.LBB63_1754:
	s_and_b64 vcc, exec, s[14:15]
	s_cbranch_vccz .LBB63_1757
; %bb.1755:
	s_cmp_eq_u32 s19, 29
	s_mov_b64 s[0:1], -1
	s_cbranch_scc0 .LBB63_1757
; %bb.1756:
	v_ashrrev_i32_e32 v4, 31, v3
	global_store_dwordx2 v[5:6], v[3:4], off
	s_mov_b64 s[0:1], 0
	s_mov_b64 s[12:13], -1
.LBB63_1757:
	s_mov_b64 s[14:15], 0
.LBB63_1758:
	s_and_b64 vcc, exec, s[14:15]
	s_cbranch_vccz .LBB63_1774
; %bb.1759:
	s_cmp_lt_i32 s19, 27
	s_mov_b64 s[12:13], -1
	s_cbranch_scc1 .LBB63_1765
; %bb.1760:
	s_cmp_gt_i32 s19, 27
	s_cbranch_scc0 .LBB63_1762
; %bb.1761:
	s_mov_b64 s[12:13], 0
	global_store_dword v[5:6], v3, off
.LBB63_1762:
	s_andn2_b64 vcc, exec, s[12:13]
	s_cbranch_vccnz .LBB63_1764
; %bb.1763:
	global_store_short v[5:6], v3, off
.LBB63_1764:
	s_mov_b64 s[12:13], 0
.LBB63_1765:
	s_andn2_b64 vcc, exec, s[12:13]
	s_cbranch_vccnz .LBB63_1773
; %bb.1766:
	v_cvt_f32_i32_e32 v4, v3
	s_mov_b32 s7, 0x43800000
	v_mov_b32_e32 v8, 0x80
	v_and_b32_e32 v7, 0x7fffffff, v4
	v_cmp_gt_u32_e32 vcc, s7, v7
	s_and_saveexec_b64 s[12:13], vcc
	s_cbranch_execz .LBB63_1772
; %bb.1767:
	s_mov_b32 s7, 0x3bffffff
	v_cmp_lt_u32_e32 vcc, s7, v7
	s_mov_b64 s[14:15], 0
                                        ; implicit-def: $vgpr7
	s_and_saveexec_b64 s[16:17], vcc
	s_xor_b64 s[16:17], exec, s[16:17]
	s_cbranch_execz .LBB63_2107
; %bb.1768:
	v_bfe_u32 v7, v4, 20, 1
	s_mov_b32 s7, 0x487ffff
	v_add3_u32 v7, v4, v7, s7
	s_mov_b64 s[14:15], exec
	v_lshrrev_b32_e32 v7, 20, v7
	s_andn2_saveexec_b64 s[16:17], s[16:17]
	s_cbranch_execnz .LBB63_2108
.LBB63_1769:
	s_or_b64 exec, exec, s[16:17]
	v_mov_b32_e32 v8, 0
	s_and_saveexec_b64 s[16:17], s[14:15]
.LBB63_1770:
	v_lshrrev_b32_e32 v4, 24, v4
	s_movk_i32 s7, 0x80
	v_and_or_b32 v8, v4, s7, v7
.LBB63_1771:
	s_or_b64 exec, exec, s[16:17]
.LBB63_1772:
	s_or_b64 exec, exec, s[12:13]
	global_store_byte v[5:6], v8, off
.LBB63_1773:
	s_mov_b64 s[12:13], -1
.LBB63_1774:
	s_mov_b64 s[14:15], 0
.LBB63_1775:
	s_and_b64 vcc, exec, s[14:15]
	s_cbranch_vccz .LBB63_1815
; %bb.1776:
	s_cmp_gt_i32 s19, 22
	s_mov_b64 s[10:11], -1
	s_cbranch_scc0 .LBB63_1808
; %bb.1777:
	s_cmp_lt_i32 s19, 24
	s_cbranch_scc1 .LBB63_1797
; %bb.1778:
	s_cmp_gt_i32 s19, 24
	s_cbranch_scc0 .LBB63_1786
; %bb.1779:
	v_cvt_f32_i32_e32 v4, v3
	s_mov_b32 s7, 0x47800000
	v_mov_b32_e32 v8, 0x80
	v_and_b32_e32 v7, 0x7fffffff, v4
	v_cmp_gt_u32_e32 vcc, s7, v7
	s_and_saveexec_b64 s[10:11], vcc
	s_cbranch_execz .LBB63_1785
; %bb.1780:
	s_mov_b32 s7, 0x37ffffff
	v_cmp_lt_u32_e32 vcc, s7, v7
	s_mov_b64 s[12:13], 0
                                        ; implicit-def: $vgpr7
	s_and_saveexec_b64 s[14:15], vcc
	s_xor_b64 s[14:15], exec, s[14:15]
	s_cbranch_execz .LBB63_2110
; %bb.1781:
	v_bfe_u32 v7, v4, 21, 1
	s_mov_b32 s7, 0x88fffff
	v_add3_u32 v7, v4, v7, s7
	s_mov_b64 s[12:13], exec
	v_lshrrev_b32_e32 v7, 21, v7
	s_andn2_saveexec_b64 s[14:15], s[14:15]
	s_cbranch_execnz .LBB63_2111
.LBB63_1782:
	s_or_b64 exec, exec, s[14:15]
	v_mov_b32_e32 v8, 0
	s_and_saveexec_b64 s[14:15], s[12:13]
.LBB63_1783:
	v_lshrrev_b32_e32 v4, 24, v4
	s_movk_i32 s7, 0x80
	v_and_or_b32 v8, v4, s7, v7
.LBB63_1784:
	s_or_b64 exec, exec, s[14:15]
.LBB63_1785:
	s_or_b64 exec, exec, s[10:11]
	s_mov_b64 s[10:11], 0
	global_store_byte v[5:6], v8, off
.LBB63_1786:
	s_and_b64 vcc, exec, s[10:11]
	s_cbranch_vccz .LBB63_1796
; %bb.1787:
	v_cvt_f32_i32_e32 v4, v3
	s_mov_b32 s7, 0x43f00000
                                        ; implicit-def: $vgpr7
	v_and_b32_e32 v8, 0x7fffffff, v4
	v_cmp_gt_u32_e32 vcc, s7, v8
	s_and_saveexec_b64 s[10:11], vcc
	s_xor_b64 s[10:11], exec, s[10:11]
	s_cbranch_execz .LBB63_1793
; %bb.1788:
	s_mov_b32 s7, 0x3c7fffff
	v_cmp_lt_u32_e32 vcc, s7, v8
                                        ; implicit-def: $vgpr7
	s_and_saveexec_b64 s[12:13], vcc
	s_xor_b64 s[12:13], exec, s[12:13]
; %bb.1789:
	v_bfe_u32 v7, v4, 20, 1
	s_mov_b32 s7, 0x407ffff
	v_add3_u32 v7, v4, v7, s7
	v_lshrrev_b32_e32 v8, 20, v7
	v_and_b32_e32 v7, 0xff00000, v7
	s_mov_b32 s7, 0x7f00000
	v_mov_b32_e32 v10, 0x7e
	v_cmp_ne_u32_e32 vcc, s7, v7
	v_cndmask_b32_e32 v7, v10, v8, vcc
; %bb.1790:
	s_andn2_saveexec_b64 s[12:13], s[12:13]
; %bb.1791:
	s_mov_b32 s7, 0x46800000
	v_add_f32_e64 v7, |v4|, s7
; %bb.1792:
	s_or_b64 exec, exec, s[12:13]
                                        ; implicit-def: $vgpr8
.LBB63_1793:
	s_andn2_saveexec_b64 s[10:11], s[10:11]
; %bb.1794:
	s_mov_b32 s7, 0x7f800000
	v_mov_b32_e32 v7, 0x7e
	v_mov_b32_e32 v10, 0x7f
	v_cmp_lt_u32_e32 vcc, s7, v8
	v_cndmask_b32_e32 v7, v7, v10, vcc
; %bb.1795:
	s_or_b64 exec, exec, s[10:11]
	v_lshrrev_b32_e32 v4, 24, v4
	s_movk_i32 s7, 0x80
	v_and_or_b32 v4, v4, s7, v7
	global_store_byte v[5:6], v4, off
.LBB63_1796:
	s_mov_b64 s[10:11], 0
.LBB63_1797:
	s_andn2_b64 vcc, exec, s[10:11]
	s_cbranch_vccnz .LBB63_1807
; %bb.1798:
	v_cvt_f32_i32_e32 v4, v3
	s_mov_b32 s7, 0x47800000
                                        ; implicit-def: $vgpr7
	v_and_b32_e32 v8, 0x7fffffff, v4
	v_cmp_gt_u32_e32 vcc, s7, v8
	s_and_saveexec_b64 s[10:11], vcc
	s_xor_b64 s[10:11], exec, s[10:11]
	s_cbranch_execz .LBB63_1804
; %bb.1799:
	s_mov_b32 s7, 0x387fffff
	v_cmp_lt_u32_e32 vcc, s7, v8
                                        ; implicit-def: $vgpr7
	s_and_saveexec_b64 s[12:13], vcc
	s_xor_b64 s[12:13], exec, s[12:13]
; %bb.1800:
	v_bfe_u32 v7, v4, 21, 1
	s_mov_b32 s7, 0x80fffff
	v_add3_u32 v7, v4, v7, s7
	v_lshrrev_b32_e32 v7, 21, v7
; %bb.1801:
	s_andn2_saveexec_b64 s[12:13], s[12:13]
; %bb.1802:
	s_mov_b32 s7, 0x43000000
	v_add_f32_e64 v7, |v4|, s7
; %bb.1803:
	s_or_b64 exec, exec, s[12:13]
                                        ; implicit-def: $vgpr8
.LBB63_1804:
	s_andn2_saveexec_b64 s[10:11], s[10:11]
; %bb.1805:
	s_mov_b32 s7, 0x7f800000
	v_mov_b32_e32 v7, 0x7c
	v_mov_b32_e32 v10, 0x7f
	v_cmp_lt_u32_e32 vcc, s7, v8
	v_cndmask_b32_e32 v7, v7, v10, vcc
; %bb.1806:
	s_or_b64 exec, exec, s[10:11]
	v_lshrrev_b32_e32 v4, 24, v4
	s_movk_i32 s7, 0x80
	v_and_or_b32 v4, v4, s7, v7
	global_store_byte v[5:6], v4, off
.LBB63_1807:
	s_mov_b64 s[10:11], 0
	s_mov_b64 s[12:13], -1
.LBB63_1808:
	s_andn2_b64 vcc, exec, s[10:11]
	s_mov_b64 s[10:11], 0
	s_cbranch_vccnz .LBB63_1815
; %bb.1809:
	s_cmp_gt_i32 s19, 14
	s_mov_b64 s[14:15], -1
	s_cbranch_scc0 .LBB63_1813
; %bb.1810:
	s_cmp_eq_u32 s19, 15
	s_mov_b64 s[0:1], -1
	s_cbranch_scc0 .LBB63_1812
; %bb.1811:
	v_cvt_f32_i32_e32 v4, v3
	s_movk_i32 s7, 0x7fff
	s_mov_b64 s[0:1], 0
	s_mov_b64 s[12:13], -1
	v_bfe_u32 v7, v4, 16, 1
	v_add3_u32 v4, v4, v7, s7
	global_store_short_d16_hi v[5:6], v4, off
.LBB63_1812:
	s_mov_b64 s[14:15], 0
.LBB63_1813:
	s_and_b64 vcc, exec, s[14:15]
	s_cbranch_vccz .LBB63_1815
; %bb.1814:
	s_cmp_lg_u32 s19, 11
	s_mov_b64 s[10:11], -1
	s_cselect_b64 s[0:1], -1, 0
.LBB63_1815:
	s_and_b64 vcc, exec, s[0:1]
	s_cbranch_vccnz .LBB63_2109
; %bb.1816:
	s_andn2_b64 vcc, exec, s[10:11]
	s_cbranch_vccnz .LBB63_1818
.LBB63_1817:
	v_cmp_ne_u32_e32 vcc, 0, v3
	v_cndmask_b32_e64 v4, 0, 1, vcc
	s_mov_b64 s[12:13], -1
	global_store_byte v[5:6], v4, off
.LBB63_1818:
	s_mov_b64 s[0:1], 0
	s_branch .LBB63_1820
.LBB63_1819:
	s_mov_b64 s[0:1], -1
	s_mov_b64 s[12:13], 0
.LBB63_1820:
	s_and_b64 vcc, exec, s[0:1]
	s_cbranch_vccz .LBB63_1859
; %bb.1821:
	s_cmp_lt_i32 s19, 5
	s_mov_b64 s[0:1], -1
	s_cbranch_scc1 .LBB63_1842
; %bb.1822:
	s_cmp_lt_i32 s19, 8
	s_cbranch_scc1 .LBB63_1832
; %bb.1823:
	s_cmp_lt_i32 s19, 9
	s_cbranch_scc1 .LBB63_1829
; %bb.1824:
	s_cmp_gt_i32 s19, 9
	s_cbranch_scc0 .LBB63_1826
; %bb.1825:
	v_cvt_f64_i32_e32 v[10:11], v3
	v_mov_b32_e32 v12, 0
	v_mov_b32_e32 v13, v12
	s_mov_b64 s[0:1], 0
	global_store_dwordx4 v[5:6], v[10:13], off
.LBB63_1826:
	s_andn2_b64 vcc, exec, s[0:1]
	s_cbranch_vccnz .LBB63_1828
; %bb.1827:
	v_cvt_f32_i32_e32 v7, v3
	v_mov_b32_e32 v8, 0
	global_store_dwordx2 v[5:6], v[7:8], off
.LBB63_1828:
	s_mov_b64 s[0:1], 0
.LBB63_1829:
	s_andn2_b64 vcc, exec, s[0:1]
	s_cbranch_vccnz .LBB63_1831
; %bb.1830:
	v_cvt_f32_i32_e32 v4, v3
	v_cvt_f16_f32_e32 v4, v4
	global_store_dword v[5:6], v4, off
.LBB63_1831:
	s_mov_b64 s[0:1], 0
.LBB63_1832:
	s_andn2_b64 vcc, exec, s[0:1]
	s_cbranch_vccnz .LBB63_1841
; %bb.1833:
	s_cmp_lt_i32 s19, 6
	s_mov_b64 s[0:1], -1
	s_cbranch_scc1 .LBB63_1839
; %bb.1834:
	s_cmp_gt_i32 s19, 6
	s_cbranch_scc0 .LBB63_1836
; %bb.1835:
	v_cvt_f64_i32_e32 v[7:8], v3
	s_mov_b64 s[0:1], 0
	global_store_dwordx2 v[5:6], v[7:8], off
.LBB63_1836:
	s_andn2_b64 vcc, exec, s[0:1]
	s_cbranch_vccnz .LBB63_1838
; %bb.1837:
	v_cvt_f32_i32_e32 v4, v3
	global_store_dword v[5:6], v4, off
.LBB63_1838:
	s_mov_b64 s[0:1], 0
.LBB63_1839:
	s_andn2_b64 vcc, exec, s[0:1]
	s_cbranch_vccnz .LBB63_1841
; %bb.1840:
	v_cvt_f32_i32_e32 v4, v3
	v_cvt_f16_f32_e32 v4, v4
	global_store_short v[5:6], v4, off
.LBB63_1841:
	s_mov_b64 s[0:1], 0
.LBB63_1842:
	s_andn2_b64 vcc, exec, s[0:1]
	s_cbranch_vccnz .LBB63_1858
; %bb.1843:
	s_cmp_lt_i32 s19, 2
	s_mov_b64 s[0:1], -1
	s_cbranch_scc1 .LBB63_1853
; %bb.1844:
	s_cmp_lt_i32 s19, 3
	s_cbranch_scc1 .LBB63_1850
; %bb.1845:
	s_cmp_gt_i32 s19, 3
	s_cbranch_scc0 .LBB63_1847
; %bb.1846:
	v_ashrrev_i32_e32 v4, 31, v3
	global_store_dwordx2 v[5:6], v[3:4], off
	s_mov_b64 s[0:1], 0
.LBB63_1847:
	s_andn2_b64 vcc, exec, s[0:1]
	s_cbranch_vccnz .LBB63_1849
; %bb.1848:
	global_store_dword v[5:6], v3, off
.LBB63_1849:
	s_mov_b64 s[0:1], 0
.LBB63_1850:
	s_andn2_b64 vcc, exec, s[0:1]
	s_cbranch_vccnz .LBB63_1852
; %bb.1851:
	global_store_short v[5:6], v3, off
.LBB63_1852:
	s_mov_b64 s[0:1], 0
.LBB63_1853:
	s_andn2_b64 vcc, exec, s[0:1]
	s_cbranch_vccnz .LBB63_1858
; %bb.1854:
	s_cmp_gt_i32 s19, 0
	s_mov_b64 s[0:1], -1
	s_cbranch_scc0 .LBB63_1856
; %bb.1855:
	global_store_byte v[5:6], v3, off
	s_mov_b64 s[0:1], 0
.LBB63_1856:
	s_andn2_b64 vcc, exec, s[0:1]
	s_cbranch_vccnz .LBB63_1858
; %bb.1857:
	global_store_byte v[5:6], v3, off
.LBB63_1858:
	s_mov_b64 s[12:13], -1
.LBB63_1859:
	s_andn2_b64 vcc, exec, s[12:13]
	s_cbranch_vccnz .LBB63_2055
; %bb.1860:
	v_mov_b32_e32 v3, s5
	v_mov_b32_e32 v4, s6
	v_cmp_lt_i32_e32 vcc, s4, v1
	v_cndmask_b32_e32 v1, v3, v4, vcc
	v_mov_b32_e32 v4, s9
	v_add_co_u32_e32 v3, vcc, s8, v2
	s_cmp_lt_i32 s19, 11
	v_addc_co_u32_e32 v4, vcc, 0, v4, vcc
	s_cbranch_scc1 .LBB63_1938
; %bb.1861:
	s_mov_b64 s[14:15], -1
	s_mov_b64 s[10:11], 0
	s_cmp_gt_i32 s19, 25
	s_mov_b64 s[12:13], 0
	s_mov_b64 s[0:1], 0
	s_cbranch_scc0 .LBB63_1894
; %bb.1862:
	s_cmp_gt_i32 s19, 28
	s_cbranch_scc0 .LBB63_1877
; %bb.1863:
	s_cmp_gt_i32 s19, 43
	;; [unrolled: 3-line block ×3, first 2 shown]
	s_cbranch_scc0 .LBB63_1867
; %bb.1865:
	s_mov_b64 s[0:1], -1
	s_mov_b64 s[14:15], 0
	s_cmp_eq_u32 s19, 46
	s_cbranch_scc0 .LBB63_1867
; %bb.1866:
	v_cvt_f32_i32_e32 v2, v1
	s_movk_i32 s7, 0x7fff
	s_mov_b64 s[0:1], 0
	s_mov_b64 s[12:13], -1
	v_bfe_u32 v5, v2, 16, 1
	v_add3_u32 v2, v2, v5, s7
	v_lshrrev_b32_e32 v2, 16, v2
	global_store_dword v[3:4], v2, off
.LBB63_1867:
	s_and_b64 vcc, exec, s[14:15]
	s_cbranch_vccz .LBB63_1872
; %bb.1868:
	s_cmp_eq_u32 s19, 44
	s_mov_b64 s[0:1], -1
	s_cbranch_scc0 .LBB63_1872
; %bb.1869:
	v_cvt_f32_i32_e32 v2, v1
	s_movk_i32 s0, 0xff
	v_mov_b32_e32 v6, 0xff
	v_bfe_u32 v5, v2, 23, 8
	v_cmp_ne_u32_e32 vcc, s0, v5
	s_and_saveexec_b64 s[12:13], vcc
; %bb.1870:
	s_mov_b32 s0, 0x3fffff
	v_lshrrev_b32_e32 v6, 23, v2
	v_and_b32_e32 v7, 0x400000, v2
	v_and_or_b32 v2, v2, s0, v5
	v_cmp_ne_u32_e32 vcc, 0, v7
	v_cmp_ne_u32_e64 s[0:1], 0, v2
	s_and_b64 s[0:1], vcc, s[0:1]
	v_cndmask_b32_e64 v2, 0, 1, s[0:1]
	v_add_u32_e32 v6, v6, v2
; %bb.1871:
	s_or_b64 exec, exec, s[12:13]
	s_mov_b64 s[0:1], 0
	s_mov_b64 s[12:13], -1
	global_store_byte v[3:4], v6, off
.LBB63_1872:
	s_mov_b64 s[14:15], 0
.LBB63_1873:
	s_and_b64 vcc, exec, s[14:15]
	s_cbranch_vccz .LBB63_1876
; %bb.1874:
	s_cmp_eq_u32 s19, 29
	s_mov_b64 s[0:1], -1
	s_cbranch_scc0 .LBB63_1876
; %bb.1875:
	v_ashrrev_i32_e32 v2, 31, v1
	global_store_dwordx2 v[3:4], v[1:2], off
	s_mov_b64 s[0:1], 0
	s_mov_b64 s[12:13], -1
.LBB63_1876:
	s_mov_b64 s[14:15], 0
.LBB63_1877:
	s_and_b64 vcc, exec, s[14:15]
	s_cbranch_vccz .LBB63_1893
; %bb.1878:
	s_cmp_lt_i32 s19, 27
	s_mov_b64 s[12:13], -1
	s_cbranch_scc1 .LBB63_1884
; %bb.1879:
	s_cmp_gt_i32 s19, 27
	s_cbranch_scc0 .LBB63_1881
; %bb.1880:
	s_mov_b64 s[12:13], 0
	global_store_dword v[3:4], v1, off
.LBB63_1881:
	s_andn2_b64 vcc, exec, s[12:13]
	s_cbranch_vccnz .LBB63_1883
; %bb.1882:
	global_store_short v[3:4], v1, off
.LBB63_1883:
	s_mov_b64 s[12:13], 0
.LBB63_1884:
	s_andn2_b64 vcc, exec, s[12:13]
	s_cbranch_vccnz .LBB63_1892
; %bb.1885:
	v_cvt_f32_i32_e32 v2, v1
	s_mov_b32 s7, 0x43800000
	v_mov_b32_e32 v6, 0x80
	v_and_b32_e32 v5, 0x7fffffff, v2
	v_cmp_gt_u32_e32 vcc, s7, v5
	s_and_saveexec_b64 s[12:13], vcc
	s_cbranch_execz .LBB63_1891
; %bb.1886:
	s_mov_b32 s7, 0x3bffffff
	v_cmp_lt_u32_e32 vcc, s7, v5
	s_mov_b64 s[14:15], 0
                                        ; implicit-def: $vgpr5
	s_and_saveexec_b64 s[16:17], vcc
	s_xor_b64 s[16:17], exec, s[16:17]
	s_cbranch_execz .LBB63_2112
; %bb.1887:
	v_bfe_u32 v5, v2, 20, 1
	s_mov_b32 s7, 0x487ffff
	v_add3_u32 v5, v2, v5, s7
	s_mov_b64 s[14:15], exec
	v_lshrrev_b32_e32 v5, 20, v5
	s_andn2_saveexec_b64 s[16:17], s[16:17]
	s_cbranch_execnz .LBB63_2113
.LBB63_1888:
	s_or_b64 exec, exec, s[16:17]
	v_mov_b32_e32 v6, 0
	s_and_saveexec_b64 s[16:17], s[14:15]
.LBB63_1889:
	v_lshrrev_b32_e32 v2, 24, v2
	s_movk_i32 s7, 0x80
	v_and_or_b32 v6, v2, s7, v5
.LBB63_1890:
	s_or_b64 exec, exec, s[16:17]
.LBB63_1891:
	s_or_b64 exec, exec, s[12:13]
	global_store_byte v[3:4], v6, off
.LBB63_1892:
	s_mov_b64 s[12:13], -1
.LBB63_1893:
	s_mov_b64 s[14:15], 0
.LBB63_1894:
	s_and_b64 vcc, exec, s[14:15]
	s_cbranch_vccz .LBB63_1934
; %bb.1895:
	s_cmp_gt_i32 s19, 22
	s_mov_b64 s[10:11], -1
	s_cbranch_scc0 .LBB63_1927
; %bb.1896:
	s_cmp_lt_i32 s19, 24
	s_cbranch_scc1 .LBB63_1916
; %bb.1897:
	s_cmp_gt_i32 s19, 24
	s_cbranch_scc0 .LBB63_1905
; %bb.1898:
	v_cvt_f32_i32_e32 v2, v1
	s_mov_b32 s7, 0x47800000
	v_mov_b32_e32 v6, 0x80
	v_and_b32_e32 v5, 0x7fffffff, v2
	v_cmp_gt_u32_e32 vcc, s7, v5
	s_and_saveexec_b64 s[10:11], vcc
	s_cbranch_execz .LBB63_1904
; %bb.1899:
	s_mov_b32 s7, 0x37ffffff
	v_cmp_lt_u32_e32 vcc, s7, v5
	s_mov_b64 s[12:13], 0
                                        ; implicit-def: $vgpr5
	s_and_saveexec_b64 s[14:15], vcc
	s_xor_b64 s[14:15], exec, s[14:15]
	s_cbranch_execz .LBB63_2115
; %bb.1900:
	v_bfe_u32 v5, v2, 21, 1
	s_mov_b32 s7, 0x88fffff
	v_add3_u32 v5, v2, v5, s7
	s_mov_b64 s[12:13], exec
	v_lshrrev_b32_e32 v5, 21, v5
	s_andn2_saveexec_b64 s[14:15], s[14:15]
	s_cbranch_execnz .LBB63_2116
.LBB63_1901:
	s_or_b64 exec, exec, s[14:15]
	v_mov_b32_e32 v6, 0
	s_and_saveexec_b64 s[14:15], s[12:13]
.LBB63_1902:
	v_lshrrev_b32_e32 v2, 24, v2
	s_movk_i32 s7, 0x80
	v_and_or_b32 v6, v2, s7, v5
.LBB63_1903:
	s_or_b64 exec, exec, s[14:15]
.LBB63_1904:
	s_or_b64 exec, exec, s[10:11]
	s_mov_b64 s[10:11], 0
	global_store_byte v[3:4], v6, off
.LBB63_1905:
	s_and_b64 vcc, exec, s[10:11]
	s_cbranch_vccz .LBB63_1915
; %bb.1906:
	v_cvt_f32_i32_e32 v2, v1
	s_mov_b32 s7, 0x43f00000
                                        ; implicit-def: $vgpr5
	v_and_b32_e32 v6, 0x7fffffff, v2
	v_cmp_gt_u32_e32 vcc, s7, v6
	s_and_saveexec_b64 s[10:11], vcc
	s_xor_b64 s[10:11], exec, s[10:11]
	s_cbranch_execz .LBB63_1912
; %bb.1907:
	s_mov_b32 s7, 0x3c7fffff
	v_cmp_lt_u32_e32 vcc, s7, v6
                                        ; implicit-def: $vgpr5
	s_and_saveexec_b64 s[12:13], vcc
	s_xor_b64 s[12:13], exec, s[12:13]
; %bb.1908:
	v_bfe_u32 v5, v2, 20, 1
	s_mov_b32 s7, 0x407ffff
	v_add3_u32 v5, v2, v5, s7
	v_lshrrev_b32_e32 v6, 20, v5
	v_and_b32_e32 v5, 0xff00000, v5
	s_mov_b32 s7, 0x7f00000
	v_mov_b32_e32 v7, 0x7e
	v_cmp_ne_u32_e32 vcc, s7, v5
	v_cndmask_b32_e32 v5, v7, v6, vcc
; %bb.1909:
	s_andn2_saveexec_b64 s[12:13], s[12:13]
; %bb.1910:
	s_mov_b32 s7, 0x46800000
	v_add_f32_e64 v5, |v2|, s7
; %bb.1911:
	s_or_b64 exec, exec, s[12:13]
                                        ; implicit-def: $vgpr6
.LBB63_1912:
	s_andn2_saveexec_b64 s[10:11], s[10:11]
; %bb.1913:
	s_mov_b32 s7, 0x7f800000
	v_mov_b32_e32 v5, 0x7e
	v_mov_b32_e32 v7, 0x7f
	v_cmp_lt_u32_e32 vcc, s7, v6
	v_cndmask_b32_e32 v5, v5, v7, vcc
; %bb.1914:
	s_or_b64 exec, exec, s[10:11]
	v_lshrrev_b32_e32 v2, 24, v2
	s_movk_i32 s7, 0x80
	v_and_or_b32 v2, v2, s7, v5
	global_store_byte v[3:4], v2, off
.LBB63_1915:
	s_mov_b64 s[10:11], 0
.LBB63_1916:
	s_andn2_b64 vcc, exec, s[10:11]
	s_cbranch_vccnz .LBB63_1926
; %bb.1917:
	v_cvt_f32_i32_e32 v2, v1
	s_mov_b32 s7, 0x47800000
                                        ; implicit-def: $vgpr5
	v_and_b32_e32 v6, 0x7fffffff, v2
	v_cmp_gt_u32_e32 vcc, s7, v6
	s_and_saveexec_b64 s[10:11], vcc
	s_xor_b64 s[10:11], exec, s[10:11]
	s_cbranch_execz .LBB63_1923
; %bb.1918:
	s_mov_b32 s7, 0x387fffff
	v_cmp_lt_u32_e32 vcc, s7, v6
                                        ; implicit-def: $vgpr5
	s_and_saveexec_b64 s[12:13], vcc
	s_xor_b64 s[12:13], exec, s[12:13]
; %bb.1919:
	v_bfe_u32 v5, v2, 21, 1
	s_mov_b32 s7, 0x80fffff
	v_add3_u32 v5, v2, v5, s7
	v_lshrrev_b32_e32 v5, 21, v5
; %bb.1920:
	s_andn2_saveexec_b64 s[12:13], s[12:13]
; %bb.1921:
	s_mov_b32 s7, 0x43000000
	v_add_f32_e64 v5, |v2|, s7
; %bb.1922:
	s_or_b64 exec, exec, s[12:13]
                                        ; implicit-def: $vgpr6
.LBB63_1923:
	s_andn2_saveexec_b64 s[10:11], s[10:11]
; %bb.1924:
	s_mov_b32 s7, 0x7f800000
	v_mov_b32_e32 v5, 0x7c
	v_mov_b32_e32 v7, 0x7f
	v_cmp_lt_u32_e32 vcc, s7, v6
	v_cndmask_b32_e32 v5, v5, v7, vcc
; %bb.1925:
	s_or_b64 exec, exec, s[10:11]
	v_lshrrev_b32_e32 v2, 24, v2
	s_movk_i32 s7, 0x80
	v_and_or_b32 v2, v2, s7, v5
	global_store_byte v[3:4], v2, off
.LBB63_1926:
	s_mov_b64 s[10:11], 0
	s_mov_b64 s[12:13], -1
.LBB63_1927:
	s_andn2_b64 vcc, exec, s[10:11]
	s_mov_b64 s[10:11], 0
	s_cbranch_vccnz .LBB63_1934
; %bb.1928:
	s_cmp_gt_i32 s19, 14
	s_mov_b64 s[14:15], -1
	s_cbranch_scc0 .LBB63_1932
; %bb.1929:
	s_cmp_eq_u32 s19, 15
	s_mov_b64 s[0:1], -1
	s_cbranch_scc0 .LBB63_1931
; %bb.1930:
	v_cvt_f32_i32_e32 v2, v1
	s_movk_i32 s7, 0x7fff
	s_mov_b64 s[0:1], 0
	s_mov_b64 s[12:13], -1
	v_bfe_u32 v5, v2, 16, 1
	v_add3_u32 v2, v2, v5, s7
	global_store_short_d16_hi v[3:4], v2, off
.LBB63_1931:
	s_mov_b64 s[14:15], 0
.LBB63_1932:
	s_and_b64 vcc, exec, s[14:15]
	s_cbranch_vccz .LBB63_1934
; %bb.1933:
	s_cmp_lg_u32 s19, 11
	s_mov_b64 s[10:11], -1
	s_cselect_b64 s[0:1], -1, 0
.LBB63_1934:
	s_and_b64 vcc, exec, s[0:1]
	s_cbranch_vccnz .LBB63_2114
; %bb.1935:
	s_andn2_b64 vcc, exec, s[10:11]
	s_cbranch_vccnz .LBB63_1937
.LBB63_1936:
	v_cmp_ne_u32_e32 vcc, 0, v1
	v_cndmask_b32_e64 v2, 0, 1, vcc
	s_mov_b64 s[12:13], -1
	global_store_byte v[3:4], v2, off
.LBB63_1937:
	s_mov_b64 s[0:1], 0
	s_branch .LBB63_1939
.LBB63_1938:
	s_mov_b64 s[0:1], -1
	s_mov_b64 s[12:13], 0
.LBB63_1939:
	s_and_b64 vcc, exec, s[0:1]
	s_cbranch_vccz .LBB63_1978
; %bb.1940:
	s_cmp_lt_i32 s19, 5
	s_mov_b64 s[0:1], -1
	s_cbranch_scc1 .LBB63_1961
; %bb.1941:
	s_cmp_lt_i32 s19, 8
	s_cbranch_scc1 .LBB63_1951
; %bb.1942:
	s_cmp_lt_i32 s19, 9
	s_cbranch_scc1 .LBB63_1948
; %bb.1943:
	s_cmp_gt_i32 s19, 9
	s_cbranch_scc0 .LBB63_1945
; %bb.1944:
	v_cvt_f64_i32_e32 v[5:6], v1
	v_mov_b32_e32 v7, 0
	v_mov_b32_e32 v8, v7
	s_mov_b64 s[0:1], 0
	global_store_dwordx4 v[3:4], v[5:8], off
.LBB63_1945:
	s_andn2_b64 vcc, exec, s[0:1]
	s_cbranch_vccnz .LBB63_1947
; %bb.1946:
	v_cvt_f32_i32_e32 v5, v1
	v_mov_b32_e32 v6, 0
	global_store_dwordx2 v[3:4], v[5:6], off
.LBB63_1947:
	s_mov_b64 s[0:1], 0
.LBB63_1948:
	s_andn2_b64 vcc, exec, s[0:1]
	s_cbranch_vccnz .LBB63_1950
; %bb.1949:
	v_cvt_f32_i32_e32 v2, v1
	v_cvt_f16_f32_e32 v2, v2
	global_store_dword v[3:4], v2, off
.LBB63_1950:
	s_mov_b64 s[0:1], 0
.LBB63_1951:
	s_andn2_b64 vcc, exec, s[0:1]
	s_cbranch_vccnz .LBB63_1960
; %bb.1952:
	s_cmp_lt_i32 s19, 6
	s_mov_b64 s[0:1], -1
	s_cbranch_scc1 .LBB63_1958
; %bb.1953:
	s_cmp_gt_i32 s19, 6
	s_cbranch_scc0 .LBB63_1955
; %bb.1954:
	v_cvt_f64_i32_e32 v[5:6], v1
	s_mov_b64 s[0:1], 0
	global_store_dwordx2 v[3:4], v[5:6], off
.LBB63_1955:
	s_andn2_b64 vcc, exec, s[0:1]
	s_cbranch_vccnz .LBB63_1957
; %bb.1956:
	v_cvt_f32_i32_e32 v2, v1
	global_store_dword v[3:4], v2, off
.LBB63_1957:
	s_mov_b64 s[0:1], 0
.LBB63_1958:
	s_andn2_b64 vcc, exec, s[0:1]
	s_cbranch_vccnz .LBB63_1960
; %bb.1959:
	v_cvt_f32_i32_e32 v2, v1
	v_cvt_f16_f32_e32 v2, v2
	global_store_short v[3:4], v2, off
.LBB63_1960:
	s_mov_b64 s[0:1], 0
.LBB63_1961:
	s_andn2_b64 vcc, exec, s[0:1]
	s_cbranch_vccnz .LBB63_1977
; %bb.1962:
	s_cmp_lt_i32 s19, 2
	s_mov_b64 s[0:1], -1
	s_cbranch_scc1 .LBB63_1972
; %bb.1963:
	s_cmp_lt_i32 s19, 3
	s_cbranch_scc1 .LBB63_1969
; %bb.1964:
	s_cmp_gt_i32 s19, 3
	s_cbranch_scc0 .LBB63_1966
; %bb.1965:
	v_ashrrev_i32_e32 v2, 31, v1
	global_store_dwordx2 v[3:4], v[1:2], off
	s_mov_b64 s[0:1], 0
.LBB63_1966:
	s_andn2_b64 vcc, exec, s[0:1]
	s_cbranch_vccnz .LBB63_1968
; %bb.1967:
	global_store_dword v[3:4], v1, off
.LBB63_1968:
	s_mov_b64 s[0:1], 0
.LBB63_1969:
	s_andn2_b64 vcc, exec, s[0:1]
	s_cbranch_vccnz .LBB63_1971
; %bb.1970:
	global_store_short v[3:4], v1, off
.LBB63_1971:
	s_mov_b64 s[0:1], 0
.LBB63_1972:
	s_andn2_b64 vcc, exec, s[0:1]
	s_cbranch_vccnz .LBB63_1977
; %bb.1973:
	s_cmp_gt_i32 s19, 0
	s_mov_b64 s[0:1], -1
	s_cbranch_scc0 .LBB63_1975
; %bb.1974:
	global_store_byte v[3:4], v1, off
	s_mov_b64 s[0:1], 0
.LBB63_1975:
	s_andn2_b64 vcc, exec, s[0:1]
	s_cbranch_vccnz .LBB63_1977
; %bb.1976:
	global_store_byte v[3:4], v1, off
.LBB63_1977:
	s_mov_b64 s[12:13], -1
.LBB63_1978:
	s_andn2_b64 vcc, exec, s[12:13]
	s_cbranch_vccnz .LBB63_2055
; %bb.1979:
	v_mov_b32_e32 v1, s5
	v_mov_b32_e32 v2, s6
	v_cmp_lt_i32_e32 vcc, s4, v9
	v_cndmask_b32_e32 v2, v1, v2, vcc
	v_mov_b32_e32 v1, s9
	v_add_co_u32_e32 v0, vcc, s8, v0
	s_cmp_lt_i32 s19, 11
	v_addc_co_u32_e32 v1, vcc, 0, v1, vcc
	s_cbranch_scc1 .LBB63_2100
; %bb.1980:
	s_mov_b64 s[6:7], -1
	s_mov_b64 s[4:5], 0
	s_cmp_gt_i32 s19, 25
	s_mov_b64 s[0:1], 0
	s_cbranch_scc0 .LBB63_2013
; %bb.1981:
	s_cmp_gt_i32 s19, 28
	s_cbranch_scc0 .LBB63_1997
; %bb.1982:
	s_cmp_gt_i32 s19, 43
	;; [unrolled: 3-line block ×3, first 2 shown]
	s_cbranch_scc0 .LBB63_1987
; %bb.1984:
	s_cmp_eq_u32 s19, 46
	s_mov_b64 s[0:1], -1
	s_cbranch_scc0 .LBB63_1986
; %bb.1985:
	v_cvt_f32_i32_e32 v3, v2
	s_movk_i32 s0, 0x7fff
	v_bfe_u32 v4, v3, 16, 1
	v_add3_u32 v3, v3, v4, s0
	v_lshrrev_b32_e32 v3, 16, v3
	global_store_dword v[0:1], v3, off
	s_mov_b64 s[0:1], 0
.LBB63_1986:
	s_mov_b64 s[6:7], 0
.LBB63_1987:
	s_and_b64 vcc, exec, s[6:7]
	s_cbranch_vccz .LBB63_1992
; %bb.1988:
	s_cmp_eq_u32 s19, 44
	s_mov_b64 s[0:1], -1
	s_cbranch_scc0 .LBB63_1992
; %bb.1989:
	v_cvt_f32_i32_e32 v3, v2
	s_movk_i32 s0, 0xff
	v_mov_b32_e32 v5, 0xff
	v_bfe_u32 v4, v3, 23, 8
	v_cmp_ne_u32_e32 vcc, s0, v4
	s_and_saveexec_b64 s[6:7], vcc
; %bb.1990:
	s_mov_b32 s0, 0x3fffff
	v_lshrrev_b32_e32 v5, 23, v3
	v_and_b32_e32 v6, 0x400000, v3
	v_and_or_b32 v3, v3, s0, v4
	v_cmp_ne_u32_e32 vcc, 0, v6
	v_cmp_ne_u32_e64 s[0:1], 0, v3
	s_and_b64 s[0:1], vcc, s[0:1]
	v_cndmask_b32_e64 v3, 0, 1, s[0:1]
	v_add_u32_e32 v5, v5, v3
; %bb.1991:
	s_or_b64 exec, exec, s[6:7]
	s_mov_b64 s[0:1], 0
	global_store_byte v[0:1], v5, off
.LBB63_1992:
	s_mov_b64 s[6:7], 0
.LBB63_1993:
	s_and_b64 vcc, exec, s[6:7]
	s_cbranch_vccz .LBB63_1996
; %bb.1994:
	s_cmp_eq_u32 s19, 29
	s_mov_b64 s[0:1], -1
	s_cbranch_scc0 .LBB63_1996
; %bb.1995:
	v_ashrrev_i32_e32 v3, 31, v2
	global_store_dwordx2 v[0:1], v[2:3], off
	s_mov_b64 s[0:1], 0
.LBB63_1996:
	s_mov_b64 s[6:7], 0
.LBB63_1997:
	s_and_b64 vcc, exec, s[6:7]
	s_cbranch_vccz .LBB63_2012
; %bb.1998:
	s_cmp_lt_i32 s19, 27
	s_mov_b64 s[6:7], -1
	s_cbranch_scc1 .LBB63_2004
; %bb.1999:
	s_cmp_gt_i32 s19, 27
	s_cbranch_scc0 .LBB63_2001
; %bb.2000:
	global_store_dword v[0:1], v2, off
	s_mov_b64 s[6:7], 0
.LBB63_2001:
	s_andn2_b64 vcc, exec, s[6:7]
	s_cbranch_vccnz .LBB63_2003
; %bb.2002:
	global_store_short v[0:1], v2, off
.LBB63_2003:
	s_mov_b64 s[6:7], 0
.LBB63_2004:
	s_andn2_b64 vcc, exec, s[6:7]
	s_cbranch_vccnz .LBB63_2012
; %bb.2005:
	v_cvt_f32_i32_e32 v3, v2
	s_mov_b32 s6, 0x43800000
	v_mov_b32_e32 v5, 0x80
	v_and_b32_e32 v4, 0x7fffffff, v3
	v_cmp_gt_u32_e32 vcc, s6, v4
	s_and_saveexec_b64 s[6:7], vcc
	s_cbranch_execz .LBB63_2011
; %bb.2006:
	s_mov_b32 s8, 0x3bffffff
	v_cmp_lt_u32_e32 vcc, s8, v4
	s_mov_b64 s[8:9], 0
                                        ; implicit-def: $vgpr4
	s_and_saveexec_b64 s[10:11], vcc
	s_xor_b64 s[10:11], exec, s[10:11]
	s_cbranch_execz .LBB63_2117
; %bb.2007:
	v_bfe_u32 v4, v3, 20, 1
	s_mov_b32 s12, 0x487ffff
	v_add3_u32 v4, v3, v4, s12
	s_mov_b64 s[8:9], exec
	v_lshrrev_b32_e32 v4, 20, v4
	s_andn2_saveexec_b64 s[10:11], s[10:11]
	s_cbranch_execnz .LBB63_2118
.LBB63_2008:
	s_or_b64 exec, exec, s[10:11]
	v_mov_b32_e32 v5, 0
	s_and_saveexec_b64 s[10:11], s[8:9]
.LBB63_2009:
	v_lshrrev_b32_e32 v3, 24, v3
	s_movk_i32 s8, 0x80
	v_and_or_b32 v5, v3, s8, v4
.LBB63_2010:
	s_or_b64 exec, exec, s[10:11]
.LBB63_2011:
	s_or_b64 exec, exec, s[6:7]
	global_store_byte v[0:1], v5, off
.LBB63_2012:
	s_mov_b64 s[6:7], 0
.LBB63_2013:
	s_and_b64 vcc, exec, s[6:7]
	s_cbranch_vccz .LBB63_2053
; %bb.2014:
	s_cmp_gt_i32 s19, 22
	s_mov_b64 s[4:5], -1
	s_cbranch_scc0 .LBB63_2046
; %bb.2015:
	s_cmp_lt_i32 s19, 24
	s_cbranch_scc1 .LBB63_2035
; %bb.2016:
	s_cmp_gt_i32 s19, 24
	s_cbranch_scc0 .LBB63_2024
; %bb.2017:
	v_cvt_f32_i32_e32 v3, v2
	s_mov_b32 s4, 0x47800000
	v_mov_b32_e32 v5, 0x80
	v_and_b32_e32 v4, 0x7fffffff, v3
	v_cmp_gt_u32_e32 vcc, s4, v4
	s_and_saveexec_b64 s[4:5], vcc
	s_cbranch_execz .LBB63_2023
; %bb.2018:
	s_mov_b32 s6, 0x37ffffff
	v_cmp_lt_u32_e32 vcc, s6, v4
	s_mov_b64 s[6:7], 0
                                        ; implicit-def: $vgpr4
	s_and_saveexec_b64 s[8:9], vcc
	s_xor_b64 s[8:9], exec, s[8:9]
	s_cbranch_execz .LBB63_2120
; %bb.2019:
	v_bfe_u32 v4, v3, 21, 1
	s_mov_b32 s10, 0x88fffff
	v_add3_u32 v4, v3, v4, s10
	s_mov_b64 s[6:7], exec
	v_lshrrev_b32_e32 v4, 21, v4
	s_andn2_saveexec_b64 s[8:9], s[8:9]
	s_cbranch_execnz .LBB63_2121
.LBB63_2020:
	s_or_b64 exec, exec, s[8:9]
	v_mov_b32_e32 v5, 0
	s_and_saveexec_b64 s[8:9], s[6:7]
.LBB63_2021:
	v_lshrrev_b32_e32 v3, 24, v3
	s_movk_i32 s6, 0x80
	v_and_or_b32 v5, v3, s6, v4
.LBB63_2022:
	s_or_b64 exec, exec, s[8:9]
.LBB63_2023:
	s_or_b64 exec, exec, s[4:5]
	s_mov_b64 s[4:5], 0
	global_store_byte v[0:1], v5, off
.LBB63_2024:
	s_and_b64 vcc, exec, s[4:5]
	s_cbranch_vccz .LBB63_2034
; %bb.2025:
	v_cvt_f32_i32_e32 v3, v2
	s_mov_b32 s4, 0x43f00000
                                        ; implicit-def: $vgpr4
	v_and_b32_e32 v5, 0x7fffffff, v3
	v_cmp_gt_u32_e32 vcc, s4, v5
	s_and_saveexec_b64 s[4:5], vcc
	s_xor_b64 s[4:5], exec, s[4:5]
	s_cbranch_execz .LBB63_2031
; %bb.2026:
	s_mov_b32 s6, 0x3c7fffff
	v_cmp_lt_u32_e32 vcc, s6, v5
                                        ; implicit-def: $vgpr4
	s_and_saveexec_b64 s[6:7], vcc
	s_xor_b64 s[6:7], exec, s[6:7]
; %bb.2027:
	v_bfe_u32 v4, v3, 20, 1
	s_mov_b32 s8, 0x407ffff
	v_add3_u32 v4, v3, v4, s8
	v_lshrrev_b32_e32 v5, 20, v4
	v_and_b32_e32 v4, 0xff00000, v4
	s_mov_b32 s8, 0x7f00000
	v_mov_b32_e32 v6, 0x7e
	v_cmp_ne_u32_e32 vcc, s8, v4
	v_cndmask_b32_e32 v4, v6, v5, vcc
; %bb.2028:
	s_andn2_saveexec_b64 s[6:7], s[6:7]
; %bb.2029:
	s_mov_b32 s8, 0x46800000
	v_add_f32_e64 v4, |v3|, s8
; %bb.2030:
	s_or_b64 exec, exec, s[6:7]
                                        ; implicit-def: $vgpr5
.LBB63_2031:
	s_andn2_saveexec_b64 s[4:5], s[4:5]
; %bb.2032:
	s_mov_b32 s6, 0x7f800000
	v_mov_b32_e32 v4, 0x7e
	v_mov_b32_e32 v6, 0x7f
	v_cmp_lt_u32_e32 vcc, s6, v5
	v_cndmask_b32_e32 v4, v4, v6, vcc
; %bb.2033:
	s_or_b64 exec, exec, s[4:5]
	v_lshrrev_b32_e32 v3, 24, v3
	s_movk_i32 s4, 0x80
	v_and_or_b32 v3, v3, s4, v4
	global_store_byte v[0:1], v3, off
.LBB63_2034:
	s_mov_b64 s[4:5], 0
.LBB63_2035:
	s_andn2_b64 vcc, exec, s[4:5]
	s_cbranch_vccnz .LBB63_2045
; %bb.2036:
	v_cvt_f32_i32_e32 v3, v2
	s_mov_b32 s4, 0x47800000
                                        ; implicit-def: $vgpr4
	v_and_b32_e32 v5, 0x7fffffff, v3
	v_cmp_gt_u32_e32 vcc, s4, v5
	s_and_saveexec_b64 s[4:5], vcc
	s_xor_b64 s[4:5], exec, s[4:5]
	s_cbranch_execz .LBB63_2042
; %bb.2037:
	s_mov_b32 s6, 0x387fffff
	v_cmp_lt_u32_e32 vcc, s6, v5
                                        ; implicit-def: $vgpr4
	s_and_saveexec_b64 s[6:7], vcc
	s_xor_b64 s[6:7], exec, s[6:7]
; %bb.2038:
	v_bfe_u32 v4, v3, 21, 1
	s_mov_b32 s8, 0x80fffff
	v_add3_u32 v4, v3, v4, s8
	v_lshrrev_b32_e32 v4, 21, v4
; %bb.2039:
	s_andn2_saveexec_b64 s[6:7], s[6:7]
; %bb.2040:
	s_mov_b32 s8, 0x43000000
	v_add_f32_e64 v4, |v3|, s8
; %bb.2041:
	s_or_b64 exec, exec, s[6:7]
                                        ; implicit-def: $vgpr5
.LBB63_2042:
	s_andn2_saveexec_b64 s[4:5], s[4:5]
; %bb.2043:
	s_mov_b32 s6, 0x7f800000
	v_mov_b32_e32 v4, 0x7c
	v_mov_b32_e32 v6, 0x7f
	v_cmp_lt_u32_e32 vcc, s6, v5
	v_cndmask_b32_e32 v4, v4, v6, vcc
; %bb.2044:
	s_or_b64 exec, exec, s[4:5]
	v_lshrrev_b32_e32 v3, 24, v3
	s_movk_i32 s4, 0x80
	v_and_or_b32 v3, v3, s4, v4
	global_store_byte v[0:1], v3, off
.LBB63_2045:
	s_mov_b64 s[4:5], 0
.LBB63_2046:
	s_andn2_b64 vcc, exec, s[4:5]
	s_mov_b64 s[4:5], 0
	s_cbranch_vccnz .LBB63_2053
; %bb.2047:
	s_cmp_gt_i32 s19, 14
	s_mov_b64 s[6:7], -1
	s_cbranch_scc0 .LBB63_2051
; %bb.2048:
	s_cmp_eq_u32 s19, 15
	s_mov_b64 s[0:1], -1
	s_cbranch_scc0 .LBB63_2050
; %bb.2049:
	v_cvt_f32_i32_e32 v3, v2
	s_movk_i32 s0, 0x7fff
	v_bfe_u32 v4, v3, 16, 1
	v_add3_u32 v3, v3, v4, s0
	global_store_short_d16_hi v[0:1], v3, off
	s_mov_b64 s[0:1], 0
.LBB63_2050:
	s_mov_b64 s[6:7], 0
.LBB63_2051:
	s_and_b64 vcc, exec, s[6:7]
	s_cbranch_vccz .LBB63_2053
; %bb.2052:
	s_cmp_lg_u32 s19, 11
	s_mov_b64 s[4:5], -1
	s_cselect_b64 s[0:1], -1, 0
.LBB63_2053:
	s_and_b64 vcc, exec, s[0:1]
	s_cbranch_vccnz .LBB63_2119
.LBB63_2054:
	s_mov_b64 s[0:1], 0
	s_branch .LBB63_2056
.LBB63_2055:
	s_mov_b64 s[0:1], 0
	s_mov_b64 s[4:5], 0
                                        ; implicit-def: $vgpr0_vgpr1
                                        ; implicit-def: $sgpr18
                                        ; implicit-def: $vgpr2
.LBB63_2056:
	s_and_b64 s[6:7], s[4:5], exec
	s_andn2_b64 s[4:5], s[28:29], exec
	s_and_b64 s[2:3], s[2:3], exec
	s_and_b64 s[0:1], s[0:1], exec
	s_or_b64 s[28:29], s[4:5], s[2:3]
.LBB63_2057:
	s_or_b64 exec, exec, s[30:31]
	s_and_saveexec_b64 s[2:3], s[28:29]
	s_cbranch_execz .LBB63_2060
; %bb.2058:
	; divergent unreachable
	s_or_b64 exec, exec, s[2:3]
	s_and_saveexec_b64 s[2:3], s[6:7]
	s_xor_b64 s[2:3], exec, s[2:3]
	s_cbranch_execnz .LBB63_2061
.LBB63_2059:
	s_or_b64 exec, exec, s[2:3]
	s_and_saveexec_b64 s[2:3], s[0:1]
	s_cbranch_execnz .LBB63_2062
	s_branch .LBB63_2099
.LBB63_2060:
	s_or_b64 exec, exec, s[2:3]
	s_and_saveexec_b64 s[2:3], s[6:7]
	s_xor_b64 s[2:3], exec, s[2:3]
	s_cbranch_execz .LBB63_2059
.LBB63_2061:
	v_cmp_ne_u32_e32 vcc, 0, v2
	s_waitcnt vmcnt(0)
	v_cndmask_b32_e64 v3, 0, 1, vcc
	global_store_byte v[0:1], v3, off
	s_or_b64 exec, exec, s[2:3]
	s_and_saveexec_b64 s[2:3], s[0:1]
	s_cbranch_execz .LBB63_2099
.LBB63_2062:
	s_sext_i32_i16 s2, s18
	s_cmp_lt_i32 s2, 5
	s_mov_b64 s[0:1], -1
	s_cbranch_scc1 .LBB63_2083
; %bb.2063:
	s_cmp_lt_i32 s2, 8
	s_cbranch_scc1 .LBB63_2073
; %bb.2064:
	s_cmp_lt_i32 s2, 9
	s_cbranch_scc1 .LBB63_2070
; %bb.2065:
	s_cmp_gt_i32 s2, 9
	s_cbranch_scc0 .LBB63_2067
; %bb.2066:
	s_waitcnt vmcnt(0)
	v_cvt_f64_i32_e32 v[3:4], v2
	v_mov_b32_e32 v5, 0
	v_mov_b32_e32 v6, v5
	s_mov_b64 s[0:1], 0
	global_store_dwordx4 v[0:1], v[3:6], off
.LBB63_2067:
	s_andn2_b64 vcc, exec, s[0:1]
	s_cbranch_vccnz .LBB63_2069
; %bb.2068:
	s_waitcnt vmcnt(0)
	v_cvt_f32_i32_e32 v3, v2
	v_mov_b32_e32 v4, 0
	global_store_dwordx2 v[0:1], v[3:4], off
.LBB63_2069:
	s_mov_b64 s[0:1], 0
.LBB63_2070:
	s_andn2_b64 vcc, exec, s[0:1]
	s_cbranch_vccnz .LBB63_2072
; %bb.2071:
	s_waitcnt vmcnt(0)
	v_cvt_f32_i32_e32 v3, v2
	v_cvt_f16_f32_e32 v3, v3
	global_store_dword v[0:1], v3, off
.LBB63_2072:
	s_mov_b64 s[0:1], 0
.LBB63_2073:
	s_andn2_b64 vcc, exec, s[0:1]
	s_cbranch_vccnz .LBB63_2082
; %bb.2074:
	s_sext_i32_i16 s2, s18
	s_cmp_lt_i32 s2, 6
	s_mov_b64 s[0:1], -1
	s_cbranch_scc1 .LBB63_2080
; %bb.2075:
	s_cmp_gt_i32 s2, 6
	s_cbranch_scc0 .LBB63_2077
; %bb.2076:
	s_waitcnt vmcnt(0)
	v_cvt_f64_i32_e32 v[3:4], v2
	s_mov_b64 s[0:1], 0
	global_store_dwordx2 v[0:1], v[3:4], off
.LBB63_2077:
	s_andn2_b64 vcc, exec, s[0:1]
	s_cbranch_vccnz .LBB63_2079
; %bb.2078:
	s_waitcnt vmcnt(0)
	v_cvt_f32_i32_e32 v3, v2
	global_store_dword v[0:1], v3, off
.LBB63_2079:
	s_mov_b64 s[0:1], 0
.LBB63_2080:
	s_andn2_b64 vcc, exec, s[0:1]
	s_cbranch_vccnz .LBB63_2082
; %bb.2081:
	s_waitcnt vmcnt(0)
	v_cvt_f32_i32_e32 v3, v2
	v_cvt_f16_f32_e32 v3, v3
	global_store_short v[0:1], v3, off
.LBB63_2082:
	s_mov_b64 s[0:1], 0
.LBB63_2083:
	s_andn2_b64 vcc, exec, s[0:1]
	s_cbranch_vccnz .LBB63_2099
; %bb.2084:
	s_sext_i32_i16 s2, s18
	s_cmp_lt_i32 s2, 2
	s_mov_b64 s[0:1], -1
	s_cbranch_scc1 .LBB63_2094
; %bb.2085:
	s_cmp_lt_i32 s2, 3
	s_cbranch_scc1 .LBB63_2091
; %bb.2086:
	s_cmp_gt_i32 s2, 3
	s_cbranch_scc0 .LBB63_2088
; %bb.2087:
	s_waitcnt vmcnt(0)
	v_ashrrev_i32_e32 v3, 31, v2
	global_store_dwordx2 v[0:1], v[2:3], off
	s_mov_b64 s[0:1], 0
.LBB63_2088:
	s_andn2_b64 vcc, exec, s[0:1]
	s_cbranch_vccnz .LBB63_2090
; %bb.2089:
	s_waitcnt vmcnt(0)
	global_store_dword v[0:1], v2, off
.LBB63_2090:
	s_mov_b64 s[0:1], 0
.LBB63_2091:
	s_andn2_b64 vcc, exec, s[0:1]
	s_cbranch_vccnz .LBB63_2093
; %bb.2092:
	s_waitcnt vmcnt(0)
	global_store_short v[0:1], v2, off
.LBB63_2093:
	s_mov_b64 s[0:1], 0
.LBB63_2094:
	s_andn2_b64 vcc, exec, s[0:1]
	s_cbranch_vccnz .LBB63_2099
; %bb.2095:
	s_sext_i32_i16 s0, s18
	s_cmp_gt_i32 s0, 0
	s_mov_b64 s[0:1], -1
	s_cbranch_scc0 .LBB63_2097
; %bb.2096:
	s_waitcnt vmcnt(0)
	global_store_byte v[0:1], v2, off
	s_mov_b64 s[0:1], 0
.LBB63_2097:
	s_andn2_b64 vcc, exec, s[0:1]
	s_cbranch_vccnz .LBB63_2099
; %bb.2098:
	s_waitcnt vmcnt(0)
	global_store_byte v[0:1], v2, off
	s_endpgm
.LBB63_2099:
	s_endpgm
.LBB63_2100:
	s_mov_b64 s[4:5], 0
	s_mov_b64 s[0:1], -1
	s_branch .LBB63_2056
.LBB63_2101:
	s_trap 2
	s_or_b64 s[2:3], s[2:3], exec
	s_cbranch_execz .LBB63_1570
	s_branch .LBB63_1571
.LBB63_2102:
	s_andn2_saveexec_b64 s[16:17], s[16:17]
	s_cbranch_execz .LBB63_1650
.LBB63_2103:
	s_mov_b32 s19, 0x46000000
	v_add_f32_e64 v10, |v6|, s19
	v_and_b32_e32 v10, 0xff, v10
	v_cmp_ne_u32_e32 vcc, 0, v10
	s_andn2_b64 s[14:15], s[14:15], exec
	s_and_b64 s[20:21], vcc, exec
	s_or_b64 s[14:15], s[14:15], s[20:21]
	s_or_b64 exec, exec, s[16:17]
	v_mov_b32_e32 v11, 0
	s_and_saveexec_b64 s[16:17], s[14:15]
	s_cbranch_execnz .LBB63_1651
	s_branch .LBB63_1652
.LBB63_2104:
	s_trap 2
	s_or_b64 s[2:3], s[2:3], exec
	s_cbranch_execz .LBB63_1698
	s_branch .LBB63_1699
.LBB63_2105:
	s_andn2_saveexec_b64 s[14:15], s[14:15]
	s_cbranch_execz .LBB63_1663
.LBB63_2106:
	s_mov_b32 s16, 0x42800000
	v_add_f32_e64 v10, |v6|, s16
	v_and_b32_e32 v10, 0xff, v10
	v_cmp_ne_u32_e32 vcc, 0, v10
	s_andn2_b64 s[12:13], s[12:13], exec
	s_and_b64 s[16:17], vcc, exec
	s_or_b64 s[12:13], s[12:13], s[16:17]
	s_or_b64 exec, exec, s[14:15]
	v_mov_b32_e32 v11, 0
	s_and_saveexec_b64 s[14:15], s[12:13]
	s_cbranch_execnz .LBB63_1664
	s_branch .LBB63_1665
.LBB63_2107:
	s_andn2_saveexec_b64 s[16:17], s[16:17]
	s_cbranch_execz .LBB63_1769
.LBB63_2108:
	s_mov_b32 s7, 0x46000000
	v_add_f32_e64 v7, |v4|, s7
	v_and_b32_e32 v7, 0xff, v7
	v_cmp_ne_u32_e32 vcc, 0, v7
	s_andn2_b64 s[14:15], s[14:15], exec
	s_and_b64 s[20:21], vcc, exec
	s_or_b64 s[14:15], s[14:15], s[20:21]
	s_or_b64 exec, exec, s[16:17]
	v_mov_b32_e32 v8, 0
	s_and_saveexec_b64 s[16:17], s[14:15]
	s_cbranch_execnz .LBB63_1770
	s_branch .LBB63_1771
.LBB63_2109:
	s_trap 2
	s_or_b64 s[2:3], s[2:3], exec
	s_cbranch_execz .LBB63_1817
	s_branch .LBB63_1818
.LBB63_2110:
	s_andn2_saveexec_b64 s[14:15], s[14:15]
	s_cbranch_execz .LBB63_1782
.LBB63_2111:
	s_mov_b32 s7, 0x42800000
	v_add_f32_e64 v7, |v4|, s7
	v_and_b32_e32 v7, 0xff, v7
	v_cmp_ne_u32_e32 vcc, 0, v7
	s_andn2_b64 s[12:13], s[12:13], exec
	s_and_b64 s[16:17], vcc, exec
	s_or_b64 s[12:13], s[12:13], s[16:17]
	s_or_b64 exec, exec, s[14:15]
	v_mov_b32_e32 v8, 0
	s_and_saveexec_b64 s[14:15], s[12:13]
	s_cbranch_execnz .LBB63_1783
	s_branch .LBB63_1784
.LBB63_2112:
	s_andn2_saveexec_b64 s[16:17], s[16:17]
	s_cbranch_execz .LBB63_1888
.LBB63_2113:
	s_mov_b32 s7, 0x46000000
	v_add_f32_e64 v5, |v2|, s7
	v_and_b32_e32 v5, 0xff, v5
	v_cmp_ne_u32_e32 vcc, 0, v5
	s_andn2_b64 s[14:15], s[14:15], exec
	s_and_b64 s[20:21], vcc, exec
	s_or_b64 s[14:15], s[14:15], s[20:21]
	s_or_b64 exec, exec, s[16:17]
	v_mov_b32_e32 v6, 0
	s_and_saveexec_b64 s[16:17], s[14:15]
	s_cbranch_execnz .LBB63_1889
	s_branch .LBB63_1890
.LBB63_2114:
	s_trap 2
	s_or_b64 s[2:3], s[2:3], exec
	s_cbranch_execz .LBB63_1936
	s_branch .LBB63_1937
.LBB63_2115:
	s_andn2_saveexec_b64 s[14:15], s[14:15]
	s_cbranch_execz .LBB63_1901
.LBB63_2116:
	s_mov_b32 s7, 0x42800000
	v_add_f32_e64 v5, |v2|, s7
	v_and_b32_e32 v5, 0xff, v5
	v_cmp_ne_u32_e32 vcc, 0, v5
	s_andn2_b64 s[12:13], s[12:13], exec
	s_and_b64 s[16:17], vcc, exec
	s_or_b64 s[12:13], s[12:13], s[16:17]
	s_or_b64 exec, exec, s[14:15]
	v_mov_b32_e32 v6, 0
	s_and_saveexec_b64 s[14:15], s[12:13]
	s_cbranch_execnz .LBB63_1902
	s_branch .LBB63_1903
.LBB63_2117:
	s_andn2_saveexec_b64 s[10:11], s[10:11]
	s_cbranch_execz .LBB63_2008
.LBB63_2118:
	s_mov_b32 s12, 0x46000000
	v_add_f32_e64 v4, |v3|, s12
	v_and_b32_e32 v4, 0xff, v4
	v_cmp_ne_u32_e32 vcc, 0, v4
	s_andn2_b64 s[8:9], s[8:9], exec
	s_and_b64 s[12:13], vcc, exec
	s_or_b64 s[8:9], s[8:9], s[12:13]
	s_or_b64 exec, exec, s[10:11]
	v_mov_b32_e32 v5, 0
	s_and_saveexec_b64 s[10:11], s[8:9]
	s_cbranch_execnz .LBB63_2009
	s_branch .LBB63_2010
.LBB63_2119:
	s_mov_b64 s[4:5], 0
	s_or_b64 s[2:3], s[2:3], exec
	s_trap 2
	s_branch .LBB63_2054
.LBB63_2120:
	s_andn2_saveexec_b64 s[8:9], s[8:9]
	s_cbranch_execz .LBB63_2020
.LBB63_2121:
	s_mov_b32 s10, 0x42800000
	v_add_f32_e64 v4, |v3|, s10
	v_and_b32_e32 v4, 0xff, v4
	v_cmp_ne_u32_e32 vcc, 0, v4
	s_andn2_b64 s[6:7], s[6:7], exec
	s_and_b64 s[10:11], vcc, exec
	s_or_b64 s[6:7], s[6:7], s[10:11]
	s_or_b64 exec, exec, s[8:9]
	v_mov_b32_e32 v5, 0
	s_and_saveexec_b64 s[8:9], s[6:7]
	s_cbranch_execnz .LBB63_2021
	s_branch .LBB63_2022
	.section	.rodata,"a",@progbits
	.p2align	6, 0x0
	.amdhsa_kernel _ZN2at6native32elementwise_kernel_manual_unrollILi128ELi4EZNS0_15gpu_kernel_implINS0_13BUnaryFunctorIiiiZNS0_12_GLOBAL__N_121threshold_kernel_implIiEEvRNS_18TensorIteratorBaseET_S8_EUliiE_EEEEvS7_RKS8_EUlibE0_EEviT1_
		.amdhsa_group_segment_fixed_size 0
		.amdhsa_private_segment_fixed_size 0
		.amdhsa_kernarg_size 368
		.amdhsa_user_sgpr_count 6
		.amdhsa_user_sgpr_private_segment_buffer 1
		.amdhsa_user_sgpr_dispatch_ptr 0
		.amdhsa_user_sgpr_queue_ptr 0
		.amdhsa_user_sgpr_kernarg_segment_ptr 1
		.amdhsa_user_sgpr_dispatch_id 0
		.amdhsa_user_sgpr_flat_scratch_init 0
		.amdhsa_user_sgpr_private_segment_size 0
		.amdhsa_uses_dynamic_stack 0
		.amdhsa_system_sgpr_private_segment_wavefront_offset 0
		.amdhsa_system_sgpr_workgroup_id_x 1
		.amdhsa_system_sgpr_workgroup_id_y 0
		.amdhsa_system_sgpr_workgroup_id_z 0
		.amdhsa_system_sgpr_workgroup_info 0
		.amdhsa_system_vgpr_workitem_id 0
		.amdhsa_next_free_vgpr 18
		.amdhsa_next_free_sgpr 81
		.amdhsa_reserve_vcc 1
		.amdhsa_reserve_flat_scratch 0
		.amdhsa_float_round_mode_32 0
		.amdhsa_float_round_mode_16_64 0
		.amdhsa_float_denorm_mode_32 3
		.amdhsa_float_denorm_mode_16_64 3
		.amdhsa_dx10_clamp 1
		.amdhsa_ieee_mode 1
		.amdhsa_fp16_overflow 0
		.amdhsa_exception_fp_ieee_invalid_op 0
		.amdhsa_exception_fp_denorm_src 0
		.amdhsa_exception_fp_ieee_div_zero 0
		.amdhsa_exception_fp_ieee_overflow 0
		.amdhsa_exception_fp_ieee_underflow 0
		.amdhsa_exception_fp_ieee_inexact 0
		.amdhsa_exception_int_div_zero 0
	.end_amdhsa_kernel
	.section	.text._ZN2at6native32elementwise_kernel_manual_unrollILi128ELi4EZNS0_15gpu_kernel_implINS0_13BUnaryFunctorIiiiZNS0_12_GLOBAL__N_121threshold_kernel_implIiEEvRNS_18TensorIteratorBaseET_S8_EUliiE_EEEEvS7_RKS8_EUlibE0_EEviT1_,"axG",@progbits,_ZN2at6native32elementwise_kernel_manual_unrollILi128ELi4EZNS0_15gpu_kernel_implINS0_13BUnaryFunctorIiiiZNS0_12_GLOBAL__N_121threshold_kernel_implIiEEvRNS_18TensorIteratorBaseET_S8_EUliiE_EEEEvS7_RKS8_EUlibE0_EEviT1_,comdat
.Lfunc_end63:
	.size	_ZN2at6native32elementwise_kernel_manual_unrollILi128ELi4EZNS0_15gpu_kernel_implINS0_13BUnaryFunctorIiiiZNS0_12_GLOBAL__N_121threshold_kernel_implIiEEvRNS_18TensorIteratorBaseET_S8_EUliiE_EEEEvS7_RKS8_EUlibE0_EEviT1_, .Lfunc_end63-_ZN2at6native32elementwise_kernel_manual_unrollILi128ELi4EZNS0_15gpu_kernel_implINS0_13BUnaryFunctorIiiiZNS0_12_GLOBAL__N_121threshold_kernel_implIiEEvRNS_18TensorIteratorBaseET_S8_EUliiE_EEEEvS7_RKS8_EUlibE0_EEviT1_
                                        ; -- End function
	.set _ZN2at6native32elementwise_kernel_manual_unrollILi128ELi4EZNS0_15gpu_kernel_implINS0_13BUnaryFunctorIiiiZNS0_12_GLOBAL__N_121threshold_kernel_implIiEEvRNS_18TensorIteratorBaseET_S8_EUliiE_EEEEvS7_RKS8_EUlibE0_EEviT1_.num_vgpr, 18
	.set _ZN2at6native32elementwise_kernel_manual_unrollILi128ELi4EZNS0_15gpu_kernel_implINS0_13BUnaryFunctorIiiiZNS0_12_GLOBAL__N_121threshold_kernel_implIiEEvRNS_18TensorIteratorBaseET_S8_EUliiE_EEEEvS7_RKS8_EUlibE0_EEviT1_.num_agpr, 0
	.set _ZN2at6native32elementwise_kernel_manual_unrollILi128ELi4EZNS0_15gpu_kernel_implINS0_13BUnaryFunctorIiiiZNS0_12_GLOBAL__N_121threshold_kernel_implIiEEvRNS_18TensorIteratorBaseET_S8_EUliiE_EEEEvS7_RKS8_EUlibE0_EEviT1_.numbered_sgpr, 81
	.set _ZN2at6native32elementwise_kernel_manual_unrollILi128ELi4EZNS0_15gpu_kernel_implINS0_13BUnaryFunctorIiiiZNS0_12_GLOBAL__N_121threshold_kernel_implIiEEvRNS_18TensorIteratorBaseET_S8_EUliiE_EEEEvS7_RKS8_EUlibE0_EEviT1_.num_named_barrier, 0
	.set _ZN2at6native32elementwise_kernel_manual_unrollILi128ELi4EZNS0_15gpu_kernel_implINS0_13BUnaryFunctorIiiiZNS0_12_GLOBAL__N_121threshold_kernel_implIiEEvRNS_18TensorIteratorBaseET_S8_EUliiE_EEEEvS7_RKS8_EUlibE0_EEviT1_.private_seg_size, 0
	.set _ZN2at6native32elementwise_kernel_manual_unrollILi128ELi4EZNS0_15gpu_kernel_implINS0_13BUnaryFunctorIiiiZNS0_12_GLOBAL__N_121threshold_kernel_implIiEEvRNS_18TensorIteratorBaseET_S8_EUliiE_EEEEvS7_RKS8_EUlibE0_EEviT1_.uses_vcc, 1
	.set _ZN2at6native32elementwise_kernel_manual_unrollILi128ELi4EZNS0_15gpu_kernel_implINS0_13BUnaryFunctorIiiiZNS0_12_GLOBAL__N_121threshold_kernel_implIiEEvRNS_18TensorIteratorBaseET_S8_EUliiE_EEEEvS7_RKS8_EUlibE0_EEviT1_.uses_flat_scratch, 0
	.set _ZN2at6native32elementwise_kernel_manual_unrollILi128ELi4EZNS0_15gpu_kernel_implINS0_13BUnaryFunctorIiiiZNS0_12_GLOBAL__N_121threshold_kernel_implIiEEvRNS_18TensorIteratorBaseET_S8_EUliiE_EEEEvS7_RKS8_EUlibE0_EEviT1_.has_dyn_sized_stack, 0
	.set _ZN2at6native32elementwise_kernel_manual_unrollILi128ELi4EZNS0_15gpu_kernel_implINS0_13BUnaryFunctorIiiiZNS0_12_GLOBAL__N_121threshold_kernel_implIiEEvRNS_18TensorIteratorBaseET_S8_EUliiE_EEEEvS7_RKS8_EUlibE0_EEviT1_.has_recursion, 0
	.set _ZN2at6native32elementwise_kernel_manual_unrollILi128ELi4EZNS0_15gpu_kernel_implINS0_13BUnaryFunctorIiiiZNS0_12_GLOBAL__N_121threshold_kernel_implIiEEvRNS_18TensorIteratorBaseET_S8_EUliiE_EEEEvS7_RKS8_EUlibE0_EEviT1_.has_indirect_call, 0
	.section	.AMDGPU.csdata,"",@progbits
; Kernel info:
; codeLenInByte = 34680
; TotalNumSgprs: 85
; NumVgprs: 18
; ScratchSize: 0
; MemoryBound: 1
; FloatMode: 240
; IeeeMode: 1
; LDSByteSize: 0 bytes/workgroup (compile time only)
; SGPRBlocks: 10
; VGPRBlocks: 4
; NumSGPRsForWavesPerEU: 85
; NumVGPRsForWavesPerEU: 18
; Occupancy: 9
; WaveLimiterHint : 1
; COMPUTE_PGM_RSRC2:SCRATCH_EN: 0
; COMPUTE_PGM_RSRC2:USER_SGPR: 6
; COMPUTE_PGM_RSRC2:TRAP_HANDLER: 0
; COMPUTE_PGM_RSRC2:TGID_X_EN: 1
; COMPUTE_PGM_RSRC2:TGID_Y_EN: 0
; COMPUTE_PGM_RSRC2:TGID_Z_EN: 0
; COMPUTE_PGM_RSRC2:TIDIG_COMP_CNT: 0
	.section	.text._ZN2at6native29vectorized_elementwise_kernelILi16ENS0_13BinaryFunctorIiiiZNS0_12_GLOBAL__N_121threshold_kernel_implIiEEvRNS_18TensorIteratorBaseET_S7_EUliiE_EESt5arrayIPcLm3EEEEviT0_T1_,"axG",@progbits,_ZN2at6native29vectorized_elementwise_kernelILi16ENS0_13BinaryFunctorIiiiZNS0_12_GLOBAL__N_121threshold_kernel_implIiEEvRNS_18TensorIteratorBaseET_S7_EUliiE_EESt5arrayIPcLm3EEEEviT0_T1_,comdat
	.globl	_ZN2at6native29vectorized_elementwise_kernelILi16ENS0_13BinaryFunctorIiiiZNS0_12_GLOBAL__N_121threshold_kernel_implIiEEvRNS_18TensorIteratorBaseET_S7_EUliiE_EESt5arrayIPcLm3EEEEviT0_T1_ ; -- Begin function _ZN2at6native29vectorized_elementwise_kernelILi16ENS0_13BinaryFunctorIiiiZNS0_12_GLOBAL__N_121threshold_kernel_implIiEEvRNS_18TensorIteratorBaseET_S7_EUliiE_EESt5arrayIPcLm3EEEEviT0_T1_
	.p2align	8
	.type	_ZN2at6native29vectorized_elementwise_kernelILi16ENS0_13BinaryFunctorIiiiZNS0_12_GLOBAL__N_121threshold_kernel_implIiEEvRNS_18TensorIteratorBaseET_S7_EUliiE_EESt5arrayIPcLm3EEEEviT0_T1_,@function
_ZN2at6native29vectorized_elementwise_kernelILi16ENS0_13BinaryFunctorIiiiZNS0_12_GLOBAL__N_121threshold_kernel_implIiEEvRNS_18TensorIteratorBaseET_S7_EUliiE_EESt5arrayIPcLm3EEEEviT0_T1_: ; @_ZN2at6native29vectorized_elementwise_kernelILi16ENS0_13BinaryFunctorIiiiZNS0_12_GLOBAL__N_121threshold_kernel_implIiEEvRNS_18TensorIteratorBaseET_S7_EUliiE_EESt5arrayIPcLm3EEEEviT0_T1_
; %bb.0:
	s_load_dwordx8 s[8:15], s[4:5], 0x0
	s_load_dwordx2 s[16:17], s[4:5], 0x20
	s_lshl_b32 s2, s6, 10
	s_mov_b64 s[0:1], -1
	s_waitcnt lgkmcnt(0)
	s_sub_i32 s8, s8, s2
	s_cmpk_gt_i32 s8, 0x3ff
	s_cbranch_scc0 .LBB64_2
; %bb.1:
	s_ashr_i32 s3, s2, 31
	s_lshl_b64 s[0:1], s[2:3], 2
	s_add_u32 s4, s14, s0
	s_addc_u32 s5, s15, s1
	v_lshlrev_b32_e32 v9, 4, v0
	s_add_u32 s6, s16, s0
	s_addc_u32 s7, s17, s1
	global_load_dwordx4 v[1:4], v9, s[4:5]
	global_load_dwordx4 v[5:8], v9, s[6:7]
	v_mov_b32_e32 v10, s10
	s_add_u32 s0, s12, s0
	s_addc_u32 s1, s13, s1
	s_waitcnt vmcnt(1)
	v_cmp_lt_i32_e32 vcc, s9, v1
	s_waitcnt vmcnt(0)
	v_cndmask_b32_e32 v1, v10, v5, vcc
	v_cmp_lt_i32_e32 vcc, s9, v2
	v_cndmask_b32_e32 v2, v10, v6, vcc
	v_cmp_lt_i32_e32 vcc, s9, v3
	;; [unrolled: 2-line block ×3, first 2 shown]
	v_cndmask_b32_e32 v4, v10, v8, vcc
	global_store_dwordx4 v9, v[1:4], s[0:1]
	s_mov_b64 s[0:1], 0
.LBB64_2:
	s_andn2_b64 vcc, exec, s[0:1]
	s_cbranch_vccnz .LBB64_18
; %bb.3:
	v_cmp_gt_i32_e32 vcc, s8, v0
	v_cmp_le_i32_e64 s[0:1], s8, v0
                                        ; implicit-def: $vgpr8
	s_and_saveexec_b64 s[4:5], s[0:1]
	s_xor_b64 s[0:1], exec, s[4:5]
; %bb.4:
	v_or_b32_e32 v8, 0x100, v0
; %bb.5:
	s_or_saveexec_b64 s[4:5], s[0:1]
	v_mov_b32_e32 v14, 0
	v_or_b32_e32 v1, s2, v0
	v_mov_b32_e32 v13, 0
	v_mov_b32_e32 v12, 0
	;; [unrolled: 1-line block ×7, first 2 shown]
	s_xor_b64 exec, exec, s[4:5]
	s_cbranch_execz .LBB64_13
; %bb.6:
	v_mov_b32_e32 v2, 0
	v_lshlrev_b64 v[3:4], 2, v[1:2]
	v_mov_b32_e32 v6, s15
	v_add_co_u32_e64 v5, s[0:1], s14, v3
	v_addc_co_u32_e64 v6, s[0:1], v6, v4, s[0:1]
	global_load_dword v9, v[5:6], off
	v_mov_b32_e32 v5, s17
	v_add_co_u32_e64 v3, s[0:1], s16, v3
	v_addc_co_u32_e64 v4, s[0:1], v5, v4, s[0:1]
	global_load_dword v10, v[3:4], off
	v_or_b32_e32 v8, 0x100, v0
	v_cmp_gt_u32_e64 s[0:1], s8, v8
	v_mov_b32_e32 v11, v2
	v_mov_b32_e32 v3, v2
	;; [unrolled: 1-line block ×5, first 2 shown]
	s_and_saveexec_b64 s[6:7], s[0:1]
	s_cbranch_execz .LBB64_12
; %bb.7:
	v_add_u32_e32 v2, s2, v0
	v_mov_b32_e32 v3, 0
	v_lshlrev_b64 v[6:7], 2, v[2:3]
	v_mov_b32_e32 v2, s15
	v_add_co_u32_e64 v4, s[0:1], s14, v6
	v_addc_co_u32_e64 v5, s[0:1], v2, v7, s[0:1]
	v_mov_b32_e32 v2, s17
	v_add_co_u32_e64 v6, s[0:1], s16, v6
	v_addc_co_u32_e64 v7, s[0:1], v2, v7, s[0:1]
	global_load_dword v11, v[4:5], off offset:1024
	global_load_dword v2, v[6:7], off offset:1024
	v_or_b32_e32 v12, 0x200, v0
	v_cmp_gt_u32_e64 s[0:1], s8, v12
	v_mov_b32_e32 v12, v3
	v_mov_b32_e32 v13, v3
	;; [unrolled: 1-line block ×3, first 2 shown]
	s_and_saveexec_b64 s[14:15], s[0:1]
	s_cbranch_execz .LBB64_11
; %bb.8:
	global_load_dword v12, v[4:5], off offset:2048
	global_load_dword v3, v[6:7], off offset:2048
	v_or_b32_e32 v13, 0x300, v0
	v_cmp_gt_u32_e64 s[0:1], s8, v13
	v_mov_b32_e32 v13, 0
	v_mov_b32_e32 v14, 0
	s_and_saveexec_b64 s[16:17], s[0:1]
	s_cbranch_execz .LBB64_10
; %bb.9:
	global_load_dword v14, v[4:5], off offset:3072
	global_load_dword v13, v[6:7], off offset:3072
.LBB64_10:
	s_or_b64 exec, exec, s[16:17]
.LBB64_11:
	s_or_b64 exec, exec, s[14:15]
.LBB64_12:
	s_or_b64 exec, exec, s[6:7]
.LBB64_13:
	s_or_b64 exec, exec, s[4:5]
	v_mov_b32_e32 v7, s10
	s_waitcnt vmcnt(1)
	v_cmp_lt_i32_e64 s[0:1], s9, v9
	s_waitcnt vmcnt(0)
	v_cndmask_b32_e64 v4, v7, v10, s[0:1]
	v_cmp_lt_i32_e64 s[0:1], s9, v11
	v_cndmask_b32_e64 v2, v7, v2, s[0:1]
	v_cmp_gt_i32_e64 s[0:1], s8, v8
	v_cndmask_b32_e64 v5, 0, v2, s[0:1]
	v_or_b32_e32 v2, 0x200, v0
	v_cmp_lt_i32_e64 s[0:1], s9, v12
	v_cndmask_b32_e64 v3, v7, v3, s[0:1]
	v_cmp_gt_i32_e64 s[0:1], s8, v2
	v_cndmask_b32_e32 v6, 0, v4, vcc
	v_cndmask_b32_e64 v4, 0, v3, s[0:1]
	v_or_b32_e32 v2, 0x300, v0
	v_cmp_lt_i32_e64 s[0:1], s9, v14
	v_cndmask_b32_e64 v3, v7, v13, s[0:1]
	v_cmp_gt_i32_e64 s[0:1], s8, v2
	v_cndmask_b32_e64 v3, 0, v3, s[0:1]
	s_and_saveexec_b64 s[0:1], vcc
	s_cbranch_execnz .LBB64_19
; %bb.14:
	s_or_b64 exec, exec, s[0:1]
	v_cmp_gt_i32_e32 vcc, s8, v0
	s_and_saveexec_b64 s[0:1], vcc
	s_cbranch_execnz .LBB64_20
.LBB64_15:
	s_or_b64 exec, exec, s[0:1]
	v_cmp_gt_i32_e32 vcc, s8, v0
	s_and_saveexec_b64 s[0:1], vcc
	s_cbranch_execnz .LBB64_21
.LBB64_16:
	s_or_b64 exec, exec, s[0:1]
	v_cmp_gt_i32_e32 vcc, s8, v0
	s_and_saveexec_b64 s[0:1], vcc
	s_cbranch_execz .LBB64_18
.LBB64_17:
	v_add_u32_e32 v0, s2, v0
	v_mov_b32_e32 v1, 0
	v_lshlrev_b64 v[0:1], 2, v[0:1]
	v_mov_b32_e32 v2, s13
	v_add_co_u32_e32 v0, vcc, s12, v0
	v_addc_co_u32_e32 v1, vcc, v2, v1, vcc
	global_store_dword v[0:1], v3, off
.LBB64_18:
	s_endpgm
.LBB64_19:
	v_mov_b32_e32 v2, 0
	v_lshlrev_b64 v[0:1], 2, v[1:2]
	v_mov_b32_e32 v2, s13
	v_add_co_u32_e32 v0, vcc, s12, v0
	v_addc_co_u32_e32 v1, vcc, v2, v1, vcc
	global_store_dword v[0:1], v6, off
	v_mov_b32_e32 v0, v8
	s_or_b64 exec, exec, s[0:1]
	v_cmp_gt_i32_e32 vcc, s8, v0
	s_and_saveexec_b64 s[0:1], vcc
	s_cbranch_execz .LBB64_15
.LBB64_20:
	v_add_u32_e32 v1, s2, v0
	v_mov_b32_e32 v2, 0
	v_lshlrev_b64 v[1:2], 2, v[1:2]
	v_mov_b32_e32 v6, s13
	v_add_co_u32_e32 v1, vcc, s12, v1
	v_addc_co_u32_e32 v2, vcc, v6, v2, vcc
	v_add_u32_e32 v0, 0x100, v0
	global_store_dword v[1:2], v5, off
	s_or_b64 exec, exec, s[0:1]
	v_cmp_gt_i32_e32 vcc, s8, v0
	s_and_saveexec_b64 s[0:1], vcc
	s_cbranch_execz .LBB64_16
.LBB64_21:
	v_add_u32_e32 v1, s2, v0
	v_mov_b32_e32 v2, 0
	v_lshlrev_b64 v[1:2], 2, v[1:2]
	v_mov_b32_e32 v5, s13
	v_add_co_u32_e32 v1, vcc, s12, v1
	v_addc_co_u32_e32 v2, vcc, v5, v2, vcc
	v_add_u32_e32 v0, 0x100, v0
	global_store_dword v[1:2], v4, off
	s_or_b64 exec, exec, s[0:1]
	v_cmp_gt_i32_e32 vcc, s8, v0
	s_and_saveexec_b64 s[0:1], vcc
	s_cbranch_execnz .LBB64_17
	s_branch .LBB64_18
	.section	.rodata,"a",@progbits
	.p2align	6, 0x0
	.amdhsa_kernel _ZN2at6native29vectorized_elementwise_kernelILi16ENS0_13BinaryFunctorIiiiZNS0_12_GLOBAL__N_121threshold_kernel_implIiEEvRNS_18TensorIteratorBaseET_S7_EUliiE_EESt5arrayIPcLm3EEEEviT0_T1_
		.amdhsa_group_segment_fixed_size 0
		.amdhsa_private_segment_fixed_size 0
		.amdhsa_kernarg_size 40
		.amdhsa_user_sgpr_count 6
		.amdhsa_user_sgpr_private_segment_buffer 1
		.amdhsa_user_sgpr_dispatch_ptr 0
		.amdhsa_user_sgpr_queue_ptr 0
		.amdhsa_user_sgpr_kernarg_segment_ptr 1
		.amdhsa_user_sgpr_dispatch_id 0
		.amdhsa_user_sgpr_flat_scratch_init 0
		.amdhsa_user_sgpr_private_segment_size 0
		.amdhsa_uses_dynamic_stack 0
		.amdhsa_system_sgpr_private_segment_wavefront_offset 0
		.amdhsa_system_sgpr_workgroup_id_x 1
		.amdhsa_system_sgpr_workgroup_id_y 0
		.amdhsa_system_sgpr_workgroup_id_z 0
		.amdhsa_system_sgpr_workgroup_info 0
		.amdhsa_system_vgpr_workitem_id 0
		.amdhsa_next_free_vgpr 15
		.amdhsa_next_free_sgpr 18
		.amdhsa_reserve_vcc 1
		.amdhsa_reserve_flat_scratch 0
		.amdhsa_float_round_mode_32 0
		.amdhsa_float_round_mode_16_64 0
		.amdhsa_float_denorm_mode_32 3
		.amdhsa_float_denorm_mode_16_64 3
		.amdhsa_dx10_clamp 1
		.amdhsa_ieee_mode 1
		.amdhsa_fp16_overflow 0
		.amdhsa_exception_fp_ieee_invalid_op 0
		.amdhsa_exception_fp_denorm_src 0
		.amdhsa_exception_fp_ieee_div_zero 0
		.amdhsa_exception_fp_ieee_overflow 0
		.amdhsa_exception_fp_ieee_underflow 0
		.amdhsa_exception_fp_ieee_inexact 0
		.amdhsa_exception_int_div_zero 0
	.end_amdhsa_kernel
	.section	.text._ZN2at6native29vectorized_elementwise_kernelILi16ENS0_13BinaryFunctorIiiiZNS0_12_GLOBAL__N_121threshold_kernel_implIiEEvRNS_18TensorIteratorBaseET_S7_EUliiE_EESt5arrayIPcLm3EEEEviT0_T1_,"axG",@progbits,_ZN2at6native29vectorized_elementwise_kernelILi16ENS0_13BinaryFunctorIiiiZNS0_12_GLOBAL__N_121threshold_kernel_implIiEEvRNS_18TensorIteratorBaseET_S7_EUliiE_EESt5arrayIPcLm3EEEEviT0_T1_,comdat
.Lfunc_end64:
	.size	_ZN2at6native29vectorized_elementwise_kernelILi16ENS0_13BinaryFunctorIiiiZNS0_12_GLOBAL__N_121threshold_kernel_implIiEEvRNS_18TensorIteratorBaseET_S7_EUliiE_EESt5arrayIPcLm3EEEEviT0_T1_, .Lfunc_end64-_ZN2at6native29vectorized_elementwise_kernelILi16ENS0_13BinaryFunctorIiiiZNS0_12_GLOBAL__N_121threshold_kernel_implIiEEvRNS_18TensorIteratorBaseET_S7_EUliiE_EESt5arrayIPcLm3EEEEviT0_T1_
                                        ; -- End function
	.set _ZN2at6native29vectorized_elementwise_kernelILi16ENS0_13BinaryFunctorIiiiZNS0_12_GLOBAL__N_121threshold_kernel_implIiEEvRNS_18TensorIteratorBaseET_S7_EUliiE_EESt5arrayIPcLm3EEEEviT0_T1_.num_vgpr, 15
	.set _ZN2at6native29vectorized_elementwise_kernelILi16ENS0_13BinaryFunctorIiiiZNS0_12_GLOBAL__N_121threshold_kernel_implIiEEvRNS_18TensorIteratorBaseET_S7_EUliiE_EESt5arrayIPcLm3EEEEviT0_T1_.num_agpr, 0
	.set _ZN2at6native29vectorized_elementwise_kernelILi16ENS0_13BinaryFunctorIiiiZNS0_12_GLOBAL__N_121threshold_kernel_implIiEEvRNS_18TensorIteratorBaseET_S7_EUliiE_EESt5arrayIPcLm3EEEEviT0_T1_.numbered_sgpr, 18
	.set _ZN2at6native29vectorized_elementwise_kernelILi16ENS0_13BinaryFunctorIiiiZNS0_12_GLOBAL__N_121threshold_kernel_implIiEEvRNS_18TensorIteratorBaseET_S7_EUliiE_EESt5arrayIPcLm3EEEEviT0_T1_.num_named_barrier, 0
	.set _ZN2at6native29vectorized_elementwise_kernelILi16ENS0_13BinaryFunctorIiiiZNS0_12_GLOBAL__N_121threshold_kernel_implIiEEvRNS_18TensorIteratorBaseET_S7_EUliiE_EESt5arrayIPcLm3EEEEviT0_T1_.private_seg_size, 0
	.set _ZN2at6native29vectorized_elementwise_kernelILi16ENS0_13BinaryFunctorIiiiZNS0_12_GLOBAL__N_121threshold_kernel_implIiEEvRNS_18TensorIteratorBaseET_S7_EUliiE_EESt5arrayIPcLm3EEEEviT0_T1_.uses_vcc, 1
	.set _ZN2at6native29vectorized_elementwise_kernelILi16ENS0_13BinaryFunctorIiiiZNS0_12_GLOBAL__N_121threshold_kernel_implIiEEvRNS_18TensorIteratorBaseET_S7_EUliiE_EESt5arrayIPcLm3EEEEviT0_T1_.uses_flat_scratch, 0
	.set _ZN2at6native29vectorized_elementwise_kernelILi16ENS0_13BinaryFunctorIiiiZNS0_12_GLOBAL__N_121threshold_kernel_implIiEEvRNS_18TensorIteratorBaseET_S7_EUliiE_EESt5arrayIPcLm3EEEEviT0_T1_.has_dyn_sized_stack, 0
	.set _ZN2at6native29vectorized_elementwise_kernelILi16ENS0_13BinaryFunctorIiiiZNS0_12_GLOBAL__N_121threshold_kernel_implIiEEvRNS_18TensorIteratorBaseET_S7_EUliiE_EESt5arrayIPcLm3EEEEviT0_T1_.has_recursion, 0
	.set _ZN2at6native29vectorized_elementwise_kernelILi16ENS0_13BinaryFunctorIiiiZNS0_12_GLOBAL__N_121threshold_kernel_implIiEEvRNS_18TensorIteratorBaseET_S7_EUliiE_EESt5arrayIPcLm3EEEEviT0_T1_.has_indirect_call, 0
	.section	.AMDGPU.csdata,"",@progbits
; Kernel info:
; codeLenInByte = 948
; TotalNumSgprs: 22
; NumVgprs: 15
; ScratchSize: 0
; MemoryBound: 0
; FloatMode: 240
; IeeeMode: 1
; LDSByteSize: 0 bytes/workgroup (compile time only)
; SGPRBlocks: 2
; VGPRBlocks: 3
; NumSGPRsForWavesPerEU: 22
; NumVGPRsForWavesPerEU: 15
; Occupancy: 10
; WaveLimiterHint : 0
; COMPUTE_PGM_RSRC2:SCRATCH_EN: 0
; COMPUTE_PGM_RSRC2:USER_SGPR: 6
; COMPUTE_PGM_RSRC2:TRAP_HANDLER: 0
; COMPUTE_PGM_RSRC2:TGID_X_EN: 1
; COMPUTE_PGM_RSRC2:TGID_Y_EN: 0
; COMPUTE_PGM_RSRC2:TGID_Z_EN: 0
; COMPUTE_PGM_RSRC2:TIDIG_COMP_CNT: 0
	.section	.text._ZN2at6native29vectorized_elementwise_kernelILi8ENS0_13BinaryFunctorIiiiZNS0_12_GLOBAL__N_121threshold_kernel_implIiEEvRNS_18TensorIteratorBaseET_S7_EUliiE_EESt5arrayIPcLm3EEEEviT0_T1_,"axG",@progbits,_ZN2at6native29vectorized_elementwise_kernelILi8ENS0_13BinaryFunctorIiiiZNS0_12_GLOBAL__N_121threshold_kernel_implIiEEvRNS_18TensorIteratorBaseET_S7_EUliiE_EESt5arrayIPcLm3EEEEviT0_T1_,comdat
	.globl	_ZN2at6native29vectorized_elementwise_kernelILi8ENS0_13BinaryFunctorIiiiZNS0_12_GLOBAL__N_121threshold_kernel_implIiEEvRNS_18TensorIteratorBaseET_S7_EUliiE_EESt5arrayIPcLm3EEEEviT0_T1_ ; -- Begin function _ZN2at6native29vectorized_elementwise_kernelILi8ENS0_13BinaryFunctorIiiiZNS0_12_GLOBAL__N_121threshold_kernel_implIiEEvRNS_18TensorIteratorBaseET_S7_EUliiE_EESt5arrayIPcLm3EEEEviT0_T1_
	.p2align	8
	.type	_ZN2at6native29vectorized_elementwise_kernelILi8ENS0_13BinaryFunctorIiiiZNS0_12_GLOBAL__N_121threshold_kernel_implIiEEvRNS_18TensorIteratorBaseET_S7_EUliiE_EESt5arrayIPcLm3EEEEviT0_T1_,@function
_ZN2at6native29vectorized_elementwise_kernelILi8ENS0_13BinaryFunctorIiiiZNS0_12_GLOBAL__N_121threshold_kernel_implIiEEvRNS_18TensorIteratorBaseET_S7_EUliiE_EESt5arrayIPcLm3EEEEviT0_T1_: ; @_ZN2at6native29vectorized_elementwise_kernelILi8ENS0_13BinaryFunctorIiiiZNS0_12_GLOBAL__N_121threshold_kernel_implIiEEvRNS_18TensorIteratorBaseET_S7_EUliiE_EESt5arrayIPcLm3EEEEviT0_T1_
; %bb.0:
	s_load_dwordx8 s[8:15], s[4:5], 0x0
	s_load_dwordx2 s[16:17], s[4:5], 0x20
	s_lshl_b32 s2, s6, 10
	s_mov_b64 s[0:1], -1
	s_waitcnt lgkmcnt(0)
	s_sub_i32 s8, s8, s2
	s_cmpk_gt_i32 s8, 0x3ff
	s_cbranch_scc0 .LBB65_2
; %bb.1:
	s_ashr_i32 s3, s2, 31
	s_lshl_b64 s[0:1], s[2:3], 2
	s_add_u32 s4, s14, s0
	s_addc_u32 s5, s15, s1
	v_lshlrev_b32_e32 v9, 4, v0
	s_add_u32 s6, s16, s0
	s_addc_u32 s7, s17, s1
	global_load_dwordx4 v[1:4], v9, s[4:5]
	global_load_dwordx4 v[5:8], v9, s[6:7]
	v_mov_b32_e32 v10, s10
	s_add_u32 s0, s12, s0
	s_addc_u32 s1, s13, s1
	s_waitcnt vmcnt(1)
	v_cmp_lt_i32_e32 vcc, s9, v1
	s_waitcnt vmcnt(0)
	v_cndmask_b32_e32 v1, v10, v5, vcc
	v_cmp_lt_i32_e32 vcc, s9, v2
	v_cndmask_b32_e32 v2, v10, v6, vcc
	v_cmp_lt_i32_e32 vcc, s9, v3
	;; [unrolled: 2-line block ×3, first 2 shown]
	v_cndmask_b32_e32 v4, v10, v8, vcc
	global_store_dwordx4 v9, v[1:4], s[0:1]
	s_mov_b64 s[0:1], 0
.LBB65_2:
	s_andn2_b64 vcc, exec, s[0:1]
	s_cbranch_vccnz .LBB65_18
; %bb.3:
	v_cmp_gt_i32_e32 vcc, s8, v0
	v_cmp_le_i32_e64 s[0:1], s8, v0
                                        ; implicit-def: $vgpr8
	s_and_saveexec_b64 s[4:5], s[0:1]
	s_xor_b64 s[0:1], exec, s[4:5]
; %bb.4:
	v_or_b32_e32 v8, 0x100, v0
; %bb.5:
	s_or_saveexec_b64 s[4:5], s[0:1]
	v_mov_b32_e32 v14, 0
	v_or_b32_e32 v1, s2, v0
	v_mov_b32_e32 v13, 0
	v_mov_b32_e32 v12, 0
	;; [unrolled: 1-line block ×7, first 2 shown]
	s_xor_b64 exec, exec, s[4:5]
	s_cbranch_execz .LBB65_13
; %bb.6:
	v_mov_b32_e32 v2, 0
	v_lshlrev_b64 v[3:4], 2, v[1:2]
	v_mov_b32_e32 v6, s15
	v_add_co_u32_e64 v5, s[0:1], s14, v3
	v_addc_co_u32_e64 v6, s[0:1], v6, v4, s[0:1]
	global_load_dword v9, v[5:6], off
	v_mov_b32_e32 v5, s17
	v_add_co_u32_e64 v3, s[0:1], s16, v3
	v_addc_co_u32_e64 v4, s[0:1], v5, v4, s[0:1]
	global_load_dword v10, v[3:4], off
	v_or_b32_e32 v8, 0x100, v0
	v_cmp_gt_u32_e64 s[0:1], s8, v8
	v_mov_b32_e32 v11, v2
	v_mov_b32_e32 v3, v2
	;; [unrolled: 1-line block ×5, first 2 shown]
	s_and_saveexec_b64 s[6:7], s[0:1]
	s_cbranch_execz .LBB65_12
; %bb.7:
	v_add_u32_e32 v2, s2, v0
	v_mov_b32_e32 v3, 0
	v_lshlrev_b64 v[6:7], 2, v[2:3]
	v_mov_b32_e32 v2, s15
	v_add_co_u32_e64 v4, s[0:1], s14, v6
	v_addc_co_u32_e64 v5, s[0:1], v2, v7, s[0:1]
	v_mov_b32_e32 v2, s17
	v_add_co_u32_e64 v6, s[0:1], s16, v6
	v_addc_co_u32_e64 v7, s[0:1], v2, v7, s[0:1]
	global_load_dword v11, v[4:5], off offset:1024
	global_load_dword v2, v[6:7], off offset:1024
	v_or_b32_e32 v12, 0x200, v0
	v_cmp_gt_u32_e64 s[0:1], s8, v12
	v_mov_b32_e32 v12, v3
	v_mov_b32_e32 v13, v3
	;; [unrolled: 1-line block ×3, first 2 shown]
	s_and_saveexec_b64 s[14:15], s[0:1]
	s_cbranch_execz .LBB65_11
; %bb.8:
	global_load_dword v12, v[4:5], off offset:2048
	global_load_dword v3, v[6:7], off offset:2048
	v_or_b32_e32 v13, 0x300, v0
	v_cmp_gt_u32_e64 s[0:1], s8, v13
	v_mov_b32_e32 v13, 0
	v_mov_b32_e32 v14, 0
	s_and_saveexec_b64 s[16:17], s[0:1]
	s_cbranch_execz .LBB65_10
; %bb.9:
	global_load_dword v14, v[4:5], off offset:3072
	global_load_dword v13, v[6:7], off offset:3072
.LBB65_10:
	s_or_b64 exec, exec, s[16:17]
.LBB65_11:
	s_or_b64 exec, exec, s[14:15]
.LBB65_12:
	s_or_b64 exec, exec, s[6:7]
.LBB65_13:
	s_or_b64 exec, exec, s[4:5]
	v_mov_b32_e32 v7, s10
	s_waitcnt vmcnt(1)
	v_cmp_lt_i32_e64 s[0:1], s9, v9
	s_waitcnt vmcnt(0)
	v_cndmask_b32_e64 v4, v7, v10, s[0:1]
	v_cmp_lt_i32_e64 s[0:1], s9, v11
	v_cndmask_b32_e64 v2, v7, v2, s[0:1]
	v_cmp_gt_i32_e64 s[0:1], s8, v8
	v_cndmask_b32_e64 v5, 0, v2, s[0:1]
	v_or_b32_e32 v2, 0x200, v0
	v_cmp_lt_i32_e64 s[0:1], s9, v12
	v_cndmask_b32_e64 v3, v7, v3, s[0:1]
	v_cmp_gt_i32_e64 s[0:1], s8, v2
	v_cndmask_b32_e32 v6, 0, v4, vcc
	v_cndmask_b32_e64 v4, 0, v3, s[0:1]
	v_or_b32_e32 v2, 0x300, v0
	v_cmp_lt_i32_e64 s[0:1], s9, v14
	v_cndmask_b32_e64 v3, v7, v13, s[0:1]
	v_cmp_gt_i32_e64 s[0:1], s8, v2
	v_cndmask_b32_e64 v3, 0, v3, s[0:1]
	s_and_saveexec_b64 s[0:1], vcc
	s_cbranch_execnz .LBB65_19
; %bb.14:
	s_or_b64 exec, exec, s[0:1]
	v_cmp_gt_i32_e32 vcc, s8, v0
	s_and_saveexec_b64 s[0:1], vcc
	s_cbranch_execnz .LBB65_20
.LBB65_15:
	s_or_b64 exec, exec, s[0:1]
	v_cmp_gt_i32_e32 vcc, s8, v0
	s_and_saveexec_b64 s[0:1], vcc
	s_cbranch_execnz .LBB65_21
.LBB65_16:
	s_or_b64 exec, exec, s[0:1]
	v_cmp_gt_i32_e32 vcc, s8, v0
	s_and_saveexec_b64 s[0:1], vcc
	s_cbranch_execz .LBB65_18
.LBB65_17:
	v_add_u32_e32 v0, s2, v0
	v_mov_b32_e32 v1, 0
	v_lshlrev_b64 v[0:1], 2, v[0:1]
	v_mov_b32_e32 v2, s13
	v_add_co_u32_e32 v0, vcc, s12, v0
	v_addc_co_u32_e32 v1, vcc, v2, v1, vcc
	global_store_dword v[0:1], v3, off
.LBB65_18:
	s_endpgm
.LBB65_19:
	v_mov_b32_e32 v2, 0
	v_lshlrev_b64 v[0:1], 2, v[1:2]
	v_mov_b32_e32 v2, s13
	v_add_co_u32_e32 v0, vcc, s12, v0
	v_addc_co_u32_e32 v1, vcc, v2, v1, vcc
	global_store_dword v[0:1], v6, off
	v_mov_b32_e32 v0, v8
	s_or_b64 exec, exec, s[0:1]
	v_cmp_gt_i32_e32 vcc, s8, v0
	s_and_saveexec_b64 s[0:1], vcc
	s_cbranch_execz .LBB65_15
.LBB65_20:
	v_add_u32_e32 v1, s2, v0
	v_mov_b32_e32 v2, 0
	v_lshlrev_b64 v[1:2], 2, v[1:2]
	v_mov_b32_e32 v6, s13
	v_add_co_u32_e32 v1, vcc, s12, v1
	v_addc_co_u32_e32 v2, vcc, v6, v2, vcc
	v_add_u32_e32 v0, 0x100, v0
	global_store_dword v[1:2], v5, off
	s_or_b64 exec, exec, s[0:1]
	v_cmp_gt_i32_e32 vcc, s8, v0
	s_and_saveexec_b64 s[0:1], vcc
	s_cbranch_execz .LBB65_16
.LBB65_21:
	v_add_u32_e32 v1, s2, v0
	v_mov_b32_e32 v2, 0
	v_lshlrev_b64 v[1:2], 2, v[1:2]
	v_mov_b32_e32 v5, s13
	v_add_co_u32_e32 v1, vcc, s12, v1
	v_addc_co_u32_e32 v2, vcc, v5, v2, vcc
	v_add_u32_e32 v0, 0x100, v0
	global_store_dword v[1:2], v4, off
	s_or_b64 exec, exec, s[0:1]
	v_cmp_gt_i32_e32 vcc, s8, v0
	s_and_saveexec_b64 s[0:1], vcc
	s_cbranch_execnz .LBB65_17
	s_branch .LBB65_18
	.section	.rodata,"a",@progbits
	.p2align	6, 0x0
	.amdhsa_kernel _ZN2at6native29vectorized_elementwise_kernelILi8ENS0_13BinaryFunctorIiiiZNS0_12_GLOBAL__N_121threshold_kernel_implIiEEvRNS_18TensorIteratorBaseET_S7_EUliiE_EESt5arrayIPcLm3EEEEviT0_T1_
		.amdhsa_group_segment_fixed_size 0
		.amdhsa_private_segment_fixed_size 0
		.amdhsa_kernarg_size 40
		.amdhsa_user_sgpr_count 6
		.amdhsa_user_sgpr_private_segment_buffer 1
		.amdhsa_user_sgpr_dispatch_ptr 0
		.amdhsa_user_sgpr_queue_ptr 0
		.amdhsa_user_sgpr_kernarg_segment_ptr 1
		.amdhsa_user_sgpr_dispatch_id 0
		.amdhsa_user_sgpr_flat_scratch_init 0
		.amdhsa_user_sgpr_private_segment_size 0
		.amdhsa_uses_dynamic_stack 0
		.amdhsa_system_sgpr_private_segment_wavefront_offset 0
		.amdhsa_system_sgpr_workgroup_id_x 1
		.amdhsa_system_sgpr_workgroup_id_y 0
		.amdhsa_system_sgpr_workgroup_id_z 0
		.amdhsa_system_sgpr_workgroup_info 0
		.amdhsa_system_vgpr_workitem_id 0
		.amdhsa_next_free_vgpr 15
		.amdhsa_next_free_sgpr 18
		.amdhsa_reserve_vcc 1
		.amdhsa_reserve_flat_scratch 0
		.amdhsa_float_round_mode_32 0
		.amdhsa_float_round_mode_16_64 0
		.amdhsa_float_denorm_mode_32 3
		.amdhsa_float_denorm_mode_16_64 3
		.amdhsa_dx10_clamp 1
		.amdhsa_ieee_mode 1
		.amdhsa_fp16_overflow 0
		.amdhsa_exception_fp_ieee_invalid_op 0
		.amdhsa_exception_fp_denorm_src 0
		.amdhsa_exception_fp_ieee_div_zero 0
		.amdhsa_exception_fp_ieee_overflow 0
		.amdhsa_exception_fp_ieee_underflow 0
		.amdhsa_exception_fp_ieee_inexact 0
		.amdhsa_exception_int_div_zero 0
	.end_amdhsa_kernel
	.section	.text._ZN2at6native29vectorized_elementwise_kernelILi8ENS0_13BinaryFunctorIiiiZNS0_12_GLOBAL__N_121threshold_kernel_implIiEEvRNS_18TensorIteratorBaseET_S7_EUliiE_EESt5arrayIPcLm3EEEEviT0_T1_,"axG",@progbits,_ZN2at6native29vectorized_elementwise_kernelILi8ENS0_13BinaryFunctorIiiiZNS0_12_GLOBAL__N_121threshold_kernel_implIiEEvRNS_18TensorIteratorBaseET_S7_EUliiE_EESt5arrayIPcLm3EEEEviT0_T1_,comdat
.Lfunc_end65:
	.size	_ZN2at6native29vectorized_elementwise_kernelILi8ENS0_13BinaryFunctorIiiiZNS0_12_GLOBAL__N_121threshold_kernel_implIiEEvRNS_18TensorIteratorBaseET_S7_EUliiE_EESt5arrayIPcLm3EEEEviT0_T1_, .Lfunc_end65-_ZN2at6native29vectorized_elementwise_kernelILi8ENS0_13BinaryFunctorIiiiZNS0_12_GLOBAL__N_121threshold_kernel_implIiEEvRNS_18TensorIteratorBaseET_S7_EUliiE_EESt5arrayIPcLm3EEEEviT0_T1_
                                        ; -- End function
	.set _ZN2at6native29vectorized_elementwise_kernelILi8ENS0_13BinaryFunctorIiiiZNS0_12_GLOBAL__N_121threshold_kernel_implIiEEvRNS_18TensorIteratorBaseET_S7_EUliiE_EESt5arrayIPcLm3EEEEviT0_T1_.num_vgpr, 15
	.set _ZN2at6native29vectorized_elementwise_kernelILi8ENS0_13BinaryFunctorIiiiZNS0_12_GLOBAL__N_121threshold_kernel_implIiEEvRNS_18TensorIteratorBaseET_S7_EUliiE_EESt5arrayIPcLm3EEEEviT0_T1_.num_agpr, 0
	.set _ZN2at6native29vectorized_elementwise_kernelILi8ENS0_13BinaryFunctorIiiiZNS0_12_GLOBAL__N_121threshold_kernel_implIiEEvRNS_18TensorIteratorBaseET_S7_EUliiE_EESt5arrayIPcLm3EEEEviT0_T1_.numbered_sgpr, 18
	.set _ZN2at6native29vectorized_elementwise_kernelILi8ENS0_13BinaryFunctorIiiiZNS0_12_GLOBAL__N_121threshold_kernel_implIiEEvRNS_18TensorIteratorBaseET_S7_EUliiE_EESt5arrayIPcLm3EEEEviT0_T1_.num_named_barrier, 0
	.set _ZN2at6native29vectorized_elementwise_kernelILi8ENS0_13BinaryFunctorIiiiZNS0_12_GLOBAL__N_121threshold_kernel_implIiEEvRNS_18TensorIteratorBaseET_S7_EUliiE_EESt5arrayIPcLm3EEEEviT0_T1_.private_seg_size, 0
	.set _ZN2at6native29vectorized_elementwise_kernelILi8ENS0_13BinaryFunctorIiiiZNS0_12_GLOBAL__N_121threshold_kernel_implIiEEvRNS_18TensorIteratorBaseET_S7_EUliiE_EESt5arrayIPcLm3EEEEviT0_T1_.uses_vcc, 1
	.set _ZN2at6native29vectorized_elementwise_kernelILi8ENS0_13BinaryFunctorIiiiZNS0_12_GLOBAL__N_121threshold_kernel_implIiEEvRNS_18TensorIteratorBaseET_S7_EUliiE_EESt5arrayIPcLm3EEEEviT0_T1_.uses_flat_scratch, 0
	.set _ZN2at6native29vectorized_elementwise_kernelILi8ENS0_13BinaryFunctorIiiiZNS0_12_GLOBAL__N_121threshold_kernel_implIiEEvRNS_18TensorIteratorBaseET_S7_EUliiE_EESt5arrayIPcLm3EEEEviT0_T1_.has_dyn_sized_stack, 0
	.set _ZN2at6native29vectorized_elementwise_kernelILi8ENS0_13BinaryFunctorIiiiZNS0_12_GLOBAL__N_121threshold_kernel_implIiEEvRNS_18TensorIteratorBaseET_S7_EUliiE_EESt5arrayIPcLm3EEEEviT0_T1_.has_recursion, 0
	.set _ZN2at6native29vectorized_elementwise_kernelILi8ENS0_13BinaryFunctorIiiiZNS0_12_GLOBAL__N_121threshold_kernel_implIiEEvRNS_18TensorIteratorBaseET_S7_EUliiE_EESt5arrayIPcLm3EEEEviT0_T1_.has_indirect_call, 0
	.section	.AMDGPU.csdata,"",@progbits
; Kernel info:
; codeLenInByte = 948
; TotalNumSgprs: 22
; NumVgprs: 15
; ScratchSize: 0
; MemoryBound: 0
; FloatMode: 240
; IeeeMode: 1
; LDSByteSize: 0 bytes/workgroup (compile time only)
; SGPRBlocks: 2
; VGPRBlocks: 3
; NumSGPRsForWavesPerEU: 22
; NumVGPRsForWavesPerEU: 15
; Occupancy: 10
; WaveLimiterHint : 0
; COMPUTE_PGM_RSRC2:SCRATCH_EN: 0
; COMPUTE_PGM_RSRC2:USER_SGPR: 6
; COMPUTE_PGM_RSRC2:TRAP_HANDLER: 0
; COMPUTE_PGM_RSRC2:TGID_X_EN: 1
; COMPUTE_PGM_RSRC2:TGID_Y_EN: 0
; COMPUTE_PGM_RSRC2:TGID_Z_EN: 0
; COMPUTE_PGM_RSRC2:TIDIG_COMP_CNT: 0
	.section	.text._ZN2at6native29vectorized_elementwise_kernelILi4ENS0_13BinaryFunctorIiiiZNS0_12_GLOBAL__N_121threshold_kernel_implIiEEvRNS_18TensorIteratorBaseET_S7_EUliiE_EESt5arrayIPcLm3EEEEviT0_T1_,"axG",@progbits,_ZN2at6native29vectorized_elementwise_kernelILi4ENS0_13BinaryFunctorIiiiZNS0_12_GLOBAL__N_121threshold_kernel_implIiEEvRNS_18TensorIteratorBaseET_S7_EUliiE_EESt5arrayIPcLm3EEEEviT0_T1_,comdat
	.globl	_ZN2at6native29vectorized_elementwise_kernelILi4ENS0_13BinaryFunctorIiiiZNS0_12_GLOBAL__N_121threshold_kernel_implIiEEvRNS_18TensorIteratorBaseET_S7_EUliiE_EESt5arrayIPcLm3EEEEviT0_T1_ ; -- Begin function _ZN2at6native29vectorized_elementwise_kernelILi4ENS0_13BinaryFunctorIiiiZNS0_12_GLOBAL__N_121threshold_kernel_implIiEEvRNS_18TensorIteratorBaseET_S7_EUliiE_EESt5arrayIPcLm3EEEEviT0_T1_
	.p2align	8
	.type	_ZN2at6native29vectorized_elementwise_kernelILi4ENS0_13BinaryFunctorIiiiZNS0_12_GLOBAL__N_121threshold_kernel_implIiEEvRNS_18TensorIteratorBaseET_S7_EUliiE_EESt5arrayIPcLm3EEEEviT0_T1_,@function
_ZN2at6native29vectorized_elementwise_kernelILi4ENS0_13BinaryFunctorIiiiZNS0_12_GLOBAL__N_121threshold_kernel_implIiEEvRNS_18TensorIteratorBaseET_S7_EUliiE_EESt5arrayIPcLm3EEEEviT0_T1_: ; @_ZN2at6native29vectorized_elementwise_kernelILi4ENS0_13BinaryFunctorIiiiZNS0_12_GLOBAL__N_121threshold_kernel_implIiEEvRNS_18TensorIteratorBaseET_S7_EUliiE_EESt5arrayIPcLm3EEEEviT0_T1_
; %bb.0:
	s_load_dwordx8 s[8:15], s[4:5], 0x0
	s_load_dwordx2 s[16:17], s[4:5], 0x20
	s_lshl_b32 s2, s6, 10
	s_mov_b64 s[0:1], -1
	s_waitcnt lgkmcnt(0)
	s_sub_i32 s8, s8, s2
	s_cmpk_gt_i32 s8, 0x3ff
	s_cbranch_scc0 .LBB66_2
; %bb.1:
	s_ashr_i32 s3, s2, 31
	s_lshl_b64 s[0:1], s[2:3], 2
	s_add_u32 s4, s14, s0
	s_addc_u32 s5, s15, s1
	v_lshlrev_b32_e32 v9, 4, v0
	s_add_u32 s6, s16, s0
	s_addc_u32 s7, s17, s1
	global_load_dwordx4 v[1:4], v9, s[4:5]
	global_load_dwordx4 v[5:8], v9, s[6:7]
	v_mov_b32_e32 v10, s10
	s_add_u32 s0, s12, s0
	s_addc_u32 s1, s13, s1
	s_waitcnt vmcnt(1)
	v_cmp_lt_i32_e32 vcc, s9, v1
	s_waitcnt vmcnt(0)
	v_cndmask_b32_e32 v1, v10, v5, vcc
	v_cmp_lt_i32_e32 vcc, s9, v2
	v_cndmask_b32_e32 v2, v10, v6, vcc
	v_cmp_lt_i32_e32 vcc, s9, v3
	;; [unrolled: 2-line block ×3, first 2 shown]
	v_cndmask_b32_e32 v4, v10, v8, vcc
	global_store_dwordx4 v9, v[1:4], s[0:1]
	s_mov_b64 s[0:1], 0
.LBB66_2:
	s_andn2_b64 vcc, exec, s[0:1]
	s_cbranch_vccnz .LBB66_18
; %bb.3:
	v_cmp_gt_i32_e32 vcc, s8, v0
	v_cmp_le_i32_e64 s[0:1], s8, v0
                                        ; implicit-def: $vgpr8
	s_and_saveexec_b64 s[4:5], s[0:1]
	s_xor_b64 s[0:1], exec, s[4:5]
; %bb.4:
	v_or_b32_e32 v8, 0x100, v0
; %bb.5:
	s_or_saveexec_b64 s[4:5], s[0:1]
	v_mov_b32_e32 v14, 0
	v_or_b32_e32 v1, s2, v0
	v_mov_b32_e32 v13, 0
	v_mov_b32_e32 v12, 0
	;; [unrolled: 1-line block ×7, first 2 shown]
	s_xor_b64 exec, exec, s[4:5]
	s_cbranch_execz .LBB66_13
; %bb.6:
	v_mov_b32_e32 v2, 0
	v_lshlrev_b64 v[3:4], 2, v[1:2]
	v_mov_b32_e32 v6, s15
	v_add_co_u32_e64 v5, s[0:1], s14, v3
	v_addc_co_u32_e64 v6, s[0:1], v6, v4, s[0:1]
	global_load_dword v9, v[5:6], off
	v_mov_b32_e32 v5, s17
	v_add_co_u32_e64 v3, s[0:1], s16, v3
	v_addc_co_u32_e64 v4, s[0:1], v5, v4, s[0:1]
	global_load_dword v10, v[3:4], off
	v_or_b32_e32 v8, 0x100, v0
	v_cmp_gt_u32_e64 s[0:1], s8, v8
	v_mov_b32_e32 v11, v2
	v_mov_b32_e32 v3, v2
	;; [unrolled: 1-line block ×5, first 2 shown]
	s_and_saveexec_b64 s[6:7], s[0:1]
	s_cbranch_execz .LBB66_12
; %bb.7:
	v_add_u32_e32 v2, s2, v0
	v_mov_b32_e32 v3, 0
	v_lshlrev_b64 v[6:7], 2, v[2:3]
	v_mov_b32_e32 v2, s15
	v_add_co_u32_e64 v4, s[0:1], s14, v6
	v_addc_co_u32_e64 v5, s[0:1], v2, v7, s[0:1]
	v_mov_b32_e32 v2, s17
	v_add_co_u32_e64 v6, s[0:1], s16, v6
	v_addc_co_u32_e64 v7, s[0:1], v2, v7, s[0:1]
	global_load_dword v11, v[4:5], off offset:1024
	global_load_dword v2, v[6:7], off offset:1024
	v_or_b32_e32 v12, 0x200, v0
	v_cmp_gt_u32_e64 s[0:1], s8, v12
	v_mov_b32_e32 v12, v3
	v_mov_b32_e32 v13, v3
	;; [unrolled: 1-line block ×3, first 2 shown]
	s_and_saveexec_b64 s[14:15], s[0:1]
	s_cbranch_execz .LBB66_11
; %bb.8:
	global_load_dword v12, v[4:5], off offset:2048
	global_load_dword v3, v[6:7], off offset:2048
	v_or_b32_e32 v13, 0x300, v0
	v_cmp_gt_u32_e64 s[0:1], s8, v13
	v_mov_b32_e32 v13, 0
	v_mov_b32_e32 v14, 0
	s_and_saveexec_b64 s[16:17], s[0:1]
	s_cbranch_execz .LBB66_10
; %bb.9:
	global_load_dword v14, v[4:5], off offset:3072
	global_load_dword v13, v[6:7], off offset:3072
.LBB66_10:
	s_or_b64 exec, exec, s[16:17]
.LBB66_11:
	s_or_b64 exec, exec, s[14:15]
.LBB66_12:
	s_or_b64 exec, exec, s[6:7]
.LBB66_13:
	s_or_b64 exec, exec, s[4:5]
	v_mov_b32_e32 v7, s10
	s_waitcnt vmcnt(1)
	v_cmp_lt_i32_e64 s[0:1], s9, v9
	s_waitcnt vmcnt(0)
	v_cndmask_b32_e64 v4, v7, v10, s[0:1]
	v_cmp_lt_i32_e64 s[0:1], s9, v11
	v_cndmask_b32_e64 v2, v7, v2, s[0:1]
	v_cmp_gt_i32_e64 s[0:1], s8, v8
	v_cndmask_b32_e64 v5, 0, v2, s[0:1]
	v_or_b32_e32 v2, 0x200, v0
	v_cmp_lt_i32_e64 s[0:1], s9, v12
	v_cndmask_b32_e64 v3, v7, v3, s[0:1]
	v_cmp_gt_i32_e64 s[0:1], s8, v2
	v_cndmask_b32_e32 v6, 0, v4, vcc
	v_cndmask_b32_e64 v4, 0, v3, s[0:1]
	v_or_b32_e32 v2, 0x300, v0
	v_cmp_lt_i32_e64 s[0:1], s9, v14
	v_cndmask_b32_e64 v3, v7, v13, s[0:1]
	v_cmp_gt_i32_e64 s[0:1], s8, v2
	v_cndmask_b32_e64 v3, 0, v3, s[0:1]
	s_and_saveexec_b64 s[0:1], vcc
	s_cbranch_execnz .LBB66_19
; %bb.14:
	s_or_b64 exec, exec, s[0:1]
	v_cmp_gt_i32_e32 vcc, s8, v0
	s_and_saveexec_b64 s[0:1], vcc
	s_cbranch_execnz .LBB66_20
.LBB66_15:
	s_or_b64 exec, exec, s[0:1]
	v_cmp_gt_i32_e32 vcc, s8, v0
	s_and_saveexec_b64 s[0:1], vcc
	s_cbranch_execnz .LBB66_21
.LBB66_16:
	s_or_b64 exec, exec, s[0:1]
	v_cmp_gt_i32_e32 vcc, s8, v0
	s_and_saveexec_b64 s[0:1], vcc
	s_cbranch_execz .LBB66_18
.LBB66_17:
	v_add_u32_e32 v0, s2, v0
	v_mov_b32_e32 v1, 0
	v_lshlrev_b64 v[0:1], 2, v[0:1]
	v_mov_b32_e32 v2, s13
	v_add_co_u32_e32 v0, vcc, s12, v0
	v_addc_co_u32_e32 v1, vcc, v2, v1, vcc
	global_store_dword v[0:1], v3, off
.LBB66_18:
	s_endpgm
.LBB66_19:
	v_mov_b32_e32 v2, 0
	v_lshlrev_b64 v[0:1], 2, v[1:2]
	v_mov_b32_e32 v2, s13
	v_add_co_u32_e32 v0, vcc, s12, v0
	v_addc_co_u32_e32 v1, vcc, v2, v1, vcc
	global_store_dword v[0:1], v6, off
	v_mov_b32_e32 v0, v8
	s_or_b64 exec, exec, s[0:1]
	v_cmp_gt_i32_e32 vcc, s8, v0
	s_and_saveexec_b64 s[0:1], vcc
	s_cbranch_execz .LBB66_15
.LBB66_20:
	v_add_u32_e32 v1, s2, v0
	v_mov_b32_e32 v2, 0
	v_lshlrev_b64 v[1:2], 2, v[1:2]
	v_mov_b32_e32 v6, s13
	v_add_co_u32_e32 v1, vcc, s12, v1
	v_addc_co_u32_e32 v2, vcc, v6, v2, vcc
	v_add_u32_e32 v0, 0x100, v0
	global_store_dword v[1:2], v5, off
	s_or_b64 exec, exec, s[0:1]
	v_cmp_gt_i32_e32 vcc, s8, v0
	s_and_saveexec_b64 s[0:1], vcc
	s_cbranch_execz .LBB66_16
.LBB66_21:
	v_add_u32_e32 v1, s2, v0
	v_mov_b32_e32 v2, 0
	v_lshlrev_b64 v[1:2], 2, v[1:2]
	v_mov_b32_e32 v5, s13
	v_add_co_u32_e32 v1, vcc, s12, v1
	v_addc_co_u32_e32 v2, vcc, v5, v2, vcc
	v_add_u32_e32 v0, 0x100, v0
	global_store_dword v[1:2], v4, off
	s_or_b64 exec, exec, s[0:1]
	v_cmp_gt_i32_e32 vcc, s8, v0
	s_and_saveexec_b64 s[0:1], vcc
	s_cbranch_execnz .LBB66_17
	s_branch .LBB66_18
	.section	.rodata,"a",@progbits
	.p2align	6, 0x0
	.amdhsa_kernel _ZN2at6native29vectorized_elementwise_kernelILi4ENS0_13BinaryFunctorIiiiZNS0_12_GLOBAL__N_121threshold_kernel_implIiEEvRNS_18TensorIteratorBaseET_S7_EUliiE_EESt5arrayIPcLm3EEEEviT0_T1_
		.amdhsa_group_segment_fixed_size 0
		.amdhsa_private_segment_fixed_size 0
		.amdhsa_kernarg_size 40
		.amdhsa_user_sgpr_count 6
		.amdhsa_user_sgpr_private_segment_buffer 1
		.amdhsa_user_sgpr_dispatch_ptr 0
		.amdhsa_user_sgpr_queue_ptr 0
		.amdhsa_user_sgpr_kernarg_segment_ptr 1
		.amdhsa_user_sgpr_dispatch_id 0
		.amdhsa_user_sgpr_flat_scratch_init 0
		.amdhsa_user_sgpr_private_segment_size 0
		.amdhsa_uses_dynamic_stack 0
		.amdhsa_system_sgpr_private_segment_wavefront_offset 0
		.amdhsa_system_sgpr_workgroup_id_x 1
		.amdhsa_system_sgpr_workgroup_id_y 0
		.amdhsa_system_sgpr_workgroup_id_z 0
		.amdhsa_system_sgpr_workgroup_info 0
		.amdhsa_system_vgpr_workitem_id 0
		.amdhsa_next_free_vgpr 15
		.amdhsa_next_free_sgpr 18
		.amdhsa_reserve_vcc 1
		.amdhsa_reserve_flat_scratch 0
		.amdhsa_float_round_mode_32 0
		.amdhsa_float_round_mode_16_64 0
		.amdhsa_float_denorm_mode_32 3
		.amdhsa_float_denorm_mode_16_64 3
		.amdhsa_dx10_clamp 1
		.amdhsa_ieee_mode 1
		.amdhsa_fp16_overflow 0
		.amdhsa_exception_fp_ieee_invalid_op 0
		.amdhsa_exception_fp_denorm_src 0
		.amdhsa_exception_fp_ieee_div_zero 0
		.amdhsa_exception_fp_ieee_overflow 0
		.amdhsa_exception_fp_ieee_underflow 0
		.amdhsa_exception_fp_ieee_inexact 0
		.amdhsa_exception_int_div_zero 0
	.end_amdhsa_kernel
	.section	.text._ZN2at6native29vectorized_elementwise_kernelILi4ENS0_13BinaryFunctorIiiiZNS0_12_GLOBAL__N_121threshold_kernel_implIiEEvRNS_18TensorIteratorBaseET_S7_EUliiE_EESt5arrayIPcLm3EEEEviT0_T1_,"axG",@progbits,_ZN2at6native29vectorized_elementwise_kernelILi4ENS0_13BinaryFunctorIiiiZNS0_12_GLOBAL__N_121threshold_kernel_implIiEEvRNS_18TensorIteratorBaseET_S7_EUliiE_EESt5arrayIPcLm3EEEEviT0_T1_,comdat
.Lfunc_end66:
	.size	_ZN2at6native29vectorized_elementwise_kernelILi4ENS0_13BinaryFunctorIiiiZNS0_12_GLOBAL__N_121threshold_kernel_implIiEEvRNS_18TensorIteratorBaseET_S7_EUliiE_EESt5arrayIPcLm3EEEEviT0_T1_, .Lfunc_end66-_ZN2at6native29vectorized_elementwise_kernelILi4ENS0_13BinaryFunctorIiiiZNS0_12_GLOBAL__N_121threshold_kernel_implIiEEvRNS_18TensorIteratorBaseET_S7_EUliiE_EESt5arrayIPcLm3EEEEviT0_T1_
                                        ; -- End function
	.set _ZN2at6native29vectorized_elementwise_kernelILi4ENS0_13BinaryFunctorIiiiZNS0_12_GLOBAL__N_121threshold_kernel_implIiEEvRNS_18TensorIteratorBaseET_S7_EUliiE_EESt5arrayIPcLm3EEEEviT0_T1_.num_vgpr, 15
	.set _ZN2at6native29vectorized_elementwise_kernelILi4ENS0_13BinaryFunctorIiiiZNS0_12_GLOBAL__N_121threshold_kernel_implIiEEvRNS_18TensorIteratorBaseET_S7_EUliiE_EESt5arrayIPcLm3EEEEviT0_T1_.num_agpr, 0
	.set _ZN2at6native29vectorized_elementwise_kernelILi4ENS0_13BinaryFunctorIiiiZNS0_12_GLOBAL__N_121threshold_kernel_implIiEEvRNS_18TensorIteratorBaseET_S7_EUliiE_EESt5arrayIPcLm3EEEEviT0_T1_.numbered_sgpr, 18
	.set _ZN2at6native29vectorized_elementwise_kernelILi4ENS0_13BinaryFunctorIiiiZNS0_12_GLOBAL__N_121threshold_kernel_implIiEEvRNS_18TensorIteratorBaseET_S7_EUliiE_EESt5arrayIPcLm3EEEEviT0_T1_.num_named_barrier, 0
	.set _ZN2at6native29vectorized_elementwise_kernelILi4ENS0_13BinaryFunctorIiiiZNS0_12_GLOBAL__N_121threshold_kernel_implIiEEvRNS_18TensorIteratorBaseET_S7_EUliiE_EESt5arrayIPcLm3EEEEviT0_T1_.private_seg_size, 0
	.set _ZN2at6native29vectorized_elementwise_kernelILi4ENS0_13BinaryFunctorIiiiZNS0_12_GLOBAL__N_121threshold_kernel_implIiEEvRNS_18TensorIteratorBaseET_S7_EUliiE_EESt5arrayIPcLm3EEEEviT0_T1_.uses_vcc, 1
	.set _ZN2at6native29vectorized_elementwise_kernelILi4ENS0_13BinaryFunctorIiiiZNS0_12_GLOBAL__N_121threshold_kernel_implIiEEvRNS_18TensorIteratorBaseET_S7_EUliiE_EESt5arrayIPcLm3EEEEviT0_T1_.uses_flat_scratch, 0
	.set _ZN2at6native29vectorized_elementwise_kernelILi4ENS0_13BinaryFunctorIiiiZNS0_12_GLOBAL__N_121threshold_kernel_implIiEEvRNS_18TensorIteratorBaseET_S7_EUliiE_EESt5arrayIPcLm3EEEEviT0_T1_.has_dyn_sized_stack, 0
	.set _ZN2at6native29vectorized_elementwise_kernelILi4ENS0_13BinaryFunctorIiiiZNS0_12_GLOBAL__N_121threshold_kernel_implIiEEvRNS_18TensorIteratorBaseET_S7_EUliiE_EESt5arrayIPcLm3EEEEviT0_T1_.has_recursion, 0
	.set _ZN2at6native29vectorized_elementwise_kernelILi4ENS0_13BinaryFunctorIiiiZNS0_12_GLOBAL__N_121threshold_kernel_implIiEEvRNS_18TensorIteratorBaseET_S7_EUliiE_EESt5arrayIPcLm3EEEEviT0_T1_.has_indirect_call, 0
	.section	.AMDGPU.csdata,"",@progbits
; Kernel info:
; codeLenInByte = 948
; TotalNumSgprs: 22
; NumVgprs: 15
; ScratchSize: 0
; MemoryBound: 0
; FloatMode: 240
; IeeeMode: 1
; LDSByteSize: 0 bytes/workgroup (compile time only)
; SGPRBlocks: 2
; VGPRBlocks: 3
; NumSGPRsForWavesPerEU: 22
; NumVGPRsForWavesPerEU: 15
; Occupancy: 10
; WaveLimiterHint : 0
; COMPUTE_PGM_RSRC2:SCRATCH_EN: 0
; COMPUTE_PGM_RSRC2:USER_SGPR: 6
; COMPUTE_PGM_RSRC2:TRAP_HANDLER: 0
; COMPUTE_PGM_RSRC2:TGID_X_EN: 1
; COMPUTE_PGM_RSRC2:TGID_Y_EN: 0
; COMPUTE_PGM_RSRC2:TGID_Z_EN: 0
; COMPUTE_PGM_RSRC2:TIDIG_COMP_CNT: 0
	.section	.text._ZN2at6native29vectorized_elementwise_kernelILi2ENS0_13BinaryFunctorIiiiZNS0_12_GLOBAL__N_121threshold_kernel_implIiEEvRNS_18TensorIteratorBaseET_S7_EUliiE_EESt5arrayIPcLm3EEEEviT0_T1_,"axG",@progbits,_ZN2at6native29vectorized_elementwise_kernelILi2ENS0_13BinaryFunctorIiiiZNS0_12_GLOBAL__N_121threshold_kernel_implIiEEvRNS_18TensorIteratorBaseET_S7_EUliiE_EESt5arrayIPcLm3EEEEviT0_T1_,comdat
	.globl	_ZN2at6native29vectorized_elementwise_kernelILi2ENS0_13BinaryFunctorIiiiZNS0_12_GLOBAL__N_121threshold_kernel_implIiEEvRNS_18TensorIteratorBaseET_S7_EUliiE_EESt5arrayIPcLm3EEEEviT0_T1_ ; -- Begin function _ZN2at6native29vectorized_elementwise_kernelILi2ENS0_13BinaryFunctorIiiiZNS0_12_GLOBAL__N_121threshold_kernel_implIiEEvRNS_18TensorIteratorBaseET_S7_EUliiE_EESt5arrayIPcLm3EEEEviT0_T1_
	.p2align	8
	.type	_ZN2at6native29vectorized_elementwise_kernelILi2ENS0_13BinaryFunctorIiiiZNS0_12_GLOBAL__N_121threshold_kernel_implIiEEvRNS_18TensorIteratorBaseET_S7_EUliiE_EESt5arrayIPcLm3EEEEviT0_T1_,@function
_ZN2at6native29vectorized_elementwise_kernelILi2ENS0_13BinaryFunctorIiiiZNS0_12_GLOBAL__N_121threshold_kernel_implIiEEvRNS_18TensorIteratorBaseET_S7_EUliiE_EESt5arrayIPcLm3EEEEviT0_T1_: ; @_ZN2at6native29vectorized_elementwise_kernelILi2ENS0_13BinaryFunctorIiiiZNS0_12_GLOBAL__N_121threshold_kernel_implIiEEvRNS_18TensorIteratorBaseET_S7_EUliiE_EESt5arrayIPcLm3EEEEviT0_T1_
; %bb.0:
	s_load_dwordx8 s[8:15], s[4:5], 0x0
	s_load_dwordx2 s[16:17], s[4:5], 0x20
	s_lshl_b32 s2, s6, 10
	s_mov_b64 s[0:1], -1
	s_waitcnt lgkmcnt(0)
	s_sub_i32 s8, s8, s2
	s_cmpk_gt_i32 s8, 0x3ff
	s_cbranch_scc0 .LBB67_2
; %bb.1:
	s_ashr_i32 s3, s2, 31
	s_lshl_b64 s[0:1], s[2:3], 2
	s_add_u32 s4, s14, s0
	s_addc_u32 s5, s15, s1
	v_lshlrev_b32_e32 v9, 3, v0
	s_add_u32 s6, s16, s0
	s_addc_u32 s7, s17, s1
	global_load_dwordx2 v[1:2], v9, s[4:5]
	global_load_dwordx2 v[3:4], v9, s[6:7]
	global_load_dwordx2 v[5:6], v9, s[4:5] offset:2048
	global_load_dwordx2 v[7:8], v9, s[6:7] offset:2048
	v_mov_b32_e32 v10, s10
	s_add_u32 s0, s12, s0
	s_addc_u32 s1, s13, s1
	s_waitcnt vmcnt(3)
	v_cmp_lt_i32_e32 vcc, s9, v1
	s_waitcnt vmcnt(2)
	v_cndmask_b32_e32 v1, v10, v3, vcc
	v_cmp_lt_i32_e32 vcc, s9, v2
	v_cndmask_b32_e32 v2, v10, v4, vcc
	s_waitcnt vmcnt(1)
	v_cmp_lt_i32_e32 vcc, s9, v5
	s_waitcnt vmcnt(0)
	v_cndmask_b32_e32 v3, v10, v7, vcc
	v_cmp_lt_i32_e32 vcc, s9, v6
	v_cndmask_b32_e32 v4, v10, v8, vcc
	global_store_dwordx2 v9, v[1:2], s[0:1]
	global_store_dwordx2 v9, v[3:4], s[0:1] offset:2048
	s_mov_b64 s[0:1], 0
.LBB67_2:
	s_andn2_b64 vcc, exec, s[0:1]
	s_cbranch_vccnz .LBB67_18
; %bb.3:
	v_cmp_gt_i32_e32 vcc, s8, v0
	v_cmp_le_i32_e64 s[0:1], s8, v0
                                        ; implicit-def: $vgpr8
	s_and_saveexec_b64 s[4:5], s[0:1]
	s_xor_b64 s[0:1], exec, s[4:5]
; %bb.4:
	v_or_b32_e32 v8, 0x100, v0
; %bb.5:
	s_or_saveexec_b64 s[4:5], s[0:1]
	v_mov_b32_e32 v14, 0
	v_or_b32_e32 v1, s2, v0
	v_mov_b32_e32 v13, 0
	v_mov_b32_e32 v12, 0
	;; [unrolled: 1-line block ×7, first 2 shown]
	s_xor_b64 exec, exec, s[4:5]
	s_cbranch_execz .LBB67_13
; %bb.6:
	v_mov_b32_e32 v2, 0
	v_lshlrev_b64 v[3:4], 2, v[1:2]
	v_mov_b32_e32 v6, s15
	v_add_co_u32_e64 v5, s[0:1], s14, v3
	v_addc_co_u32_e64 v6, s[0:1], v6, v4, s[0:1]
	global_load_dword v9, v[5:6], off
	v_mov_b32_e32 v5, s17
	v_add_co_u32_e64 v3, s[0:1], s16, v3
	v_addc_co_u32_e64 v4, s[0:1], v5, v4, s[0:1]
	global_load_dword v10, v[3:4], off
	v_or_b32_e32 v8, 0x100, v0
	v_cmp_gt_u32_e64 s[0:1], s8, v8
	v_mov_b32_e32 v11, v2
	v_mov_b32_e32 v3, v2
	;; [unrolled: 1-line block ×5, first 2 shown]
	s_and_saveexec_b64 s[6:7], s[0:1]
	s_cbranch_execz .LBB67_12
; %bb.7:
	v_add_u32_e32 v2, s2, v0
	v_mov_b32_e32 v3, 0
	v_lshlrev_b64 v[6:7], 2, v[2:3]
	v_mov_b32_e32 v2, s15
	v_add_co_u32_e64 v4, s[0:1], s14, v6
	v_addc_co_u32_e64 v5, s[0:1], v2, v7, s[0:1]
	v_mov_b32_e32 v2, s17
	v_add_co_u32_e64 v6, s[0:1], s16, v6
	v_addc_co_u32_e64 v7, s[0:1], v2, v7, s[0:1]
	global_load_dword v11, v[4:5], off offset:1024
	global_load_dword v2, v[6:7], off offset:1024
	v_or_b32_e32 v12, 0x200, v0
	v_cmp_gt_u32_e64 s[0:1], s8, v12
	v_mov_b32_e32 v12, v3
	v_mov_b32_e32 v13, v3
	v_mov_b32_e32 v14, v3
	s_and_saveexec_b64 s[14:15], s[0:1]
	s_cbranch_execz .LBB67_11
; %bb.8:
	global_load_dword v12, v[4:5], off offset:2048
	global_load_dword v3, v[6:7], off offset:2048
	v_or_b32_e32 v13, 0x300, v0
	v_cmp_gt_u32_e64 s[0:1], s8, v13
	v_mov_b32_e32 v13, 0
	v_mov_b32_e32 v14, 0
	s_and_saveexec_b64 s[16:17], s[0:1]
	s_cbranch_execz .LBB67_10
; %bb.9:
	global_load_dword v14, v[4:5], off offset:3072
	global_load_dword v13, v[6:7], off offset:3072
.LBB67_10:
	s_or_b64 exec, exec, s[16:17]
.LBB67_11:
	s_or_b64 exec, exec, s[14:15]
.LBB67_12:
	s_or_b64 exec, exec, s[6:7]
.LBB67_13:
	s_or_b64 exec, exec, s[4:5]
	v_mov_b32_e32 v7, s10
	s_waitcnt vmcnt(1)
	v_cmp_lt_i32_e64 s[0:1], s9, v9
	s_waitcnt vmcnt(0)
	v_cndmask_b32_e64 v4, v7, v10, s[0:1]
	v_cmp_lt_i32_e64 s[0:1], s9, v11
	v_cndmask_b32_e64 v2, v7, v2, s[0:1]
	v_cmp_gt_i32_e64 s[0:1], s8, v8
	v_cndmask_b32_e64 v5, 0, v2, s[0:1]
	v_or_b32_e32 v2, 0x200, v0
	v_cmp_lt_i32_e64 s[0:1], s9, v12
	v_cndmask_b32_e64 v3, v7, v3, s[0:1]
	v_cmp_gt_i32_e64 s[0:1], s8, v2
	v_cndmask_b32_e32 v6, 0, v4, vcc
	v_cndmask_b32_e64 v4, 0, v3, s[0:1]
	v_or_b32_e32 v2, 0x300, v0
	v_cmp_lt_i32_e64 s[0:1], s9, v14
	v_cndmask_b32_e64 v3, v7, v13, s[0:1]
	v_cmp_gt_i32_e64 s[0:1], s8, v2
	v_cndmask_b32_e64 v3, 0, v3, s[0:1]
	s_and_saveexec_b64 s[0:1], vcc
	s_cbranch_execnz .LBB67_19
; %bb.14:
	s_or_b64 exec, exec, s[0:1]
	v_cmp_gt_i32_e32 vcc, s8, v0
	s_and_saveexec_b64 s[0:1], vcc
	s_cbranch_execnz .LBB67_20
.LBB67_15:
	s_or_b64 exec, exec, s[0:1]
	v_cmp_gt_i32_e32 vcc, s8, v0
	s_and_saveexec_b64 s[0:1], vcc
	s_cbranch_execnz .LBB67_21
.LBB67_16:
	s_or_b64 exec, exec, s[0:1]
	v_cmp_gt_i32_e32 vcc, s8, v0
	s_and_saveexec_b64 s[0:1], vcc
	s_cbranch_execz .LBB67_18
.LBB67_17:
	v_add_u32_e32 v0, s2, v0
	v_mov_b32_e32 v1, 0
	v_lshlrev_b64 v[0:1], 2, v[0:1]
	v_mov_b32_e32 v2, s13
	v_add_co_u32_e32 v0, vcc, s12, v0
	v_addc_co_u32_e32 v1, vcc, v2, v1, vcc
	global_store_dword v[0:1], v3, off
.LBB67_18:
	s_endpgm
.LBB67_19:
	v_mov_b32_e32 v2, 0
	v_lshlrev_b64 v[0:1], 2, v[1:2]
	v_mov_b32_e32 v2, s13
	v_add_co_u32_e32 v0, vcc, s12, v0
	v_addc_co_u32_e32 v1, vcc, v2, v1, vcc
	global_store_dword v[0:1], v6, off
	v_mov_b32_e32 v0, v8
	s_or_b64 exec, exec, s[0:1]
	v_cmp_gt_i32_e32 vcc, s8, v0
	s_and_saveexec_b64 s[0:1], vcc
	s_cbranch_execz .LBB67_15
.LBB67_20:
	v_add_u32_e32 v1, s2, v0
	v_mov_b32_e32 v2, 0
	v_lshlrev_b64 v[1:2], 2, v[1:2]
	v_mov_b32_e32 v6, s13
	v_add_co_u32_e32 v1, vcc, s12, v1
	v_addc_co_u32_e32 v2, vcc, v6, v2, vcc
	v_add_u32_e32 v0, 0x100, v0
	global_store_dword v[1:2], v5, off
	s_or_b64 exec, exec, s[0:1]
	v_cmp_gt_i32_e32 vcc, s8, v0
	s_and_saveexec_b64 s[0:1], vcc
	s_cbranch_execz .LBB67_16
.LBB67_21:
	v_add_u32_e32 v1, s2, v0
	v_mov_b32_e32 v2, 0
	v_lshlrev_b64 v[1:2], 2, v[1:2]
	v_mov_b32_e32 v5, s13
	v_add_co_u32_e32 v1, vcc, s12, v1
	v_addc_co_u32_e32 v2, vcc, v5, v2, vcc
	v_add_u32_e32 v0, 0x100, v0
	global_store_dword v[1:2], v4, off
	s_or_b64 exec, exec, s[0:1]
	v_cmp_gt_i32_e32 vcc, s8, v0
	s_and_saveexec_b64 s[0:1], vcc
	s_cbranch_execnz .LBB67_17
	s_branch .LBB67_18
	.section	.rodata,"a",@progbits
	.p2align	6, 0x0
	.amdhsa_kernel _ZN2at6native29vectorized_elementwise_kernelILi2ENS0_13BinaryFunctorIiiiZNS0_12_GLOBAL__N_121threshold_kernel_implIiEEvRNS_18TensorIteratorBaseET_S7_EUliiE_EESt5arrayIPcLm3EEEEviT0_T1_
		.amdhsa_group_segment_fixed_size 0
		.amdhsa_private_segment_fixed_size 0
		.amdhsa_kernarg_size 40
		.amdhsa_user_sgpr_count 6
		.amdhsa_user_sgpr_private_segment_buffer 1
		.amdhsa_user_sgpr_dispatch_ptr 0
		.amdhsa_user_sgpr_queue_ptr 0
		.amdhsa_user_sgpr_kernarg_segment_ptr 1
		.amdhsa_user_sgpr_dispatch_id 0
		.amdhsa_user_sgpr_flat_scratch_init 0
		.amdhsa_user_sgpr_private_segment_size 0
		.amdhsa_uses_dynamic_stack 0
		.amdhsa_system_sgpr_private_segment_wavefront_offset 0
		.amdhsa_system_sgpr_workgroup_id_x 1
		.amdhsa_system_sgpr_workgroup_id_y 0
		.amdhsa_system_sgpr_workgroup_id_z 0
		.amdhsa_system_sgpr_workgroup_info 0
		.amdhsa_system_vgpr_workitem_id 0
		.amdhsa_next_free_vgpr 15
		.amdhsa_next_free_sgpr 18
		.amdhsa_reserve_vcc 1
		.amdhsa_reserve_flat_scratch 0
		.amdhsa_float_round_mode_32 0
		.amdhsa_float_round_mode_16_64 0
		.amdhsa_float_denorm_mode_32 3
		.amdhsa_float_denorm_mode_16_64 3
		.amdhsa_dx10_clamp 1
		.amdhsa_ieee_mode 1
		.amdhsa_fp16_overflow 0
		.amdhsa_exception_fp_ieee_invalid_op 0
		.amdhsa_exception_fp_denorm_src 0
		.amdhsa_exception_fp_ieee_div_zero 0
		.amdhsa_exception_fp_ieee_overflow 0
		.amdhsa_exception_fp_ieee_underflow 0
		.amdhsa_exception_fp_ieee_inexact 0
		.amdhsa_exception_int_div_zero 0
	.end_amdhsa_kernel
	.section	.text._ZN2at6native29vectorized_elementwise_kernelILi2ENS0_13BinaryFunctorIiiiZNS0_12_GLOBAL__N_121threshold_kernel_implIiEEvRNS_18TensorIteratorBaseET_S7_EUliiE_EESt5arrayIPcLm3EEEEviT0_T1_,"axG",@progbits,_ZN2at6native29vectorized_elementwise_kernelILi2ENS0_13BinaryFunctorIiiiZNS0_12_GLOBAL__N_121threshold_kernel_implIiEEvRNS_18TensorIteratorBaseET_S7_EUliiE_EESt5arrayIPcLm3EEEEviT0_T1_,comdat
.Lfunc_end67:
	.size	_ZN2at6native29vectorized_elementwise_kernelILi2ENS0_13BinaryFunctorIiiiZNS0_12_GLOBAL__N_121threshold_kernel_implIiEEvRNS_18TensorIteratorBaseET_S7_EUliiE_EESt5arrayIPcLm3EEEEviT0_T1_, .Lfunc_end67-_ZN2at6native29vectorized_elementwise_kernelILi2ENS0_13BinaryFunctorIiiiZNS0_12_GLOBAL__N_121threshold_kernel_implIiEEvRNS_18TensorIteratorBaseET_S7_EUliiE_EESt5arrayIPcLm3EEEEviT0_T1_
                                        ; -- End function
	.set _ZN2at6native29vectorized_elementwise_kernelILi2ENS0_13BinaryFunctorIiiiZNS0_12_GLOBAL__N_121threshold_kernel_implIiEEvRNS_18TensorIteratorBaseET_S7_EUliiE_EESt5arrayIPcLm3EEEEviT0_T1_.num_vgpr, 15
	.set _ZN2at6native29vectorized_elementwise_kernelILi2ENS0_13BinaryFunctorIiiiZNS0_12_GLOBAL__N_121threshold_kernel_implIiEEvRNS_18TensorIteratorBaseET_S7_EUliiE_EESt5arrayIPcLm3EEEEviT0_T1_.num_agpr, 0
	.set _ZN2at6native29vectorized_elementwise_kernelILi2ENS0_13BinaryFunctorIiiiZNS0_12_GLOBAL__N_121threshold_kernel_implIiEEvRNS_18TensorIteratorBaseET_S7_EUliiE_EESt5arrayIPcLm3EEEEviT0_T1_.numbered_sgpr, 18
	.set _ZN2at6native29vectorized_elementwise_kernelILi2ENS0_13BinaryFunctorIiiiZNS0_12_GLOBAL__N_121threshold_kernel_implIiEEvRNS_18TensorIteratorBaseET_S7_EUliiE_EESt5arrayIPcLm3EEEEviT0_T1_.num_named_barrier, 0
	.set _ZN2at6native29vectorized_elementwise_kernelILi2ENS0_13BinaryFunctorIiiiZNS0_12_GLOBAL__N_121threshold_kernel_implIiEEvRNS_18TensorIteratorBaseET_S7_EUliiE_EESt5arrayIPcLm3EEEEviT0_T1_.private_seg_size, 0
	.set _ZN2at6native29vectorized_elementwise_kernelILi2ENS0_13BinaryFunctorIiiiZNS0_12_GLOBAL__N_121threshold_kernel_implIiEEvRNS_18TensorIteratorBaseET_S7_EUliiE_EESt5arrayIPcLm3EEEEviT0_T1_.uses_vcc, 1
	.set _ZN2at6native29vectorized_elementwise_kernelILi2ENS0_13BinaryFunctorIiiiZNS0_12_GLOBAL__N_121threshold_kernel_implIiEEvRNS_18TensorIteratorBaseET_S7_EUliiE_EESt5arrayIPcLm3EEEEviT0_T1_.uses_flat_scratch, 0
	.set _ZN2at6native29vectorized_elementwise_kernelILi2ENS0_13BinaryFunctorIiiiZNS0_12_GLOBAL__N_121threshold_kernel_implIiEEvRNS_18TensorIteratorBaseET_S7_EUliiE_EESt5arrayIPcLm3EEEEviT0_T1_.has_dyn_sized_stack, 0
	.set _ZN2at6native29vectorized_elementwise_kernelILi2ENS0_13BinaryFunctorIiiiZNS0_12_GLOBAL__N_121threshold_kernel_implIiEEvRNS_18TensorIteratorBaseET_S7_EUliiE_EESt5arrayIPcLm3EEEEviT0_T1_.has_recursion, 0
	.set _ZN2at6native29vectorized_elementwise_kernelILi2ENS0_13BinaryFunctorIiiiZNS0_12_GLOBAL__N_121threshold_kernel_implIiEEvRNS_18TensorIteratorBaseET_S7_EUliiE_EESt5arrayIPcLm3EEEEviT0_T1_.has_indirect_call, 0
	.section	.AMDGPU.csdata,"",@progbits
; Kernel info:
; codeLenInByte = 980
; TotalNumSgprs: 22
; NumVgprs: 15
; ScratchSize: 0
; MemoryBound: 0
; FloatMode: 240
; IeeeMode: 1
; LDSByteSize: 0 bytes/workgroup (compile time only)
; SGPRBlocks: 2
; VGPRBlocks: 3
; NumSGPRsForWavesPerEU: 22
; NumVGPRsForWavesPerEU: 15
; Occupancy: 10
; WaveLimiterHint : 1
; COMPUTE_PGM_RSRC2:SCRATCH_EN: 0
; COMPUTE_PGM_RSRC2:USER_SGPR: 6
; COMPUTE_PGM_RSRC2:TRAP_HANDLER: 0
; COMPUTE_PGM_RSRC2:TGID_X_EN: 1
; COMPUTE_PGM_RSRC2:TGID_Y_EN: 0
; COMPUTE_PGM_RSRC2:TGID_Z_EN: 0
; COMPUTE_PGM_RSRC2:TIDIG_COMP_CNT: 0
	.section	.text._ZN2at6native27unrolled_elementwise_kernelINS0_13BinaryFunctorIiiiZNS0_12_GLOBAL__N_121threshold_kernel_implIiEEvRNS_18TensorIteratorBaseET_S7_EUliiE_EESt5arrayIPcLm3EELi4E23TrivialOffsetCalculatorILi2EjESD_ILi1EjENS0_6memory15LoadWithoutCastENSG_16StoreWithoutCastEEEviS7_T0_T2_T3_T4_T5_,"axG",@progbits,_ZN2at6native27unrolled_elementwise_kernelINS0_13BinaryFunctorIiiiZNS0_12_GLOBAL__N_121threshold_kernel_implIiEEvRNS_18TensorIteratorBaseET_S7_EUliiE_EESt5arrayIPcLm3EELi4E23TrivialOffsetCalculatorILi2EjESD_ILi1EjENS0_6memory15LoadWithoutCastENSG_16StoreWithoutCastEEEviS7_T0_T2_T3_T4_T5_,comdat
	.globl	_ZN2at6native27unrolled_elementwise_kernelINS0_13BinaryFunctorIiiiZNS0_12_GLOBAL__N_121threshold_kernel_implIiEEvRNS_18TensorIteratorBaseET_S7_EUliiE_EESt5arrayIPcLm3EELi4E23TrivialOffsetCalculatorILi2EjESD_ILi1EjENS0_6memory15LoadWithoutCastENSG_16StoreWithoutCastEEEviS7_T0_T2_T3_T4_T5_ ; -- Begin function _ZN2at6native27unrolled_elementwise_kernelINS0_13BinaryFunctorIiiiZNS0_12_GLOBAL__N_121threshold_kernel_implIiEEvRNS_18TensorIteratorBaseET_S7_EUliiE_EESt5arrayIPcLm3EELi4E23TrivialOffsetCalculatorILi2EjESD_ILi1EjENS0_6memory15LoadWithoutCastENSG_16StoreWithoutCastEEEviS7_T0_T2_T3_T4_T5_
	.p2align	8
	.type	_ZN2at6native27unrolled_elementwise_kernelINS0_13BinaryFunctorIiiiZNS0_12_GLOBAL__N_121threshold_kernel_implIiEEvRNS_18TensorIteratorBaseET_S7_EUliiE_EESt5arrayIPcLm3EELi4E23TrivialOffsetCalculatorILi2EjESD_ILi1EjENS0_6memory15LoadWithoutCastENSG_16StoreWithoutCastEEEviS7_T0_T2_T3_T4_T5_,@function
_ZN2at6native27unrolled_elementwise_kernelINS0_13BinaryFunctorIiiiZNS0_12_GLOBAL__N_121threshold_kernel_implIiEEvRNS_18TensorIteratorBaseET_S7_EUliiE_EESt5arrayIPcLm3EELi4E23TrivialOffsetCalculatorILi2EjESD_ILi1EjENS0_6memory15LoadWithoutCastENSG_16StoreWithoutCastEEEviS7_T0_T2_T3_T4_T5_: ; @_ZN2at6native27unrolled_elementwise_kernelINS0_13BinaryFunctorIiiiZNS0_12_GLOBAL__N_121threshold_kernel_implIiEEvRNS_18TensorIteratorBaseET_S7_EUliiE_EESt5arrayIPcLm3EELi4E23TrivialOffsetCalculatorILi2EjESD_ILi1EjENS0_6memory15LoadWithoutCastENSG_16StoreWithoutCastEEEviS7_T0_T2_T3_T4_T5_
; %bb.0:
	s_load_dwordx8 s[8:15], s[4:5], 0x0
	s_load_dwordx2 s[16:17], s[4:5], 0x20
	s_waitcnt lgkmcnt(0)
	s_lshl_b32 s11, s6, 10
                                        ; implicit-def: $vgpr5
	s_sub_i32 s8, s8, s11
	v_cmp_gt_i32_e32 vcc, s8, v0
	v_cmp_le_i32_e64 s[0:1], s8, v0
	s_and_saveexec_b64 s[2:3], s[0:1]
	s_xor_b64 s[0:1], exec, s[2:3]
; %bb.1:
	v_or_b32_e32 v5, 0x100, v0
; %bb.2:
	s_or_saveexec_b64 s[2:3], s[0:1]
	v_mov_b32_e32 v10, 0
	v_or_b32_e32 v1, s11, v0
	v_mov_b32_e32 v4, 0
	v_mov_b32_e32 v9, 0
	;; [unrolled: 1-line block ×7, first 2 shown]
	s_xor_b64 exec, exec, s[2:3]
	s_cbranch_execz .LBB68_10
; %bb.3:
	v_mov_b32_e32 v2, 0
	v_lshlrev_b64 v[3:4], 2, v[1:2]
	v_mov_b32_e32 v6, s15
	v_add_co_u32_e64 v5, s[0:1], s14, v3
	v_addc_co_u32_e64 v6, s[0:1], v6, v4, s[0:1]
	global_load_dword v6, v[5:6], off
	v_mov_b32_e32 v5, s17
	v_add_co_u32_e64 v3, s[0:1], s16, v3
	v_addc_co_u32_e64 v4, s[0:1], v5, v4, s[0:1]
	global_load_dword v7, v[3:4], off
	v_or_b32_e32 v5, 0x100, v0
	v_cmp_gt_u32_e64 s[0:1], s8, v5
	v_mov_b32_e32 v8, v2
	v_mov_b32_e32 v3, v2
	;; [unrolled: 1-line block ×5, first 2 shown]
	s_and_saveexec_b64 s[4:5], s[0:1]
	s_cbranch_execz .LBB68_9
; %bb.4:
	v_add_u32_e32 v2, s11, v5
	v_mov_b32_e32 v3, 0
	v_lshlrev_b64 v[9:10], 2, v[2:3]
	v_mov_b32_e32 v2, s15
	v_add_co_u32_e64 v11, s[0:1], s14, v9
	v_addc_co_u32_e64 v12, s[0:1], v2, v10, s[0:1]
	v_mov_b32_e32 v2, s17
	v_add_co_u32_e64 v9, s[0:1], s16, v9
	v_addc_co_u32_e64 v10, s[0:1], v2, v10, s[0:1]
	global_load_dword v8, v[11:12], off
	global_load_dword v2, v[9:10], off
	v_or_b32_e32 v11, 0x200, v0
	v_cmp_gt_u32_e64 s[0:1], s8, v11
	v_mov_b32_e32 v9, v3
	v_mov_b32_e32 v4, v3
	;; [unrolled: 1-line block ×3, first 2 shown]
	s_and_saveexec_b64 s[6:7], s[0:1]
	s_cbranch_execz .LBB68_8
; %bb.5:
	v_add_u32_e32 v3, s11, v11
	v_mov_b32_e32 v4, 0
	v_lshlrev_b64 v[10:11], 2, v[3:4]
	v_mov_b32_e32 v3, s15
	v_add_co_u32_e64 v12, s[0:1], s14, v10
	v_addc_co_u32_e64 v13, s[0:1], v3, v11, s[0:1]
	v_mov_b32_e32 v3, s17
	v_add_co_u32_e64 v10, s[0:1], s16, v10
	v_addc_co_u32_e64 v11, s[0:1], v3, v11, s[0:1]
	global_load_dword v9, v[12:13], off
	global_load_dword v3, v[10:11], off
	v_or_b32_e32 v11, 0x300, v0
	v_cmp_gt_u32_e64 s[0:1], s8, v11
	v_mov_b32_e32 v10, v4
	s_and_saveexec_b64 s[18:19], s[0:1]
	s_cbranch_execz .LBB68_7
; %bb.6:
	v_add_u32_e32 v10, s11, v11
	v_mov_b32_e32 v11, 0
	v_lshlrev_b64 v[10:11], 2, v[10:11]
	v_mov_b32_e32 v4, s15
	v_add_co_u32_e64 v12, s[0:1], s14, v10
	v_addc_co_u32_e64 v13, s[0:1], v4, v11, s[0:1]
	v_mov_b32_e32 v4, s17
	v_add_co_u32_e64 v14, s[0:1], s16, v10
	v_addc_co_u32_e64 v15, s[0:1], v4, v11, s[0:1]
	global_load_dword v10, v[12:13], off
	global_load_dword v4, v[14:15], off
.LBB68_7:
	s_or_b64 exec, exec, s[18:19]
.LBB68_8:
	s_or_b64 exec, exec, s[6:7]
.LBB68_9:
	s_or_b64 exec, exec, s[4:5]
.LBB68_10:
	s_or_b64 exec, exec, s[2:3]
	v_mov_b32_e32 v12, s10
	s_waitcnt vmcnt(1)
	v_cmp_lt_i32_e64 s[0:1], s9, v6
	s_waitcnt vmcnt(0)
	v_cndmask_b32_e64 v6, v12, v7, s[0:1]
	v_cmp_lt_i32_e64 s[0:1], s9, v8
	v_cndmask_b32_e64 v2, v12, v2, s[0:1]
	v_cmp_gt_i32_e64 s[0:1], s8, v5
	v_cndmask_b32_e64 v7, 0, v2, s[0:1]
	v_or_b32_e32 v2, 0x200, v0
	v_cmp_lt_i32_e64 s[0:1], s9, v9
	v_cndmask_b32_e64 v3, v12, v3, s[0:1]
	v_cmp_gt_i32_e64 s[0:1], s8, v2
	v_cndmask_b32_e32 v11, 0, v6, vcc
	v_cndmask_b32_e64 v6, 0, v3, s[0:1]
	v_or_b32_e32 v2, 0x300, v0
	v_cmp_lt_i32_e64 s[0:1], s9, v10
	v_cndmask_b32_e64 v3, v12, v4, s[0:1]
	v_cmp_gt_i32_e64 s[0:1], s8, v2
	v_cndmask_b32_e64 v3, 0, v3, s[0:1]
	s_and_saveexec_b64 s[0:1], vcc
	s_cbranch_execnz .LBB68_15
; %bb.11:
	s_or_b64 exec, exec, s[0:1]
	v_cmp_gt_i32_e32 vcc, s8, v0
	s_and_saveexec_b64 s[0:1], vcc
	s_cbranch_execnz .LBB68_16
.LBB68_12:
	s_or_b64 exec, exec, s[0:1]
	v_cmp_gt_i32_e32 vcc, s8, v0
	s_and_saveexec_b64 s[0:1], vcc
	s_cbranch_execnz .LBB68_17
.LBB68_13:
	s_or_b64 exec, exec, s[0:1]
	v_cmp_gt_i32_e32 vcc, s8, v0
	s_and_saveexec_b64 s[0:1], vcc
	s_cbranch_execnz .LBB68_18
.LBB68_14:
	s_endpgm
.LBB68_15:
	v_mov_b32_e32 v2, 0
	v_lshlrev_b64 v[0:1], 2, v[1:2]
	v_mov_b32_e32 v2, s13
	v_add_co_u32_e32 v0, vcc, s12, v0
	v_addc_co_u32_e32 v1, vcc, v2, v1, vcc
	global_store_dword v[0:1], v11, off
	v_mov_b32_e32 v0, v5
	s_or_b64 exec, exec, s[0:1]
	v_cmp_gt_i32_e32 vcc, s8, v0
	s_and_saveexec_b64 s[0:1], vcc
	s_cbranch_execz .LBB68_12
.LBB68_16:
	v_add_u32_e32 v2, 0x100, v0
	v_add_u32_e32 v0, s11, v0
	v_mov_b32_e32 v1, 0
	v_lshlrev_b64 v[0:1], 2, v[0:1]
	v_mov_b32_e32 v4, s13
	v_add_co_u32_e32 v0, vcc, s12, v0
	v_addc_co_u32_e32 v1, vcc, v4, v1, vcc
	global_store_dword v[0:1], v7, off
	v_mov_b32_e32 v0, v2
	s_or_b64 exec, exec, s[0:1]
	v_cmp_gt_i32_e32 vcc, s8, v0
	s_and_saveexec_b64 s[0:1], vcc
	s_cbranch_execz .LBB68_13
.LBB68_17:
	v_add_u32_e32 v2, 0x100, v0
	v_add_u32_e32 v0, s11, v0
	v_mov_b32_e32 v1, 0
	v_lshlrev_b64 v[0:1], 2, v[0:1]
	v_mov_b32_e32 v4, s13
	v_add_co_u32_e32 v0, vcc, s12, v0
	v_addc_co_u32_e32 v1, vcc, v4, v1, vcc
	global_store_dword v[0:1], v6, off
	v_mov_b32_e32 v0, v2
	s_or_b64 exec, exec, s[0:1]
	v_cmp_gt_i32_e32 vcc, s8, v0
	s_and_saveexec_b64 s[0:1], vcc
	s_cbranch_execz .LBB68_14
.LBB68_18:
	v_add_u32_e32 v0, s11, v0
	v_mov_b32_e32 v1, 0
	v_lshlrev_b64 v[0:1], 2, v[0:1]
	v_mov_b32_e32 v2, s13
	v_add_co_u32_e32 v0, vcc, s12, v0
	v_addc_co_u32_e32 v1, vcc, v2, v1, vcc
	global_store_dword v[0:1], v3, off
	s_endpgm
	.section	.rodata,"a",@progbits
	.p2align	6, 0x0
	.amdhsa_kernel _ZN2at6native27unrolled_elementwise_kernelINS0_13BinaryFunctorIiiiZNS0_12_GLOBAL__N_121threshold_kernel_implIiEEvRNS_18TensorIteratorBaseET_S7_EUliiE_EESt5arrayIPcLm3EELi4E23TrivialOffsetCalculatorILi2EjESD_ILi1EjENS0_6memory15LoadWithoutCastENSG_16StoreWithoutCastEEEviS7_T0_T2_T3_T4_T5_
		.amdhsa_group_segment_fixed_size 0
		.amdhsa_private_segment_fixed_size 0
		.amdhsa_kernarg_size 44
		.amdhsa_user_sgpr_count 6
		.amdhsa_user_sgpr_private_segment_buffer 1
		.amdhsa_user_sgpr_dispatch_ptr 0
		.amdhsa_user_sgpr_queue_ptr 0
		.amdhsa_user_sgpr_kernarg_segment_ptr 1
		.amdhsa_user_sgpr_dispatch_id 0
		.amdhsa_user_sgpr_flat_scratch_init 0
		.amdhsa_user_sgpr_private_segment_size 0
		.amdhsa_uses_dynamic_stack 0
		.amdhsa_system_sgpr_private_segment_wavefront_offset 0
		.amdhsa_system_sgpr_workgroup_id_x 1
		.amdhsa_system_sgpr_workgroup_id_y 0
		.amdhsa_system_sgpr_workgroup_id_z 0
		.amdhsa_system_sgpr_workgroup_info 0
		.amdhsa_system_vgpr_workitem_id 0
		.amdhsa_next_free_vgpr 16
		.amdhsa_next_free_sgpr 20
		.amdhsa_reserve_vcc 1
		.amdhsa_reserve_flat_scratch 0
		.amdhsa_float_round_mode_32 0
		.amdhsa_float_round_mode_16_64 0
		.amdhsa_float_denorm_mode_32 3
		.amdhsa_float_denorm_mode_16_64 3
		.amdhsa_dx10_clamp 1
		.amdhsa_ieee_mode 1
		.amdhsa_fp16_overflow 0
		.amdhsa_exception_fp_ieee_invalid_op 0
		.amdhsa_exception_fp_denorm_src 0
		.amdhsa_exception_fp_ieee_div_zero 0
		.amdhsa_exception_fp_ieee_overflow 0
		.amdhsa_exception_fp_ieee_underflow 0
		.amdhsa_exception_fp_ieee_inexact 0
		.amdhsa_exception_int_div_zero 0
	.end_amdhsa_kernel
	.section	.text._ZN2at6native27unrolled_elementwise_kernelINS0_13BinaryFunctorIiiiZNS0_12_GLOBAL__N_121threshold_kernel_implIiEEvRNS_18TensorIteratorBaseET_S7_EUliiE_EESt5arrayIPcLm3EELi4E23TrivialOffsetCalculatorILi2EjESD_ILi1EjENS0_6memory15LoadWithoutCastENSG_16StoreWithoutCastEEEviS7_T0_T2_T3_T4_T5_,"axG",@progbits,_ZN2at6native27unrolled_elementwise_kernelINS0_13BinaryFunctorIiiiZNS0_12_GLOBAL__N_121threshold_kernel_implIiEEvRNS_18TensorIteratorBaseET_S7_EUliiE_EESt5arrayIPcLm3EELi4E23TrivialOffsetCalculatorILi2EjESD_ILi1EjENS0_6memory15LoadWithoutCastENSG_16StoreWithoutCastEEEviS7_T0_T2_T3_T4_T5_,comdat
.Lfunc_end68:
	.size	_ZN2at6native27unrolled_elementwise_kernelINS0_13BinaryFunctorIiiiZNS0_12_GLOBAL__N_121threshold_kernel_implIiEEvRNS_18TensorIteratorBaseET_S7_EUliiE_EESt5arrayIPcLm3EELi4E23TrivialOffsetCalculatorILi2EjESD_ILi1EjENS0_6memory15LoadWithoutCastENSG_16StoreWithoutCastEEEviS7_T0_T2_T3_T4_T5_, .Lfunc_end68-_ZN2at6native27unrolled_elementwise_kernelINS0_13BinaryFunctorIiiiZNS0_12_GLOBAL__N_121threshold_kernel_implIiEEvRNS_18TensorIteratorBaseET_S7_EUliiE_EESt5arrayIPcLm3EELi4E23TrivialOffsetCalculatorILi2EjESD_ILi1EjENS0_6memory15LoadWithoutCastENSG_16StoreWithoutCastEEEviS7_T0_T2_T3_T4_T5_
                                        ; -- End function
	.set _ZN2at6native27unrolled_elementwise_kernelINS0_13BinaryFunctorIiiiZNS0_12_GLOBAL__N_121threshold_kernel_implIiEEvRNS_18TensorIteratorBaseET_S7_EUliiE_EESt5arrayIPcLm3EELi4E23TrivialOffsetCalculatorILi2EjESD_ILi1EjENS0_6memory15LoadWithoutCastENSG_16StoreWithoutCastEEEviS7_T0_T2_T3_T4_T5_.num_vgpr, 16
	.set _ZN2at6native27unrolled_elementwise_kernelINS0_13BinaryFunctorIiiiZNS0_12_GLOBAL__N_121threshold_kernel_implIiEEvRNS_18TensorIteratorBaseET_S7_EUliiE_EESt5arrayIPcLm3EELi4E23TrivialOffsetCalculatorILi2EjESD_ILi1EjENS0_6memory15LoadWithoutCastENSG_16StoreWithoutCastEEEviS7_T0_T2_T3_T4_T5_.num_agpr, 0
	.set _ZN2at6native27unrolled_elementwise_kernelINS0_13BinaryFunctorIiiiZNS0_12_GLOBAL__N_121threshold_kernel_implIiEEvRNS_18TensorIteratorBaseET_S7_EUliiE_EESt5arrayIPcLm3EELi4E23TrivialOffsetCalculatorILi2EjESD_ILi1EjENS0_6memory15LoadWithoutCastENSG_16StoreWithoutCastEEEviS7_T0_T2_T3_T4_T5_.numbered_sgpr, 20
	.set _ZN2at6native27unrolled_elementwise_kernelINS0_13BinaryFunctorIiiiZNS0_12_GLOBAL__N_121threshold_kernel_implIiEEvRNS_18TensorIteratorBaseET_S7_EUliiE_EESt5arrayIPcLm3EELi4E23TrivialOffsetCalculatorILi2EjESD_ILi1EjENS0_6memory15LoadWithoutCastENSG_16StoreWithoutCastEEEviS7_T0_T2_T3_T4_T5_.num_named_barrier, 0
	.set _ZN2at6native27unrolled_elementwise_kernelINS0_13BinaryFunctorIiiiZNS0_12_GLOBAL__N_121threshold_kernel_implIiEEvRNS_18TensorIteratorBaseET_S7_EUliiE_EESt5arrayIPcLm3EELi4E23TrivialOffsetCalculatorILi2EjESD_ILi1EjENS0_6memory15LoadWithoutCastENSG_16StoreWithoutCastEEEviS7_T0_T2_T3_T4_T5_.private_seg_size, 0
	.set _ZN2at6native27unrolled_elementwise_kernelINS0_13BinaryFunctorIiiiZNS0_12_GLOBAL__N_121threshold_kernel_implIiEEvRNS_18TensorIteratorBaseET_S7_EUliiE_EESt5arrayIPcLm3EELi4E23TrivialOffsetCalculatorILi2EjESD_ILi1EjENS0_6memory15LoadWithoutCastENSG_16StoreWithoutCastEEEviS7_T0_T2_T3_T4_T5_.uses_vcc, 1
	.set _ZN2at6native27unrolled_elementwise_kernelINS0_13BinaryFunctorIiiiZNS0_12_GLOBAL__N_121threshold_kernel_implIiEEvRNS_18TensorIteratorBaseET_S7_EUliiE_EESt5arrayIPcLm3EELi4E23TrivialOffsetCalculatorILi2EjESD_ILi1EjENS0_6memory15LoadWithoutCastENSG_16StoreWithoutCastEEEviS7_T0_T2_T3_T4_T5_.uses_flat_scratch, 0
	.set _ZN2at6native27unrolled_elementwise_kernelINS0_13BinaryFunctorIiiiZNS0_12_GLOBAL__N_121threshold_kernel_implIiEEvRNS_18TensorIteratorBaseET_S7_EUliiE_EESt5arrayIPcLm3EELi4E23TrivialOffsetCalculatorILi2EjESD_ILi1EjENS0_6memory15LoadWithoutCastENSG_16StoreWithoutCastEEEviS7_T0_T2_T3_T4_T5_.has_dyn_sized_stack, 0
	.set _ZN2at6native27unrolled_elementwise_kernelINS0_13BinaryFunctorIiiiZNS0_12_GLOBAL__N_121threshold_kernel_implIiEEvRNS_18TensorIteratorBaseET_S7_EUliiE_EESt5arrayIPcLm3EELi4E23TrivialOffsetCalculatorILi2EjESD_ILi1EjENS0_6memory15LoadWithoutCastENSG_16StoreWithoutCastEEEviS7_T0_T2_T3_T4_T5_.has_recursion, 0
	.set _ZN2at6native27unrolled_elementwise_kernelINS0_13BinaryFunctorIiiiZNS0_12_GLOBAL__N_121threshold_kernel_implIiEEvRNS_18TensorIteratorBaseET_S7_EUliiE_EESt5arrayIPcLm3EELi4E23TrivialOffsetCalculatorILi2EjESD_ILi1EjENS0_6memory15LoadWithoutCastENSG_16StoreWithoutCastEEEviS7_T0_T2_T3_T4_T5_.has_indirect_call, 0
	.section	.AMDGPU.csdata,"",@progbits
; Kernel info:
; codeLenInByte = 936
; TotalNumSgprs: 24
; NumVgprs: 16
; ScratchSize: 0
; MemoryBound: 0
; FloatMode: 240
; IeeeMode: 1
; LDSByteSize: 0 bytes/workgroup (compile time only)
; SGPRBlocks: 2
; VGPRBlocks: 3
; NumSGPRsForWavesPerEU: 24
; NumVGPRsForWavesPerEU: 16
; Occupancy: 10
; WaveLimiterHint : 0
; COMPUTE_PGM_RSRC2:SCRATCH_EN: 0
; COMPUTE_PGM_RSRC2:USER_SGPR: 6
; COMPUTE_PGM_RSRC2:TRAP_HANDLER: 0
; COMPUTE_PGM_RSRC2:TGID_X_EN: 1
; COMPUTE_PGM_RSRC2:TGID_Y_EN: 0
; COMPUTE_PGM_RSRC2:TGID_Z_EN: 0
; COMPUTE_PGM_RSRC2:TIDIG_COMP_CNT: 0
	.section	.text._ZN2at6native32elementwise_kernel_manual_unrollILi128ELi4EZNS0_22gpu_kernel_impl_nocastINS0_13BinaryFunctorIiiiZNS0_12_GLOBAL__N_121threshold_kernel_implIiEEvRNS_18TensorIteratorBaseET_S8_EUliiE_EEEEvS7_RKS8_EUlibE_EEviT1_,"axG",@progbits,_ZN2at6native32elementwise_kernel_manual_unrollILi128ELi4EZNS0_22gpu_kernel_impl_nocastINS0_13BinaryFunctorIiiiZNS0_12_GLOBAL__N_121threshold_kernel_implIiEEvRNS_18TensorIteratorBaseET_S8_EUliiE_EEEEvS7_RKS8_EUlibE_EEviT1_,comdat
	.globl	_ZN2at6native32elementwise_kernel_manual_unrollILi128ELi4EZNS0_22gpu_kernel_impl_nocastINS0_13BinaryFunctorIiiiZNS0_12_GLOBAL__N_121threshold_kernel_implIiEEvRNS_18TensorIteratorBaseET_S8_EUliiE_EEEEvS7_RKS8_EUlibE_EEviT1_ ; -- Begin function _ZN2at6native32elementwise_kernel_manual_unrollILi128ELi4EZNS0_22gpu_kernel_impl_nocastINS0_13BinaryFunctorIiiiZNS0_12_GLOBAL__N_121threshold_kernel_implIiEEvRNS_18TensorIteratorBaseET_S8_EUliiE_EEEEvS7_RKS8_EUlibE_EEviT1_
	.p2align	8
	.type	_ZN2at6native32elementwise_kernel_manual_unrollILi128ELi4EZNS0_22gpu_kernel_impl_nocastINS0_13BinaryFunctorIiiiZNS0_12_GLOBAL__N_121threshold_kernel_implIiEEvRNS_18TensorIteratorBaseET_S8_EUliiE_EEEEvS7_RKS8_EUlibE_EEviT1_,@function
_ZN2at6native32elementwise_kernel_manual_unrollILi128ELi4EZNS0_22gpu_kernel_impl_nocastINS0_13BinaryFunctorIiiiZNS0_12_GLOBAL__N_121threshold_kernel_implIiEEvRNS_18TensorIteratorBaseET_S8_EUliiE_EEEEvS7_RKS8_EUlibE_EEviT1_: ; @_ZN2at6native32elementwise_kernel_manual_unrollILi128ELi4EZNS0_22gpu_kernel_impl_nocastINS0_13BinaryFunctorIiiiZNS0_12_GLOBAL__N_121threshold_kernel_implIiEEvRNS_18TensorIteratorBaseET_S8_EUliiE_EEEEvS7_RKS8_EUlibE_EEviT1_
; %bb.0:
	s_load_dword s38, s[4:5], 0x0
	s_load_dword s33, s[4:5], 0x8
	s_add_u32 s16, s4, 8
	s_addc_u32 s17, s5, 0
	v_lshl_or_b32 v11, s6, 9, v0
	v_or_b32_e32 v21, 0x180, v11
	s_waitcnt lgkmcnt(0)
	s_add_i32 s36, s33, -1
	s_cmp_gt_u32 s36, 1
	v_cmp_le_i32_e32 vcc, s38, v21
	s_cselect_b64 s[18:19], -1, 0
	s_and_saveexec_b64 s[0:1], vcc
	s_xor_b64 s[20:21], exec, s[0:1]
	s_cbranch_execz .LBB69_54
; %bb.1:
	s_load_dwordx4 s[12:15], s[16:17], 0x4
	s_load_dwordx2 s[24:25], s[16:17], 0x14
	s_load_dwordx4 s[8:11], s[16:17], 0xc4
	s_load_dwordx2 s[22:23], s[16:17], 0xd4
	s_load_dwordx8 s[0:7], s[16:17], 0x188
	s_cmp_lg_u32 s33, 0
	s_cselect_b64 s[28:29], -1, 0
	s_min_u32 s37, s36, 15
	s_cmp_gt_u32 s33, 1
	s_cselect_b64 s[26:27], -1, 0
	v_cmp_gt_i32_e32 vcc, s38, v11
	s_and_saveexec_b64 s[30:31], vcc
	s_cbranch_execnz .LBB69_5
; %bb.2:
	s_or_b64 exec, exec, s[30:31]
	v_cmp_gt_i32_e32 vcc, s38, v11
	s_and_saveexec_b64 s[30:31], vcc
	s_cbranch_execnz .LBB69_17
.LBB69_3:
	s_or_b64 exec, exec, s[30:31]
	v_cmp_gt_i32_e32 vcc, s38, v11
	s_and_saveexec_b64 s[30:31], vcc
	s_cbranch_execnz .LBB69_29
.LBB69_4:
	s_or_b64 exec, exec, s[30:31]
	v_cmp_gt_i32_e32 vcc, s38, v11
	s_and_saveexec_b64 s[30:31], vcc
	s_cbranch_execnz .LBB69_41
	s_branch .LBB69_53
.LBB69_5:
	s_andn2_b64 vcc, exec, s[18:19]
	s_cbranch_vccnz .LBB69_11
; %bb.6:
	s_andn2_b64 vcc, exec, s[28:29]
	s_cbranch_vccnz .LBB69_12
; %bb.7:
	s_add_i32 s34, s37, 1
	s_and_b32 s39, s34, 30
	s_add_u32 s34, s16, 0xffffffe8
	s_addc_u32 s35, s17, -1
	v_mov_b32_e32 v2, 0
	v_mov_b32_e32 v4, 0
	;; [unrolled: 1-line block ×4, first 2 shown]
.LBB69_8:                               ; =>This Inner Loop Header: Depth=1
	s_load_dwordx4 s[40:43], s[34:35], 0x1c
	s_load_dwordx2 s[48:49], s[34:35], 0x2c
	s_load_dwordx2 s[50:51], s[34:35], 0xec
	s_load_dwordx4 s[44:47], s[34:35], 0xdc
	s_add_u32 s34, s34, 24
	s_waitcnt lgkmcnt(0)
	v_mul_hi_u32 v3, s41, v1
	s_addc_u32 s35, s35, 0
	s_add_i32 s39, s39, -2
	s_cmp_lg_u32 s39, 0
	v_add_u32_e32 v3, v1, v3
	v_lshrrev_b32_e32 v3, s42, v3
	v_mul_lo_u32 v5, v3, s40
	v_mul_hi_u32 v6, s48, v3
	v_sub_u32_e32 v5, v1, v5
	v_add_u32_e32 v1, v3, v6
	v_lshrrev_b32_e32 v1, s49, v1
	v_mul_lo_u32 v8, v1, s43
	v_mul_lo_u32 v6, v5, s44
	;; [unrolled: 1-line block ×4, first 2 shown]
	v_sub_u32_e32 v3, v3, v8
	v_mul_lo_u32 v8, v3, s47
	v_mul_lo_u32 v9, v3, s50
	;; [unrolled: 1-line block ×3, first 2 shown]
	v_add3_u32 v0, v6, v0, v8
	v_add3_u32 v4, v7, v4, v9
	;; [unrolled: 1-line block ×3, first 2 shown]
	s_cbranch_scc1 .LBB69_8
; %bb.9:
	s_bitcmp1_b32 s37, 0
	s_cselect_b64 s[40:41], -1, 0
	s_and_b64 vcc, exec, s[40:41]
	s_cbranch_vccnz .LBB69_13
; %bb.10:
	s_load_dwordx2 s[40:41], s[34:35], 0x1c
	s_load_dword s39, s[34:35], 0x24
	s_load_dwordx2 s[42:43], s[34:35], 0xdc
	s_waitcnt lgkmcnt(0)
	v_mul_hi_u32 v3, s41, v1
	v_add_u32_e32 v3, v1, v3
	v_lshrrev_b32_e32 v3, s39, v3
	v_mul_lo_u32 v3, v3, s40
	s_load_dword s39, s[34:35], 0xe4
	v_sub_u32_e32 v3, v1, v3
	v_mad_u64_u32 v[0:1], s[34:35], v3, s42, v[0:1]
	v_mad_u64_u32 v[4:5], s[34:35], v3, s43, v[4:5]
	s_waitcnt lgkmcnt(0)
	v_mad_u64_u32 v[2:3], s[34:35], v3, s39, v[2:3]
	s_cbranch_execz .LBB69_14
	s_branch .LBB69_16
.LBB69_11:
                                        ; implicit-def: $vgpr0
                                        ; implicit-def: $vgpr4
                                        ; implicit-def: $vgpr2
	s_branch .LBB69_14
.LBB69_12:
	v_mov_b32_e32 v0, 0
	v_mov_b32_e32 v4, 0
	;; [unrolled: 1-line block ×3, first 2 shown]
.LBB69_13:
	s_cbranch_execnz .LBB69_16
.LBB69_14:
	s_waitcnt lgkmcnt(0)
	v_mul_hi_u32 v0, s13, v11
	s_andn2_b64 vcc, exec, s[26:27]
	v_add_u32_e32 v0, v11, v0
	v_lshrrev_b32_e32 v1, s14, v0
	v_mul_lo_u32 v0, v1, s12
	v_sub_u32_e32 v2, v11, v0
	v_mul_lo_u32 v0, v2, s8
	v_mul_lo_u32 v4, v2, s9
	;; [unrolled: 1-line block ×3, first 2 shown]
	s_cbranch_vccnz .LBB69_16
; %bb.15:
	v_mul_hi_u32 v3, s24, v1
	v_add_u32_e32 v3, v1, v3
	v_lshrrev_b32_e32 v3, s25, v3
	v_mul_lo_u32 v3, v3, s15
	v_sub_u32_e32 v3, v1, v3
	v_mad_u64_u32 v[0:1], s[34:35], v3, s11, v[0:1]
	v_mad_u64_u32 v[4:5], s[34:35], v3, s22, v[4:5]
	;; [unrolled: 1-line block ×3, first 2 shown]
.LBB69_16:
	s_waitcnt lgkmcnt(0)
	global_load_dword v1, v4, s[2:3]
	global_load_dword v3, v2, s[4:5]
	v_mov_b32_e32 v2, s7
	v_add_u32_e32 v11, 0x80, v11
	s_waitcnt vmcnt(1)
	v_cmp_lt_i32_e32 vcc, s6, v1
	s_waitcnt vmcnt(0)
	v_cndmask_b32_e32 v1, v2, v3, vcc
	global_store_dword v0, v1, s[0:1]
	s_or_b64 exec, exec, s[30:31]
	v_cmp_gt_i32_e32 vcc, s38, v11
	s_and_saveexec_b64 s[30:31], vcc
	s_cbranch_execz .LBB69_3
.LBB69_17:
	s_andn2_b64 vcc, exec, s[18:19]
	s_cbranch_vccnz .LBB69_23
; %bb.18:
	s_andn2_b64 vcc, exec, s[28:29]
	s_cbranch_vccnz .LBB69_24
; %bb.19:
	s_add_i32 s34, s37, 1
	s_and_b32 s39, s34, 30
	s_add_u32 s34, s16, 0xffffffe8
	s_addc_u32 s35, s17, -1
	v_mov_b32_e32 v2, 0
	v_mov_b32_e32 v4, 0
	;; [unrolled: 1-line block ×4, first 2 shown]
.LBB69_20:                              ; =>This Inner Loop Header: Depth=1
	s_load_dwordx4 s[40:43], s[34:35], 0x1c
	s_load_dwordx2 s[48:49], s[34:35], 0x2c
	s_load_dwordx2 s[50:51], s[34:35], 0xec
	s_load_dwordx4 s[44:47], s[34:35], 0xdc
	s_add_u32 s34, s34, 24
	s_waitcnt lgkmcnt(0)
	v_mul_hi_u32 v3, s41, v1
	s_addc_u32 s35, s35, 0
	s_add_i32 s39, s39, -2
	s_cmp_eq_u32 s39, 0
	v_add_u32_e32 v3, v1, v3
	v_lshrrev_b32_e32 v3, s42, v3
	v_mul_lo_u32 v5, v3, s40
	v_mul_hi_u32 v6, s48, v3
	v_sub_u32_e32 v5, v1, v5
	v_add_u32_e32 v1, v3, v6
	v_lshrrev_b32_e32 v1, s49, v1
	v_mul_lo_u32 v8, v1, s43
	v_mul_lo_u32 v6, v5, s44
	;; [unrolled: 1-line block ×4, first 2 shown]
	v_sub_u32_e32 v3, v3, v8
	v_mul_lo_u32 v8, v3, s47
	v_mul_lo_u32 v9, v3, s50
	;; [unrolled: 1-line block ×3, first 2 shown]
	v_add3_u32 v0, v6, v0, v8
	v_add3_u32 v4, v7, v4, v9
	;; [unrolled: 1-line block ×3, first 2 shown]
	s_cbranch_scc0 .LBB69_20
; %bb.21:
	s_bitcmp1_b32 s37, 0
	s_cselect_b64 s[40:41], -1, 0
	s_and_b64 vcc, exec, s[40:41]
	s_cbranch_vccnz .LBB69_25
; %bb.22:
	s_load_dwordx2 s[40:41], s[34:35], 0x1c
	s_load_dword s39, s[34:35], 0x24
	s_load_dwordx2 s[42:43], s[34:35], 0xdc
	s_waitcnt lgkmcnt(0)
	v_mul_hi_u32 v3, s41, v1
	v_add_u32_e32 v3, v1, v3
	v_lshrrev_b32_e32 v3, s39, v3
	v_mul_lo_u32 v3, v3, s40
	s_load_dword s39, s[34:35], 0xe4
	v_sub_u32_e32 v3, v1, v3
	v_mad_u64_u32 v[0:1], s[34:35], v3, s42, v[0:1]
	v_mad_u64_u32 v[4:5], s[34:35], v3, s43, v[4:5]
	s_waitcnt lgkmcnt(0)
	v_mad_u64_u32 v[2:3], s[34:35], v3, s39, v[2:3]
	s_branch .LBB69_25
.LBB69_23:
                                        ; implicit-def: $vgpr0
                                        ; implicit-def: $vgpr4
                                        ; implicit-def: $vgpr2
	s_branch .LBB69_26
.LBB69_24:
	v_mov_b32_e32 v0, 0
	v_mov_b32_e32 v4, 0
	;; [unrolled: 1-line block ×3, first 2 shown]
.LBB69_25:
	s_cbranch_execnz .LBB69_28
.LBB69_26:
	s_waitcnt lgkmcnt(0)
	v_mul_hi_u32 v0, s13, v11
	s_andn2_b64 vcc, exec, s[26:27]
	v_add_u32_e32 v0, v11, v0
	v_lshrrev_b32_e32 v1, s14, v0
	v_mul_lo_u32 v0, v1, s12
	v_sub_u32_e32 v2, v11, v0
	v_mul_lo_u32 v0, v2, s8
	v_mul_lo_u32 v4, v2, s9
	v_mul_lo_u32 v2, v2, s10
	s_cbranch_vccnz .LBB69_28
; %bb.27:
	v_mul_hi_u32 v3, s24, v1
	v_add_u32_e32 v3, v1, v3
	v_lshrrev_b32_e32 v3, s25, v3
	v_mul_lo_u32 v3, v3, s15
	v_sub_u32_e32 v3, v1, v3
	v_mad_u64_u32 v[0:1], s[34:35], v3, s11, v[0:1]
	v_mad_u64_u32 v[4:5], s[34:35], v3, s22, v[4:5]
	;; [unrolled: 1-line block ×3, first 2 shown]
.LBB69_28:
	s_waitcnt lgkmcnt(0)
	global_load_dword v1, v4, s[2:3]
	global_load_dword v3, v2, s[4:5]
	v_mov_b32_e32 v2, s7
	v_add_u32_e32 v11, 0x80, v11
	s_waitcnt vmcnt(1)
	v_cmp_lt_i32_e32 vcc, s6, v1
	s_waitcnt vmcnt(0)
	v_cndmask_b32_e32 v1, v2, v3, vcc
	global_store_dword v0, v1, s[0:1]
	s_or_b64 exec, exec, s[30:31]
	v_cmp_gt_i32_e32 vcc, s38, v11
	s_and_saveexec_b64 s[30:31], vcc
	s_cbranch_execz .LBB69_4
.LBB69_29:
	s_andn2_b64 vcc, exec, s[18:19]
	s_cbranch_vccnz .LBB69_35
; %bb.30:
	s_andn2_b64 vcc, exec, s[28:29]
	s_cbranch_vccnz .LBB69_36
; %bb.31:
	s_add_i32 s34, s37, 1
	s_and_b32 s39, s34, 30
	s_add_u32 s34, s16, 0xffffffe8
	s_addc_u32 s35, s17, -1
	v_mov_b32_e32 v2, 0
	v_mov_b32_e32 v4, 0
	;; [unrolled: 1-line block ×4, first 2 shown]
.LBB69_32:                              ; =>This Inner Loop Header: Depth=1
	s_load_dwordx4 s[40:43], s[34:35], 0x1c
	s_load_dwordx2 s[48:49], s[34:35], 0x2c
	s_load_dwordx2 s[50:51], s[34:35], 0xec
	s_load_dwordx4 s[44:47], s[34:35], 0xdc
	s_add_u32 s34, s34, 24
	s_waitcnt lgkmcnt(0)
	v_mul_hi_u32 v3, s41, v1
	s_addc_u32 s35, s35, 0
	s_add_i32 s39, s39, -2
	s_cmp_eq_u32 s39, 0
	v_add_u32_e32 v3, v1, v3
	v_lshrrev_b32_e32 v3, s42, v3
	v_mul_lo_u32 v5, v3, s40
	v_mul_hi_u32 v6, s48, v3
	v_sub_u32_e32 v5, v1, v5
	v_add_u32_e32 v1, v3, v6
	v_lshrrev_b32_e32 v1, s49, v1
	v_mul_lo_u32 v8, v1, s43
	v_mul_lo_u32 v6, v5, s44
	;; [unrolled: 1-line block ×4, first 2 shown]
	v_sub_u32_e32 v3, v3, v8
	v_mul_lo_u32 v8, v3, s47
	v_mul_lo_u32 v9, v3, s50
	;; [unrolled: 1-line block ×3, first 2 shown]
	v_add3_u32 v0, v6, v0, v8
	v_add3_u32 v4, v7, v4, v9
	;; [unrolled: 1-line block ×3, first 2 shown]
	s_cbranch_scc0 .LBB69_32
; %bb.33:
	s_bitcmp1_b32 s37, 0
	s_cselect_b64 s[40:41], -1, 0
	s_and_b64 vcc, exec, s[40:41]
	s_cbranch_vccnz .LBB69_37
; %bb.34:
	s_load_dwordx2 s[40:41], s[34:35], 0x1c
	s_load_dword s39, s[34:35], 0x24
	s_load_dwordx2 s[42:43], s[34:35], 0xdc
	s_waitcnt lgkmcnt(0)
	v_mul_hi_u32 v3, s41, v1
	v_add_u32_e32 v3, v1, v3
	v_lshrrev_b32_e32 v3, s39, v3
	v_mul_lo_u32 v3, v3, s40
	s_load_dword s39, s[34:35], 0xe4
	v_sub_u32_e32 v3, v1, v3
	v_mad_u64_u32 v[0:1], s[34:35], v3, s42, v[0:1]
	v_mad_u64_u32 v[4:5], s[34:35], v3, s43, v[4:5]
	s_waitcnt lgkmcnt(0)
	v_mad_u64_u32 v[2:3], s[34:35], v3, s39, v[2:3]
	s_branch .LBB69_37
.LBB69_35:
                                        ; implicit-def: $vgpr0
                                        ; implicit-def: $vgpr4
                                        ; implicit-def: $vgpr2
	s_branch .LBB69_38
.LBB69_36:
	v_mov_b32_e32 v0, 0
	v_mov_b32_e32 v4, 0
	;; [unrolled: 1-line block ×3, first 2 shown]
.LBB69_37:
	s_cbranch_execnz .LBB69_40
.LBB69_38:
	s_waitcnt lgkmcnt(0)
	v_mul_hi_u32 v0, s13, v11
	s_andn2_b64 vcc, exec, s[26:27]
	v_add_u32_e32 v0, v11, v0
	v_lshrrev_b32_e32 v1, s14, v0
	v_mul_lo_u32 v0, v1, s12
	v_sub_u32_e32 v2, v11, v0
	v_mul_lo_u32 v0, v2, s8
	v_mul_lo_u32 v4, v2, s9
	;; [unrolled: 1-line block ×3, first 2 shown]
	s_cbranch_vccnz .LBB69_40
; %bb.39:
	v_mul_hi_u32 v3, s24, v1
	v_add_u32_e32 v3, v1, v3
	v_lshrrev_b32_e32 v3, s25, v3
	v_mul_lo_u32 v3, v3, s15
	v_sub_u32_e32 v3, v1, v3
	v_mad_u64_u32 v[0:1], s[34:35], v3, s11, v[0:1]
	v_mad_u64_u32 v[4:5], s[34:35], v3, s22, v[4:5]
	;; [unrolled: 1-line block ×3, first 2 shown]
.LBB69_40:
	s_waitcnt lgkmcnt(0)
	global_load_dword v1, v4, s[2:3]
	global_load_dword v3, v2, s[4:5]
	v_mov_b32_e32 v2, s7
	v_add_u32_e32 v11, 0x80, v11
	s_waitcnt vmcnt(1)
	v_cmp_lt_i32_e32 vcc, s6, v1
	s_waitcnt vmcnt(0)
	v_cndmask_b32_e32 v1, v2, v3, vcc
	global_store_dword v0, v1, s[0:1]
	s_or_b64 exec, exec, s[30:31]
	v_cmp_gt_i32_e32 vcc, s38, v11
	s_and_saveexec_b64 s[30:31], vcc
	s_cbranch_execz .LBB69_53
.LBB69_41:
	s_andn2_b64 vcc, exec, s[18:19]
	s_cbranch_vccnz .LBB69_47
; %bb.42:
	s_andn2_b64 vcc, exec, s[28:29]
	s_cbranch_vccnz .LBB69_48
; %bb.43:
	s_add_i32 s28, s37, 1
	s_and_b32 s34, s28, 30
	s_add_u32 s28, s16, 0xffffffe8
	s_addc_u32 s29, s17, -1
	v_mov_b32_e32 v2, 0
	v_mov_b32_e32 v4, 0
	;; [unrolled: 1-line block ×4, first 2 shown]
.LBB69_44:                              ; =>This Inner Loop Header: Depth=1
	s_load_dwordx4 s[40:43], s[28:29], 0x1c
	s_load_dwordx2 s[38:39], s[28:29], 0x2c
	s_load_dwordx2 s[48:49], s[28:29], 0xec
	s_load_dwordx4 s[44:47], s[28:29], 0xdc
	s_add_u32 s28, s28, 24
	s_waitcnt lgkmcnt(0)
	v_mul_hi_u32 v3, s41, v1
	s_addc_u32 s29, s29, 0
	s_add_i32 s34, s34, -2
	s_cmp_eq_u32 s34, 0
	v_add_u32_e32 v3, v1, v3
	v_lshrrev_b32_e32 v3, s42, v3
	v_mul_lo_u32 v5, v3, s40
	v_mul_hi_u32 v6, s38, v3
	v_sub_u32_e32 v5, v1, v5
	v_add_u32_e32 v1, v3, v6
	v_lshrrev_b32_e32 v1, s39, v1
	v_mul_lo_u32 v8, v1, s43
	v_mul_lo_u32 v6, v5, s44
	;; [unrolled: 1-line block ×4, first 2 shown]
	v_sub_u32_e32 v3, v3, v8
	v_mul_lo_u32 v8, v3, s47
	v_mul_lo_u32 v9, v3, s48
	;; [unrolled: 1-line block ×3, first 2 shown]
	v_add3_u32 v0, v6, v0, v8
	v_add3_u32 v4, v7, v4, v9
	v_add3_u32 v2, v5, v2, v3
	s_cbranch_scc0 .LBB69_44
; %bb.45:
	s_bitcmp1_b32 s37, 0
	s_cselect_b64 s[34:35], -1, 0
	s_and_b64 vcc, exec, s[34:35]
	s_cbranch_vccnz .LBB69_49
; %bb.46:
	s_load_dwordx2 s[34:35], s[28:29], 0x1c
	s_load_dword s37, s[28:29], 0x24
	s_load_dwordx2 s[38:39], s[28:29], 0xdc
	s_waitcnt lgkmcnt(0)
	v_mul_hi_u32 v3, s35, v1
	v_add_u32_e32 v3, v1, v3
	v_lshrrev_b32_e32 v3, s37, v3
	v_mul_lo_u32 v3, v3, s34
	s_load_dword s34, s[28:29], 0xe4
	v_sub_u32_e32 v3, v1, v3
	v_mad_u64_u32 v[0:1], s[28:29], v3, s38, v[0:1]
	v_mad_u64_u32 v[4:5], s[28:29], v3, s39, v[4:5]
	s_waitcnt lgkmcnt(0)
	v_mad_u64_u32 v[2:3], s[28:29], v3, s34, v[2:3]
	s_branch .LBB69_49
.LBB69_47:
                                        ; implicit-def: $vgpr0
                                        ; implicit-def: $vgpr4
                                        ; implicit-def: $vgpr2
	s_branch .LBB69_50
.LBB69_48:
	v_mov_b32_e32 v0, 0
	v_mov_b32_e32 v4, 0
	;; [unrolled: 1-line block ×3, first 2 shown]
.LBB69_49:
	s_cbranch_execnz .LBB69_52
.LBB69_50:
	s_waitcnt lgkmcnt(0)
	v_mul_hi_u32 v0, s13, v11
	s_andn2_b64 vcc, exec, s[26:27]
	v_add_u32_e32 v0, v11, v0
	v_lshrrev_b32_e32 v1, s14, v0
	v_mul_lo_u32 v0, v1, s12
	v_sub_u32_e32 v2, v11, v0
	v_mul_lo_u32 v0, v2, s8
	v_mul_lo_u32 v4, v2, s9
	;; [unrolled: 1-line block ×3, first 2 shown]
	s_cbranch_vccnz .LBB69_52
; %bb.51:
	v_mul_hi_u32 v3, s24, v1
	v_add_u32_e32 v3, v1, v3
	v_lshrrev_b32_e32 v3, s25, v3
	v_mul_lo_u32 v3, v3, s15
	v_sub_u32_e32 v3, v1, v3
	v_mad_u64_u32 v[0:1], s[8:9], v3, s11, v[0:1]
	v_mad_u64_u32 v[4:5], s[8:9], v3, s22, v[4:5]
	;; [unrolled: 1-line block ×3, first 2 shown]
.LBB69_52:
	s_waitcnt lgkmcnt(0)
	global_load_dword v1, v4, s[2:3]
	global_load_dword v3, v2, s[4:5]
	v_mov_b32_e32 v2, s7
	s_waitcnt vmcnt(1)
	v_cmp_lt_i32_e32 vcc, s6, v1
	s_waitcnt vmcnt(0)
	v_cndmask_b32_e32 v1, v2, v3, vcc
	global_store_dword v0, v1, s[0:1]
.LBB69_53:
	s_or_b64 exec, exec, s[30:31]
                                        ; implicit-def: $vgpr21
                                        ; implicit-def: $vgpr11
.LBB69_54:
	s_waitcnt lgkmcnt(0)
	s_andn2_saveexec_b64 s[0:1], s[20:21]
	s_cbranch_execz .LBB69_61
; %bb.55:
	v_cndmask_b32_e64 v0, 0, 1, s[18:19]
	v_cmp_ne_u32_e64 s[0:1], 1, v0
	s_andn2_b64 vcc, exec, s[18:19]
	s_cbranch_vccnz .LBB69_62
; %bb.56:
	s_cmp_lg_u32 s33, 0
	s_cbranch_scc0 .LBB69_63
; %bb.57:
	s_min_u32 s4, s36, 15
	s_add_i32 s2, s4, 1
	s_and_b32 s5, s2, 30
	s_add_u32 s2, s16, 0xffffffe8
	s_addc_u32 s3, s17, -1
	v_mov_b32_e32 v2, 0
	v_mov_b32_e32 v4, 0
	;; [unrolled: 1-line block ×4, first 2 shown]
.LBB69_58:                              ; =>This Inner Loop Header: Depth=1
	s_load_dwordx4 s[8:11], s[2:3], 0x1c
	s_load_dwordx2 s[6:7], s[2:3], 0x2c
	s_load_dwordx2 s[18:19], s[2:3], 0xec
	s_load_dwordx4 s[12:15], s[2:3], 0xdc
	s_add_u32 s2, s2, 24
	s_waitcnt lgkmcnt(0)
	v_mul_hi_u32 v3, s9, v1
	s_addc_u32 s3, s3, 0
	s_add_i32 s5, s5, -2
	s_cmp_lg_u32 s5, 0
	v_add_u32_e32 v3, v1, v3
	v_lshrrev_b32_e32 v3, s10, v3
	v_mul_lo_u32 v5, v3, s8
	v_mul_hi_u32 v6, s6, v3
	v_sub_u32_e32 v5, v1, v5
	v_add_u32_e32 v1, v3, v6
	v_lshrrev_b32_e32 v1, s7, v1
	v_mul_lo_u32 v8, v1, s11
	v_mul_lo_u32 v6, v5, s12
	;; [unrolled: 1-line block ×4, first 2 shown]
	v_sub_u32_e32 v3, v3, v8
	v_mul_lo_u32 v8, v3, s15
	v_mul_lo_u32 v9, v3, s18
	;; [unrolled: 1-line block ×3, first 2 shown]
	v_add3_u32 v0, v6, v0, v8
	v_add3_u32 v4, v7, v4, v9
	;; [unrolled: 1-line block ×3, first 2 shown]
	s_cbranch_scc1 .LBB69_58
; %bb.59:
	s_bitcmp1_b32 s4, 0
	s_cselect_b64 s[4:5], -1, 0
	s_and_b64 vcc, exec, s[4:5]
	s_cbranch_vccnz .LBB69_64
; %bb.60:
	s_load_dwordx2 s[4:5], s[2:3], 0x1c
	s_load_dword s8, s[2:3], 0x24
	s_load_dwordx2 s[6:7], s[2:3], 0xdc
	s_waitcnt lgkmcnt(0)
	v_mul_hi_u32 v3, s5, v1
	v_add_u32_e32 v3, v1, v3
	v_lshrrev_b32_e32 v3, s8, v3
	v_mul_lo_u32 v3, v3, s4
	s_load_dword s4, s[2:3], 0xe4
	v_sub_u32_e32 v3, v1, v3
	v_mad_u64_u32 v[0:1], s[2:3], v3, s6, v[0:1]
	v_mad_u64_u32 v[4:5], s[2:3], v3, s7, v[4:5]
	s_waitcnt lgkmcnt(0)
	v_mad_u64_u32 v[2:3], s[2:3], v3, s4, v[2:3]
	s_cbranch_execz .LBB69_65
	s_branch .LBB69_67
.LBB69_61:
	s_endpgm
.LBB69_62:
                                        ; implicit-def: $vgpr0
                                        ; implicit-def: $vgpr4
                                        ; implicit-def: $vgpr2
	s_branch .LBB69_65
.LBB69_63:
	v_mov_b32_e32 v0, 0
	v_mov_b32_e32 v4, 0
	;; [unrolled: 1-line block ×3, first 2 shown]
.LBB69_64:
	s_cbranch_execnz .LBB69_67
.LBB69_65:
	s_load_dwordx4 s[4:7], s[16:17], 0x4
	s_load_dwordx4 s[8:11], s[16:17], 0xc4
	s_cmp_lt_u32 s33, 2
	s_waitcnt lgkmcnt(0)
	v_mul_hi_u32 v0, s5, v11
	v_add_u32_e32 v0, v11, v0
	v_lshrrev_b32_e32 v1, s6, v0
	v_mul_lo_u32 v0, v1, s4
	v_sub_u32_e32 v2, v11, v0
	v_mul_lo_u32 v0, v2, s8
	v_mul_lo_u32 v4, v2, s9
	;; [unrolled: 1-line block ×3, first 2 shown]
	s_cbranch_scc1 .LBB69_67
; %bb.66:
	s_load_dwordx4 s[4:7], s[16:17], 0x10
	s_load_dwordx4 s[8:11], s[16:17], 0xd0
	s_waitcnt lgkmcnt(0)
	v_mul_hi_u32 v3, s5, v1
	v_add_u32_e32 v3, v1, v3
	v_lshrrev_b32_e32 v3, s6, v3
	v_mul_lo_u32 v3, v3, s4
	v_sub_u32_e32 v3, v1, v3
	v_mad_u64_u32 v[0:1], s[2:3], v3, s8, v[0:1]
	v_mad_u64_u32 v[4:5], s[2:3], v3, s9, v[4:5]
	v_mad_u64_u32 v[2:3], s[2:3], v3, s10, v[2:3]
.LBB69_67:
	s_and_b64 vcc, exec, s[0:1]
	v_add_u32_e32 v1, 0x80, v11
	s_cbranch_vccnz .LBB69_73
; %bb.68:
	s_cmp_lg_u32 s33, 0
	s_cbranch_scc0 .LBB69_74
; %bb.69:
	s_min_u32 s4, s36, 15
	s_add_i32 s2, s4, 1
	s_and_b32 s5, s2, 30
	s_add_u32 s2, s16, 0xffffffe8
	s_addc_u32 s3, s17, -1
	v_mov_b32_e32 v7, 0
	v_mov_b32_e32 v9, 0
	;; [unrolled: 1-line block ×4, first 2 shown]
.LBB69_70:                              ; =>This Inner Loop Header: Depth=1
	s_load_dwordx4 s[8:11], s[2:3], 0x1c
	s_load_dwordx2 s[6:7], s[2:3], 0x2c
	s_load_dwordx2 s[18:19], s[2:3], 0xec
	s_load_dwordx4 s[12:15], s[2:3], 0xdc
	s_add_u32 s2, s2, 24
	s_waitcnt lgkmcnt(0)
	v_mul_hi_u32 v6, s9, v3
	s_addc_u32 s3, s3, 0
	s_add_i32 s5, s5, -2
	s_cmp_lg_u32 s5, 0
	v_add_u32_e32 v6, v3, v6
	v_lshrrev_b32_e32 v6, s10, v6
	v_mul_lo_u32 v8, v6, s8
	v_mul_hi_u32 v10, s6, v6
	v_sub_u32_e32 v8, v3, v8
	v_add_u32_e32 v3, v6, v10
	v_lshrrev_b32_e32 v3, s7, v3
	v_mul_lo_u32 v13, v3, s11
	v_mul_lo_u32 v10, v8, s12
	;; [unrolled: 1-line block ×4, first 2 shown]
	v_sub_u32_e32 v6, v6, v13
	v_mul_lo_u32 v13, v6, s15
	v_mul_lo_u32 v14, v6, s18
	;; [unrolled: 1-line block ×3, first 2 shown]
	v_add3_u32 v5, v10, v5, v13
	v_add3_u32 v9, v12, v9, v14
	;; [unrolled: 1-line block ×3, first 2 shown]
	s_cbranch_scc1 .LBB69_70
; %bb.71:
	s_bitcmp1_b32 s4, 0
	s_cselect_b64 s[4:5], -1, 0
	s_and_b64 vcc, exec, s[4:5]
	s_cbranch_vccnz .LBB69_75
; %bb.72:
	s_load_dwordx2 s[4:5], s[2:3], 0x1c
	s_load_dword s8, s[2:3], 0x24
	s_load_dwordx2 s[6:7], s[2:3], 0xdc
	s_waitcnt lgkmcnt(0)
	v_mul_hi_u32 v6, s5, v3
	v_add_u32_e32 v6, v3, v6
	v_lshrrev_b32_e32 v6, s8, v6
	v_mul_lo_u32 v6, v6, s4
	s_load_dword s4, s[2:3], 0xe4
	v_sub_u32_e32 v3, v3, v6
	v_mad_u64_u32 v[5:6], s[2:3], v3, s6, v[5:6]
	v_mad_u64_u32 v[9:10], s[2:3], v3, s7, v[9:10]
	s_waitcnt lgkmcnt(0)
	v_mad_u64_u32 v[7:8], s[2:3], v3, s4, v[7:8]
	s_cbranch_execz .LBB69_76
	s_branch .LBB69_78
.LBB69_73:
                                        ; implicit-def: $vgpr5
                                        ; implicit-def: $vgpr9
                                        ; implicit-def: $vgpr7
	s_branch .LBB69_76
.LBB69_74:
	v_mov_b32_e32 v5, 0
	v_mov_b32_e32 v9, 0
	;; [unrolled: 1-line block ×3, first 2 shown]
.LBB69_75:
	s_cbranch_execnz .LBB69_78
.LBB69_76:
	s_load_dwordx4 s[4:7], s[16:17], 0x4
	s_load_dwordx4 s[8:11], s[16:17], 0xc4
	s_cmp_lt_u32 s33, 2
	s_waitcnt lgkmcnt(0)
	v_mul_hi_u32 v3, s5, v1
	v_add_u32_e32 v3, v1, v3
	v_lshrrev_b32_e32 v3, s6, v3
	v_mul_lo_u32 v5, v3, s4
	v_sub_u32_e32 v1, v1, v5
	v_mul_lo_u32 v5, v1, s8
	v_mul_lo_u32 v9, v1, s9
	;; [unrolled: 1-line block ×3, first 2 shown]
	s_cbranch_scc1 .LBB69_78
; %bb.77:
	s_load_dwordx4 s[4:7], s[16:17], 0x10
	s_load_dwordx4 s[8:11], s[16:17], 0xd0
	s_waitcnt lgkmcnt(0)
	v_mul_hi_u32 v1, s5, v3
	v_add_u32_e32 v1, v3, v1
	v_lshrrev_b32_e32 v1, s6, v1
	v_mul_lo_u32 v1, v1, s4
	v_sub_u32_e32 v1, v3, v1
	v_mad_u64_u32 v[5:6], s[2:3], v1, s8, v[5:6]
	v_mad_u64_u32 v[9:10], s[2:3], v1, s9, v[9:10]
	;; [unrolled: 1-line block ×3, first 2 shown]
.LBB69_78:
	s_and_b64 vcc, exec, s[0:1]
	v_add_u32_e32 v1, 0x100, v11
	s_cbranch_vccnz .LBB69_84
; %bb.79:
	s_cmp_lg_u32 s33, 0
	s_cbranch_scc0 .LBB69_85
; %bb.80:
	s_min_u32 s4, s36, 15
	s_add_i32 s2, s4, 1
	s_and_b32 s5, s2, 30
	s_add_u32 s2, s16, 0xffffffe8
	s_addc_u32 s3, s17, -1
	v_mov_b32_e32 v12, 0
	v_mov_b32_e32 v14, 0
	;; [unrolled: 1-line block ×4, first 2 shown]
.LBB69_81:                              ; =>This Inner Loop Header: Depth=1
	s_load_dwordx4 s[8:11], s[2:3], 0x1c
	s_load_dwordx2 s[6:7], s[2:3], 0x2c
	s_load_dwordx2 s[18:19], s[2:3], 0xec
	s_load_dwordx4 s[12:15], s[2:3], 0xdc
	s_add_u32 s2, s2, 24
	s_waitcnt lgkmcnt(0)
	v_mul_hi_u32 v6, s9, v3
	s_addc_u32 s3, s3, 0
	s_add_i32 s5, s5, -2
	s_cmp_lg_u32 s5, 0
	v_add_u32_e32 v6, v3, v6
	v_lshrrev_b32_e32 v6, s10, v6
	v_mul_lo_u32 v8, v6, s8
	v_mul_hi_u32 v11, s6, v6
	v_sub_u32_e32 v8, v3, v8
	v_add_u32_e32 v3, v6, v11
	v_lshrrev_b32_e32 v3, s7, v3
	v_mul_lo_u32 v15, v3, s11
	v_mul_lo_u32 v11, v8, s12
	;; [unrolled: 1-line block ×4, first 2 shown]
	v_sub_u32_e32 v6, v6, v15
	v_mul_lo_u32 v15, v6, s15
	v_mul_lo_u32 v16, v6, s18
	;; [unrolled: 1-line block ×3, first 2 shown]
	v_add3_u32 v10, v11, v10, v15
	v_add3_u32 v14, v13, v14, v16
	;; [unrolled: 1-line block ×3, first 2 shown]
	s_cbranch_scc1 .LBB69_81
; %bb.82:
	s_bitcmp1_b32 s4, 0
	s_cselect_b64 s[4:5], -1, 0
	s_and_b64 vcc, exec, s[4:5]
	s_cbranch_vccnz .LBB69_86
; %bb.83:
	s_load_dwordx2 s[4:5], s[2:3], 0x1c
	s_load_dword s8, s[2:3], 0x24
	s_load_dwordx2 s[6:7], s[2:3], 0xdc
	s_waitcnt lgkmcnt(0)
	v_mul_hi_u32 v6, s5, v3
	v_add_u32_e32 v6, v3, v6
	v_lshrrev_b32_e32 v6, s8, v6
	v_mul_lo_u32 v6, v6, s4
	s_load_dword s4, s[2:3], 0xe4
	v_sub_u32_e32 v3, v3, v6
	v_mad_u64_u32 v[10:11], s[2:3], v3, s6, v[10:11]
	v_mad_u64_u32 v[14:15], s[2:3], v3, s7, v[14:15]
	s_waitcnt lgkmcnt(0)
	v_mad_u64_u32 v[12:13], s[2:3], v3, s4, v[12:13]
	s_cbranch_execz .LBB69_87
	s_branch .LBB69_89
.LBB69_84:
                                        ; implicit-def: $vgpr10
                                        ; implicit-def: $vgpr14
                                        ; implicit-def: $vgpr12
	s_branch .LBB69_87
.LBB69_85:
	v_mov_b32_e32 v10, 0
	v_mov_b32_e32 v14, 0
	;; [unrolled: 1-line block ×3, first 2 shown]
.LBB69_86:
	s_cbranch_execnz .LBB69_89
.LBB69_87:
	s_load_dwordx4 s[4:7], s[16:17], 0x4
	s_load_dwordx4 s[8:11], s[16:17], 0xc4
	s_cmp_lt_u32 s33, 2
	s_waitcnt lgkmcnt(0)
	v_mul_hi_u32 v3, s5, v1
	v_add_u32_e32 v3, v1, v3
	v_lshrrev_b32_e32 v3, s6, v3
	v_mul_lo_u32 v6, v3, s4
	v_sub_u32_e32 v1, v1, v6
	v_mul_lo_u32 v10, v1, s8
	v_mul_lo_u32 v14, v1, s9
	;; [unrolled: 1-line block ×3, first 2 shown]
	s_cbranch_scc1 .LBB69_89
; %bb.88:
	s_load_dwordx4 s[4:7], s[16:17], 0x10
	s_load_dwordx4 s[8:11], s[16:17], 0xd0
	s_waitcnt lgkmcnt(0)
	v_mul_hi_u32 v1, s5, v3
	v_add_u32_e32 v1, v3, v1
	v_lshrrev_b32_e32 v1, s6, v1
	v_mul_lo_u32 v1, v1, s4
	v_sub_u32_e32 v1, v3, v1
	v_mad_u64_u32 v[10:11], s[2:3], v1, s8, v[10:11]
	v_mad_u64_u32 v[14:15], s[2:3], v1, s9, v[14:15]
	v_mad_u64_u32 v[12:13], s[2:3], v1, s10, v[12:13]
.LBB69_89:
	s_and_b64 vcc, exec, s[0:1]
	s_cbranch_vccnz .LBB69_95
; %bb.90:
	s_cmp_lg_u32 s33, 0
	s_cbranch_scc0 .LBB69_96
; %bb.91:
	s_min_u32 s2, s36, 15
	s_add_i32 s0, s2, 1
	s_and_b32 s3, s0, 30
	s_add_u32 s0, s16, 0xffffffe8
	s_addc_u32 s1, s17, -1
	v_mov_b32_e32 v17, 0
	v_mov_b32_e32 v19, 0
	;; [unrolled: 1-line block ×4, first 2 shown]
.LBB69_92:                              ; =>This Inner Loop Header: Depth=1
	s_load_dwordx4 s[4:7], s[0:1], 0x1c
	s_load_dwordx2 s[12:13], s[0:1], 0x2c
	s_load_dwordx2 s[14:15], s[0:1], 0xec
	s_load_dwordx4 s[8:11], s[0:1], 0xdc
	s_add_u32 s0, s0, 24
	s_waitcnt lgkmcnt(0)
	v_mul_hi_u32 v3, s5, v1
	s_addc_u32 s1, s1, 0
	s_add_i32 s3, s3, -2
	s_cmp_lg_u32 s3, 0
	v_add_u32_e32 v3, v1, v3
	v_lshrrev_b32_e32 v3, s6, v3
	v_mul_lo_u32 v6, v3, s4
	v_mul_hi_u32 v8, s12, v3
	v_sub_u32_e32 v6, v1, v6
	v_add_u32_e32 v1, v3, v8
	v_lshrrev_b32_e32 v1, s13, v1
	v_mul_lo_u32 v13, v1, s7
	v_mul_lo_u32 v8, v6, s8
	v_mul_lo_u32 v11, v6, s9
	v_mul_lo_u32 v6, v6, s10
	v_sub_u32_e32 v3, v3, v13
	v_mul_lo_u32 v13, v3, s11
	v_mul_lo_u32 v16, v3, s14
	;; [unrolled: 1-line block ×3, first 2 shown]
	v_add3_u32 v15, v8, v15, v13
	v_add3_u32 v19, v11, v19, v16
	;; [unrolled: 1-line block ×3, first 2 shown]
	s_cbranch_scc1 .LBB69_92
; %bb.93:
	s_bitcmp1_b32 s2, 0
	s_cselect_b64 s[2:3], -1, 0
	s_and_b64 vcc, exec, s[2:3]
	s_cbranch_vccnz .LBB69_97
; %bb.94:
	s_load_dwordx2 s[2:3], s[0:1], 0x1c
	s_load_dword s6, s[0:1], 0x24
	s_load_dwordx2 s[4:5], s[0:1], 0xdc
	s_waitcnt lgkmcnt(0)
	v_mul_hi_u32 v3, s3, v1
	v_add_u32_e32 v3, v1, v3
	v_lshrrev_b32_e32 v3, s6, v3
	v_mul_lo_u32 v3, v3, s2
	s_load_dword s2, s[0:1], 0xe4
	v_sub_u32_e32 v1, v1, v3
	v_mad_u64_u32 v[15:16], s[0:1], v1, s4, v[15:16]
	v_mad_u64_u32 v[19:20], s[0:1], v1, s5, v[19:20]
	s_waitcnt lgkmcnt(0)
	v_mad_u64_u32 v[17:18], s[0:1], v1, s2, v[17:18]
	s_cbranch_execz .LBB69_98
	s_branch .LBB69_100
.LBB69_95:
                                        ; implicit-def: $vgpr15
                                        ; implicit-def: $vgpr19
                                        ; implicit-def: $vgpr17
	s_branch .LBB69_98
.LBB69_96:
	v_mov_b32_e32 v15, 0
	v_mov_b32_e32 v19, 0
	;; [unrolled: 1-line block ×3, first 2 shown]
.LBB69_97:
	s_cbranch_execnz .LBB69_100
.LBB69_98:
	s_load_dwordx4 s[0:3], s[16:17], 0x4
	s_load_dwordx4 s[4:7], s[16:17], 0xc4
	s_cmp_lt_u32 s33, 2
	s_waitcnt lgkmcnt(0)
	v_mul_hi_u32 v1, s1, v21
	v_add_u32_e32 v1, v21, v1
	v_lshrrev_b32_e32 v1, s2, v1
	v_mul_lo_u32 v3, v1, s0
	v_sub_u32_e32 v3, v21, v3
	v_mul_lo_u32 v15, v3, s4
	v_mul_lo_u32 v19, v3, s5
	;; [unrolled: 1-line block ×3, first 2 shown]
	s_cbranch_scc1 .LBB69_100
; %bb.99:
	s_load_dwordx4 s[0:3], s[16:17], 0x10
	s_load_dwordx4 s[4:7], s[16:17], 0xd0
	s_waitcnt lgkmcnt(0)
	v_mul_hi_u32 v3, s1, v1
	v_add_u32_e32 v3, v1, v3
	v_lshrrev_b32_e32 v3, s2, v3
	v_mul_lo_u32 v3, v3, s0
	v_sub_u32_e32 v1, v1, v3
	v_mad_u64_u32 v[15:16], s[0:1], v1, s4, v[15:16]
	v_mad_u64_u32 v[19:20], s[0:1], v1, s5, v[19:20]
	;; [unrolled: 1-line block ×3, first 2 shown]
.LBB69_100:
	s_load_dwordx8 s[0:7], s[16:17], 0x188
	s_waitcnt lgkmcnt(0)
	global_load_dword v1, v4, s[2:3]
	global_load_dword v3, v2, s[4:5]
	;; [unrolled: 1-line block ×8, first 2 shown]
	v_mov_b32_e32 v2, s7
	s_waitcnt vmcnt(7)
	v_cmp_lt_i32_e32 vcc, s6, v1
	s_waitcnt vmcnt(6)
	v_cndmask_b32_e32 v1, v2, v3, vcc
	s_waitcnt vmcnt(5)
	v_cmp_lt_i32_e32 vcc, s6, v6
	s_waitcnt vmcnt(4)
	v_cndmask_b32_e32 v3, v2, v8, vcc
	;; [unrolled: 4-line block ×4, first 2 shown]
	global_store_dword v0, v1, s[0:1]
	global_store_dword v5, v3, s[0:1]
	global_store_dword v10, v4, s[0:1]
	global_store_dword v15, v2, s[0:1]
	s_endpgm
	.section	.rodata,"a",@progbits
	.p2align	6, 0x0
	.amdhsa_kernel _ZN2at6native32elementwise_kernel_manual_unrollILi128ELi4EZNS0_22gpu_kernel_impl_nocastINS0_13BinaryFunctorIiiiZNS0_12_GLOBAL__N_121threshold_kernel_implIiEEvRNS_18TensorIteratorBaseET_S8_EUliiE_EEEEvS7_RKS8_EUlibE_EEviT1_
		.amdhsa_group_segment_fixed_size 0
		.amdhsa_private_segment_fixed_size 0
		.amdhsa_kernarg_size 432
		.amdhsa_user_sgpr_count 6
		.amdhsa_user_sgpr_private_segment_buffer 1
		.amdhsa_user_sgpr_dispatch_ptr 0
		.amdhsa_user_sgpr_queue_ptr 0
		.amdhsa_user_sgpr_kernarg_segment_ptr 1
		.amdhsa_user_sgpr_dispatch_id 0
		.amdhsa_user_sgpr_flat_scratch_init 0
		.amdhsa_user_sgpr_private_segment_size 0
		.amdhsa_uses_dynamic_stack 0
		.amdhsa_system_sgpr_private_segment_wavefront_offset 0
		.amdhsa_system_sgpr_workgroup_id_x 1
		.amdhsa_system_sgpr_workgroup_id_y 0
		.amdhsa_system_sgpr_workgroup_id_z 0
		.amdhsa_system_sgpr_workgroup_info 0
		.amdhsa_system_vgpr_workitem_id 0
		.amdhsa_next_free_vgpr 22
		.amdhsa_next_free_sgpr 52
		.amdhsa_reserve_vcc 1
		.amdhsa_reserve_flat_scratch 0
		.amdhsa_float_round_mode_32 0
		.amdhsa_float_round_mode_16_64 0
		.amdhsa_float_denorm_mode_32 3
		.amdhsa_float_denorm_mode_16_64 3
		.amdhsa_dx10_clamp 1
		.amdhsa_ieee_mode 1
		.amdhsa_fp16_overflow 0
		.amdhsa_exception_fp_ieee_invalid_op 0
		.amdhsa_exception_fp_denorm_src 0
		.amdhsa_exception_fp_ieee_div_zero 0
		.amdhsa_exception_fp_ieee_overflow 0
		.amdhsa_exception_fp_ieee_underflow 0
		.amdhsa_exception_fp_ieee_inexact 0
		.amdhsa_exception_int_div_zero 0
	.end_amdhsa_kernel
	.section	.text._ZN2at6native32elementwise_kernel_manual_unrollILi128ELi4EZNS0_22gpu_kernel_impl_nocastINS0_13BinaryFunctorIiiiZNS0_12_GLOBAL__N_121threshold_kernel_implIiEEvRNS_18TensorIteratorBaseET_S8_EUliiE_EEEEvS7_RKS8_EUlibE_EEviT1_,"axG",@progbits,_ZN2at6native32elementwise_kernel_manual_unrollILi128ELi4EZNS0_22gpu_kernel_impl_nocastINS0_13BinaryFunctorIiiiZNS0_12_GLOBAL__N_121threshold_kernel_implIiEEvRNS_18TensorIteratorBaseET_S8_EUliiE_EEEEvS7_RKS8_EUlibE_EEviT1_,comdat
.Lfunc_end69:
	.size	_ZN2at6native32elementwise_kernel_manual_unrollILi128ELi4EZNS0_22gpu_kernel_impl_nocastINS0_13BinaryFunctorIiiiZNS0_12_GLOBAL__N_121threshold_kernel_implIiEEvRNS_18TensorIteratorBaseET_S8_EUliiE_EEEEvS7_RKS8_EUlibE_EEviT1_, .Lfunc_end69-_ZN2at6native32elementwise_kernel_manual_unrollILi128ELi4EZNS0_22gpu_kernel_impl_nocastINS0_13BinaryFunctorIiiiZNS0_12_GLOBAL__N_121threshold_kernel_implIiEEvRNS_18TensorIteratorBaseET_S8_EUliiE_EEEEvS7_RKS8_EUlibE_EEviT1_
                                        ; -- End function
	.set _ZN2at6native32elementwise_kernel_manual_unrollILi128ELi4EZNS0_22gpu_kernel_impl_nocastINS0_13BinaryFunctorIiiiZNS0_12_GLOBAL__N_121threshold_kernel_implIiEEvRNS_18TensorIteratorBaseET_S8_EUliiE_EEEEvS7_RKS8_EUlibE_EEviT1_.num_vgpr, 22
	.set _ZN2at6native32elementwise_kernel_manual_unrollILi128ELi4EZNS0_22gpu_kernel_impl_nocastINS0_13BinaryFunctorIiiiZNS0_12_GLOBAL__N_121threshold_kernel_implIiEEvRNS_18TensorIteratorBaseET_S8_EUliiE_EEEEvS7_RKS8_EUlibE_EEviT1_.num_agpr, 0
	.set _ZN2at6native32elementwise_kernel_manual_unrollILi128ELi4EZNS0_22gpu_kernel_impl_nocastINS0_13BinaryFunctorIiiiZNS0_12_GLOBAL__N_121threshold_kernel_implIiEEvRNS_18TensorIteratorBaseET_S8_EUliiE_EEEEvS7_RKS8_EUlibE_EEviT1_.numbered_sgpr, 52
	.set _ZN2at6native32elementwise_kernel_manual_unrollILi128ELi4EZNS0_22gpu_kernel_impl_nocastINS0_13BinaryFunctorIiiiZNS0_12_GLOBAL__N_121threshold_kernel_implIiEEvRNS_18TensorIteratorBaseET_S8_EUliiE_EEEEvS7_RKS8_EUlibE_EEviT1_.num_named_barrier, 0
	.set _ZN2at6native32elementwise_kernel_manual_unrollILi128ELi4EZNS0_22gpu_kernel_impl_nocastINS0_13BinaryFunctorIiiiZNS0_12_GLOBAL__N_121threshold_kernel_implIiEEvRNS_18TensorIteratorBaseET_S8_EUliiE_EEEEvS7_RKS8_EUlibE_EEviT1_.private_seg_size, 0
	.set _ZN2at6native32elementwise_kernel_manual_unrollILi128ELi4EZNS0_22gpu_kernel_impl_nocastINS0_13BinaryFunctorIiiiZNS0_12_GLOBAL__N_121threshold_kernel_implIiEEvRNS_18TensorIteratorBaseET_S8_EUliiE_EEEEvS7_RKS8_EUlibE_EEviT1_.uses_vcc, 1
	.set _ZN2at6native32elementwise_kernel_manual_unrollILi128ELi4EZNS0_22gpu_kernel_impl_nocastINS0_13BinaryFunctorIiiiZNS0_12_GLOBAL__N_121threshold_kernel_implIiEEvRNS_18TensorIteratorBaseET_S8_EUliiE_EEEEvS7_RKS8_EUlibE_EEviT1_.uses_flat_scratch, 0
	.set _ZN2at6native32elementwise_kernel_manual_unrollILi128ELi4EZNS0_22gpu_kernel_impl_nocastINS0_13BinaryFunctorIiiiZNS0_12_GLOBAL__N_121threshold_kernel_implIiEEvRNS_18TensorIteratorBaseET_S8_EUliiE_EEEEvS7_RKS8_EUlibE_EEviT1_.has_dyn_sized_stack, 0
	.set _ZN2at6native32elementwise_kernel_manual_unrollILi128ELi4EZNS0_22gpu_kernel_impl_nocastINS0_13BinaryFunctorIiiiZNS0_12_GLOBAL__N_121threshold_kernel_implIiEEvRNS_18TensorIteratorBaseET_S8_EUliiE_EEEEvS7_RKS8_EUlibE_EEviT1_.has_recursion, 0
	.set _ZN2at6native32elementwise_kernel_manual_unrollILi128ELi4EZNS0_22gpu_kernel_impl_nocastINS0_13BinaryFunctorIiiiZNS0_12_GLOBAL__N_121threshold_kernel_implIiEEvRNS_18TensorIteratorBaseET_S8_EUliiE_EEEEvS7_RKS8_EUlibE_EEviT1_.has_indirect_call, 0
	.section	.AMDGPU.csdata,"",@progbits
; Kernel info:
; codeLenInByte = 4744
; TotalNumSgprs: 56
; NumVgprs: 22
; ScratchSize: 0
; MemoryBound: 0
; FloatMode: 240
; IeeeMode: 1
; LDSByteSize: 0 bytes/workgroup (compile time only)
; SGPRBlocks: 6
; VGPRBlocks: 5
; NumSGPRsForWavesPerEU: 56
; NumVGPRsForWavesPerEU: 22
; Occupancy: 10
; WaveLimiterHint : 1
; COMPUTE_PGM_RSRC2:SCRATCH_EN: 0
; COMPUTE_PGM_RSRC2:USER_SGPR: 6
; COMPUTE_PGM_RSRC2:TRAP_HANDLER: 0
; COMPUTE_PGM_RSRC2:TGID_X_EN: 1
; COMPUTE_PGM_RSRC2:TGID_Y_EN: 0
; COMPUTE_PGM_RSRC2:TGID_Z_EN: 0
; COMPUTE_PGM_RSRC2:TIDIG_COMP_CNT: 0
	.section	.text._ZN2at6native32elementwise_kernel_manual_unrollILi128ELi4EZNS0_15gpu_kernel_implINS0_13BinaryFunctorIiiiZNS0_12_GLOBAL__N_121threshold_kernel_implIiEEvRNS_18TensorIteratorBaseET_S8_EUliiE_EEEEvS7_RKS8_EUlibE_EEviT1_,"axG",@progbits,_ZN2at6native32elementwise_kernel_manual_unrollILi128ELi4EZNS0_15gpu_kernel_implINS0_13BinaryFunctorIiiiZNS0_12_GLOBAL__N_121threshold_kernel_implIiEEvRNS_18TensorIteratorBaseET_S8_EUliiE_EEEEvS7_RKS8_EUlibE_EEviT1_,comdat
	.globl	_ZN2at6native32elementwise_kernel_manual_unrollILi128ELi4EZNS0_15gpu_kernel_implINS0_13BinaryFunctorIiiiZNS0_12_GLOBAL__N_121threshold_kernel_implIiEEvRNS_18TensorIteratorBaseET_S8_EUliiE_EEEEvS7_RKS8_EUlibE_EEviT1_ ; -- Begin function _ZN2at6native32elementwise_kernel_manual_unrollILi128ELi4EZNS0_15gpu_kernel_implINS0_13BinaryFunctorIiiiZNS0_12_GLOBAL__N_121threshold_kernel_implIiEEvRNS_18TensorIteratorBaseET_S8_EUliiE_EEEEvS7_RKS8_EUlibE_EEviT1_
	.p2align	8
	.type	_ZN2at6native32elementwise_kernel_manual_unrollILi128ELi4EZNS0_15gpu_kernel_implINS0_13BinaryFunctorIiiiZNS0_12_GLOBAL__N_121threshold_kernel_implIiEEvRNS_18TensorIteratorBaseET_S8_EUliiE_EEEEvS7_RKS8_EUlibE_EEviT1_,@function
_ZN2at6native32elementwise_kernel_manual_unrollILi128ELi4EZNS0_15gpu_kernel_implINS0_13BinaryFunctorIiiiZNS0_12_GLOBAL__N_121threshold_kernel_implIiEEvRNS_18TensorIteratorBaseET_S8_EUliiE_EEEEvS7_RKS8_EUlibE_EEviT1_: ; @_ZN2at6native32elementwise_kernel_manual_unrollILi128ELi4EZNS0_15gpu_kernel_implINS0_13BinaryFunctorIiiiZNS0_12_GLOBAL__N_121threshold_kernel_implIiEEvRNS_18TensorIteratorBaseET_S8_EUliiE_EEEEvS7_RKS8_EUlibE_EEviT1_
; %bb.0:
	s_load_dwordx2 s[2:3], s[4:5], 0x30
	s_load_dword s50, s[4:5], 0x0
	s_load_dwordx4 s[8:11], s[4:5], 0x8
	s_load_dwordx2 s[16:17], s[4:5], 0x18
	s_load_dwordx4 s[12:15], s[4:5], 0x20
	v_lshl_or_b32 v4, s6, 9, v0
	v_or_b32_e32 v0, 0x180, v4
	s_waitcnt lgkmcnt(0)
	s_lshr_b32 s56, s3, 8
	s_lshr_b32 s33, s3, 16
	v_cmp_le_i32_e32 vcc, s50, v0
	s_mov_b64 s[4:5], 0
	s_mov_b64 s[18:19], 0
	s_and_saveexec_b64 s[0:1], vcc
	s_xor_b64 s[6:7], exec, s[0:1]
	s_cbranch_execz .LBB70_1512
; %bb.1:
	v_cmp_gt_i32_e32 vcc, s50, v4
	s_mov_b64 s[0:1], -1
	s_mov_b64 s[28:29], 0
	s_mov_b64 s[22:23], 0
	;; [unrolled: 1-line block ×3, first 2 shown]
	s_and_saveexec_b64 s[24:25], vcc
	s_cbranch_execz .LBB70_375
; %bb.2:
	v_mul_lo_u32 v0, v4, s13
	v_mov_b32_e32 v1, s11
	s_and_b32 s20, s56, 0xff
	s_cmp_lt_i32 s20, 11
	v_ashrrev_i32_e32 v2, 31, v0
	v_add_co_u32_e32 v0, vcc, s10, v0
	v_addc_co_u32_e32 v1, vcc, v1, v2, vcc
	s_cbranch_scc1 .LBB70_9
; %bb.3:
	s_and_b32 s21, 0xffff, s20
	s_cmp_gt_i32 s21, 25
	s_cbranch_scc0 .LBB70_18
; %bb.4:
	s_cmp_gt_i32 s21, 28
	s_cbranch_scc0 .LBB70_28
; %bb.5:
	;; [unrolled: 3-line block ×4, first 2 shown]
	s_cmp_eq_u32 s21, 46
	s_cbranch_scc0 .LBB70_37
; %bb.8:
	global_load_dword v2, v[0:1], off
	s_waitcnt vmcnt(0)
	v_lshlrev_b32_e32 v2, 16, v2
	v_cvt_i32_f32_e32 v2, v2
	s_branch .LBB70_39
.LBB70_9:
                                        ; implicit-def: $vgpr2
	s_mov_b64 s[0:1], 0
	s_cbranch_execnz .LBB70_101
.LBB70_10:
	s_andn2_b64 vcc, exec, s[0:1]
	s_cbranch_vccnz .LBB70_148
.LBB70_11:
	v_mul_lo_u32 v0, v4, s14
	v_mov_b32_e32 v1, s17
	s_and_b32 s26, s33, 0xff
	s_cmp_lt_i32 s26, 11
	v_ashrrev_i32_e32 v3, 31, v0
	v_add_co_u32_e32 v0, vcc, s16, v0
	v_addc_co_u32_e32 v1, vcc, v1, v3, vcc
	s_cbranch_scc1 .LBB70_19
; %bb.12:
	s_and_b32 s27, 0xffff, s26
	s_cmp_gt_i32 s27, 25
	s_cbranch_scc0 .LBB70_29
; %bb.13:
	s_cmp_gt_i32 s27, 28
	s_cbranch_scc0 .LBB70_32
; %bb.14:
	;; [unrolled: 3-line block ×4, first 2 shown]
	s_cmp_eq_u32 s27, 46
	s_mov_b64 s[18:19], 0
	s_cbranch_scc0 .LBB70_149
; %bb.17:
	global_load_dword v3, v[0:1], off
	s_mov_b64 s[0:1], -1
	s_mov_b64 s[20:21], 0
	s_waitcnt vmcnt(0)
	v_lshlrev_b32_e32 v3, 16, v3
	v_cvt_i32_f32_e32 v3, v3
	s_branch .LBB70_151
.LBB70_18:
	s_mov_b64 s[0:1], 0
                                        ; implicit-def: $vgpr2
	s_cbranch_execnz .LBB70_68
	s_branch .LBB70_100
.LBB70_19:
	s_mov_b64 s[20:21], 0
                                        ; implicit-def: $vgpr3
	s_mov_b64 s[0:1], 0
	s_cbranch_execnz .LBB70_324
.LBB70_20:
	s_andn2_b64 vcc, exec, s[0:1]
	s_cbranch_vccnz .LBB70_372
.LBB70_21:
	v_mul_lo_u32 v1, v4, s12
	v_mov_b32_e32 v0, s2
	s_waitcnt vmcnt(0)
	v_cmp_lt_i32_e32 vcc, s15, v2
	v_cndmask_b32_e32 v0, v0, v3, vcc
	v_ashrrev_i32_e32 v3, 31, v1
	v_mov_b32_e32 v5, s9
	s_and_b32 s34, s3, 0xff
	v_add_co_u32_e32 v2, vcc, s8, v1
	s_cmp_lt_i32 s34, 11
	v_addc_co_u32_e32 v3, vcc, v5, v3, vcc
	s_cbranch_scc1 .LBB70_30
; %bb.22:
	s_and_b32 s35, 0xffff, s34
	s_cmp_gt_i32 s35, 25
	s_cbranch_scc0 .LBB70_33
; %bb.23:
	s_cmp_gt_i32 s35, 28
	s_cbranch_scc0 .LBB70_36
; %bb.24:
	;; [unrolled: 3-line block ×4, first 2 shown]
	s_mov_b64 s[26:27], 0
	s_mov_b64 s[0:1], -1
	s_cmp_eq_u32 s35, 46
	s_mov_b64 s[18:19], 0
	s_cbranch_scc0 .LBB70_155
; %bb.27:
	v_cvt_f32_i32_e32 v1, v0
	s_movk_i32 s0, 0x7fff
	s_mov_b64 s[18:19], -1
	v_bfe_u32 v5, v1, 16, 1
	v_add3_u32 v1, v1, v5, s0
	v_lshrrev_b32_e32 v1, 16, v1
	global_store_dword v[2:3], v1, off
	s_mov_b64 s[0:1], 0
	s_branch .LBB70_155
.LBB70_28:
	s_mov_b64 s[18:19], -1
	s_mov_b64 s[0:1], 0
                                        ; implicit-def: $vgpr2
	s_branch .LBB70_51
.LBB70_29:
	s_mov_b64 s[18:19], -1
	s_mov_b64 s[20:21], 0
	s_mov_b64 s[0:1], 0
                                        ; implicit-def: $vgpr3
	s_branch .LBB70_290
.LBB70_30:
	s_mov_b64 s[26:27], -1
	s_mov_b64 s[0:1], 0
	s_mov_b64 s[18:19], 0
	s_branch .LBB70_224
.LBB70_31:
	s_mov_b64 s[18:19], -1
	s_mov_b64 s[0:1], 0
                                        ; implicit-def: $vgpr2
	s_branch .LBB70_46
.LBB70_32:
	s_mov_b64 s[18:19], -1
	s_mov_b64 s[20:21], 0
	s_mov_b64 s[0:1], 0
                                        ; implicit-def: $vgpr3
	s_branch .LBB70_273
.LBB70_33:
	s_mov_b64 s[26:27], -1
	s_mov_b64 s[0:1], 0
	s_mov_b64 s[18:19], 0
	s_branch .LBB70_182
.LBB70_34:
	s_mov_b64 s[18:19], -1
	s_branch .LBB70_38
.LBB70_35:
	s_mov_b64 s[18:19], -1
	s_mov_b64 s[20:21], 0
	s_mov_b64 s[0:1], 0
                                        ; implicit-def: $vgpr3
	s_branch .LBB70_268
.LBB70_36:
	s_mov_b64 s[26:27], -1
	s_mov_b64 s[0:1], 0
	s_mov_b64 s[18:19], 0
	s_branch .LBB70_165
.LBB70_37:
	s_mov_b64 s[22:23], -1
.LBB70_38:
	s_mov_b64 s[0:1], 0
                                        ; implicit-def: $vgpr2
.LBB70_39:
	s_and_b64 vcc, exec, s[18:19]
	s_cbranch_vccz .LBB70_45
; %bb.40:
	s_cmp_eq_u32 s21, 44
	s_cbranch_scc0 .LBB70_44
; %bb.41:
	global_load_ubyte v2, v[0:1], off
	s_mov_b64 s[0:1], -1
	s_mov_b64 s[22:23], 0
	s_waitcnt vmcnt(0)
	v_lshlrev_b32_e32 v3, 23, v2
	v_cvt_i32_f32_e32 v3, v3
	v_cmp_ne_u32_e32 vcc, 0, v2
	v_cndmask_b32_e32 v2, 0, v3, vcc
	s_branch .LBB70_45
.LBB70_42:
	s_mov_b64 s[18:19], -1
	s_mov_b64 s[20:21], 0
	s_branch .LBB70_150
.LBB70_43:
	s_mov_b64 s[26:27], -1
	s_mov_b64 s[0:1], 0
	s_mov_b64 s[18:19], 0
	s_branch .LBB70_161
.LBB70_44:
	s_mov_b64 s[22:23], -1
                                        ; implicit-def: $vgpr2
.LBB70_45:
	s_mov_b64 s[18:19], 0
.LBB70_46:
	s_and_b64 vcc, exec, s[18:19]
	s_cbranch_vccz .LBB70_50
; %bb.47:
	s_cmp_eq_u32 s21, 29
	s_cbranch_scc0 .LBB70_49
; %bb.48:
	global_load_dword v2, v[0:1], off
	s_mov_b64 s[0:1], -1
	s_mov_b64 s[22:23], 0
	s_branch .LBB70_50
.LBB70_49:
	s_mov_b64 s[22:23], -1
                                        ; implicit-def: $vgpr2
.LBB70_50:
	s_mov_b64 s[18:19], 0
.LBB70_51:
	s_and_b64 vcc, exec, s[18:19]
	s_cbranch_vccz .LBB70_67
; %bb.52:
	s_cmp_lt_i32 s21, 27
	s_cbranch_scc1 .LBB70_55
; %bb.53:
	s_cmp_gt_i32 s21, 27
	s_cbranch_scc0 .LBB70_56
; %bb.54:
	global_load_dword v2, v[0:1], off
	s_mov_b64 s[0:1], 0
	s_branch .LBB70_57
.LBB70_55:
	s_mov_b64 s[0:1], -1
                                        ; implicit-def: $vgpr2
	s_branch .LBB70_60
.LBB70_56:
	s_mov_b64 s[0:1], -1
                                        ; implicit-def: $vgpr2
.LBB70_57:
	s_andn2_b64 vcc, exec, s[0:1]
	s_cbranch_vccnz .LBB70_59
; %bb.58:
	global_load_ushort v2, v[0:1], off
.LBB70_59:
	s_mov_b64 s[0:1], 0
.LBB70_60:
	s_andn2_b64 vcc, exec, s[0:1]
	s_cbranch_vccnz .LBB70_66
; %bb.61:
	global_load_ubyte v3, v[0:1], off
	s_movk_i32 s0, 0x7f
	s_mov_b64 s[18:19], 0
	s_waitcnt vmcnt(0)
	v_cmp_lt_i16_e32 vcc, s0, v3
	s_and_saveexec_b64 s[0:1], vcc
	s_xor_b64 s[0:1], exec, s[0:1]
	s_cbranch_execz .LBB70_77
; %bb.62:
	s_movk_i32 s18, 0x80
	v_cmp_ne_u16_e32 vcc, s18, v3
	s_and_b64 s[18:19], vcc, exec
	s_andn2_saveexec_b64 s[0:1], s[0:1]
	s_cbranch_execnz .LBB70_78
.LBB70_63:
	s_or_b64 exec, exec, s[0:1]
	v_mov_b32_e32 v2, 0
	s_and_saveexec_b64 s[0:1], s[18:19]
	s_cbranch_execz .LBB70_65
.LBB70_64:
	v_lshlrev_b32_e32 v2, 24, v3
	v_and_b32_e32 v3, 0xffff, v3
	v_and_b32_e32 v5, 7, v3
	v_ffbh_u32_e32 v7, v5
	v_min_u32_e32 v7, 32, v7
	v_subrev_u32_e32 v8, 28, v7
	v_bfe_u32 v6, v3, 3, 4
	v_lshlrev_b32_e32 v3, v8, v3
	v_sub_u32_e32 v7, 29, v7
	v_and_b32_e32 v3, 7, v3
	v_cmp_eq_u32_e32 vcc, 0, v6
	v_cndmask_b32_e32 v6, v6, v7, vcc
	v_cndmask_b32_e32 v3, v5, v3, vcc
	v_mov_b32_e32 v5, 0x3b800000
	v_lshlrev_b32_e32 v3, 20, v3
	v_and_b32_e32 v2, 0x80000000, v2
	v_lshl_add_u32 v5, v6, 23, v5
	v_or3_b32 v2, v2, v5, v3
	v_cvt_i32_f32_e32 v2, v2
.LBB70_65:
	s_or_b64 exec, exec, s[0:1]
.LBB70_66:
	s_mov_b64 s[0:1], -1
.LBB70_67:
	s_branch .LBB70_100
.LBB70_68:
	s_cmp_gt_i32 s21, 22
	s_cbranch_scc0 .LBB70_76
; %bb.69:
	s_cmp_lt_i32 s21, 24
	s_cbranch_scc1 .LBB70_79
; %bb.70:
	s_cmp_gt_i32 s21, 24
	s_cbranch_scc0 .LBB70_80
; %bb.71:
	global_load_ubyte v3, v[0:1], off
	s_movk_i32 s0, 0x7f
	s_mov_b64 s[18:19], 0
	s_waitcnt vmcnt(0)
	v_cmp_lt_i16_e32 vcc, s0, v3
	s_and_saveexec_b64 s[0:1], vcc
	s_xor_b64 s[0:1], exec, s[0:1]
	s_cbranch_execz .LBB70_92
; %bb.72:
	s_movk_i32 s18, 0x80
	v_cmp_ne_u16_e32 vcc, s18, v3
	s_and_b64 s[18:19], vcc, exec
	s_andn2_saveexec_b64 s[0:1], s[0:1]
	s_cbranch_execnz .LBB70_93
.LBB70_73:
	s_or_b64 exec, exec, s[0:1]
	v_mov_b32_e32 v2, 0
	s_and_saveexec_b64 s[0:1], s[18:19]
	s_cbranch_execz .LBB70_75
.LBB70_74:
	v_lshlrev_b32_e32 v2, 24, v3
	v_and_b32_e32 v3, 0xffff, v3
	v_and_b32_e32 v5, 3, v3
	v_ffbh_u32_e32 v7, v5
	v_min_u32_e32 v7, 32, v7
	v_subrev_u32_e32 v8, 29, v7
	v_bfe_u32 v6, v3, 2, 5
	v_lshlrev_b32_e32 v3, v8, v3
	v_sub_u32_e32 v7, 30, v7
	v_and_b32_e32 v3, 3, v3
	v_cmp_eq_u32_e32 vcc, 0, v6
	v_cndmask_b32_e32 v6, v6, v7, vcc
	v_cndmask_b32_e32 v3, v5, v3, vcc
	v_mov_b32_e32 v5, 0x37800000
	v_lshlrev_b32_e32 v3, 21, v3
	v_and_b32_e32 v2, 0x80000000, v2
	v_lshl_add_u32 v5, v6, 23, v5
	v_or3_b32 v2, v2, v5, v3
	v_cvt_i32_f32_e32 v2, v2
.LBB70_75:
	s_or_b64 exec, exec, s[0:1]
	s_mov_b64 s[0:1], 0
	s_branch .LBB70_81
.LBB70_76:
	s_mov_b64 s[18:19], -1
                                        ; implicit-def: $vgpr2
	s_branch .LBB70_87
.LBB70_77:
	s_andn2_saveexec_b64 s[0:1], s[0:1]
	s_cbranch_execz .LBB70_63
.LBB70_78:
	v_cmp_ne_u16_e32 vcc, 0, v3
	s_andn2_b64 s[18:19], s[18:19], exec
	s_and_b64 s[26:27], vcc, exec
	s_or_b64 s[18:19], s[18:19], s[26:27]
	s_or_b64 exec, exec, s[0:1]
	v_mov_b32_e32 v2, 0
	s_and_saveexec_b64 s[0:1], s[18:19]
	s_cbranch_execnz .LBB70_64
	s_branch .LBB70_65
.LBB70_79:
	s_mov_b64 s[0:1], -1
                                        ; implicit-def: $vgpr2
	s_branch .LBB70_84
.LBB70_80:
	s_mov_b64 s[0:1], -1
                                        ; implicit-def: $vgpr2
.LBB70_81:
	s_and_b64 vcc, exec, s[0:1]
	s_cbranch_vccz .LBB70_83
; %bb.82:
	global_load_ubyte v2, v[0:1], off
	s_mov_b32 s0, 0x7f800000
	s_waitcnt vmcnt(0)
	v_lshlrev_b32_e32 v2, 24, v2
	v_and_b32_e32 v3, 0x7f000000, v2
	v_ffbh_u32_e32 v5, v3
	v_min_u32_e32 v5, 32, v5
	v_sub_u32_e64 v5, v5, 4 clamp
	v_lshlrev_b32_e32 v7, v5, v3
	v_lshlrev_b32_e32 v5, 23, v5
	v_lshrrev_b32_e32 v7, 4, v7
	v_add_u32_e32 v6, 0x1000000, v3
	v_sub_u32_e32 v5, v7, v5
	v_ashrrev_i32_e32 v6, 8, v6
	v_add_u32_e32 v5, 0x3c000000, v5
	v_and_or_b32 v5, v6, s0, v5
	v_cmp_ne_u32_e32 vcc, 0, v3
	v_cndmask_b32_e32 v3, 0, v5, vcc
	s_brev_b32 s0, 1
	v_and_or_b32 v2, v2, s0, v3
	v_cvt_i32_f32_e32 v2, v2
.LBB70_83:
	s_mov_b64 s[0:1], 0
.LBB70_84:
	s_andn2_b64 vcc, exec, s[0:1]
	s_cbranch_vccnz .LBB70_86
; %bb.85:
	global_load_ubyte v2, v[0:1], off
	s_movk_i32 s0, 0x7f00
	s_brev_b32 s1, 16
	s_waitcnt vmcnt(0)
	v_lshlrev_b16_e32 v3, 8, v2
	v_lshlrev_b32_e32 v2, 25, v2
	v_lshrrev_b32_e32 v5, 4, v2
	v_and_or_b32 v6, v3, s0, 0.5
	v_or_b32_e32 v5, 0x70000000, v5
	v_add_f32_e32 v6, -0.5, v6
	v_mul_f32_e32 v5, 0x7800000, v5
	v_cmp_gt_u32_e32 vcc, s1, v2
	v_bfe_i32 v3, v3, 0, 16
	v_cndmask_b32_e32 v2, v5, v6, vcc
	s_brev_b32 s0, 1
	v_and_or_b32 v2, v3, s0, v2
	v_cvt_i32_f32_e32 v2, v2
.LBB70_86:
	s_mov_b64 s[18:19], 0
	s_mov_b64 s[0:1], -1
.LBB70_87:
	s_andn2_b64 vcc, exec, s[18:19]
	s_cbranch_vccnz .LBB70_100
; %bb.88:
	s_cmp_gt_i32 s21, 14
	s_cbranch_scc0 .LBB70_91
; %bb.89:
	s_cmp_eq_u32 s21, 15
	s_cbranch_scc0 .LBB70_94
; %bb.90:
	global_load_ushort v2, v[0:1], off
	s_mov_b64 s[0:1], -1
	s_mov_b64 s[22:23], 0
	s_waitcnt vmcnt(0)
	v_lshlrev_b32_e32 v2, 16, v2
	v_cvt_i32_f32_e32 v2, v2
	s_branch .LBB70_95
.LBB70_91:
	s_mov_b64 s[18:19], -1
                                        ; implicit-def: $vgpr2
	s_branch .LBB70_96
.LBB70_92:
	s_andn2_saveexec_b64 s[0:1], s[0:1]
	s_cbranch_execz .LBB70_73
.LBB70_93:
	v_cmp_ne_u16_e32 vcc, 0, v3
	s_andn2_b64 s[18:19], s[18:19], exec
	s_and_b64 s[26:27], vcc, exec
	s_or_b64 s[18:19], s[18:19], s[26:27]
	s_or_b64 exec, exec, s[0:1]
	v_mov_b32_e32 v2, 0
	s_and_saveexec_b64 s[0:1], s[18:19]
	s_cbranch_execnz .LBB70_74
	s_branch .LBB70_75
.LBB70_94:
	s_mov_b64 s[22:23], -1
                                        ; implicit-def: $vgpr2
.LBB70_95:
	s_mov_b64 s[18:19], 0
.LBB70_96:
	s_and_b64 vcc, exec, s[18:19]
	s_cbranch_vccz .LBB70_100
; %bb.97:
	s_cmp_eq_u32 s21, 11
	s_cbranch_scc0 .LBB70_99
; %bb.98:
	global_load_ubyte v2, v[0:1], off
	s_mov_b64 s[0:1], -1
	s_mov_b64 s[22:23], 0
	s_waitcnt vmcnt(0)
	v_cmp_ne_u16_e32 vcc, 0, v2
	v_cndmask_b32_e64 v2, 0, 1, vcc
	s_branch .LBB70_100
.LBB70_99:
	s_mov_b64 s[22:23], -1
                                        ; implicit-def: $vgpr2
.LBB70_100:
	s_branch .LBB70_10
.LBB70_101:
	s_and_b32 s18, 0xffff, s20
	s_cmp_lt_i32 s18, 5
	s_cbranch_scc1 .LBB70_106
; %bb.102:
	s_cmp_lt_i32 s18, 8
	s_cbranch_scc1 .LBB70_107
; %bb.103:
	;; [unrolled: 3-line block ×3, first 2 shown]
	s_cmp_gt_i32 s18, 9
	s_cbranch_scc0 .LBB70_109
; %bb.105:
	global_load_dwordx2 v[2:3], v[0:1], off
	s_mov_b64 s[0:1], 0
	s_waitcnt vmcnt(0)
	v_cvt_i32_f64_e32 v2, v[2:3]
	s_branch .LBB70_110
.LBB70_106:
                                        ; implicit-def: $vgpr2
	s_branch .LBB70_128
.LBB70_107:
	s_mov_b64 s[0:1], -1
                                        ; implicit-def: $vgpr2
	s_branch .LBB70_116
.LBB70_108:
	s_mov_b64 s[0:1], -1
                                        ; implicit-def: $vgpr2
	s_branch .LBB70_113
.LBB70_109:
	s_mov_b64 s[0:1], -1
                                        ; implicit-def: $vgpr2
.LBB70_110:
	s_andn2_b64 vcc, exec, s[0:1]
	s_cbranch_vccnz .LBB70_112
; %bb.111:
	global_load_dword v2, v[0:1], off
	s_waitcnt vmcnt(0)
	v_cvt_i32_f32_e32 v2, v2
.LBB70_112:
	s_mov_b64 s[0:1], 0
.LBB70_113:
	s_andn2_b64 vcc, exec, s[0:1]
	s_cbranch_vccnz .LBB70_115
; %bb.114:
	global_load_dword v2, v[0:1], off
	s_waitcnt vmcnt(0)
	v_cvt_f32_f16_e32 v2, v2
	v_cvt_i32_f32_e32 v2, v2
.LBB70_115:
	s_mov_b64 s[0:1], 0
.LBB70_116:
	s_andn2_b64 vcc, exec, s[0:1]
	s_cbranch_vccnz .LBB70_127
; %bb.117:
	s_cmp_lt_i32 s18, 6
	s_cbranch_scc1 .LBB70_120
; %bb.118:
	s_cmp_gt_i32 s18, 6
	s_cbranch_scc0 .LBB70_121
; %bb.119:
	global_load_dwordx2 v[2:3], v[0:1], off
	s_mov_b64 s[0:1], 0
	s_waitcnt vmcnt(0)
	v_cvt_i32_f64_e32 v2, v[2:3]
	s_branch .LBB70_122
.LBB70_120:
	s_mov_b64 s[0:1], -1
                                        ; implicit-def: $vgpr2
	s_branch .LBB70_125
.LBB70_121:
	s_mov_b64 s[0:1], -1
                                        ; implicit-def: $vgpr2
.LBB70_122:
	s_andn2_b64 vcc, exec, s[0:1]
	s_cbranch_vccnz .LBB70_124
; %bb.123:
	global_load_dword v2, v[0:1], off
	s_waitcnt vmcnt(0)
	v_cvt_i32_f32_e32 v2, v2
.LBB70_124:
	s_mov_b64 s[0:1], 0
.LBB70_125:
	s_andn2_b64 vcc, exec, s[0:1]
	s_cbranch_vccnz .LBB70_127
; %bb.126:
	global_load_ushort v2, v[0:1], off
	s_waitcnt vmcnt(0)
	v_cvt_f32_f16_e32 v2, v2
	v_cvt_i32_f32_e32 v2, v2
.LBB70_127:
	s_cbranch_execnz .LBB70_147
.LBB70_128:
	s_cmp_lt_i32 s18, 2
	s_cbranch_scc1 .LBB70_132
; %bb.129:
	s_cmp_lt_i32 s18, 3
	s_cbranch_scc1 .LBB70_133
; %bb.130:
	s_cmp_gt_i32 s18, 3
	s_cbranch_scc0 .LBB70_134
; %bb.131:
	global_load_dword v2, v[0:1], off
	s_mov_b64 s[0:1], 0
	s_branch .LBB70_135
.LBB70_132:
	s_mov_b64 s[0:1], -1
                                        ; implicit-def: $vgpr2
	s_branch .LBB70_141
.LBB70_133:
	s_mov_b64 s[0:1], -1
                                        ; implicit-def: $vgpr2
	s_branch .LBB70_138
.LBB70_134:
	s_mov_b64 s[0:1], -1
                                        ; implicit-def: $vgpr2
.LBB70_135:
	s_andn2_b64 vcc, exec, s[0:1]
	s_cbranch_vccnz .LBB70_137
; %bb.136:
	global_load_dword v2, v[0:1], off
.LBB70_137:
	s_mov_b64 s[0:1], 0
.LBB70_138:
	s_andn2_b64 vcc, exec, s[0:1]
	s_cbranch_vccnz .LBB70_140
; %bb.139:
	global_load_sshort v2, v[0:1], off
.LBB70_140:
	s_mov_b64 s[0:1], 0
.LBB70_141:
	s_andn2_b64 vcc, exec, s[0:1]
	s_cbranch_vccnz .LBB70_147
; %bb.142:
	s_cmp_gt_i32 s18, 0
	s_cbranch_scc0 .LBB70_144
; %bb.143:
	global_load_sbyte v2, v[0:1], off
	s_mov_b64 s[0:1], 0
	s_branch .LBB70_145
.LBB70_144:
	s_mov_b64 s[0:1], -1
                                        ; implicit-def: $vgpr2
.LBB70_145:
	s_andn2_b64 vcc, exec, s[0:1]
	s_cbranch_vccnz .LBB70_147
; %bb.146:
	global_load_ubyte v2, v[0:1], off
.LBB70_147:
	s_branch .LBB70_11
.LBB70_148:
	s_mov_b64 s[0:1], 0
	s_mov_b64 s[20:21], 0
	s_branch .LBB70_373
.LBB70_149:
	s_mov_b64 s[20:21], -1
.LBB70_150:
	s_mov_b64 s[0:1], 0
                                        ; implicit-def: $vgpr3
.LBB70_151:
	s_and_b64 vcc, exec, s[18:19]
	s_cbranch_vccz .LBB70_267
; %bb.152:
	s_cmp_eq_u32 s27, 44
	s_cbranch_scc0 .LBB70_266
; %bb.153:
	global_load_ubyte v3, v[0:1], off
	s_mov_b64 s[0:1], -1
	s_mov_b64 s[20:21], 0
	s_waitcnt vmcnt(0)
	v_lshlrev_b32_e32 v5, 23, v3
	v_cvt_i32_f32_e32 v5, v5
	v_cmp_ne_u32_e32 vcc, 0, v3
	v_cndmask_b32_e32 v3, 0, v5, vcc
	s_branch .LBB70_267
.LBB70_154:
	s_mov_b64 s[26:27], -1
	s_mov_b64 s[0:1], 0
	s_mov_b64 s[18:19], 0
.LBB70_155:
	s_and_b64 vcc, exec, s[26:27]
	s_cbranch_vccz .LBB70_160
; %bb.156:
	s_cmp_eq_u32 s35, 44
	s_mov_b64 s[0:1], -1
	s_cbranch_scc0 .LBB70_160
; %bb.157:
	v_cvt_f32_i32_e32 v1, v0
	s_movk_i32 s0, 0xff
	v_mov_b32_e32 v6, 0xff
	v_bfe_u32 v5, v1, 23, 8
	v_cmp_ne_u32_e32 vcc, s0, v5
	s_and_saveexec_b64 s[18:19], vcc
; %bb.158:
	s_mov_b32 s0, 0x3fffff
	v_lshrrev_b32_e32 v6, 23, v1
	v_and_b32_e32 v7, 0x400000, v1
	v_and_or_b32 v1, v1, s0, v5
	v_cmp_ne_u32_e32 vcc, 0, v7
	v_cmp_ne_u32_e64 s[0:1], 0, v1
	s_and_b64 s[0:1], vcc, s[0:1]
	v_cndmask_b32_e64 v1, 0, 1, s[0:1]
	v_add_u32_e32 v6, v6, v1
; %bb.159:
	s_or_b64 exec, exec, s[18:19]
	s_mov_b64 s[18:19], -1
	s_mov_b64 s[0:1], 0
	global_store_byte v[2:3], v6, off
.LBB70_160:
	s_mov_b64 s[26:27], 0
.LBB70_161:
	s_and_b64 vcc, exec, s[26:27]
	s_cbranch_vccz .LBB70_164
; %bb.162:
	s_cmp_eq_u32 s35, 29
	s_mov_b64 s[0:1], -1
	s_cbranch_scc0 .LBB70_164
; %bb.163:
	v_ashrrev_i32_e32 v1, 31, v0
	global_store_dwordx2 v[2:3], v[0:1], off
	s_mov_b64 s[18:19], -1
	s_mov_b64 s[0:1], 0
.LBB70_164:
	s_mov_b64 s[26:27], 0
.LBB70_165:
	s_and_b64 vcc, exec, s[26:27]
	s_cbranch_vccz .LBB70_181
; %bb.166:
	s_cmp_lt_i32 s35, 27
	s_mov_b64 s[18:19], -1
	s_cbranch_scc1 .LBB70_172
; %bb.167:
	s_cmp_gt_i32 s35, 27
	s_cbranch_scc0 .LBB70_169
; %bb.168:
	s_mov_b64 s[18:19], 0
	global_store_dword v[2:3], v0, off
.LBB70_169:
	s_andn2_b64 vcc, exec, s[18:19]
	s_cbranch_vccnz .LBB70_171
; %bb.170:
	global_store_short v[2:3], v0, off
.LBB70_171:
	s_mov_b64 s[18:19], 0
.LBB70_172:
	s_andn2_b64 vcc, exec, s[18:19]
	s_cbranch_vccnz .LBB70_180
; %bb.173:
	v_cvt_f32_i32_e32 v1, v0
	s_mov_b32 s18, 0x43800000
	v_mov_b32_e32 v6, 0x80
	v_and_b32_e32 v5, 0x7fffffff, v1
	v_cmp_gt_u32_e32 vcc, s18, v5
	s_and_saveexec_b64 s[18:19], vcc
	s_cbranch_execz .LBB70_179
; %bb.174:
	s_mov_b32 s26, 0x3bffffff
	v_cmp_lt_u32_e32 vcc, s26, v5
	s_mov_b64 s[26:27], 0
                                        ; implicit-def: $vgpr5
	s_and_saveexec_b64 s[30:31], vcc
	s_xor_b64 s[30:31], exec, s[30:31]
	s_cbranch_execz .LBB70_404
; %bb.175:
	v_bfe_u32 v5, v1, 20, 1
	s_mov_b32 s36, 0x487ffff
	v_add3_u32 v5, v1, v5, s36
	s_mov_b64 s[26:27], exec
	v_lshrrev_b32_e32 v5, 20, v5
	s_andn2_saveexec_b64 s[30:31], s[30:31]
	s_cbranch_execnz .LBB70_405
.LBB70_176:
	s_or_b64 exec, exec, s[30:31]
	v_mov_b32_e32 v6, 0
	s_and_saveexec_b64 s[30:31], s[26:27]
.LBB70_177:
	v_lshrrev_b32_e32 v1, 24, v1
	s_movk_i32 s26, 0x80
	v_and_or_b32 v6, v1, s26, v5
.LBB70_178:
	s_or_b64 exec, exec, s[30:31]
.LBB70_179:
	s_or_b64 exec, exec, s[18:19]
	global_store_byte v[2:3], v6, off
.LBB70_180:
	s_mov_b64 s[18:19], -1
.LBB70_181:
	s_mov_b64 s[26:27], 0
.LBB70_182:
	s_and_b64 vcc, exec, s[26:27]
	s_cbranch_vccz .LBB70_223
; %bb.183:
	s_cmp_gt_i32 s35, 22
	s_mov_b64 s[26:27], -1
	s_cbranch_scc0 .LBB70_215
; %bb.184:
	s_cmp_lt_i32 s35, 24
	s_mov_b64 s[18:19], -1
	s_cbranch_scc1 .LBB70_204
; %bb.185:
	s_cmp_gt_i32 s35, 24
	s_cbranch_scc0 .LBB70_193
; %bb.186:
	v_cvt_f32_i32_e32 v1, v0
	s_mov_b32 s18, 0x47800000
	v_mov_b32_e32 v6, 0x80
	v_and_b32_e32 v5, 0x7fffffff, v1
	v_cmp_gt_u32_e32 vcc, s18, v5
	s_and_saveexec_b64 s[18:19], vcc
	s_cbranch_execz .LBB70_192
; %bb.187:
	s_mov_b32 s26, 0x37ffffff
	v_cmp_lt_u32_e32 vcc, s26, v5
	s_mov_b64 s[26:27], 0
                                        ; implicit-def: $vgpr5
	s_and_saveexec_b64 s[30:31], vcc
	s_xor_b64 s[30:31], exec, s[30:31]
	s_cbranch_execz .LBB70_519
; %bb.188:
	v_bfe_u32 v5, v1, 21, 1
	s_mov_b32 s36, 0x88fffff
	v_add3_u32 v5, v1, v5, s36
	s_mov_b64 s[26:27], exec
	v_lshrrev_b32_e32 v5, 21, v5
	s_andn2_saveexec_b64 s[30:31], s[30:31]
	s_cbranch_execnz .LBB70_520
.LBB70_189:
	s_or_b64 exec, exec, s[30:31]
	v_mov_b32_e32 v6, 0
	s_and_saveexec_b64 s[30:31], s[26:27]
.LBB70_190:
	v_lshrrev_b32_e32 v1, 24, v1
	s_movk_i32 s26, 0x80
	v_and_or_b32 v6, v1, s26, v5
.LBB70_191:
	s_or_b64 exec, exec, s[30:31]
.LBB70_192:
	s_or_b64 exec, exec, s[18:19]
	s_mov_b64 s[18:19], 0
	global_store_byte v[2:3], v6, off
.LBB70_193:
	s_and_b64 vcc, exec, s[18:19]
	s_cbranch_vccz .LBB70_203
; %bb.194:
	v_cvt_f32_i32_e32 v1, v0
	s_mov_b32 s18, 0x43f00000
                                        ; implicit-def: $vgpr5
	v_and_b32_e32 v6, 0x7fffffff, v1
	v_cmp_gt_u32_e32 vcc, s18, v6
	s_and_saveexec_b64 s[18:19], vcc
	s_xor_b64 s[18:19], exec, s[18:19]
	s_cbranch_execz .LBB70_200
; %bb.195:
	s_mov_b32 s26, 0x3c7fffff
	v_cmp_lt_u32_e32 vcc, s26, v6
                                        ; implicit-def: $vgpr5
	s_and_saveexec_b64 s[26:27], vcc
	s_xor_b64 s[26:27], exec, s[26:27]
; %bb.196:
	v_bfe_u32 v5, v1, 20, 1
	s_mov_b32 s30, 0x407ffff
	v_add3_u32 v5, v1, v5, s30
	v_lshrrev_b32_e32 v6, 20, v5
	v_and_b32_e32 v5, 0xff00000, v5
	s_mov_b32 s30, 0x7f00000
	v_mov_b32_e32 v7, 0x7e
	v_cmp_ne_u32_e32 vcc, s30, v5
	v_cndmask_b32_e32 v5, v7, v6, vcc
; %bb.197:
	s_andn2_saveexec_b64 s[26:27], s[26:27]
; %bb.198:
	s_mov_b32 s30, 0x46800000
	v_add_f32_e64 v5, |v1|, s30
; %bb.199:
	s_or_b64 exec, exec, s[26:27]
                                        ; implicit-def: $vgpr6
.LBB70_200:
	s_andn2_saveexec_b64 s[18:19], s[18:19]
; %bb.201:
	s_mov_b32 s26, 0x7f800000
	v_mov_b32_e32 v5, 0x7e
	v_mov_b32_e32 v7, 0x7f
	v_cmp_lt_u32_e32 vcc, s26, v6
	v_cndmask_b32_e32 v5, v5, v7, vcc
; %bb.202:
	s_or_b64 exec, exec, s[18:19]
	v_lshrrev_b32_e32 v1, 24, v1
	s_movk_i32 s18, 0x80
	v_and_or_b32 v1, v1, s18, v5
	global_store_byte v[2:3], v1, off
.LBB70_203:
	s_mov_b64 s[18:19], 0
.LBB70_204:
	s_andn2_b64 vcc, exec, s[18:19]
	s_cbranch_vccnz .LBB70_214
; %bb.205:
	v_cvt_f32_i32_e32 v1, v0
	s_mov_b32 s18, 0x47800000
                                        ; implicit-def: $vgpr5
	v_and_b32_e32 v6, 0x7fffffff, v1
	v_cmp_gt_u32_e32 vcc, s18, v6
	s_and_saveexec_b64 s[18:19], vcc
	s_xor_b64 s[18:19], exec, s[18:19]
	s_cbranch_execz .LBB70_211
; %bb.206:
	s_mov_b32 s26, 0x387fffff
	v_cmp_lt_u32_e32 vcc, s26, v6
                                        ; implicit-def: $vgpr5
	s_and_saveexec_b64 s[26:27], vcc
	s_xor_b64 s[26:27], exec, s[26:27]
; %bb.207:
	v_bfe_u32 v5, v1, 21, 1
	s_mov_b32 s30, 0x80fffff
	v_add3_u32 v5, v1, v5, s30
	v_lshrrev_b32_e32 v5, 21, v5
; %bb.208:
	s_andn2_saveexec_b64 s[26:27], s[26:27]
; %bb.209:
	s_mov_b32 s30, 0x43000000
	v_add_f32_e64 v5, |v1|, s30
; %bb.210:
	s_or_b64 exec, exec, s[26:27]
                                        ; implicit-def: $vgpr6
.LBB70_211:
	s_andn2_saveexec_b64 s[18:19], s[18:19]
; %bb.212:
	s_mov_b32 s26, 0x7f800000
	v_mov_b32_e32 v5, 0x7c
	v_mov_b32_e32 v7, 0x7f
	v_cmp_lt_u32_e32 vcc, s26, v6
	v_cndmask_b32_e32 v5, v5, v7, vcc
; %bb.213:
	s_or_b64 exec, exec, s[18:19]
	v_lshrrev_b32_e32 v1, 24, v1
	s_movk_i32 s18, 0x80
	v_and_or_b32 v1, v1, s18, v5
	global_store_byte v[2:3], v1, off
.LBB70_214:
	s_mov_b64 s[26:27], 0
	s_mov_b64 s[18:19], -1
.LBB70_215:
	s_andn2_b64 vcc, exec, s[26:27]
	s_cbranch_vccnz .LBB70_223
; %bb.216:
	s_cmp_gt_i32 s35, 14
	s_mov_b64 s[26:27], -1
	s_cbranch_scc0 .LBB70_220
; %bb.217:
	s_cmp_eq_u32 s35, 15
	s_mov_b64 s[0:1], -1
	s_cbranch_scc0 .LBB70_219
; %bb.218:
	v_cvt_f32_i32_e32 v1, v0
	s_movk_i32 s0, 0x7fff
	s_mov_b64 s[18:19], -1
	v_bfe_u32 v5, v1, 16, 1
	v_add3_u32 v1, v1, v5, s0
	global_store_short_d16_hi v[2:3], v1, off
	s_mov_b64 s[0:1], 0
.LBB70_219:
	s_mov_b64 s[26:27], 0
.LBB70_220:
	s_and_b64 vcc, exec, s[26:27]
	s_cbranch_vccz .LBB70_223
; %bb.221:
	s_cmp_eq_u32 s35, 11
	s_mov_b64 s[0:1], -1
	s_cbranch_scc0 .LBB70_223
; %bb.222:
	v_cmp_ne_u32_e32 vcc, 0, v0
	v_cndmask_b32_e64 v1, 0, 1, vcc
	s_mov_b64 s[18:19], -1
	s_mov_b64 s[0:1], 0
	global_store_byte v[2:3], v1, off
.LBB70_223:
	s_mov_b64 s[26:27], 0
.LBB70_224:
	s_and_b64 vcc, exec, s[26:27]
	s_cbranch_vccz .LBB70_263
; %bb.225:
	s_and_b32 s26, 0xffff, s34
	s_cmp_lt_i32 s26, 5
	s_mov_b64 s[18:19], -1
	s_cbranch_scc1 .LBB70_246
; %bb.226:
	s_cmp_lt_i32 s26, 8
	s_cbranch_scc1 .LBB70_236
; %bb.227:
	s_cmp_lt_i32 s26, 9
	s_cbranch_scc1 .LBB70_233
; %bb.228:
	s_cmp_gt_i32 s26, 9
	s_cbranch_scc0 .LBB70_230
; %bb.229:
	v_cvt_f64_i32_e32 v[5:6], v0
	v_mov_b32_e32 v7, 0
	v_mov_b32_e32 v8, v7
	s_mov_b64 s[18:19], 0
	global_store_dwordx4 v[2:3], v[5:8], off
.LBB70_230:
	s_andn2_b64 vcc, exec, s[18:19]
	s_cbranch_vccnz .LBB70_232
; %bb.231:
	v_cvt_f32_i32_e32 v5, v0
	v_mov_b32_e32 v6, 0
	global_store_dwordx2 v[2:3], v[5:6], off
.LBB70_232:
	s_mov_b64 s[18:19], 0
.LBB70_233:
	s_andn2_b64 vcc, exec, s[18:19]
	s_cbranch_vccnz .LBB70_235
; %bb.234:
	v_cvt_f32_i32_e32 v1, v0
	v_cvt_f16_f32_e32 v1, v1
	global_store_dword v[2:3], v1, off
.LBB70_235:
	s_mov_b64 s[18:19], 0
.LBB70_236:
	s_andn2_b64 vcc, exec, s[18:19]
	s_cbranch_vccnz .LBB70_245
; %bb.237:
	s_cmp_lt_i32 s26, 6
	s_mov_b64 s[18:19], -1
	s_cbranch_scc1 .LBB70_243
; %bb.238:
	s_cmp_gt_i32 s26, 6
	s_cbranch_scc0 .LBB70_240
; %bb.239:
	v_cvt_f64_i32_e32 v[5:6], v0
	s_mov_b64 s[18:19], 0
	global_store_dwordx2 v[2:3], v[5:6], off
.LBB70_240:
	s_andn2_b64 vcc, exec, s[18:19]
	s_cbranch_vccnz .LBB70_242
; %bb.241:
	v_cvt_f32_i32_e32 v1, v0
	global_store_dword v[2:3], v1, off
.LBB70_242:
	s_mov_b64 s[18:19], 0
.LBB70_243:
	s_andn2_b64 vcc, exec, s[18:19]
	s_cbranch_vccnz .LBB70_245
; %bb.244:
	v_cvt_f32_i32_e32 v1, v0
	v_cvt_f16_f32_e32 v1, v1
	global_store_short v[2:3], v1, off
.LBB70_245:
	s_mov_b64 s[18:19], 0
.LBB70_246:
	s_andn2_b64 vcc, exec, s[18:19]
	s_cbranch_vccnz .LBB70_262
; %bb.247:
	s_cmp_lt_i32 s26, 2
	s_mov_b64 s[18:19], -1
	s_cbranch_scc1 .LBB70_257
; %bb.248:
	s_cmp_lt_i32 s26, 3
	s_cbranch_scc1 .LBB70_254
; %bb.249:
	s_cmp_gt_i32 s26, 3
	s_cbranch_scc0 .LBB70_251
; %bb.250:
	v_ashrrev_i32_e32 v1, 31, v0
	global_store_dwordx2 v[2:3], v[0:1], off
	s_mov_b64 s[18:19], 0
.LBB70_251:
	s_andn2_b64 vcc, exec, s[18:19]
	s_cbranch_vccnz .LBB70_253
; %bb.252:
	global_store_dword v[2:3], v0, off
.LBB70_253:
	s_mov_b64 s[18:19], 0
.LBB70_254:
	s_andn2_b64 vcc, exec, s[18:19]
	s_cbranch_vccnz .LBB70_256
; %bb.255:
	global_store_short v[2:3], v0, off
.LBB70_256:
	s_mov_b64 s[18:19], 0
.LBB70_257:
	s_andn2_b64 vcc, exec, s[18:19]
	s_cbranch_vccnz .LBB70_262
; %bb.258:
	s_cmp_gt_i32 s26, 0
	s_mov_b64 s[18:19], -1
	s_cbranch_scc0 .LBB70_260
; %bb.259:
	global_store_byte v[2:3], v0, off
	s_mov_b64 s[18:19], 0
.LBB70_260:
	s_andn2_b64 vcc, exec, s[18:19]
	s_cbranch_vccnz .LBB70_262
; %bb.261:
	global_store_byte v[2:3], v0, off
.LBB70_262:
	s_mov_b64 s[18:19], -1
.LBB70_263:
	s_andn2_b64 vcc, exec, s[18:19]
	s_cbranch_vccnz .LBB70_265
; %bb.264:
	v_add_u32_e32 v4, 0x80, v4
	s_mov_b64 s[26:27], -1
	s_branch .LBB70_374
.LBB70_265:
	s_mov_b64 s[26:27], 0
                                        ; implicit-def: $vgpr4
	s_branch .LBB70_374
.LBB70_266:
	s_mov_b64 s[20:21], -1
                                        ; implicit-def: $vgpr3
.LBB70_267:
	s_mov_b64 s[18:19], 0
.LBB70_268:
	s_and_b64 vcc, exec, s[18:19]
	s_cbranch_vccz .LBB70_272
; %bb.269:
	s_cmp_eq_u32 s27, 29
	s_cbranch_scc0 .LBB70_271
; %bb.270:
	global_load_dword v3, v[0:1], off
	s_mov_b64 s[0:1], -1
	s_mov_b64 s[20:21], 0
	s_branch .LBB70_272
.LBB70_271:
	s_mov_b64 s[20:21], -1
                                        ; implicit-def: $vgpr3
.LBB70_272:
	s_mov_b64 s[18:19], 0
.LBB70_273:
	s_and_b64 vcc, exec, s[18:19]
	s_cbranch_vccz .LBB70_289
; %bb.274:
	s_cmp_lt_i32 s27, 27
	s_cbranch_scc1 .LBB70_277
; %bb.275:
	s_cmp_gt_i32 s27, 27
	s_cbranch_scc0 .LBB70_278
; %bb.276:
	global_load_dword v3, v[0:1], off
	s_mov_b64 s[0:1], 0
	s_branch .LBB70_279
.LBB70_277:
	s_mov_b64 s[0:1], -1
                                        ; implicit-def: $vgpr3
	s_branch .LBB70_282
.LBB70_278:
	s_mov_b64 s[0:1], -1
                                        ; implicit-def: $vgpr3
.LBB70_279:
	s_andn2_b64 vcc, exec, s[0:1]
	s_cbranch_vccnz .LBB70_281
; %bb.280:
	global_load_ushort v3, v[0:1], off
.LBB70_281:
	s_mov_b64 s[0:1], 0
.LBB70_282:
	s_andn2_b64 vcc, exec, s[0:1]
	s_cbranch_vccnz .LBB70_288
; %bb.283:
	global_load_ubyte v5, v[0:1], off
	s_movk_i32 s0, 0x7f
	s_mov_b64 s[18:19], 0
	s_waitcnt vmcnt(0)
	v_cmp_lt_i16_e32 vcc, s0, v5
	s_and_saveexec_b64 s[0:1], vcc
	s_xor_b64 s[0:1], exec, s[0:1]
	s_cbranch_execz .LBB70_300
; %bb.284:
	s_movk_i32 s18, 0x80
	v_cmp_ne_u16_e32 vcc, s18, v5
	s_and_b64 s[18:19], vcc, exec
	s_andn2_saveexec_b64 s[0:1], s[0:1]
	s_cbranch_execnz .LBB70_301
.LBB70_285:
	s_or_b64 exec, exec, s[0:1]
	v_mov_b32_e32 v3, 0
	s_and_saveexec_b64 s[0:1], s[18:19]
	s_cbranch_execz .LBB70_287
.LBB70_286:
	v_lshlrev_b32_e32 v3, 24, v5
	v_and_b32_e32 v5, 0xffff, v5
	v_and_b32_e32 v6, 7, v5
	v_ffbh_u32_e32 v8, v6
	v_min_u32_e32 v8, 32, v8
	v_subrev_u32_e32 v9, 28, v8
	v_bfe_u32 v7, v5, 3, 4
	v_lshlrev_b32_e32 v5, v9, v5
	v_sub_u32_e32 v8, 29, v8
	v_and_b32_e32 v5, 7, v5
	v_cmp_eq_u32_e32 vcc, 0, v7
	v_cndmask_b32_e32 v7, v7, v8, vcc
	v_cndmask_b32_e32 v5, v6, v5, vcc
	v_mov_b32_e32 v6, 0x3b800000
	v_lshlrev_b32_e32 v5, 20, v5
	v_and_b32_e32 v3, 0x80000000, v3
	v_lshl_add_u32 v6, v7, 23, v6
	v_or3_b32 v3, v3, v6, v5
	v_cvt_i32_f32_e32 v3, v3
.LBB70_287:
	s_or_b64 exec, exec, s[0:1]
.LBB70_288:
	s_mov_b64 s[0:1], -1
.LBB70_289:
	s_mov_b64 s[18:19], 0
.LBB70_290:
	s_and_b64 vcc, exec, s[18:19]
	s_cbranch_vccz .LBB70_323
; %bb.291:
	s_cmp_gt_i32 s27, 22
	s_cbranch_scc0 .LBB70_299
; %bb.292:
	s_cmp_lt_i32 s27, 24
	s_cbranch_scc1 .LBB70_302
; %bb.293:
	s_cmp_gt_i32 s27, 24
	s_cbranch_scc0 .LBB70_303
; %bb.294:
	global_load_ubyte v5, v[0:1], off
	s_movk_i32 s0, 0x7f
	s_mov_b64 s[18:19], 0
	s_waitcnt vmcnt(0)
	v_cmp_lt_i16_e32 vcc, s0, v5
	s_and_saveexec_b64 s[0:1], vcc
	s_xor_b64 s[0:1], exec, s[0:1]
	s_cbranch_execz .LBB70_315
; %bb.295:
	s_movk_i32 s18, 0x80
	v_cmp_ne_u16_e32 vcc, s18, v5
	s_and_b64 s[18:19], vcc, exec
	s_andn2_saveexec_b64 s[0:1], s[0:1]
	s_cbranch_execnz .LBB70_316
.LBB70_296:
	s_or_b64 exec, exec, s[0:1]
	v_mov_b32_e32 v3, 0
	s_and_saveexec_b64 s[0:1], s[18:19]
	s_cbranch_execz .LBB70_298
.LBB70_297:
	v_lshlrev_b32_e32 v3, 24, v5
	v_and_b32_e32 v5, 0xffff, v5
	v_and_b32_e32 v6, 3, v5
	v_ffbh_u32_e32 v8, v6
	v_min_u32_e32 v8, 32, v8
	v_subrev_u32_e32 v9, 29, v8
	v_bfe_u32 v7, v5, 2, 5
	v_lshlrev_b32_e32 v5, v9, v5
	v_sub_u32_e32 v8, 30, v8
	v_and_b32_e32 v5, 3, v5
	v_cmp_eq_u32_e32 vcc, 0, v7
	v_cndmask_b32_e32 v7, v7, v8, vcc
	v_cndmask_b32_e32 v5, v6, v5, vcc
	v_mov_b32_e32 v6, 0x37800000
	v_lshlrev_b32_e32 v5, 21, v5
	v_and_b32_e32 v3, 0x80000000, v3
	v_lshl_add_u32 v6, v7, 23, v6
	v_or3_b32 v3, v3, v6, v5
	v_cvt_i32_f32_e32 v3, v3
.LBB70_298:
	s_or_b64 exec, exec, s[0:1]
	s_mov_b64 s[0:1], 0
	s_branch .LBB70_304
.LBB70_299:
	s_mov_b64 s[18:19], -1
                                        ; implicit-def: $vgpr3
	s_branch .LBB70_310
.LBB70_300:
	s_andn2_saveexec_b64 s[0:1], s[0:1]
	s_cbranch_execz .LBB70_285
.LBB70_301:
	v_cmp_ne_u16_e32 vcc, 0, v5
	s_andn2_b64 s[18:19], s[18:19], exec
	s_and_b64 s[30:31], vcc, exec
	s_or_b64 s[18:19], s[18:19], s[30:31]
	s_or_b64 exec, exec, s[0:1]
	v_mov_b32_e32 v3, 0
	s_and_saveexec_b64 s[0:1], s[18:19]
	s_cbranch_execnz .LBB70_286
	s_branch .LBB70_287
.LBB70_302:
	s_mov_b64 s[0:1], -1
                                        ; implicit-def: $vgpr3
	s_branch .LBB70_307
.LBB70_303:
	s_mov_b64 s[0:1], -1
                                        ; implicit-def: $vgpr3
.LBB70_304:
	s_and_b64 vcc, exec, s[0:1]
	s_cbranch_vccz .LBB70_306
; %bb.305:
	global_load_ubyte v3, v[0:1], off
	s_mov_b32 s0, 0x7f800000
	s_waitcnt vmcnt(0)
	v_lshlrev_b32_e32 v3, 24, v3
	v_and_b32_e32 v5, 0x7f000000, v3
	v_ffbh_u32_e32 v6, v5
	v_min_u32_e32 v6, 32, v6
	v_sub_u32_e64 v6, v6, 4 clamp
	v_lshlrev_b32_e32 v8, v6, v5
	v_lshlrev_b32_e32 v6, 23, v6
	v_lshrrev_b32_e32 v8, 4, v8
	v_add_u32_e32 v7, 0x1000000, v5
	v_sub_u32_e32 v6, v8, v6
	v_ashrrev_i32_e32 v7, 8, v7
	v_add_u32_e32 v6, 0x3c000000, v6
	v_and_or_b32 v6, v7, s0, v6
	v_cmp_ne_u32_e32 vcc, 0, v5
	v_cndmask_b32_e32 v5, 0, v6, vcc
	s_brev_b32 s0, 1
	v_and_or_b32 v3, v3, s0, v5
	v_cvt_i32_f32_e32 v3, v3
.LBB70_306:
	s_mov_b64 s[0:1], 0
.LBB70_307:
	s_andn2_b64 vcc, exec, s[0:1]
	s_cbranch_vccnz .LBB70_309
; %bb.308:
	global_load_ubyte v3, v[0:1], off
	s_movk_i32 s0, 0x7f00
	s_brev_b32 s1, 16
	s_waitcnt vmcnt(0)
	v_lshlrev_b16_e32 v5, 8, v3
	v_lshlrev_b32_e32 v3, 25, v3
	v_lshrrev_b32_e32 v6, 4, v3
	v_and_or_b32 v7, v5, s0, 0.5
	v_or_b32_e32 v6, 0x70000000, v6
	v_add_f32_e32 v7, -0.5, v7
	v_mul_f32_e32 v6, 0x7800000, v6
	v_cmp_gt_u32_e32 vcc, s1, v3
	v_bfe_i32 v5, v5, 0, 16
	v_cndmask_b32_e32 v3, v6, v7, vcc
	s_brev_b32 s0, 1
	v_and_or_b32 v3, v5, s0, v3
	v_cvt_i32_f32_e32 v3, v3
.LBB70_309:
	s_mov_b64 s[18:19], 0
	s_mov_b64 s[0:1], -1
.LBB70_310:
	s_andn2_b64 vcc, exec, s[18:19]
	s_cbranch_vccnz .LBB70_323
; %bb.311:
	s_cmp_gt_i32 s27, 14
	s_cbranch_scc0 .LBB70_314
; %bb.312:
	s_cmp_eq_u32 s27, 15
	s_cbranch_scc0 .LBB70_317
; %bb.313:
	global_load_ushort v3, v[0:1], off
	s_mov_b64 s[0:1], -1
	s_mov_b64 s[20:21], 0
	s_waitcnt vmcnt(0)
	v_lshlrev_b32_e32 v3, 16, v3
	v_cvt_i32_f32_e32 v3, v3
	s_branch .LBB70_318
.LBB70_314:
	s_mov_b64 s[18:19], -1
                                        ; implicit-def: $vgpr3
	s_branch .LBB70_319
.LBB70_315:
	s_andn2_saveexec_b64 s[0:1], s[0:1]
	s_cbranch_execz .LBB70_296
.LBB70_316:
	v_cmp_ne_u16_e32 vcc, 0, v5
	s_andn2_b64 s[18:19], s[18:19], exec
	s_and_b64 s[30:31], vcc, exec
	s_or_b64 s[18:19], s[18:19], s[30:31]
	s_or_b64 exec, exec, s[0:1]
	v_mov_b32_e32 v3, 0
	s_and_saveexec_b64 s[0:1], s[18:19]
	s_cbranch_execnz .LBB70_297
	s_branch .LBB70_298
.LBB70_317:
	s_mov_b64 s[20:21], -1
                                        ; implicit-def: $vgpr3
.LBB70_318:
	s_mov_b64 s[18:19], 0
.LBB70_319:
	s_and_b64 vcc, exec, s[18:19]
	s_cbranch_vccz .LBB70_323
; %bb.320:
	s_cmp_eq_u32 s27, 11
	s_cbranch_scc0 .LBB70_322
; %bb.321:
	global_load_ubyte v3, v[0:1], off
	s_mov_b64 s[0:1], -1
	s_mov_b64 s[20:21], 0
	s_waitcnt vmcnt(0)
	v_cmp_ne_u16_e32 vcc, 0, v3
	v_cndmask_b32_e64 v3, 0, 1, vcc
	s_branch .LBB70_323
.LBB70_322:
	s_mov_b64 s[20:21], -1
                                        ; implicit-def: $vgpr3
.LBB70_323:
	s_branch .LBB70_20
.LBB70_324:
	s_and_b32 s18, 0xffff, s26
	s_cmp_lt_i32 s18, 5
	s_cbranch_scc1 .LBB70_329
; %bb.325:
	s_cmp_lt_i32 s18, 8
	s_cbranch_scc1 .LBB70_330
; %bb.326:
	;; [unrolled: 3-line block ×3, first 2 shown]
	s_cmp_gt_i32 s18, 9
	s_cbranch_scc0 .LBB70_332
; %bb.328:
	global_load_dwordx2 v[5:6], v[0:1], off
	s_mov_b64 s[0:1], 0
	s_waitcnt vmcnt(0)
	v_cvt_i32_f64_e32 v3, v[5:6]
	s_branch .LBB70_333
.LBB70_329:
	s_mov_b64 s[0:1], -1
                                        ; implicit-def: $vgpr3
	s_branch .LBB70_351
.LBB70_330:
	s_mov_b64 s[0:1], -1
                                        ; implicit-def: $vgpr3
	s_branch .LBB70_339
.LBB70_331:
	s_mov_b64 s[0:1], -1
                                        ; implicit-def: $vgpr3
	s_branch .LBB70_336
.LBB70_332:
	s_mov_b64 s[0:1], -1
                                        ; implicit-def: $vgpr3
.LBB70_333:
	s_andn2_b64 vcc, exec, s[0:1]
	s_cbranch_vccnz .LBB70_335
; %bb.334:
	global_load_dword v3, v[0:1], off
	s_waitcnt vmcnt(0)
	v_cvt_i32_f32_e32 v3, v3
.LBB70_335:
	s_mov_b64 s[0:1], 0
.LBB70_336:
	s_andn2_b64 vcc, exec, s[0:1]
	s_cbranch_vccnz .LBB70_338
; %bb.337:
	global_load_dword v3, v[0:1], off
	s_waitcnt vmcnt(0)
	v_cvt_f32_f16_e32 v3, v3
	v_cvt_i32_f32_e32 v3, v3
.LBB70_338:
	s_mov_b64 s[0:1], 0
.LBB70_339:
	s_andn2_b64 vcc, exec, s[0:1]
	s_cbranch_vccnz .LBB70_350
; %bb.340:
	s_cmp_lt_i32 s18, 6
	s_cbranch_scc1 .LBB70_343
; %bb.341:
	s_cmp_gt_i32 s18, 6
	s_cbranch_scc0 .LBB70_344
; %bb.342:
	global_load_dwordx2 v[5:6], v[0:1], off
	s_mov_b64 s[0:1], 0
	s_waitcnt vmcnt(0)
	v_cvt_i32_f64_e32 v3, v[5:6]
	s_branch .LBB70_345
.LBB70_343:
	s_mov_b64 s[0:1], -1
                                        ; implicit-def: $vgpr3
	s_branch .LBB70_348
.LBB70_344:
	s_mov_b64 s[0:1], -1
                                        ; implicit-def: $vgpr3
.LBB70_345:
	s_andn2_b64 vcc, exec, s[0:1]
	s_cbranch_vccnz .LBB70_347
; %bb.346:
	global_load_dword v3, v[0:1], off
	s_waitcnt vmcnt(0)
	v_cvt_i32_f32_e32 v3, v3
.LBB70_347:
	s_mov_b64 s[0:1], 0
.LBB70_348:
	s_andn2_b64 vcc, exec, s[0:1]
	s_cbranch_vccnz .LBB70_350
; %bb.349:
	global_load_ushort v3, v[0:1], off
	s_waitcnt vmcnt(0)
	v_cvt_f32_f16_e32 v3, v3
	v_cvt_i32_f32_e32 v3, v3
.LBB70_350:
	s_mov_b64 s[0:1], 0
.LBB70_351:
	s_andn2_b64 vcc, exec, s[0:1]
	s_cbranch_vccnz .LBB70_371
; %bb.352:
	s_cmp_lt_i32 s18, 2
	s_cbranch_scc1 .LBB70_356
; %bb.353:
	s_cmp_lt_i32 s18, 3
	s_cbranch_scc1 .LBB70_357
; %bb.354:
	s_cmp_gt_i32 s18, 3
	s_cbranch_scc0 .LBB70_358
; %bb.355:
	global_load_dword v3, v[0:1], off
	s_mov_b64 s[0:1], 0
	s_branch .LBB70_359
.LBB70_356:
	s_mov_b64 s[0:1], -1
                                        ; implicit-def: $vgpr3
	s_branch .LBB70_365
.LBB70_357:
	s_mov_b64 s[0:1], -1
                                        ; implicit-def: $vgpr3
	s_branch .LBB70_362
.LBB70_358:
	s_mov_b64 s[0:1], -1
                                        ; implicit-def: $vgpr3
.LBB70_359:
	s_andn2_b64 vcc, exec, s[0:1]
	s_cbranch_vccnz .LBB70_361
; %bb.360:
	global_load_dword v3, v[0:1], off
.LBB70_361:
	s_mov_b64 s[0:1], 0
.LBB70_362:
	s_andn2_b64 vcc, exec, s[0:1]
	s_cbranch_vccnz .LBB70_364
; %bb.363:
	global_load_sshort v3, v[0:1], off
.LBB70_364:
	s_mov_b64 s[0:1], 0
.LBB70_365:
	s_andn2_b64 vcc, exec, s[0:1]
	s_cbranch_vccnz .LBB70_371
; %bb.366:
	s_cmp_gt_i32 s18, 0
	s_cbranch_scc0 .LBB70_368
; %bb.367:
	global_load_sbyte v3, v[0:1], off
	s_mov_b64 s[0:1], 0
	s_branch .LBB70_369
.LBB70_368:
	s_mov_b64 s[0:1], -1
                                        ; implicit-def: $vgpr3
.LBB70_369:
	s_andn2_b64 vcc, exec, s[0:1]
	s_cbranch_vccnz .LBB70_371
; %bb.370:
	global_load_ubyte v3, v[0:1], off
.LBB70_371:
	s_branch .LBB70_21
.LBB70_372:
	s_mov_b64 s[0:1], 0
.LBB70_373:
                                        ; implicit-def: $vgpr4
	s_mov_b64 s[26:27], 0
.LBB70_374:
	s_and_b64 s[18:19], s[0:1], exec
	s_and_b64 s[20:21], s[20:21], exec
	;; [unrolled: 1-line block ×3, first 2 shown]
	s_orn2_b64 s[0:1], s[26:27], exec
.LBB70_375:
	s_or_b64 exec, exec, s[24:25]
	s_mov_b64 s[34:35], 0
	s_mov_b64 s[30:31], 0
                                        ; implicit-def: $sgpr57
                                        ; implicit-def: $vgpr0_vgpr1
                                        ; implicit-def: $vgpr5
	s_and_saveexec_b64 s[24:25], s[0:1]
	s_cbranch_execz .LBB70_384
; %bb.376:
	v_cmp_gt_i32_e32 vcc, s50, v4
	s_mov_b64 s[0:1], -1
	s_mov_b64 s[26:27], s[22:23]
	s_mov_b64 s[28:29], s[20:21]
	s_mov_b64 s[30:31], s[18:19]
	s_and_saveexec_b64 s[34:35], vcc
	s_cbranch_execz .LBB70_757
; %bb.377:
	v_mul_lo_u32 v0, v4, s13
	v_mov_b32_e32 v1, s11
	s_and_b32 s30, s56, 0xff
	s_cmp_lt_i32 s30, 11
	s_waitcnt vmcnt(0)
	v_ashrrev_i32_e32 v2, 31, v0
	v_add_co_u32_e32 v0, vcc, s10, v0
	v_addc_co_u32_e32 v1, vcc, v1, v2, vcc
	s_cbranch_scc1 .LBB70_387
; %bb.378:
	s_and_b32 s31, 0xffff, s30
	s_cmp_gt_i32 s31, 25
	s_cbranch_scc0 .LBB70_396
; %bb.379:
	s_cmp_gt_i32 s31, 28
	s_cbranch_scc0 .LBB70_398
; %bb.380:
	;; [unrolled: 3-line block ×4, first 2 shown]
	s_cmp_eq_u32 s31, 46
	s_mov_b64 s[28:29], 0
	s_cbranch_scc0 .LBB70_406
; %bb.383:
	global_load_dword v2, v[0:1], off
	s_mov_b64 s[26:27], 0
	s_waitcnt vmcnt(0)
	v_lshlrev_b32_e32 v2, 16, v2
	v_cvt_i32_f32_e32 v2, v2
	s_branch .LBB70_407
.LBB70_384:
	s_or_b64 exec, exec, s[24:25]
	s_mov_b64 s[24:25], 0
	s_and_saveexec_b64 s[0:1], s[22:23]
	s_cbranch_execnz .LBB70_1220
.LBB70_385:
	s_or_b64 exec, exec, s[0:1]
	s_and_saveexec_b64 s[0:1], s[28:29]
	s_xor_b64 s[0:1], exec, s[0:1]
	s_cbranch_execz .LBB70_1221
.LBB70_386:
	global_load_ubyte v2, v[0:1], off
	s_or_b64 s[30:31], s[30:31], exec
	s_waitcnt vmcnt(0)
	v_cmp_ne_u16_e32 vcc, 0, v2
	v_cndmask_b32_e64 v5, 0, 1, vcc
	s_or_b64 exec, exec, s[0:1]
	s_and_saveexec_b64 s[0:1], s[34:35]
	s_cbranch_execz .LBB70_1267
	s_branch .LBB70_1222
.LBB70_387:
	s_mov_b64 s[0:1], 0
                                        ; implicit-def: $vgpr2
	s_mov_b64 s[26:27], s[22:23]
	s_cbranch_execnz .LBB70_469
.LBB70_388:
	s_andn2_b64 vcc, exec, s[0:1]
	s_cbranch_vccnz .LBB70_517
.LBB70_389:
	v_mul_lo_u32 v0, v4, s14
	v_mov_b32_e32 v1, s17
	s_and_b32 s36, s33, 0xff
	s_cmp_lt_i32 s36, 11
	v_ashrrev_i32_e32 v3, 31, v0
	v_add_co_u32_e32 v0, vcc, s16, v0
	v_addc_co_u32_e32 v1, vcc, v1, v3, vcc
	s_cbranch_scc1 .LBB70_397
; %bb.390:
	s_and_b32 s37, 0xffff, s36
	s_cmp_gt_i32 s37, 25
	s_cbranch_scc0 .LBB70_399
; %bb.391:
	s_cmp_gt_i32 s37, 28
	s_cbranch_scc0 .LBB70_401
; %bb.392:
	;; [unrolled: 3-line block ×4, first 2 shown]
	s_cmp_eq_u32 s37, 46
	s_mov_b64 s[30:31], 0
	s_cbranch_scc0 .LBB70_521
; %bb.395:
	global_load_dword v3, v[0:1], off
	s_mov_b64 s[0:1], -1
	s_mov_b64 s[28:29], 0
	s_waitcnt vmcnt(0)
	v_lshlrev_b32_e32 v3, 16, v3
	v_cvt_i32_f32_e32 v3, v3
	s_branch .LBB70_522
.LBB70_396:
	s_mov_b64 s[28:29], -1
	s_mov_b64 s[0:1], 0
	s_mov_b64 s[26:27], s[22:23]
                                        ; implicit-def: $vgpr2
	s_branch .LBB70_435
.LBB70_397:
	s_mov_b64 s[30:31], -1
	s_mov_b64 s[0:1], 0
                                        ; implicit-def: $vgpr3
	s_mov_b64 s[28:29], s[20:21]
	s_branch .LBB70_583
.LBB70_398:
	s_mov_b64 s[28:29], -1
	s_mov_b64 s[0:1], 0
	s_mov_b64 s[26:27], s[22:23]
                                        ; implicit-def: $vgpr2
	s_branch .LBB70_418
.LBB70_399:
	s_mov_b64 s[30:31], -1
	s_mov_b64 s[0:1], 0
	s_mov_b64 s[28:29], s[20:21]
                                        ; implicit-def: $vgpr3
	s_branch .LBB70_549
.LBB70_400:
	s_mov_b64 s[28:29], -1
	s_mov_b64 s[0:1], 0
	s_mov_b64 s[26:27], s[22:23]
                                        ; implicit-def: $vgpr2
	s_branch .LBB70_413
.LBB70_401:
	s_mov_b64 s[30:31], -1
	s_mov_b64 s[0:1], 0
	s_mov_b64 s[28:29], s[20:21]
                                        ; implicit-def: $vgpr3
	s_branch .LBB70_532
.LBB70_402:
	s_mov_b64 s[28:29], -1
	s_mov_b64 s[0:1], 0
	s_mov_b64 s[26:27], s[22:23]
                                        ; implicit-def: $vgpr2
	s_branch .LBB70_407
.LBB70_403:
	s_mov_b64 s[30:31], -1
	s_mov_b64 s[0:1], 0
	s_mov_b64 s[28:29], s[20:21]
                                        ; implicit-def: $vgpr3
	s_branch .LBB70_527
.LBB70_404:
	s_andn2_saveexec_b64 s[30:31], s[30:31]
	s_cbranch_execz .LBB70_176
.LBB70_405:
	s_mov_b32 s36, 0x46000000
	v_add_f32_e64 v5, |v1|, s36
	v_and_b32_e32 v5, 0xff, v5
	v_cmp_ne_u32_e32 vcc, 0, v5
	s_andn2_b64 s[26:27], s[26:27], exec
	s_and_b64 s[36:37], vcc, exec
	s_or_b64 s[26:27], s[26:27], s[36:37]
	s_or_b64 exec, exec, s[30:31]
	v_mov_b32_e32 v6, 0
	s_and_saveexec_b64 s[30:31], s[26:27]
	s_cbranch_execnz .LBB70_177
	s_branch .LBB70_178
.LBB70_406:
	s_mov_b64 s[26:27], -1
                                        ; implicit-def: $vgpr2
	s_mov_b64 s[0:1], 0
.LBB70_407:
	s_and_b64 vcc, exec, s[28:29]
	s_cbranch_vccz .LBB70_412
; %bb.408:
	s_cmp_eq_u32 s31, 44
	s_cbranch_scc0 .LBB70_411
; %bb.409:
	global_load_ubyte v2, v[0:1], off
	s_mov_b64 s[0:1], -1
	s_mov_b64 s[26:27], 0
	s_waitcnt vmcnt(0)
	v_lshlrev_b32_e32 v3, 23, v2
	v_cvt_i32_f32_e32 v3, v3
	v_cmp_ne_u32_e32 vcc, 0, v2
	v_cndmask_b32_e32 v2, 0, v3, vcc
	s_branch .LBB70_412
.LBB70_410:
	s_mov_b64 s[30:31], -1
	s_mov_b64 s[0:1], 0
	s_mov_b64 s[28:29], s[20:21]
                                        ; implicit-def: $vgpr3
	s_branch .LBB70_522
.LBB70_411:
	s_mov_b64 s[26:27], -1
                                        ; implicit-def: $vgpr2
.LBB70_412:
	s_mov_b64 s[28:29], 0
.LBB70_413:
	s_and_b64 vcc, exec, s[28:29]
	s_cbranch_vccz .LBB70_417
; %bb.414:
	s_cmp_eq_u32 s31, 29
	s_cbranch_scc0 .LBB70_416
; %bb.415:
	global_load_dword v2, v[0:1], off
	s_mov_b64 s[0:1], -1
	s_mov_b64 s[26:27], 0
	s_branch .LBB70_417
.LBB70_416:
	s_mov_b64 s[26:27], -1
                                        ; implicit-def: $vgpr2
.LBB70_417:
	s_mov_b64 s[28:29], 0
.LBB70_418:
	s_and_b64 vcc, exec, s[28:29]
	s_cbranch_vccz .LBB70_434
; %bb.419:
	s_cmp_lt_i32 s31, 27
	s_cbranch_scc1 .LBB70_422
; %bb.420:
	s_cmp_gt_i32 s31, 27
	s_cbranch_scc0 .LBB70_423
; %bb.421:
	global_load_dword v2, v[0:1], off
	s_mov_b64 s[0:1], 0
	s_branch .LBB70_424
.LBB70_422:
	s_mov_b64 s[0:1], -1
                                        ; implicit-def: $vgpr2
	s_branch .LBB70_427
.LBB70_423:
	s_mov_b64 s[0:1], -1
                                        ; implicit-def: $vgpr2
.LBB70_424:
	s_andn2_b64 vcc, exec, s[0:1]
	s_cbranch_vccnz .LBB70_426
; %bb.425:
	global_load_ushort v2, v[0:1], off
.LBB70_426:
	s_mov_b64 s[0:1], 0
.LBB70_427:
	s_andn2_b64 vcc, exec, s[0:1]
	s_cbranch_vccnz .LBB70_433
; %bb.428:
	global_load_ubyte v3, v[0:1], off
	s_movk_i32 s0, 0x7f
	s_mov_b64 s[28:29], 0
	s_waitcnt vmcnt(0)
	v_cmp_lt_i16_e32 vcc, s0, v3
	s_and_saveexec_b64 s[0:1], vcc
	s_xor_b64 s[0:1], exec, s[0:1]
	s_cbranch_execz .LBB70_445
; %bb.429:
	s_movk_i32 s28, 0x80
	v_cmp_ne_u16_e32 vcc, s28, v3
	s_and_b64 s[28:29], vcc, exec
	s_andn2_saveexec_b64 s[0:1], s[0:1]
	s_cbranch_execnz .LBB70_446
.LBB70_430:
	s_or_b64 exec, exec, s[0:1]
	v_mov_b32_e32 v2, 0
	s_and_saveexec_b64 s[0:1], s[28:29]
	s_cbranch_execz .LBB70_432
.LBB70_431:
	v_lshlrev_b32_e32 v2, 24, v3
	v_and_b32_e32 v3, 0xffff, v3
	v_and_b32_e32 v5, 7, v3
	v_ffbh_u32_e32 v7, v5
	v_min_u32_e32 v7, 32, v7
	v_subrev_u32_e32 v8, 28, v7
	v_bfe_u32 v6, v3, 3, 4
	v_lshlrev_b32_e32 v3, v8, v3
	v_sub_u32_e32 v7, 29, v7
	v_and_b32_e32 v3, 7, v3
	v_cmp_eq_u32_e32 vcc, 0, v6
	v_cndmask_b32_e32 v6, v6, v7, vcc
	v_cndmask_b32_e32 v3, v5, v3, vcc
	v_mov_b32_e32 v5, 0x3b800000
	v_lshlrev_b32_e32 v3, 20, v3
	v_and_b32_e32 v2, 0x80000000, v2
	v_lshl_add_u32 v5, v6, 23, v5
	v_or3_b32 v2, v2, v5, v3
	v_cvt_i32_f32_e32 v2, v2
.LBB70_432:
	s_or_b64 exec, exec, s[0:1]
.LBB70_433:
	s_mov_b64 s[0:1], -1
.LBB70_434:
	s_mov_b64 s[28:29], 0
.LBB70_435:
	s_and_b64 vcc, exec, s[28:29]
	s_cbranch_vccz .LBB70_468
; %bb.436:
	s_cmp_gt_i32 s31, 22
	s_cbranch_scc0 .LBB70_444
; %bb.437:
	s_cmp_lt_i32 s31, 24
	s_cbranch_scc1 .LBB70_447
; %bb.438:
	s_cmp_gt_i32 s31, 24
	s_cbranch_scc0 .LBB70_448
; %bb.439:
	global_load_ubyte v3, v[0:1], off
	s_movk_i32 s0, 0x7f
	s_mov_b64 s[28:29], 0
	s_waitcnt vmcnt(0)
	v_cmp_lt_i16_e32 vcc, s0, v3
	s_and_saveexec_b64 s[0:1], vcc
	s_xor_b64 s[0:1], exec, s[0:1]
	s_cbranch_execz .LBB70_460
; %bb.440:
	s_movk_i32 s28, 0x80
	v_cmp_ne_u16_e32 vcc, s28, v3
	s_and_b64 s[28:29], vcc, exec
	s_andn2_saveexec_b64 s[0:1], s[0:1]
	s_cbranch_execnz .LBB70_461
.LBB70_441:
	s_or_b64 exec, exec, s[0:1]
	v_mov_b32_e32 v2, 0
	s_and_saveexec_b64 s[0:1], s[28:29]
	s_cbranch_execz .LBB70_443
.LBB70_442:
	v_lshlrev_b32_e32 v2, 24, v3
	v_and_b32_e32 v3, 0xffff, v3
	v_and_b32_e32 v5, 3, v3
	v_ffbh_u32_e32 v7, v5
	v_min_u32_e32 v7, 32, v7
	v_subrev_u32_e32 v8, 29, v7
	v_bfe_u32 v6, v3, 2, 5
	v_lshlrev_b32_e32 v3, v8, v3
	v_sub_u32_e32 v7, 30, v7
	v_and_b32_e32 v3, 3, v3
	v_cmp_eq_u32_e32 vcc, 0, v6
	v_cndmask_b32_e32 v6, v6, v7, vcc
	v_cndmask_b32_e32 v3, v5, v3, vcc
	v_mov_b32_e32 v5, 0x37800000
	v_lshlrev_b32_e32 v3, 21, v3
	v_and_b32_e32 v2, 0x80000000, v2
	v_lshl_add_u32 v5, v6, 23, v5
	v_or3_b32 v2, v2, v5, v3
	v_cvt_i32_f32_e32 v2, v2
.LBB70_443:
	s_or_b64 exec, exec, s[0:1]
	s_mov_b64 s[0:1], 0
	s_branch .LBB70_449
.LBB70_444:
	s_mov_b64 s[28:29], -1
                                        ; implicit-def: $vgpr2
	s_branch .LBB70_455
.LBB70_445:
	s_andn2_saveexec_b64 s[0:1], s[0:1]
	s_cbranch_execz .LBB70_430
.LBB70_446:
	v_cmp_ne_u16_e32 vcc, 0, v3
	s_andn2_b64 s[28:29], s[28:29], exec
	s_and_b64 s[36:37], vcc, exec
	s_or_b64 s[28:29], s[28:29], s[36:37]
	s_or_b64 exec, exec, s[0:1]
	v_mov_b32_e32 v2, 0
	s_and_saveexec_b64 s[0:1], s[28:29]
	s_cbranch_execnz .LBB70_431
	s_branch .LBB70_432
.LBB70_447:
	s_mov_b64 s[0:1], -1
                                        ; implicit-def: $vgpr2
	s_branch .LBB70_452
.LBB70_448:
	s_mov_b64 s[0:1], -1
                                        ; implicit-def: $vgpr2
.LBB70_449:
	s_and_b64 vcc, exec, s[0:1]
	s_cbranch_vccz .LBB70_451
; %bb.450:
	global_load_ubyte v2, v[0:1], off
	s_mov_b32 s0, 0x7f800000
	s_waitcnt vmcnt(0)
	v_lshlrev_b32_e32 v2, 24, v2
	v_and_b32_e32 v3, 0x7f000000, v2
	v_ffbh_u32_e32 v5, v3
	v_min_u32_e32 v5, 32, v5
	v_sub_u32_e64 v5, v5, 4 clamp
	v_lshlrev_b32_e32 v7, v5, v3
	v_lshlrev_b32_e32 v5, 23, v5
	v_lshrrev_b32_e32 v7, 4, v7
	v_add_u32_e32 v6, 0x1000000, v3
	v_sub_u32_e32 v5, v7, v5
	v_ashrrev_i32_e32 v6, 8, v6
	v_add_u32_e32 v5, 0x3c000000, v5
	v_and_or_b32 v5, v6, s0, v5
	v_cmp_ne_u32_e32 vcc, 0, v3
	v_cndmask_b32_e32 v3, 0, v5, vcc
	s_brev_b32 s0, 1
	v_and_or_b32 v2, v2, s0, v3
	v_cvt_i32_f32_e32 v2, v2
.LBB70_451:
	s_mov_b64 s[0:1], 0
.LBB70_452:
	s_andn2_b64 vcc, exec, s[0:1]
	s_cbranch_vccnz .LBB70_454
; %bb.453:
	global_load_ubyte v2, v[0:1], off
	s_movk_i32 s0, 0x7f00
	s_brev_b32 s1, 16
	s_waitcnt vmcnt(0)
	v_lshlrev_b16_e32 v3, 8, v2
	v_lshlrev_b32_e32 v2, 25, v2
	v_lshrrev_b32_e32 v5, 4, v2
	v_and_or_b32 v6, v3, s0, 0.5
	v_or_b32_e32 v5, 0x70000000, v5
	v_add_f32_e32 v6, -0.5, v6
	v_mul_f32_e32 v5, 0x7800000, v5
	v_cmp_gt_u32_e32 vcc, s1, v2
	v_bfe_i32 v3, v3, 0, 16
	v_cndmask_b32_e32 v2, v5, v6, vcc
	s_brev_b32 s0, 1
	v_and_or_b32 v2, v3, s0, v2
	v_cvt_i32_f32_e32 v2, v2
.LBB70_454:
	s_mov_b64 s[28:29], 0
	s_mov_b64 s[0:1], -1
.LBB70_455:
	s_andn2_b64 vcc, exec, s[28:29]
	s_cbranch_vccnz .LBB70_468
; %bb.456:
	s_cmp_gt_i32 s31, 14
	s_cbranch_scc0 .LBB70_459
; %bb.457:
	s_cmp_eq_u32 s31, 15
	s_cbranch_scc0 .LBB70_462
; %bb.458:
	global_load_ushort v2, v[0:1], off
	s_mov_b64 s[0:1], -1
	s_mov_b64 s[26:27], 0
	s_waitcnt vmcnt(0)
	v_lshlrev_b32_e32 v2, 16, v2
	v_cvt_i32_f32_e32 v2, v2
	s_branch .LBB70_463
.LBB70_459:
	s_mov_b64 s[28:29], -1
                                        ; implicit-def: $vgpr2
	s_branch .LBB70_464
.LBB70_460:
	s_andn2_saveexec_b64 s[0:1], s[0:1]
	s_cbranch_execz .LBB70_441
.LBB70_461:
	v_cmp_ne_u16_e32 vcc, 0, v3
	s_andn2_b64 s[28:29], s[28:29], exec
	s_and_b64 s[36:37], vcc, exec
	s_or_b64 s[28:29], s[28:29], s[36:37]
	s_or_b64 exec, exec, s[0:1]
	v_mov_b32_e32 v2, 0
	s_and_saveexec_b64 s[0:1], s[28:29]
	s_cbranch_execnz .LBB70_442
	s_branch .LBB70_443
.LBB70_462:
	s_mov_b64 s[26:27], -1
                                        ; implicit-def: $vgpr2
.LBB70_463:
	s_mov_b64 s[28:29], 0
.LBB70_464:
	s_and_b64 vcc, exec, s[28:29]
	s_cbranch_vccz .LBB70_468
; %bb.465:
	s_cmp_eq_u32 s31, 11
	s_cbranch_scc0 .LBB70_467
; %bb.466:
	global_load_ubyte v2, v[0:1], off
	s_mov_b64 s[0:1], -1
	s_mov_b64 s[26:27], 0
	s_waitcnt vmcnt(0)
	v_cmp_ne_u16_e32 vcc, 0, v2
	v_cndmask_b32_e64 v2, 0, 1, vcc
	s_branch .LBB70_468
.LBB70_467:
	s_mov_b64 s[26:27], -1
                                        ; implicit-def: $vgpr2
.LBB70_468:
	s_branch .LBB70_388
.LBB70_469:
	s_and_b32 s28, 0xffff, s30
	s_cmp_lt_i32 s28, 5
	s_cbranch_scc1 .LBB70_474
; %bb.470:
	s_cmp_lt_i32 s28, 8
	s_cbranch_scc1 .LBB70_475
; %bb.471:
	;; [unrolled: 3-line block ×3, first 2 shown]
	s_cmp_gt_i32 s28, 9
	s_cbranch_scc0 .LBB70_477
; %bb.473:
	global_load_dwordx2 v[2:3], v[0:1], off
	s_mov_b64 s[0:1], 0
	s_waitcnt vmcnt(0)
	v_cvt_i32_f64_e32 v2, v[2:3]
	s_branch .LBB70_478
.LBB70_474:
	s_mov_b64 s[0:1], -1
                                        ; implicit-def: $vgpr2
	s_branch .LBB70_496
.LBB70_475:
	s_mov_b64 s[0:1], -1
                                        ; implicit-def: $vgpr2
	s_branch .LBB70_484
.LBB70_476:
	s_mov_b64 s[0:1], -1
                                        ; implicit-def: $vgpr2
	s_branch .LBB70_481
.LBB70_477:
	s_mov_b64 s[0:1], -1
                                        ; implicit-def: $vgpr2
.LBB70_478:
	s_andn2_b64 vcc, exec, s[0:1]
	s_cbranch_vccnz .LBB70_480
; %bb.479:
	global_load_dword v2, v[0:1], off
	s_waitcnt vmcnt(0)
	v_cvt_i32_f32_e32 v2, v2
.LBB70_480:
	s_mov_b64 s[0:1], 0
.LBB70_481:
	s_andn2_b64 vcc, exec, s[0:1]
	s_cbranch_vccnz .LBB70_483
; %bb.482:
	global_load_dword v2, v[0:1], off
	s_waitcnt vmcnt(0)
	v_cvt_f32_f16_e32 v2, v2
	v_cvt_i32_f32_e32 v2, v2
.LBB70_483:
	s_mov_b64 s[0:1], 0
.LBB70_484:
	s_andn2_b64 vcc, exec, s[0:1]
	s_cbranch_vccnz .LBB70_495
; %bb.485:
	s_cmp_lt_i32 s28, 6
	s_cbranch_scc1 .LBB70_488
; %bb.486:
	s_cmp_gt_i32 s28, 6
	s_cbranch_scc0 .LBB70_489
; %bb.487:
	global_load_dwordx2 v[2:3], v[0:1], off
	s_mov_b64 s[0:1], 0
	s_waitcnt vmcnt(0)
	v_cvt_i32_f64_e32 v2, v[2:3]
	s_branch .LBB70_490
.LBB70_488:
	s_mov_b64 s[0:1], -1
                                        ; implicit-def: $vgpr2
	s_branch .LBB70_493
.LBB70_489:
	s_mov_b64 s[0:1], -1
                                        ; implicit-def: $vgpr2
.LBB70_490:
	s_andn2_b64 vcc, exec, s[0:1]
	s_cbranch_vccnz .LBB70_492
; %bb.491:
	global_load_dword v2, v[0:1], off
	s_waitcnt vmcnt(0)
	v_cvt_i32_f32_e32 v2, v2
.LBB70_492:
	s_mov_b64 s[0:1], 0
.LBB70_493:
	s_andn2_b64 vcc, exec, s[0:1]
	s_cbranch_vccnz .LBB70_495
; %bb.494:
	global_load_ushort v2, v[0:1], off
	s_waitcnt vmcnt(0)
	v_cvt_f32_f16_e32 v2, v2
	v_cvt_i32_f32_e32 v2, v2
.LBB70_495:
	s_mov_b64 s[0:1], 0
.LBB70_496:
	s_andn2_b64 vcc, exec, s[0:1]
	s_cbranch_vccnz .LBB70_516
; %bb.497:
	s_cmp_lt_i32 s28, 2
	s_cbranch_scc1 .LBB70_501
; %bb.498:
	s_cmp_lt_i32 s28, 3
	s_cbranch_scc1 .LBB70_502
; %bb.499:
	s_cmp_gt_i32 s28, 3
	s_cbranch_scc0 .LBB70_503
; %bb.500:
	global_load_dword v2, v[0:1], off
	s_mov_b64 s[0:1], 0
	s_branch .LBB70_504
.LBB70_501:
	s_mov_b64 s[0:1], -1
                                        ; implicit-def: $vgpr2
	s_branch .LBB70_510
.LBB70_502:
	s_mov_b64 s[0:1], -1
                                        ; implicit-def: $vgpr2
	s_branch .LBB70_507
.LBB70_503:
	s_mov_b64 s[0:1], -1
                                        ; implicit-def: $vgpr2
.LBB70_504:
	s_andn2_b64 vcc, exec, s[0:1]
	s_cbranch_vccnz .LBB70_506
; %bb.505:
	global_load_dword v2, v[0:1], off
.LBB70_506:
	s_mov_b64 s[0:1], 0
.LBB70_507:
	s_andn2_b64 vcc, exec, s[0:1]
	s_cbranch_vccnz .LBB70_509
; %bb.508:
	global_load_sshort v2, v[0:1], off
.LBB70_509:
	s_mov_b64 s[0:1], 0
.LBB70_510:
	s_andn2_b64 vcc, exec, s[0:1]
	s_cbranch_vccnz .LBB70_516
; %bb.511:
	s_cmp_gt_i32 s28, 0
	s_cbranch_scc0 .LBB70_513
; %bb.512:
	global_load_sbyte v2, v[0:1], off
	s_mov_b64 s[0:1], 0
	s_branch .LBB70_514
.LBB70_513:
	s_mov_b64 s[0:1], -1
                                        ; implicit-def: $vgpr2
.LBB70_514:
	s_andn2_b64 vcc, exec, s[0:1]
	s_cbranch_vccnz .LBB70_516
; %bb.515:
	global_load_ubyte v2, v[0:1], off
.LBB70_516:
	s_branch .LBB70_389
.LBB70_517:
	s_mov_b64 s[36:37], 0
	s_mov_b64 s[0:1], s[18:19]
	;; [unrolled: 1-line block ×3, first 2 shown]
.LBB70_518:
                                        ; implicit-def: $vgpr4
	s_branch .LBB70_756
.LBB70_519:
	s_andn2_saveexec_b64 s[30:31], s[30:31]
	s_cbranch_execz .LBB70_189
.LBB70_520:
	s_mov_b32 s36, 0x42800000
	v_add_f32_e64 v5, |v1|, s36
	v_and_b32_e32 v5, 0xff, v5
	v_cmp_ne_u32_e32 vcc, 0, v5
	s_andn2_b64 s[26:27], s[26:27], exec
	s_and_b64 s[36:37], vcc, exec
	s_or_b64 s[26:27], s[26:27], s[36:37]
	s_or_b64 exec, exec, s[30:31]
	v_mov_b32_e32 v6, 0
	s_and_saveexec_b64 s[30:31], s[26:27]
	s_cbranch_execnz .LBB70_190
	s_branch .LBB70_191
.LBB70_521:
	s_mov_b64 s[28:29], -1
                                        ; implicit-def: $vgpr3
	s_mov_b64 s[0:1], 0
.LBB70_522:
	s_and_b64 vcc, exec, s[30:31]
	s_cbranch_vccz .LBB70_526
; %bb.523:
	s_cmp_eq_u32 s37, 44
	s_cbranch_scc0 .LBB70_525
; %bb.524:
	global_load_ubyte v3, v[0:1], off
	s_mov_b64 s[0:1], -1
	s_mov_b64 s[28:29], 0
	s_waitcnt vmcnt(0)
	v_lshlrev_b32_e32 v5, 23, v3
	v_cvt_i32_f32_e32 v5, v5
	v_cmp_ne_u32_e32 vcc, 0, v3
	v_cndmask_b32_e32 v3, 0, v5, vcc
	s_branch .LBB70_526
.LBB70_525:
	s_mov_b64 s[28:29], -1
                                        ; implicit-def: $vgpr3
.LBB70_526:
	s_mov_b64 s[30:31], 0
.LBB70_527:
	s_and_b64 vcc, exec, s[30:31]
	s_cbranch_vccz .LBB70_531
; %bb.528:
	s_cmp_eq_u32 s37, 29
	s_cbranch_scc0 .LBB70_530
; %bb.529:
	global_load_dword v3, v[0:1], off
	s_mov_b64 s[0:1], -1
	s_mov_b64 s[28:29], 0
	s_branch .LBB70_531
.LBB70_530:
	s_mov_b64 s[28:29], -1
                                        ; implicit-def: $vgpr3
.LBB70_531:
	s_mov_b64 s[30:31], 0
.LBB70_532:
	s_and_b64 vcc, exec, s[30:31]
	s_cbranch_vccz .LBB70_548
; %bb.533:
	s_cmp_lt_i32 s37, 27
	s_cbranch_scc1 .LBB70_536
; %bb.534:
	s_cmp_gt_i32 s37, 27
	s_cbranch_scc0 .LBB70_537
; %bb.535:
	global_load_dword v3, v[0:1], off
	s_mov_b64 s[0:1], 0
	s_branch .LBB70_538
.LBB70_536:
	s_mov_b64 s[0:1], -1
                                        ; implicit-def: $vgpr3
	s_branch .LBB70_541
.LBB70_537:
	s_mov_b64 s[0:1], -1
                                        ; implicit-def: $vgpr3
.LBB70_538:
	s_andn2_b64 vcc, exec, s[0:1]
	s_cbranch_vccnz .LBB70_540
; %bb.539:
	global_load_ushort v3, v[0:1], off
.LBB70_540:
	s_mov_b64 s[0:1], 0
.LBB70_541:
	s_andn2_b64 vcc, exec, s[0:1]
	s_cbranch_vccnz .LBB70_547
; %bb.542:
	global_load_ubyte v5, v[0:1], off
	s_movk_i32 s0, 0x7f
	s_mov_b64 s[30:31], 0
	s_waitcnt vmcnt(0)
	v_cmp_lt_i16_e32 vcc, s0, v5
	s_and_saveexec_b64 s[0:1], vcc
	s_xor_b64 s[0:1], exec, s[0:1]
	s_cbranch_execz .LBB70_559
; %bb.543:
	s_movk_i32 s30, 0x80
	v_cmp_ne_u16_e32 vcc, s30, v5
	s_and_b64 s[30:31], vcc, exec
	s_andn2_saveexec_b64 s[0:1], s[0:1]
	s_cbranch_execnz .LBB70_560
.LBB70_544:
	s_or_b64 exec, exec, s[0:1]
	v_mov_b32_e32 v3, 0
	s_and_saveexec_b64 s[0:1], s[30:31]
	s_cbranch_execz .LBB70_546
.LBB70_545:
	v_lshlrev_b32_e32 v3, 24, v5
	v_and_b32_e32 v5, 0xffff, v5
	v_and_b32_e32 v6, 7, v5
	v_ffbh_u32_e32 v8, v6
	v_min_u32_e32 v8, 32, v8
	v_subrev_u32_e32 v9, 28, v8
	v_bfe_u32 v7, v5, 3, 4
	v_lshlrev_b32_e32 v5, v9, v5
	v_sub_u32_e32 v8, 29, v8
	v_and_b32_e32 v5, 7, v5
	v_cmp_eq_u32_e32 vcc, 0, v7
	v_cndmask_b32_e32 v7, v7, v8, vcc
	v_cndmask_b32_e32 v5, v6, v5, vcc
	v_mov_b32_e32 v6, 0x3b800000
	v_lshlrev_b32_e32 v5, 20, v5
	v_and_b32_e32 v3, 0x80000000, v3
	v_lshl_add_u32 v6, v7, 23, v6
	v_or3_b32 v3, v3, v6, v5
	v_cvt_i32_f32_e32 v3, v3
.LBB70_546:
	s_or_b64 exec, exec, s[0:1]
.LBB70_547:
	s_mov_b64 s[0:1], -1
.LBB70_548:
	s_mov_b64 s[30:31], 0
.LBB70_549:
	s_and_b64 vcc, exec, s[30:31]
	s_cbranch_vccz .LBB70_582
; %bb.550:
	s_cmp_gt_i32 s37, 22
	s_cbranch_scc0 .LBB70_558
; %bb.551:
	s_cmp_lt_i32 s37, 24
	s_cbranch_scc1 .LBB70_561
; %bb.552:
	s_cmp_gt_i32 s37, 24
	s_cbranch_scc0 .LBB70_562
; %bb.553:
	global_load_ubyte v5, v[0:1], off
	s_movk_i32 s0, 0x7f
	s_mov_b64 s[30:31], 0
	s_waitcnt vmcnt(0)
	v_cmp_lt_i16_e32 vcc, s0, v5
	s_and_saveexec_b64 s[0:1], vcc
	s_xor_b64 s[0:1], exec, s[0:1]
	s_cbranch_execz .LBB70_574
; %bb.554:
	s_movk_i32 s30, 0x80
	v_cmp_ne_u16_e32 vcc, s30, v5
	s_and_b64 s[30:31], vcc, exec
	s_andn2_saveexec_b64 s[0:1], s[0:1]
	s_cbranch_execnz .LBB70_575
.LBB70_555:
	s_or_b64 exec, exec, s[0:1]
	v_mov_b32_e32 v3, 0
	s_and_saveexec_b64 s[0:1], s[30:31]
	s_cbranch_execz .LBB70_557
.LBB70_556:
	v_lshlrev_b32_e32 v3, 24, v5
	v_and_b32_e32 v5, 0xffff, v5
	v_and_b32_e32 v6, 3, v5
	v_ffbh_u32_e32 v8, v6
	v_min_u32_e32 v8, 32, v8
	v_subrev_u32_e32 v9, 29, v8
	v_bfe_u32 v7, v5, 2, 5
	v_lshlrev_b32_e32 v5, v9, v5
	v_sub_u32_e32 v8, 30, v8
	v_and_b32_e32 v5, 3, v5
	v_cmp_eq_u32_e32 vcc, 0, v7
	v_cndmask_b32_e32 v7, v7, v8, vcc
	v_cndmask_b32_e32 v5, v6, v5, vcc
	v_mov_b32_e32 v6, 0x37800000
	v_lshlrev_b32_e32 v5, 21, v5
	v_and_b32_e32 v3, 0x80000000, v3
	v_lshl_add_u32 v6, v7, 23, v6
	v_or3_b32 v3, v3, v6, v5
	v_cvt_i32_f32_e32 v3, v3
.LBB70_557:
	s_or_b64 exec, exec, s[0:1]
	s_mov_b64 s[0:1], 0
	s_branch .LBB70_563
.LBB70_558:
	s_mov_b64 s[30:31], -1
                                        ; implicit-def: $vgpr3
	s_branch .LBB70_569
.LBB70_559:
	s_andn2_saveexec_b64 s[0:1], s[0:1]
	s_cbranch_execz .LBB70_544
.LBB70_560:
	v_cmp_ne_u16_e32 vcc, 0, v5
	s_andn2_b64 s[30:31], s[30:31], exec
	s_and_b64 s[38:39], vcc, exec
	s_or_b64 s[30:31], s[30:31], s[38:39]
	s_or_b64 exec, exec, s[0:1]
	v_mov_b32_e32 v3, 0
	s_and_saveexec_b64 s[0:1], s[30:31]
	s_cbranch_execnz .LBB70_545
	s_branch .LBB70_546
.LBB70_561:
	s_mov_b64 s[0:1], -1
                                        ; implicit-def: $vgpr3
	s_branch .LBB70_566
.LBB70_562:
	s_mov_b64 s[0:1], -1
                                        ; implicit-def: $vgpr3
.LBB70_563:
	s_and_b64 vcc, exec, s[0:1]
	s_cbranch_vccz .LBB70_565
; %bb.564:
	global_load_ubyte v3, v[0:1], off
	s_mov_b32 s0, 0x7f800000
	s_waitcnt vmcnt(0)
	v_lshlrev_b32_e32 v3, 24, v3
	v_and_b32_e32 v5, 0x7f000000, v3
	v_ffbh_u32_e32 v6, v5
	v_min_u32_e32 v6, 32, v6
	v_sub_u32_e64 v6, v6, 4 clamp
	v_lshlrev_b32_e32 v8, v6, v5
	v_lshlrev_b32_e32 v6, 23, v6
	v_lshrrev_b32_e32 v8, 4, v8
	v_add_u32_e32 v7, 0x1000000, v5
	v_sub_u32_e32 v6, v8, v6
	v_ashrrev_i32_e32 v7, 8, v7
	v_add_u32_e32 v6, 0x3c000000, v6
	v_and_or_b32 v6, v7, s0, v6
	v_cmp_ne_u32_e32 vcc, 0, v5
	v_cndmask_b32_e32 v5, 0, v6, vcc
	s_brev_b32 s0, 1
	v_and_or_b32 v3, v3, s0, v5
	v_cvt_i32_f32_e32 v3, v3
.LBB70_565:
	s_mov_b64 s[0:1], 0
.LBB70_566:
	s_andn2_b64 vcc, exec, s[0:1]
	s_cbranch_vccnz .LBB70_568
; %bb.567:
	global_load_ubyte v3, v[0:1], off
	s_movk_i32 s0, 0x7f00
	s_brev_b32 s1, 16
	s_waitcnt vmcnt(0)
	v_lshlrev_b16_e32 v5, 8, v3
	v_lshlrev_b32_e32 v3, 25, v3
	v_lshrrev_b32_e32 v6, 4, v3
	v_and_or_b32 v7, v5, s0, 0.5
	v_or_b32_e32 v6, 0x70000000, v6
	v_add_f32_e32 v7, -0.5, v7
	v_mul_f32_e32 v6, 0x7800000, v6
	v_cmp_gt_u32_e32 vcc, s1, v3
	v_bfe_i32 v5, v5, 0, 16
	v_cndmask_b32_e32 v3, v6, v7, vcc
	s_brev_b32 s0, 1
	v_and_or_b32 v3, v5, s0, v3
	v_cvt_i32_f32_e32 v3, v3
.LBB70_568:
	s_mov_b64 s[30:31], 0
	s_mov_b64 s[0:1], -1
.LBB70_569:
	s_andn2_b64 vcc, exec, s[30:31]
	s_cbranch_vccnz .LBB70_582
; %bb.570:
	s_cmp_gt_i32 s37, 14
	s_cbranch_scc0 .LBB70_573
; %bb.571:
	s_cmp_eq_u32 s37, 15
	s_cbranch_scc0 .LBB70_576
; %bb.572:
	global_load_ushort v3, v[0:1], off
	s_mov_b64 s[0:1], -1
	s_mov_b64 s[28:29], 0
	s_waitcnt vmcnt(0)
	v_lshlrev_b32_e32 v3, 16, v3
	v_cvt_i32_f32_e32 v3, v3
	s_branch .LBB70_577
.LBB70_573:
	s_mov_b64 s[30:31], -1
                                        ; implicit-def: $vgpr3
	s_branch .LBB70_578
.LBB70_574:
	s_andn2_saveexec_b64 s[0:1], s[0:1]
	s_cbranch_execz .LBB70_555
.LBB70_575:
	v_cmp_ne_u16_e32 vcc, 0, v5
	s_andn2_b64 s[30:31], s[30:31], exec
	s_and_b64 s[38:39], vcc, exec
	s_or_b64 s[30:31], s[30:31], s[38:39]
	s_or_b64 exec, exec, s[0:1]
	v_mov_b32_e32 v3, 0
	s_and_saveexec_b64 s[0:1], s[30:31]
	s_cbranch_execnz .LBB70_556
	s_branch .LBB70_557
.LBB70_576:
	s_mov_b64 s[28:29], -1
                                        ; implicit-def: $vgpr3
.LBB70_577:
	s_mov_b64 s[30:31], 0
.LBB70_578:
	s_and_b64 vcc, exec, s[30:31]
	s_cbranch_vccz .LBB70_582
; %bb.579:
	s_cmp_eq_u32 s37, 11
	s_cbranch_scc0 .LBB70_581
; %bb.580:
	global_load_ubyte v3, v[0:1], off
	s_mov_b64 s[0:1], -1
	s_mov_b64 s[28:29], 0
	s_waitcnt vmcnt(0)
	v_cmp_ne_u16_e32 vcc, 0, v3
	v_cndmask_b32_e64 v3, 0, 1, vcc
	s_branch .LBB70_582
.LBB70_581:
	s_mov_b64 s[28:29], -1
                                        ; implicit-def: $vgpr3
.LBB70_582:
	s_mov_b64 s[30:31], 0
.LBB70_583:
	s_and_b64 vcc, exec, s[30:31]
	s_cbranch_vccz .LBB70_632
; %bb.584:
	s_and_b32 s30, 0xffff, s36
	s_cmp_lt_i32 s30, 5
	s_cbranch_scc1 .LBB70_589
; %bb.585:
	s_cmp_lt_i32 s30, 8
	s_cbranch_scc1 .LBB70_590
; %bb.586:
	;; [unrolled: 3-line block ×3, first 2 shown]
	s_cmp_gt_i32 s30, 9
	s_cbranch_scc0 .LBB70_592
; %bb.588:
	global_load_dwordx2 v[5:6], v[0:1], off
	s_mov_b64 s[0:1], 0
	s_waitcnt vmcnt(0)
	v_cvt_i32_f64_e32 v3, v[5:6]
	s_branch .LBB70_593
.LBB70_589:
	s_mov_b64 s[0:1], -1
                                        ; implicit-def: $vgpr3
	s_branch .LBB70_611
.LBB70_590:
	s_mov_b64 s[0:1], -1
                                        ; implicit-def: $vgpr3
	s_branch .LBB70_599
.LBB70_591:
	s_mov_b64 s[0:1], -1
                                        ; implicit-def: $vgpr3
	s_branch .LBB70_596
.LBB70_592:
	s_mov_b64 s[0:1], -1
                                        ; implicit-def: $vgpr3
.LBB70_593:
	s_andn2_b64 vcc, exec, s[0:1]
	s_cbranch_vccnz .LBB70_595
; %bb.594:
	global_load_dword v3, v[0:1], off
	s_waitcnt vmcnt(0)
	v_cvt_i32_f32_e32 v3, v3
.LBB70_595:
	s_mov_b64 s[0:1], 0
.LBB70_596:
	s_andn2_b64 vcc, exec, s[0:1]
	s_cbranch_vccnz .LBB70_598
; %bb.597:
	global_load_dword v3, v[0:1], off
	s_waitcnt vmcnt(0)
	v_cvt_f32_f16_e32 v3, v3
	v_cvt_i32_f32_e32 v3, v3
.LBB70_598:
	s_mov_b64 s[0:1], 0
.LBB70_599:
	s_andn2_b64 vcc, exec, s[0:1]
	s_cbranch_vccnz .LBB70_610
; %bb.600:
	s_cmp_lt_i32 s30, 6
	s_cbranch_scc1 .LBB70_603
; %bb.601:
	s_cmp_gt_i32 s30, 6
	s_cbranch_scc0 .LBB70_604
; %bb.602:
	global_load_dwordx2 v[5:6], v[0:1], off
	s_mov_b64 s[0:1], 0
	s_waitcnt vmcnt(0)
	v_cvt_i32_f64_e32 v3, v[5:6]
	s_branch .LBB70_605
.LBB70_603:
	s_mov_b64 s[0:1], -1
                                        ; implicit-def: $vgpr3
	s_branch .LBB70_608
.LBB70_604:
	s_mov_b64 s[0:1], -1
                                        ; implicit-def: $vgpr3
.LBB70_605:
	s_andn2_b64 vcc, exec, s[0:1]
	s_cbranch_vccnz .LBB70_607
; %bb.606:
	global_load_dword v3, v[0:1], off
	s_waitcnt vmcnt(0)
	v_cvt_i32_f32_e32 v3, v3
.LBB70_607:
	s_mov_b64 s[0:1], 0
.LBB70_608:
	s_andn2_b64 vcc, exec, s[0:1]
	s_cbranch_vccnz .LBB70_610
; %bb.609:
	global_load_ushort v3, v[0:1], off
	s_waitcnt vmcnt(0)
	v_cvt_f32_f16_e32 v3, v3
	v_cvt_i32_f32_e32 v3, v3
.LBB70_610:
	s_mov_b64 s[0:1], 0
.LBB70_611:
	s_andn2_b64 vcc, exec, s[0:1]
	s_cbranch_vccnz .LBB70_631
; %bb.612:
	s_cmp_lt_i32 s30, 2
	s_cbranch_scc1 .LBB70_616
; %bb.613:
	s_cmp_lt_i32 s30, 3
	s_cbranch_scc1 .LBB70_617
; %bb.614:
	s_cmp_gt_i32 s30, 3
	s_cbranch_scc0 .LBB70_618
; %bb.615:
	global_load_dword v3, v[0:1], off
	s_mov_b64 s[0:1], 0
	s_branch .LBB70_619
.LBB70_616:
	s_mov_b64 s[0:1], -1
                                        ; implicit-def: $vgpr3
	s_branch .LBB70_625
.LBB70_617:
	s_mov_b64 s[0:1], -1
                                        ; implicit-def: $vgpr3
	s_branch .LBB70_622
.LBB70_618:
	s_mov_b64 s[0:1], -1
                                        ; implicit-def: $vgpr3
.LBB70_619:
	s_andn2_b64 vcc, exec, s[0:1]
	s_cbranch_vccnz .LBB70_621
; %bb.620:
	global_load_dword v3, v[0:1], off
.LBB70_621:
	s_mov_b64 s[0:1], 0
.LBB70_622:
	s_andn2_b64 vcc, exec, s[0:1]
	s_cbranch_vccnz .LBB70_624
; %bb.623:
	global_load_sshort v3, v[0:1], off
.LBB70_624:
	s_mov_b64 s[0:1], 0
.LBB70_625:
	s_andn2_b64 vcc, exec, s[0:1]
	s_cbranch_vccnz .LBB70_631
; %bb.626:
	s_cmp_gt_i32 s30, 0
	s_cbranch_scc0 .LBB70_628
; %bb.627:
	global_load_sbyte v3, v[0:1], off
	s_mov_b64 s[0:1], 0
	s_branch .LBB70_629
.LBB70_628:
	s_mov_b64 s[0:1], -1
                                        ; implicit-def: $vgpr3
.LBB70_629:
	s_andn2_b64 vcc, exec, s[0:1]
	s_cbranch_vccnz .LBB70_631
; %bb.630:
	global_load_ubyte v3, v[0:1], off
.LBB70_631:
	s_mov_b64 s[0:1], -1
.LBB70_632:
	s_andn2_b64 vcc, exec, s[0:1]
	s_cbranch_vccnz .LBB70_640
; %bb.633:
	v_mul_lo_u32 v1, v4, s12
	v_mov_b32_e32 v0, s2
	s_waitcnt vmcnt(0)
	v_cmp_lt_i32_e32 vcc, s15, v2
	v_cndmask_b32_e32 v0, v0, v3, vcc
	v_ashrrev_i32_e32 v3, 31, v1
	v_mov_b32_e32 v5, s9
	s_and_b32 s40, s3, 0xff
	v_add_co_u32_e32 v2, vcc, s8, v1
	s_cmp_lt_i32 s40, 11
	v_addc_co_u32_e32 v3, vcc, v5, v3, vcc
	s_cbranch_scc1 .LBB70_641
; %bb.634:
	s_and_b32 s41, 0xffff, s40
	s_cmp_gt_i32 s41, 25
	s_cbranch_scc0 .LBB70_642
; %bb.635:
	s_cmp_gt_i32 s41, 28
	s_cbranch_scc0 .LBB70_643
; %bb.636:
	;; [unrolled: 3-line block ×4, first 2 shown]
	s_mov_b64 s[36:37], 0
	s_mov_b64 s[0:1], -1
	s_cmp_eq_u32 s41, 46
	s_mov_b64 s[30:31], 0
	s_cbranch_scc0 .LBB70_646
; %bb.639:
	v_cvt_f32_i32_e32 v1, v0
	s_movk_i32 s0, 0x7fff
	s_mov_b64 s[30:31], -1
	v_bfe_u32 v5, v1, 16, 1
	v_add3_u32 v1, v1, v5, s0
	v_lshrrev_b32_e32 v1, 16, v1
	global_store_dword v[2:3], v1, off
	s_mov_b64 s[0:1], 0
	s_branch .LBB70_646
.LBB70_640:
	s_mov_b64 s[36:37], 0
                                        ; implicit-def: $vgpr4
	s_mov_b64 s[0:1], s[18:19]
	s_branch .LBB70_756
.LBB70_641:
	s_mov_b64 s[36:37], -1
	s_mov_b64 s[30:31], 0
	s_mov_b64 s[0:1], s[18:19]
	s_branch .LBB70_715
.LBB70_642:
	s_mov_b64 s[36:37], -1
	s_mov_b64 s[30:31], 0
	s_mov_b64 s[0:1], s[18:19]
	s_branch .LBB70_673
.LBB70_643:
	s_mov_b64 s[36:37], -1
	s_mov_b64 s[30:31], 0
	s_mov_b64 s[0:1], s[18:19]
	s_branch .LBB70_656
.LBB70_644:
	s_mov_b64 s[36:37], -1
	s_mov_b64 s[30:31], 0
	s_mov_b64 s[0:1], s[18:19]
	s_branch .LBB70_652
.LBB70_645:
	s_mov_b64 s[36:37], -1
	s_mov_b64 s[30:31], 0
	s_mov_b64 s[0:1], s[18:19]
.LBB70_646:
	s_and_b64 vcc, exec, s[36:37]
	s_cbranch_vccz .LBB70_651
; %bb.647:
	s_cmp_eq_u32 s41, 44
	s_mov_b64 s[0:1], -1
	s_cbranch_scc0 .LBB70_651
; %bb.648:
	v_cvt_f32_i32_e32 v1, v0
	s_movk_i32 s0, 0xff
	v_mov_b32_e32 v6, 0xff
	v_bfe_u32 v5, v1, 23, 8
	v_cmp_ne_u32_e32 vcc, s0, v5
	s_and_saveexec_b64 s[30:31], vcc
; %bb.649:
	s_mov_b32 s0, 0x3fffff
	v_lshrrev_b32_e32 v6, 23, v1
	v_and_b32_e32 v7, 0x400000, v1
	v_and_or_b32 v1, v1, s0, v5
	v_cmp_ne_u32_e32 vcc, 0, v7
	v_cmp_ne_u32_e64 s[0:1], 0, v1
	s_and_b64 s[0:1], vcc, s[0:1]
	v_cndmask_b32_e64 v1, 0, 1, s[0:1]
	v_add_u32_e32 v6, v6, v1
; %bb.650:
	s_or_b64 exec, exec, s[30:31]
	s_mov_b64 s[30:31], -1
	s_mov_b64 s[0:1], 0
	global_store_byte v[2:3], v6, off
.LBB70_651:
	s_mov_b64 s[36:37], 0
.LBB70_652:
	s_and_b64 vcc, exec, s[36:37]
	s_cbranch_vccz .LBB70_655
; %bb.653:
	s_cmp_eq_u32 s41, 29
	s_mov_b64 s[0:1], -1
	s_cbranch_scc0 .LBB70_655
; %bb.654:
	v_ashrrev_i32_e32 v1, 31, v0
	global_store_dwordx2 v[2:3], v[0:1], off
	s_mov_b64 s[30:31], -1
	s_mov_b64 s[0:1], 0
.LBB70_655:
	s_mov_b64 s[36:37], 0
.LBB70_656:
	s_and_b64 vcc, exec, s[36:37]
	s_cbranch_vccz .LBB70_672
; %bb.657:
	s_cmp_lt_i32 s41, 27
	s_mov_b64 s[30:31], -1
	s_cbranch_scc1 .LBB70_663
; %bb.658:
	s_cmp_gt_i32 s41, 27
	s_cbranch_scc0 .LBB70_660
; %bb.659:
	s_mov_b64 s[30:31], 0
	global_store_dword v[2:3], v0, off
.LBB70_660:
	s_andn2_b64 vcc, exec, s[30:31]
	s_cbranch_vccnz .LBB70_662
; %bb.661:
	global_store_short v[2:3], v0, off
.LBB70_662:
	s_mov_b64 s[30:31], 0
.LBB70_663:
	s_andn2_b64 vcc, exec, s[30:31]
	s_cbranch_vccnz .LBB70_671
; %bb.664:
	v_cvt_f32_i32_e32 v1, v0
	s_mov_b32 s30, 0x43800000
	v_mov_b32_e32 v6, 0x80
	v_and_b32_e32 v5, 0x7fffffff, v1
	v_cmp_gt_u32_e32 vcc, s30, v5
	s_and_saveexec_b64 s[30:31], vcc
	s_cbranch_execz .LBB70_670
; %bb.665:
	s_mov_b32 s36, 0x3bffffff
	v_cmp_lt_u32_e32 vcc, s36, v5
	s_mov_b64 s[36:37], 0
                                        ; implicit-def: $vgpr5
	s_and_saveexec_b64 s[38:39], vcc
	s_xor_b64 s[38:39], exec, s[38:39]
	s_cbranch_execz .LBB70_772
; %bb.666:
	v_bfe_u32 v5, v1, 20, 1
	s_mov_b32 s42, 0x487ffff
	v_add3_u32 v5, v1, v5, s42
	s_mov_b64 s[36:37], exec
	v_lshrrev_b32_e32 v5, 20, v5
	s_andn2_saveexec_b64 s[38:39], s[38:39]
	s_cbranch_execnz .LBB70_773
.LBB70_667:
	s_or_b64 exec, exec, s[38:39]
	v_mov_b32_e32 v6, 0
	s_and_saveexec_b64 s[38:39], s[36:37]
.LBB70_668:
	v_lshrrev_b32_e32 v1, 24, v1
	s_movk_i32 s36, 0x80
	v_and_or_b32 v6, v1, s36, v5
.LBB70_669:
	s_or_b64 exec, exec, s[38:39]
.LBB70_670:
	s_or_b64 exec, exec, s[30:31]
	global_store_byte v[2:3], v6, off
.LBB70_671:
	s_mov_b64 s[30:31], -1
.LBB70_672:
	s_mov_b64 s[36:37], 0
.LBB70_673:
	s_and_b64 vcc, exec, s[36:37]
	s_cbranch_vccz .LBB70_714
; %bb.674:
	s_cmp_gt_i32 s41, 22
	s_mov_b64 s[36:37], -1
	s_cbranch_scc0 .LBB70_706
; %bb.675:
	s_cmp_lt_i32 s41, 24
	s_mov_b64 s[30:31], -1
	s_cbranch_scc1 .LBB70_695
; %bb.676:
	s_cmp_gt_i32 s41, 24
	s_cbranch_scc0 .LBB70_684
; %bb.677:
	v_cvt_f32_i32_e32 v1, v0
	s_mov_b32 s30, 0x47800000
	v_mov_b32_e32 v6, 0x80
	v_and_b32_e32 v5, 0x7fffffff, v1
	v_cmp_gt_u32_e32 vcc, s30, v5
	s_and_saveexec_b64 s[30:31], vcc
	s_cbranch_execz .LBB70_683
; %bb.678:
	s_mov_b32 s36, 0x37ffffff
	v_cmp_lt_u32_e32 vcc, s36, v5
	s_mov_b64 s[36:37], 0
                                        ; implicit-def: $vgpr5
	s_and_saveexec_b64 s[38:39], vcc
	s_xor_b64 s[38:39], exec, s[38:39]
	s_cbranch_execz .LBB70_900
; %bb.679:
	v_bfe_u32 v5, v1, 21, 1
	s_mov_b32 s42, 0x88fffff
	v_add3_u32 v5, v1, v5, s42
	s_mov_b64 s[36:37], exec
	v_lshrrev_b32_e32 v5, 21, v5
	s_andn2_saveexec_b64 s[38:39], s[38:39]
	s_cbranch_execnz .LBB70_901
.LBB70_680:
	s_or_b64 exec, exec, s[38:39]
	v_mov_b32_e32 v6, 0
	s_and_saveexec_b64 s[38:39], s[36:37]
.LBB70_681:
	v_lshrrev_b32_e32 v1, 24, v1
	s_movk_i32 s36, 0x80
	v_and_or_b32 v6, v1, s36, v5
.LBB70_682:
	s_or_b64 exec, exec, s[38:39]
.LBB70_683:
	s_or_b64 exec, exec, s[30:31]
	s_mov_b64 s[30:31], 0
	global_store_byte v[2:3], v6, off
.LBB70_684:
	s_and_b64 vcc, exec, s[30:31]
	s_cbranch_vccz .LBB70_694
; %bb.685:
	v_cvt_f32_i32_e32 v1, v0
	s_mov_b32 s30, 0x43f00000
                                        ; implicit-def: $vgpr5
	v_and_b32_e32 v6, 0x7fffffff, v1
	v_cmp_gt_u32_e32 vcc, s30, v6
	s_and_saveexec_b64 s[30:31], vcc
	s_xor_b64 s[30:31], exec, s[30:31]
	s_cbranch_execz .LBB70_691
; %bb.686:
	s_mov_b32 s36, 0x3c7fffff
	v_cmp_lt_u32_e32 vcc, s36, v6
                                        ; implicit-def: $vgpr5
	s_and_saveexec_b64 s[36:37], vcc
	s_xor_b64 s[36:37], exec, s[36:37]
; %bb.687:
	v_bfe_u32 v5, v1, 20, 1
	s_mov_b32 s38, 0x407ffff
	v_add3_u32 v5, v1, v5, s38
	v_lshrrev_b32_e32 v6, 20, v5
	v_and_b32_e32 v5, 0xff00000, v5
	s_mov_b32 s38, 0x7f00000
	v_mov_b32_e32 v7, 0x7e
	v_cmp_ne_u32_e32 vcc, s38, v5
	v_cndmask_b32_e32 v5, v7, v6, vcc
; %bb.688:
	s_andn2_saveexec_b64 s[36:37], s[36:37]
; %bb.689:
	s_mov_b32 s38, 0x46800000
	v_add_f32_e64 v5, |v1|, s38
; %bb.690:
	s_or_b64 exec, exec, s[36:37]
                                        ; implicit-def: $vgpr6
.LBB70_691:
	s_andn2_saveexec_b64 s[30:31], s[30:31]
; %bb.692:
	s_mov_b32 s36, 0x7f800000
	v_mov_b32_e32 v5, 0x7e
	v_mov_b32_e32 v7, 0x7f
	v_cmp_lt_u32_e32 vcc, s36, v6
	v_cndmask_b32_e32 v5, v5, v7, vcc
; %bb.693:
	s_or_b64 exec, exec, s[30:31]
	v_lshrrev_b32_e32 v1, 24, v1
	s_movk_i32 s30, 0x80
	v_and_or_b32 v1, v1, s30, v5
	global_store_byte v[2:3], v1, off
.LBB70_694:
	s_mov_b64 s[30:31], 0
.LBB70_695:
	s_andn2_b64 vcc, exec, s[30:31]
	s_cbranch_vccnz .LBB70_705
; %bb.696:
	v_cvt_f32_i32_e32 v1, v0
	s_mov_b32 s30, 0x47800000
                                        ; implicit-def: $vgpr5
	v_and_b32_e32 v6, 0x7fffffff, v1
	v_cmp_gt_u32_e32 vcc, s30, v6
	s_and_saveexec_b64 s[30:31], vcc
	s_xor_b64 s[30:31], exec, s[30:31]
	s_cbranch_execz .LBB70_702
; %bb.697:
	s_mov_b32 s36, 0x387fffff
	v_cmp_lt_u32_e32 vcc, s36, v6
                                        ; implicit-def: $vgpr5
	s_and_saveexec_b64 s[36:37], vcc
	s_xor_b64 s[36:37], exec, s[36:37]
; %bb.698:
	v_bfe_u32 v5, v1, 21, 1
	s_mov_b32 s38, 0x80fffff
	v_add3_u32 v5, v1, v5, s38
	v_lshrrev_b32_e32 v5, 21, v5
; %bb.699:
	s_andn2_saveexec_b64 s[36:37], s[36:37]
; %bb.700:
	s_mov_b32 s38, 0x43000000
	v_add_f32_e64 v5, |v1|, s38
; %bb.701:
	s_or_b64 exec, exec, s[36:37]
                                        ; implicit-def: $vgpr6
.LBB70_702:
	s_andn2_saveexec_b64 s[30:31], s[30:31]
; %bb.703:
	s_mov_b32 s36, 0x7f800000
	v_mov_b32_e32 v5, 0x7c
	v_mov_b32_e32 v7, 0x7f
	v_cmp_lt_u32_e32 vcc, s36, v6
	v_cndmask_b32_e32 v5, v5, v7, vcc
; %bb.704:
	s_or_b64 exec, exec, s[30:31]
	v_lshrrev_b32_e32 v1, 24, v1
	s_movk_i32 s30, 0x80
	v_and_or_b32 v1, v1, s30, v5
	global_store_byte v[2:3], v1, off
.LBB70_705:
	s_mov_b64 s[36:37], 0
	s_mov_b64 s[30:31], -1
.LBB70_706:
	s_andn2_b64 vcc, exec, s[36:37]
	s_cbranch_vccnz .LBB70_714
; %bb.707:
	s_cmp_gt_i32 s41, 14
	s_mov_b64 s[36:37], -1
	s_cbranch_scc0 .LBB70_711
; %bb.708:
	s_cmp_eq_u32 s41, 15
	s_mov_b64 s[0:1], -1
	s_cbranch_scc0 .LBB70_710
; %bb.709:
	v_cvt_f32_i32_e32 v1, v0
	s_movk_i32 s0, 0x7fff
	s_mov_b64 s[30:31], -1
	v_bfe_u32 v5, v1, 16, 1
	v_add3_u32 v1, v1, v5, s0
	global_store_short_d16_hi v[2:3], v1, off
	s_mov_b64 s[0:1], 0
.LBB70_710:
	s_mov_b64 s[36:37], 0
.LBB70_711:
	s_and_b64 vcc, exec, s[36:37]
	s_cbranch_vccz .LBB70_714
; %bb.712:
	s_cmp_eq_u32 s41, 11
	s_mov_b64 s[0:1], -1
	s_cbranch_scc0 .LBB70_714
; %bb.713:
	v_cmp_ne_u32_e32 vcc, 0, v0
	v_cndmask_b32_e64 v1, 0, 1, vcc
	s_mov_b64 s[30:31], -1
	s_mov_b64 s[0:1], 0
	global_store_byte v[2:3], v1, off
.LBB70_714:
	s_mov_b64 s[36:37], 0
.LBB70_715:
	s_and_b64 vcc, exec, s[36:37]
	s_cbranch_vccz .LBB70_754
; %bb.716:
	s_and_b32 s36, 0xffff, s40
	s_cmp_lt_i32 s36, 5
	s_mov_b64 s[30:31], -1
	s_cbranch_scc1 .LBB70_737
; %bb.717:
	s_cmp_lt_i32 s36, 8
	s_cbranch_scc1 .LBB70_727
; %bb.718:
	s_cmp_lt_i32 s36, 9
	s_cbranch_scc1 .LBB70_724
; %bb.719:
	s_cmp_gt_i32 s36, 9
	s_cbranch_scc0 .LBB70_721
; %bb.720:
	v_cvt_f64_i32_e32 v[5:6], v0
	v_mov_b32_e32 v7, 0
	v_mov_b32_e32 v8, v7
	s_mov_b64 s[30:31], 0
	global_store_dwordx4 v[2:3], v[5:8], off
.LBB70_721:
	s_andn2_b64 vcc, exec, s[30:31]
	s_cbranch_vccnz .LBB70_723
; %bb.722:
	v_cvt_f32_i32_e32 v5, v0
	v_mov_b32_e32 v6, 0
	global_store_dwordx2 v[2:3], v[5:6], off
.LBB70_723:
	s_mov_b64 s[30:31], 0
.LBB70_724:
	s_andn2_b64 vcc, exec, s[30:31]
	s_cbranch_vccnz .LBB70_726
; %bb.725:
	v_cvt_f32_i32_e32 v1, v0
	v_cvt_f16_f32_e32 v1, v1
	global_store_dword v[2:3], v1, off
.LBB70_726:
	s_mov_b64 s[30:31], 0
.LBB70_727:
	s_andn2_b64 vcc, exec, s[30:31]
	s_cbranch_vccnz .LBB70_736
; %bb.728:
	s_cmp_lt_i32 s36, 6
	s_mov_b64 s[30:31], -1
	s_cbranch_scc1 .LBB70_734
; %bb.729:
	s_cmp_gt_i32 s36, 6
	s_cbranch_scc0 .LBB70_731
; %bb.730:
	v_cvt_f64_i32_e32 v[5:6], v0
	s_mov_b64 s[30:31], 0
	global_store_dwordx2 v[2:3], v[5:6], off
.LBB70_731:
	s_andn2_b64 vcc, exec, s[30:31]
	s_cbranch_vccnz .LBB70_733
; %bb.732:
	v_cvt_f32_i32_e32 v1, v0
	global_store_dword v[2:3], v1, off
.LBB70_733:
	s_mov_b64 s[30:31], 0
.LBB70_734:
	s_andn2_b64 vcc, exec, s[30:31]
	s_cbranch_vccnz .LBB70_736
; %bb.735:
	v_cvt_f32_i32_e32 v1, v0
	v_cvt_f16_f32_e32 v1, v1
	global_store_short v[2:3], v1, off
.LBB70_736:
	s_mov_b64 s[30:31], 0
.LBB70_737:
	s_andn2_b64 vcc, exec, s[30:31]
	s_cbranch_vccnz .LBB70_753
; %bb.738:
	s_cmp_lt_i32 s36, 2
	s_mov_b64 s[30:31], -1
	s_cbranch_scc1 .LBB70_748
; %bb.739:
	s_cmp_lt_i32 s36, 3
	s_cbranch_scc1 .LBB70_745
; %bb.740:
	s_cmp_gt_i32 s36, 3
	s_cbranch_scc0 .LBB70_742
; %bb.741:
	v_ashrrev_i32_e32 v1, 31, v0
	s_mov_b64 s[30:31], 0
	global_store_dwordx2 v[2:3], v[0:1], off
.LBB70_742:
	s_andn2_b64 vcc, exec, s[30:31]
	s_cbranch_vccnz .LBB70_744
; %bb.743:
	global_store_dword v[2:3], v0, off
.LBB70_744:
	s_mov_b64 s[30:31], 0
.LBB70_745:
	s_andn2_b64 vcc, exec, s[30:31]
	s_cbranch_vccnz .LBB70_747
; %bb.746:
	global_store_short v[2:3], v0, off
.LBB70_747:
	s_mov_b64 s[30:31], 0
.LBB70_748:
	s_andn2_b64 vcc, exec, s[30:31]
	s_cbranch_vccnz .LBB70_753
; %bb.749:
	s_cmp_gt_i32 s36, 0
	s_mov_b64 s[30:31], -1
	s_cbranch_scc0 .LBB70_751
; %bb.750:
	s_mov_b64 s[30:31], 0
	global_store_byte v[2:3], v0, off
.LBB70_751:
	s_andn2_b64 vcc, exec, s[30:31]
	s_cbranch_vccnz .LBB70_753
; %bb.752:
	global_store_byte v[2:3], v0, off
.LBB70_753:
	s_mov_b64 s[30:31], -1
.LBB70_754:
	s_andn2_b64 vcc, exec, s[30:31]
	s_cbranch_vccnz .LBB70_767
; %bb.755:
	v_add_u32_e32 v4, 0x80, v4
	s_mov_b64 s[36:37], -1
.LBB70_756:
	s_andn2_b64 s[30:31], s[18:19], exec
	s_and_b64 s[0:1], s[0:1], exec
	s_or_b64 s[30:31], s[30:31], s[0:1]
	s_andn2_b64 s[0:1], s[20:21], exec
	s_and_b64 s[28:29], s[28:29], exec
	s_or_b64 s[28:29], s[0:1], s[28:29]
	;; [unrolled: 3-line block ×3, first 2 shown]
	s_orn2_b64 s[0:1], s[36:37], exec
.LBB70_757:
	s_or_b64 exec, exec, s[34:35]
	s_mov_b64 s[36:37], 0
	s_mov_b64 s[38:39], 0
	;; [unrolled: 1-line block ×3, first 2 shown]
                                        ; implicit-def: $sgpr57
                                        ; implicit-def: $vgpr0_vgpr1
                                        ; implicit-def: $vgpr5
	s_and_saveexec_b64 s[34:35], s[0:1]
	s_cbranch_execz .LBB70_1219
; %bb.758:
	v_cmp_gt_i32_e32 vcc, s50, v4
	s_mov_b64 s[48:49], -1
	s_mov_b64 s[0:1], s[26:27]
	s_mov_b64 s[40:41], s[28:29]
	;; [unrolled: 1-line block ×3, first 2 shown]
	s_and_saveexec_b64 s[36:37], vcc
	s_cbranch_execz .LBB70_1138
; %bb.759:
	v_mul_lo_u32 v0, v4, s13
	v_mov_b32_e32 v1, s11
	s_and_b32 s42, s56, 0xff
	s_cmp_lt_i32 s42, 11
	s_waitcnt vmcnt(0)
	v_ashrrev_i32_e32 v2, 31, v0
	v_add_co_u32_e32 v0, vcc, s10, v0
	v_addc_co_u32_e32 v1, vcc, v1, v2, vcc
	s_cbranch_scc1 .LBB70_766
; %bb.760:
	s_and_b32 s43, 0xffff, s42
	s_cmp_gt_i32 s43, 25
	s_cbranch_scc0 .LBB70_768
; %bb.761:
	s_cmp_gt_i32 s43, 28
	s_cbranch_scc0 .LBB70_769
; %bb.762:
	;; [unrolled: 3-line block ×4, first 2 shown]
	s_cmp_eq_u32 s43, 46
	s_mov_b64 s[40:41], 0
	s_cbranch_scc0 .LBB70_774
; %bb.765:
	global_load_dword v2, v[0:1], off
	s_mov_b64 s[0:1], -1
	s_waitcnt vmcnt(0)
	v_lshlrev_b32_e32 v2, 16, v2
	v_cvt_i32_f32_e32 v2, v2
	s_branch .LBB70_775
.LBB70_766:
	s_mov_b64 s[40:41], -1
	s_mov_b64 s[0:1], 0
                                        ; implicit-def: $vgpr2
	s_mov_b64 s[38:39], s[26:27]
	s_branch .LBB70_836
.LBB70_767:
	s_mov_b64 s[36:37], 0
	s_branch .LBB70_518
.LBB70_768:
	s_mov_b64 s[40:41], -1
	s_mov_b64 s[0:1], 0
	s_mov_b64 s[38:39], s[26:27]
                                        ; implicit-def: $vgpr2
	s_branch .LBB70_802
.LBB70_769:
	s_mov_b64 s[40:41], -1
	s_mov_b64 s[0:1], 0
	s_mov_b64 s[38:39], s[26:27]
                                        ; implicit-def: $vgpr2
	s_branch .LBB70_785
.LBB70_770:
	s_mov_b64 s[40:41], -1
	s_mov_b64 s[0:1], 0
	s_mov_b64 s[38:39], s[26:27]
                                        ; implicit-def: $vgpr2
	s_branch .LBB70_780
.LBB70_771:
	s_mov_b64 s[40:41], -1
	s_mov_b64 s[0:1], 0
	s_mov_b64 s[38:39], s[26:27]
                                        ; implicit-def: $vgpr2
	s_branch .LBB70_775
.LBB70_772:
	s_andn2_saveexec_b64 s[38:39], s[38:39]
	s_cbranch_execz .LBB70_667
.LBB70_773:
	s_mov_b32 s42, 0x46000000
	v_add_f32_e64 v5, |v1|, s42
	v_and_b32_e32 v5, 0xff, v5
	v_cmp_ne_u32_e32 vcc, 0, v5
	s_andn2_b64 s[36:37], s[36:37], exec
	s_and_b64 s[42:43], vcc, exec
	s_or_b64 s[36:37], s[36:37], s[42:43]
	s_or_b64 exec, exec, s[38:39]
	v_mov_b32_e32 v6, 0
	s_and_saveexec_b64 s[38:39], s[36:37]
	s_cbranch_execnz .LBB70_668
	s_branch .LBB70_669
.LBB70_774:
	s_mov_b64 s[38:39], -1
                                        ; implicit-def: $vgpr2
	s_mov_b64 s[0:1], 0
.LBB70_775:
	s_and_b64 vcc, exec, s[40:41]
	s_cbranch_vccz .LBB70_779
; %bb.776:
	s_cmp_eq_u32 s43, 44
	s_cbranch_scc0 .LBB70_778
; %bb.777:
	global_load_ubyte v2, v[0:1], off
	s_mov_b64 s[0:1], -1
	s_mov_b64 s[38:39], 0
	s_waitcnt vmcnt(0)
	v_lshlrev_b32_e32 v3, 23, v2
	v_cvt_i32_f32_e32 v3, v3
	v_cmp_ne_u32_e32 vcc, 0, v2
	v_cndmask_b32_e32 v2, 0, v3, vcc
	s_branch .LBB70_779
.LBB70_778:
	s_mov_b64 s[38:39], -1
                                        ; implicit-def: $vgpr2
.LBB70_779:
	s_mov_b64 s[40:41], 0
.LBB70_780:
	s_and_b64 vcc, exec, s[40:41]
	s_cbranch_vccz .LBB70_784
; %bb.781:
	s_cmp_eq_u32 s43, 29
	s_cbranch_scc0 .LBB70_783
; %bb.782:
	global_load_dword v2, v[0:1], off
	s_mov_b64 s[0:1], -1
	s_mov_b64 s[38:39], 0
	s_branch .LBB70_784
.LBB70_783:
	s_mov_b64 s[38:39], -1
                                        ; implicit-def: $vgpr2
.LBB70_784:
	s_mov_b64 s[40:41], 0
.LBB70_785:
	s_and_b64 vcc, exec, s[40:41]
	s_cbranch_vccz .LBB70_801
; %bb.786:
	s_cmp_lt_i32 s43, 27
	s_cbranch_scc1 .LBB70_789
; %bb.787:
	s_cmp_gt_i32 s43, 27
	s_cbranch_scc0 .LBB70_790
; %bb.788:
	global_load_dword v2, v[0:1], off
	s_mov_b64 s[0:1], 0
	s_branch .LBB70_791
.LBB70_789:
	s_mov_b64 s[0:1], -1
                                        ; implicit-def: $vgpr2
	s_branch .LBB70_794
.LBB70_790:
	s_mov_b64 s[0:1], -1
                                        ; implicit-def: $vgpr2
.LBB70_791:
	s_andn2_b64 vcc, exec, s[0:1]
	s_cbranch_vccnz .LBB70_793
; %bb.792:
	global_load_ushort v2, v[0:1], off
.LBB70_793:
	s_mov_b64 s[0:1], 0
.LBB70_794:
	s_andn2_b64 vcc, exec, s[0:1]
	s_cbranch_vccnz .LBB70_800
; %bb.795:
	global_load_ubyte v3, v[0:1], off
	s_movk_i32 s0, 0x7f
	s_mov_b64 s[40:41], 0
	s_waitcnt vmcnt(0)
	v_cmp_lt_i16_e32 vcc, s0, v3
	s_and_saveexec_b64 s[0:1], vcc
	s_xor_b64 s[0:1], exec, s[0:1]
	s_cbranch_execz .LBB70_812
; %bb.796:
	s_movk_i32 s40, 0x80
	v_cmp_ne_u16_e32 vcc, s40, v3
	s_and_b64 s[40:41], vcc, exec
	s_andn2_saveexec_b64 s[0:1], s[0:1]
	s_cbranch_execnz .LBB70_813
.LBB70_797:
	s_or_b64 exec, exec, s[0:1]
	v_mov_b32_e32 v2, 0
	s_and_saveexec_b64 s[0:1], s[40:41]
	s_cbranch_execz .LBB70_799
.LBB70_798:
	v_lshlrev_b32_e32 v2, 24, v3
	v_and_b32_e32 v3, 0xffff, v3
	v_and_b32_e32 v5, 7, v3
	v_ffbh_u32_e32 v7, v5
	v_min_u32_e32 v7, 32, v7
	v_subrev_u32_e32 v8, 28, v7
	v_bfe_u32 v6, v3, 3, 4
	v_lshlrev_b32_e32 v3, v8, v3
	v_sub_u32_e32 v7, 29, v7
	v_and_b32_e32 v3, 7, v3
	v_cmp_eq_u32_e32 vcc, 0, v6
	v_cndmask_b32_e32 v6, v6, v7, vcc
	v_cndmask_b32_e32 v3, v5, v3, vcc
	v_mov_b32_e32 v5, 0x3b800000
	v_lshlrev_b32_e32 v3, 20, v3
	v_and_b32_e32 v2, 0x80000000, v2
	v_lshl_add_u32 v5, v6, 23, v5
	v_or3_b32 v2, v2, v5, v3
	v_cvt_i32_f32_e32 v2, v2
.LBB70_799:
	s_or_b64 exec, exec, s[0:1]
.LBB70_800:
	s_mov_b64 s[0:1], -1
.LBB70_801:
	s_mov_b64 s[40:41], 0
.LBB70_802:
	s_and_b64 vcc, exec, s[40:41]
	s_cbranch_vccz .LBB70_835
; %bb.803:
	s_cmp_gt_i32 s43, 22
	s_cbranch_scc0 .LBB70_811
; %bb.804:
	s_cmp_lt_i32 s43, 24
	s_cbranch_scc1 .LBB70_814
; %bb.805:
	s_cmp_gt_i32 s43, 24
	s_cbranch_scc0 .LBB70_815
; %bb.806:
	global_load_ubyte v3, v[0:1], off
	s_movk_i32 s0, 0x7f
	s_mov_b64 s[40:41], 0
	s_waitcnt vmcnt(0)
	v_cmp_lt_i16_e32 vcc, s0, v3
	s_and_saveexec_b64 s[0:1], vcc
	s_xor_b64 s[0:1], exec, s[0:1]
	s_cbranch_execz .LBB70_827
; %bb.807:
	s_movk_i32 s40, 0x80
	v_cmp_ne_u16_e32 vcc, s40, v3
	s_and_b64 s[40:41], vcc, exec
	s_andn2_saveexec_b64 s[0:1], s[0:1]
	s_cbranch_execnz .LBB70_828
.LBB70_808:
	s_or_b64 exec, exec, s[0:1]
	v_mov_b32_e32 v2, 0
	s_and_saveexec_b64 s[0:1], s[40:41]
	s_cbranch_execz .LBB70_810
.LBB70_809:
	v_lshlrev_b32_e32 v2, 24, v3
	v_and_b32_e32 v3, 0xffff, v3
	v_and_b32_e32 v5, 3, v3
	v_ffbh_u32_e32 v7, v5
	v_min_u32_e32 v7, 32, v7
	v_subrev_u32_e32 v8, 29, v7
	v_bfe_u32 v6, v3, 2, 5
	v_lshlrev_b32_e32 v3, v8, v3
	v_sub_u32_e32 v7, 30, v7
	v_and_b32_e32 v3, 3, v3
	v_cmp_eq_u32_e32 vcc, 0, v6
	v_cndmask_b32_e32 v6, v6, v7, vcc
	v_cndmask_b32_e32 v3, v5, v3, vcc
	v_mov_b32_e32 v5, 0x37800000
	v_lshlrev_b32_e32 v3, 21, v3
	v_and_b32_e32 v2, 0x80000000, v2
	v_lshl_add_u32 v5, v6, 23, v5
	v_or3_b32 v2, v2, v5, v3
	v_cvt_i32_f32_e32 v2, v2
.LBB70_810:
	s_or_b64 exec, exec, s[0:1]
	s_mov_b64 s[0:1], 0
	s_branch .LBB70_816
.LBB70_811:
	s_mov_b64 s[40:41], -1
                                        ; implicit-def: $vgpr2
	s_branch .LBB70_822
.LBB70_812:
	s_andn2_saveexec_b64 s[0:1], s[0:1]
	s_cbranch_execz .LBB70_797
.LBB70_813:
	v_cmp_ne_u16_e32 vcc, 0, v3
	s_andn2_b64 s[40:41], s[40:41], exec
	s_and_b64 s[44:45], vcc, exec
	s_or_b64 s[40:41], s[40:41], s[44:45]
	s_or_b64 exec, exec, s[0:1]
	v_mov_b32_e32 v2, 0
	s_and_saveexec_b64 s[0:1], s[40:41]
	s_cbranch_execnz .LBB70_798
	s_branch .LBB70_799
.LBB70_814:
	s_mov_b64 s[0:1], -1
                                        ; implicit-def: $vgpr2
	s_branch .LBB70_819
.LBB70_815:
	s_mov_b64 s[0:1], -1
                                        ; implicit-def: $vgpr2
.LBB70_816:
	s_and_b64 vcc, exec, s[0:1]
	s_cbranch_vccz .LBB70_818
; %bb.817:
	global_load_ubyte v2, v[0:1], off
	s_mov_b32 s0, 0x7f800000
	s_waitcnt vmcnt(0)
	v_lshlrev_b32_e32 v2, 24, v2
	v_and_b32_e32 v3, 0x7f000000, v2
	v_ffbh_u32_e32 v5, v3
	v_min_u32_e32 v5, 32, v5
	v_sub_u32_e64 v5, v5, 4 clamp
	v_lshlrev_b32_e32 v7, v5, v3
	v_lshlrev_b32_e32 v5, 23, v5
	v_lshrrev_b32_e32 v7, 4, v7
	v_add_u32_e32 v6, 0x1000000, v3
	v_sub_u32_e32 v5, v7, v5
	v_ashrrev_i32_e32 v6, 8, v6
	v_add_u32_e32 v5, 0x3c000000, v5
	v_and_or_b32 v5, v6, s0, v5
	v_cmp_ne_u32_e32 vcc, 0, v3
	v_cndmask_b32_e32 v3, 0, v5, vcc
	s_brev_b32 s0, 1
	v_and_or_b32 v2, v2, s0, v3
	v_cvt_i32_f32_e32 v2, v2
.LBB70_818:
	s_mov_b64 s[0:1], 0
.LBB70_819:
	s_andn2_b64 vcc, exec, s[0:1]
	s_cbranch_vccnz .LBB70_821
; %bb.820:
	global_load_ubyte v2, v[0:1], off
	s_movk_i32 s0, 0x7f00
	s_brev_b32 s1, 16
	s_waitcnt vmcnt(0)
	v_lshlrev_b16_e32 v3, 8, v2
	v_lshlrev_b32_e32 v2, 25, v2
	v_lshrrev_b32_e32 v5, 4, v2
	v_and_or_b32 v6, v3, s0, 0.5
	v_or_b32_e32 v5, 0x70000000, v5
	v_add_f32_e32 v6, -0.5, v6
	v_mul_f32_e32 v5, 0x7800000, v5
	v_cmp_gt_u32_e32 vcc, s1, v2
	v_bfe_i32 v3, v3, 0, 16
	v_cndmask_b32_e32 v2, v5, v6, vcc
	s_brev_b32 s0, 1
	v_and_or_b32 v2, v3, s0, v2
	v_cvt_i32_f32_e32 v2, v2
.LBB70_821:
	s_mov_b64 s[40:41], 0
	s_mov_b64 s[0:1], -1
.LBB70_822:
	s_andn2_b64 vcc, exec, s[40:41]
	s_cbranch_vccnz .LBB70_835
; %bb.823:
	s_cmp_gt_i32 s43, 14
	s_cbranch_scc0 .LBB70_826
; %bb.824:
	s_cmp_eq_u32 s43, 15
	s_cbranch_scc0 .LBB70_829
; %bb.825:
	global_load_ushort v2, v[0:1], off
	s_mov_b64 s[0:1], -1
	s_mov_b64 s[38:39], 0
	s_waitcnt vmcnt(0)
	v_lshlrev_b32_e32 v2, 16, v2
	v_cvt_i32_f32_e32 v2, v2
	s_branch .LBB70_830
.LBB70_826:
	s_mov_b64 s[40:41], -1
                                        ; implicit-def: $vgpr2
	s_branch .LBB70_831
.LBB70_827:
	s_andn2_saveexec_b64 s[0:1], s[0:1]
	s_cbranch_execz .LBB70_808
.LBB70_828:
	v_cmp_ne_u16_e32 vcc, 0, v3
	s_andn2_b64 s[40:41], s[40:41], exec
	s_and_b64 s[44:45], vcc, exec
	s_or_b64 s[40:41], s[40:41], s[44:45]
	s_or_b64 exec, exec, s[0:1]
	v_mov_b32_e32 v2, 0
	s_and_saveexec_b64 s[0:1], s[40:41]
	s_cbranch_execnz .LBB70_809
	s_branch .LBB70_810
.LBB70_829:
	s_mov_b64 s[38:39], -1
                                        ; implicit-def: $vgpr2
.LBB70_830:
	s_mov_b64 s[40:41], 0
.LBB70_831:
	s_and_b64 vcc, exec, s[40:41]
	s_cbranch_vccz .LBB70_835
; %bb.832:
	s_cmp_eq_u32 s43, 11
	s_cbranch_scc0 .LBB70_834
; %bb.833:
	global_load_ubyte v2, v[0:1], off
	s_mov_b64 s[0:1], -1
	s_mov_b64 s[38:39], 0
	s_waitcnt vmcnt(0)
	v_cmp_ne_u16_e32 vcc, 0, v2
	v_cndmask_b32_e64 v2, 0, 1, vcc
	s_branch .LBB70_835
.LBB70_834:
	s_mov_b64 s[38:39], -1
                                        ; implicit-def: $vgpr2
.LBB70_835:
	s_mov_b64 s[40:41], 0
.LBB70_836:
	s_and_b64 vcc, exec, s[40:41]
	s_cbranch_vccz .LBB70_885
; %bb.837:
	s_and_b32 s40, 0xffff, s42
	s_cmp_lt_i32 s40, 5
	s_cbranch_scc1 .LBB70_842
; %bb.838:
	s_cmp_lt_i32 s40, 8
	s_cbranch_scc1 .LBB70_843
; %bb.839:
	;; [unrolled: 3-line block ×3, first 2 shown]
	s_cmp_gt_i32 s40, 9
	s_cbranch_scc0 .LBB70_845
; %bb.841:
	global_load_dwordx2 v[2:3], v[0:1], off
	s_mov_b64 s[0:1], 0
	s_waitcnt vmcnt(0)
	v_cvt_i32_f64_e32 v2, v[2:3]
	s_branch .LBB70_846
.LBB70_842:
	s_mov_b64 s[0:1], -1
                                        ; implicit-def: $vgpr2
	s_branch .LBB70_864
.LBB70_843:
	s_mov_b64 s[0:1], -1
                                        ; implicit-def: $vgpr2
	s_branch .LBB70_852
.LBB70_844:
	s_mov_b64 s[0:1], -1
                                        ; implicit-def: $vgpr2
	s_branch .LBB70_849
.LBB70_845:
	s_mov_b64 s[0:1], -1
                                        ; implicit-def: $vgpr2
.LBB70_846:
	s_andn2_b64 vcc, exec, s[0:1]
	s_cbranch_vccnz .LBB70_848
; %bb.847:
	global_load_dword v2, v[0:1], off
	s_waitcnt vmcnt(0)
	v_cvt_i32_f32_e32 v2, v2
.LBB70_848:
	s_mov_b64 s[0:1], 0
.LBB70_849:
	s_andn2_b64 vcc, exec, s[0:1]
	s_cbranch_vccnz .LBB70_851
; %bb.850:
	global_load_dword v2, v[0:1], off
	s_waitcnt vmcnt(0)
	v_cvt_f32_f16_e32 v2, v2
	v_cvt_i32_f32_e32 v2, v2
.LBB70_851:
	s_mov_b64 s[0:1], 0
.LBB70_852:
	s_andn2_b64 vcc, exec, s[0:1]
	s_cbranch_vccnz .LBB70_863
; %bb.853:
	s_cmp_lt_i32 s40, 6
	s_cbranch_scc1 .LBB70_856
; %bb.854:
	s_cmp_gt_i32 s40, 6
	s_cbranch_scc0 .LBB70_857
; %bb.855:
	global_load_dwordx2 v[2:3], v[0:1], off
	s_mov_b64 s[0:1], 0
	s_waitcnt vmcnt(0)
	v_cvt_i32_f64_e32 v2, v[2:3]
	s_branch .LBB70_858
.LBB70_856:
	s_mov_b64 s[0:1], -1
                                        ; implicit-def: $vgpr2
	s_branch .LBB70_861
.LBB70_857:
	s_mov_b64 s[0:1], -1
                                        ; implicit-def: $vgpr2
.LBB70_858:
	s_andn2_b64 vcc, exec, s[0:1]
	s_cbranch_vccnz .LBB70_860
; %bb.859:
	global_load_dword v2, v[0:1], off
	s_waitcnt vmcnt(0)
	v_cvt_i32_f32_e32 v2, v2
.LBB70_860:
	s_mov_b64 s[0:1], 0
.LBB70_861:
	s_andn2_b64 vcc, exec, s[0:1]
	s_cbranch_vccnz .LBB70_863
; %bb.862:
	global_load_ushort v2, v[0:1], off
	s_waitcnt vmcnt(0)
	v_cvt_f32_f16_e32 v2, v2
	v_cvt_i32_f32_e32 v2, v2
.LBB70_863:
	s_mov_b64 s[0:1], 0
.LBB70_864:
	s_andn2_b64 vcc, exec, s[0:1]
	s_cbranch_vccnz .LBB70_884
; %bb.865:
	s_cmp_lt_i32 s40, 2
	s_cbranch_scc1 .LBB70_869
; %bb.866:
	s_cmp_lt_i32 s40, 3
	s_cbranch_scc1 .LBB70_870
; %bb.867:
	s_cmp_gt_i32 s40, 3
	s_cbranch_scc0 .LBB70_871
; %bb.868:
	global_load_dword v2, v[0:1], off
	s_mov_b64 s[0:1], 0
	s_branch .LBB70_872
.LBB70_869:
	s_mov_b64 s[0:1], -1
                                        ; implicit-def: $vgpr2
	s_branch .LBB70_878
.LBB70_870:
	s_mov_b64 s[0:1], -1
                                        ; implicit-def: $vgpr2
	s_branch .LBB70_875
.LBB70_871:
	s_mov_b64 s[0:1], -1
                                        ; implicit-def: $vgpr2
.LBB70_872:
	s_andn2_b64 vcc, exec, s[0:1]
	s_cbranch_vccnz .LBB70_874
; %bb.873:
	global_load_dword v2, v[0:1], off
.LBB70_874:
	s_mov_b64 s[0:1], 0
.LBB70_875:
	s_andn2_b64 vcc, exec, s[0:1]
	s_cbranch_vccnz .LBB70_877
; %bb.876:
	global_load_sshort v2, v[0:1], off
.LBB70_877:
	s_mov_b64 s[0:1], 0
.LBB70_878:
	s_andn2_b64 vcc, exec, s[0:1]
	s_cbranch_vccnz .LBB70_884
; %bb.879:
	s_cmp_gt_i32 s40, 0
	s_cbranch_scc0 .LBB70_881
; %bb.880:
	global_load_sbyte v2, v[0:1], off
	s_mov_b64 s[0:1], 0
	s_branch .LBB70_882
.LBB70_881:
	s_mov_b64 s[0:1], -1
                                        ; implicit-def: $vgpr2
.LBB70_882:
	s_andn2_b64 vcc, exec, s[0:1]
	s_cbranch_vccnz .LBB70_884
; %bb.883:
	global_load_ubyte v2, v[0:1], off
.LBB70_884:
	s_mov_b64 s[0:1], -1
.LBB70_885:
	s_andn2_b64 vcc, exec, s[0:1]
	s_cbranch_vccnz .LBB70_893
; %bb.886:
	v_mul_lo_u32 v0, v4, s14
	v_mov_b32_e32 v1, s17
	s_and_b32 s44, s33, 0xff
	s_cmp_lt_i32 s44, 11
	v_ashrrev_i32_e32 v3, 31, v0
	v_add_co_u32_e32 v0, vcc, s16, v0
	v_addc_co_u32_e32 v1, vcc, v1, v3, vcc
	s_cbranch_scc1 .LBB70_895
; %bb.887:
	s_and_b32 s45, 0xffff, s44
	s_cmp_gt_i32 s45, 25
	s_cbranch_scc0 .LBB70_896
; %bb.888:
	s_cmp_gt_i32 s45, 28
	s_cbranch_scc0 .LBB70_897
; %bb.889:
	;; [unrolled: 3-line block ×4, first 2 shown]
	s_cmp_eq_u32 s45, 46
	s_mov_b64 s[42:43], 0
	s_cbranch_scc0 .LBB70_902
; %bb.892:
	global_load_dword v3, v[0:1], off
	s_mov_b64 s[0:1], -1
	s_mov_b64 s[40:41], 0
	s_waitcnt vmcnt(0)
	v_lshlrev_b32_e32 v3, 16, v3
	v_cvt_i32_f32_e32 v3, v3
	s_branch .LBB70_903
.LBB70_893:
	s_mov_b64 s[44:45], 0
	s_mov_b64 s[0:1], s[30:31]
	;; [unrolled: 1-line block ×3, first 2 shown]
.LBB70_894:
                                        ; implicit-def: $vgpr4
	s_branch .LBB70_1137
.LBB70_895:
	s_mov_b64 s[42:43], -1
	s_mov_b64 s[0:1], 0
                                        ; implicit-def: $vgpr3
	s_mov_b64 s[40:41], s[28:29]
	s_branch .LBB70_964
.LBB70_896:
	s_mov_b64 s[42:43], -1
	s_mov_b64 s[0:1], 0
	s_mov_b64 s[40:41], s[28:29]
                                        ; implicit-def: $vgpr3
	s_branch .LBB70_930
.LBB70_897:
	s_mov_b64 s[42:43], -1
	s_mov_b64 s[0:1], 0
	s_mov_b64 s[40:41], s[28:29]
                                        ; implicit-def: $vgpr3
	s_branch .LBB70_913
.LBB70_898:
	s_mov_b64 s[42:43], -1
	s_mov_b64 s[0:1], 0
	s_mov_b64 s[40:41], s[28:29]
                                        ; implicit-def: $vgpr3
	s_branch .LBB70_908
.LBB70_899:
	s_mov_b64 s[42:43], -1
	s_mov_b64 s[0:1], 0
	s_mov_b64 s[40:41], s[28:29]
                                        ; implicit-def: $vgpr3
	s_branch .LBB70_903
.LBB70_900:
	s_andn2_saveexec_b64 s[38:39], s[38:39]
	s_cbranch_execz .LBB70_680
.LBB70_901:
	s_mov_b32 s42, 0x42800000
	v_add_f32_e64 v5, |v1|, s42
	v_and_b32_e32 v5, 0xff, v5
	v_cmp_ne_u32_e32 vcc, 0, v5
	s_andn2_b64 s[36:37], s[36:37], exec
	s_and_b64 s[42:43], vcc, exec
	s_or_b64 s[36:37], s[36:37], s[42:43]
	s_or_b64 exec, exec, s[38:39]
	v_mov_b32_e32 v6, 0
	s_and_saveexec_b64 s[38:39], s[36:37]
	s_cbranch_execnz .LBB70_681
	s_branch .LBB70_682
.LBB70_902:
	s_mov_b64 s[40:41], -1
                                        ; implicit-def: $vgpr3
	s_mov_b64 s[0:1], 0
.LBB70_903:
	s_and_b64 vcc, exec, s[42:43]
	s_cbranch_vccz .LBB70_907
; %bb.904:
	s_cmp_eq_u32 s45, 44
	s_cbranch_scc0 .LBB70_906
; %bb.905:
	global_load_ubyte v3, v[0:1], off
	s_mov_b64 s[0:1], -1
	s_mov_b64 s[40:41], 0
	s_waitcnt vmcnt(0)
	v_lshlrev_b32_e32 v5, 23, v3
	v_cvt_i32_f32_e32 v5, v5
	v_cmp_ne_u32_e32 vcc, 0, v3
	v_cndmask_b32_e32 v3, 0, v5, vcc
	s_branch .LBB70_907
.LBB70_906:
	s_mov_b64 s[40:41], -1
                                        ; implicit-def: $vgpr3
.LBB70_907:
	s_mov_b64 s[42:43], 0
.LBB70_908:
	s_and_b64 vcc, exec, s[42:43]
	s_cbranch_vccz .LBB70_912
; %bb.909:
	s_cmp_eq_u32 s45, 29
	s_cbranch_scc0 .LBB70_911
; %bb.910:
	global_load_dword v3, v[0:1], off
	s_mov_b64 s[0:1], -1
	s_mov_b64 s[40:41], 0
	s_branch .LBB70_912
.LBB70_911:
	s_mov_b64 s[40:41], -1
                                        ; implicit-def: $vgpr3
.LBB70_912:
	s_mov_b64 s[42:43], 0
.LBB70_913:
	s_and_b64 vcc, exec, s[42:43]
	s_cbranch_vccz .LBB70_929
; %bb.914:
	s_cmp_lt_i32 s45, 27
	s_cbranch_scc1 .LBB70_917
; %bb.915:
	s_cmp_gt_i32 s45, 27
	s_cbranch_scc0 .LBB70_918
; %bb.916:
	global_load_dword v3, v[0:1], off
	s_mov_b64 s[0:1], 0
	s_branch .LBB70_919
.LBB70_917:
	s_mov_b64 s[0:1], -1
                                        ; implicit-def: $vgpr3
	s_branch .LBB70_922
.LBB70_918:
	s_mov_b64 s[0:1], -1
                                        ; implicit-def: $vgpr3
.LBB70_919:
	s_andn2_b64 vcc, exec, s[0:1]
	s_cbranch_vccnz .LBB70_921
; %bb.920:
	global_load_ushort v3, v[0:1], off
.LBB70_921:
	s_mov_b64 s[0:1], 0
.LBB70_922:
	s_andn2_b64 vcc, exec, s[0:1]
	s_cbranch_vccnz .LBB70_928
; %bb.923:
	global_load_ubyte v5, v[0:1], off
	s_movk_i32 s0, 0x7f
	s_mov_b64 s[42:43], 0
	s_waitcnt vmcnt(0)
	v_cmp_lt_i16_e32 vcc, s0, v5
	s_and_saveexec_b64 s[0:1], vcc
	s_xor_b64 s[0:1], exec, s[0:1]
	s_cbranch_execz .LBB70_940
; %bb.924:
	s_movk_i32 s42, 0x80
	v_cmp_ne_u16_e32 vcc, s42, v5
	s_and_b64 s[42:43], vcc, exec
	s_andn2_saveexec_b64 s[0:1], s[0:1]
	s_cbranch_execnz .LBB70_941
.LBB70_925:
	s_or_b64 exec, exec, s[0:1]
	v_mov_b32_e32 v3, 0
	s_and_saveexec_b64 s[0:1], s[42:43]
	s_cbranch_execz .LBB70_927
.LBB70_926:
	v_lshlrev_b32_e32 v3, 24, v5
	v_and_b32_e32 v5, 0xffff, v5
	v_and_b32_e32 v6, 7, v5
	v_ffbh_u32_e32 v8, v6
	v_min_u32_e32 v8, 32, v8
	v_subrev_u32_e32 v9, 28, v8
	v_bfe_u32 v7, v5, 3, 4
	v_lshlrev_b32_e32 v5, v9, v5
	v_sub_u32_e32 v8, 29, v8
	v_and_b32_e32 v5, 7, v5
	v_cmp_eq_u32_e32 vcc, 0, v7
	v_cndmask_b32_e32 v7, v7, v8, vcc
	v_cndmask_b32_e32 v5, v6, v5, vcc
	v_mov_b32_e32 v6, 0x3b800000
	v_lshlrev_b32_e32 v5, 20, v5
	v_and_b32_e32 v3, 0x80000000, v3
	v_lshl_add_u32 v6, v7, 23, v6
	v_or3_b32 v3, v3, v6, v5
	v_cvt_i32_f32_e32 v3, v3
.LBB70_927:
	s_or_b64 exec, exec, s[0:1]
.LBB70_928:
	s_mov_b64 s[0:1], -1
.LBB70_929:
	s_mov_b64 s[42:43], 0
.LBB70_930:
	s_and_b64 vcc, exec, s[42:43]
	s_cbranch_vccz .LBB70_963
; %bb.931:
	s_cmp_gt_i32 s45, 22
	s_cbranch_scc0 .LBB70_939
; %bb.932:
	s_cmp_lt_i32 s45, 24
	s_cbranch_scc1 .LBB70_942
; %bb.933:
	s_cmp_gt_i32 s45, 24
	s_cbranch_scc0 .LBB70_943
; %bb.934:
	global_load_ubyte v5, v[0:1], off
	s_movk_i32 s0, 0x7f
	s_mov_b64 s[42:43], 0
	s_waitcnt vmcnt(0)
	v_cmp_lt_i16_e32 vcc, s0, v5
	s_and_saveexec_b64 s[0:1], vcc
	s_xor_b64 s[0:1], exec, s[0:1]
	s_cbranch_execz .LBB70_955
; %bb.935:
	s_movk_i32 s42, 0x80
	v_cmp_ne_u16_e32 vcc, s42, v5
	s_and_b64 s[42:43], vcc, exec
	s_andn2_saveexec_b64 s[0:1], s[0:1]
	s_cbranch_execnz .LBB70_956
.LBB70_936:
	s_or_b64 exec, exec, s[0:1]
	v_mov_b32_e32 v3, 0
	s_and_saveexec_b64 s[0:1], s[42:43]
	s_cbranch_execz .LBB70_938
.LBB70_937:
	v_lshlrev_b32_e32 v3, 24, v5
	v_and_b32_e32 v5, 0xffff, v5
	v_and_b32_e32 v6, 3, v5
	v_ffbh_u32_e32 v8, v6
	v_min_u32_e32 v8, 32, v8
	v_subrev_u32_e32 v9, 29, v8
	v_bfe_u32 v7, v5, 2, 5
	v_lshlrev_b32_e32 v5, v9, v5
	v_sub_u32_e32 v8, 30, v8
	v_and_b32_e32 v5, 3, v5
	v_cmp_eq_u32_e32 vcc, 0, v7
	v_cndmask_b32_e32 v7, v7, v8, vcc
	v_cndmask_b32_e32 v5, v6, v5, vcc
	v_mov_b32_e32 v6, 0x37800000
	v_lshlrev_b32_e32 v5, 21, v5
	v_and_b32_e32 v3, 0x80000000, v3
	v_lshl_add_u32 v6, v7, 23, v6
	v_or3_b32 v3, v3, v6, v5
	v_cvt_i32_f32_e32 v3, v3
.LBB70_938:
	s_or_b64 exec, exec, s[0:1]
	s_mov_b64 s[0:1], 0
	s_branch .LBB70_944
.LBB70_939:
	s_mov_b64 s[42:43], -1
                                        ; implicit-def: $vgpr3
	s_branch .LBB70_950
.LBB70_940:
	s_andn2_saveexec_b64 s[0:1], s[0:1]
	s_cbranch_execz .LBB70_925
.LBB70_941:
	v_cmp_ne_u16_e32 vcc, 0, v5
	s_andn2_b64 s[42:43], s[42:43], exec
	s_and_b64 s[46:47], vcc, exec
	s_or_b64 s[42:43], s[42:43], s[46:47]
	s_or_b64 exec, exec, s[0:1]
	v_mov_b32_e32 v3, 0
	s_and_saveexec_b64 s[0:1], s[42:43]
	s_cbranch_execnz .LBB70_926
	s_branch .LBB70_927
.LBB70_942:
	s_mov_b64 s[0:1], -1
                                        ; implicit-def: $vgpr3
	s_branch .LBB70_947
.LBB70_943:
	s_mov_b64 s[0:1], -1
                                        ; implicit-def: $vgpr3
.LBB70_944:
	s_and_b64 vcc, exec, s[0:1]
	s_cbranch_vccz .LBB70_946
; %bb.945:
	global_load_ubyte v3, v[0:1], off
	s_mov_b32 s0, 0x7f800000
	s_waitcnt vmcnt(0)
	v_lshlrev_b32_e32 v3, 24, v3
	v_and_b32_e32 v5, 0x7f000000, v3
	v_ffbh_u32_e32 v6, v5
	v_min_u32_e32 v6, 32, v6
	v_sub_u32_e64 v6, v6, 4 clamp
	v_lshlrev_b32_e32 v8, v6, v5
	v_lshlrev_b32_e32 v6, 23, v6
	v_lshrrev_b32_e32 v8, 4, v8
	v_add_u32_e32 v7, 0x1000000, v5
	v_sub_u32_e32 v6, v8, v6
	v_ashrrev_i32_e32 v7, 8, v7
	v_add_u32_e32 v6, 0x3c000000, v6
	v_and_or_b32 v6, v7, s0, v6
	v_cmp_ne_u32_e32 vcc, 0, v5
	v_cndmask_b32_e32 v5, 0, v6, vcc
	s_brev_b32 s0, 1
	v_and_or_b32 v3, v3, s0, v5
	v_cvt_i32_f32_e32 v3, v3
.LBB70_946:
	s_mov_b64 s[0:1], 0
.LBB70_947:
	s_andn2_b64 vcc, exec, s[0:1]
	s_cbranch_vccnz .LBB70_949
; %bb.948:
	global_load_ubyte v3, v[0:1], off
	s_movk_i32 s0, 0x7f00
	s_brev_b32 s1, 16
	s_waitcnt vmcnt(0)
	v_lshlrev_b16_e32 v5, 8, v3
	v_lshlrev_b32_e32 v3, 25, v3
	v_lshrrev_b32_e32 v6, 4, v3
	v_and_or_b32 v7, v5, s0, 0.5
	v_or_b32_e32 v6, 0x70000000, v6
	v_add_f32_e32 v7, -0.5, v7
	v_mul_f32_e32 v6, 0x7800000, v6
	v_cmp_gt_u32_e32 vcc, s1, v3
	v_bfe_i32 v5, v5, 0, 16
	v_cndmask_b32_e32 v3, v6, v7, vcc
	s_brev_b32 s0, 1
	v_and_or_b32 v3, v5, s0, v3
	v_cvt_i32_f32_e32 v3, v3
.LBB70_949:
	s_mov_b64 s[42:43], 0
	s_mov_b64 s[0:1], -1
.LBB70_950:
	s_andn2_b64 vcc, exec, s[42:43]
	s_cbranch_vccnz .LBB70_963
; %bb.951:
	s_cmp_gt_i32 s45, 14
	s_cbranch_scc0 .LBB70_954
; %bb.952:
	s_cmp_eq_u32 s45, 15
	s_cbranch_scc0 .LBB70_957
; %bb.953:
	global_load_ushort v3, v[0:1], off
	s_mov_b64 s[0:1], -1
	s_mov_b64 s[40:41], 0
	s_waitcnt vmcnt(0)
	v_lshlrev_b32_e32 v3, 16, v3
	v_cvt_i32_f32_e32 v3, v3
	s_branch .LBB70_958
.LBB70_954:
	s_mov_b64 s[42:43], -1
                                        ; implicit-def: $vgpr3
	s_branch .LBB70_959
.LBB70_955:
	s_andn2_saveexec_b64 s[0:1], s[0:1]
	s_cbranch_execz .LBB70_936
.LBB70_956:
	v_cmp_ne_u16_e32 vcc, 0, v5
	s_andn2_b64 s[42:43], s[42:43], exec
	s_and_b64 s[46:47], vcc, exec
	s_or_b64 s[42:43], s[42:43], s[46:47]
	s_or_b64 exec, exec, s[0:1]
	v_mov_b32_e32 v3, 0
	s_and_saveexec_b64 s[0:1], s[42:43]
	s_cbranch_execnz .LBB70_937
	s_branch .LBB70_938
.LBB70_957:
	s_mov_b64 s[40:41], -1
                                        ; implicit-def: $vgpr3
.LBB70_958:
	s_mov_b64 s[42:43], 0
.LBB70_959:
	s_and_b64 vcc, exec, s[42:43]
	s_cbranch_vccz .LBB70_963
; %bb.960:
	s_cmp_eq_u32 s45, 11
	s_cbranch_scc0 .LBB70_962
; %bb.961:
	global_load_ubyte v3, v[0:1], off
	s_mov_b64 s[0:1], -1
	s_mov_b64 s[40:41], 0
	s_waitcnt vmcnt(0)
	v_cmp_ne_u16_e32 vcc, 0, v3
	v_cndmask_b32_e64 v3, 0, 1, vcc
	s_branch .LBB70_963
.LBB70_962:
	s_mov_b64 s[40:41], -1
                                        ; implicit-def: $vgpr3
.LBB70_963:
	s_mov_b64 s[42:43], 0
.LBB70_964:
	s_and_b64 vcc, exec, s[42:43]
	s_cbranch_vccz .LBB70_1013
; %bb.965:
	s_and_b32 s42, 0xffff, s44
	s_cmp_lt_i32 s42, 5
	s_cbranch_scc1 .LBB70_970
; %bb.966:
	s_cmp_lt_i32 s42, 8
	s_cbranch_scc1 .LBB70_971
; %bb.967:
	;; [unrolled: 3-line block ×3, first 2 shown]
	s_cmp_gt_i32 s42, 9
	s_cbranch_scc0 .LBB70_973
; %bb.969:
	global_load_dwordx2 v[5:6], v[0:1], off
	s_mov_b64 s[0:1], 0
	s_waitcnt vmcnt(0)
	v_cvt_i32_f64_e32 v3, v[5:6]
	s_branch .LBB70_974
.LBB70_970:
	s_mov_b64 s[0:1], -1
                                        ; implicit-def: $vgpr3
	s_branch .LBB70_992
.LBB70_971:
	s_mov_b64 s[0:1], -1
                                        ; implicit-def: $vgpr3
	s_branch .LBB70_980
.LBB70_972:
	s_mov_b64 s[0:1], -1
                                        ; implicit-def: $vgpr3
	s_branch .LBB70_977
.LBB70_973:
	s_mov_b64 s[0:1], -1
                                        ; implicit-def: $vgpr3
.LBB70_974:
	s_andn2_b64 vcc, exec, s[0:1]
	s_cbranch_vccnz .LBB70_976
; %bb.975:
	global_load_dword v3, v[0:1], off
	s_waitcnt vmcnt(0)
	v_cvt_i32_f32_e32 v3, v3
.LBB70_976:
	s_mov_b64 s[0:1], 0
.LBB70_977:
	s_andn2_b64 vcc, exec, s[0:1]
	s_cbranch_vccnz .LBB70_979
; %bb.978:
	global_load_dword v3, v[0:1], off
	s_waitcnt vmcnt(0)
	v_cvt_f32_f16_e32 v3, v3
	v_cvt_i32_f32_e32 v3, v3
.LBB70_979:
	s_mov_b64 s[0:1], 0
.LBB70_980:
	s_andn2_b64 vcc, exec, s[0:1]
	s_cbranch_vccnz .LBB70_991
; %bb.981:
	s_cmp_lt_i32 s42, 6
	s_cbranch_scc1 .LBB70_984
; %bb.982:
	s_cmp_gt_i32 s42, 6
	s_cbranch_scc0 .LBB70_985
; %bb.983:
	global_load_dwordx2 v[5:6], v[0:1], off
	s_mov_b64 s[0:1], 0
	s_waitcnt vmcnt(0)
	v_cvt_i32_f64_e32 v3, v[5:6]
	s_branch .LBB70_986
.LBB70_984:
	s_mov_b64 s[0:1], -1
                                        ; implicit-def: $vgpr3
	s_branch .LBB70_989
.LBB70_985:
	s_mov_b64 s[0:1], -1
                                        ; implicit-def: $vgpr3
.LBB70_986:
	s_andn2_b64 vcc, exec, s[0:1]
	s_cbranch_vccnz .LBB70_988
; %bb.987:
	global_load_dword v3, v[0:1], off
	s_waitcnt vmcnt(0)
	v_cvt_i32_f32_e32 v3, v3
.LBB70_988:
	s_mov_b64 s[0:1], 0
.LBB70_989:
	s_andn2_b64 vcc, exec, s[0:1]
	s_cbranch_vccnz .LBB70_991
; %bb.990:
	global_load_ushort v3, v[0:1], off
	s_waitcnt vmcnt(0)
	v_cvt_f32_f16_e32 v3, v3
	v_cvt_i32_f32_e32 v3, v3
.LBB70_991:
	s_mov_b64 s[0:1], 0
.LBB70_992:
	s_andn2_b64 vcc, exec, s[0:1]
	s_cbranch_vccnz .LBB70_1012
; %bb.993:
	s_cmp_lt_i32 s42, 2
	s_cbranch_scc1 .LBB70_997
; %bb.994:
	s_cmp_lt_i32 s42, 3
	s_cbranch_scc1 .LBB70_998
; %bb.995:
	s_cmp_gt_i32 s42, 3
	s_cbranch_scc0 .LBB70_999
; %bb.996:
	global_load_dword v3, v[0:1], off
	s_mov_b64 s[0:1], 0
	s_branch .LBB70_1000
.LBB70_997:
	s_mov_b64 s[0:1], -1
                                        ; implicit-def: $vgpr3
	s_branch .LBB70_1006
.LBB70_998:
	s_mov_b64 s[0:1], -1
                                        ; implicit-def: $vgpr3
	s_branch .LBB70_1003
.LBB70_999:
	s_mov_b64 s[0:1], -1
                                        ; implicit-def: $vgpr3
.LBB70_1000:
	s_andn2_b64 vcc, exec, s[0:1]
	s_cbranch_vccnz .LBB70_1002
; %bb.1001:
	global_load_dword v3, v[0:1], off
.LBB70_1002:
	s_mov_b64 s[0:1], 0
.LBB70_1003:
	s_andn2_b64 vcc, exec, s[0:1]
	s_cbranch_vccnz .LBB70_1005
; %bb.1004:
	global_load_sshort v3, v[0:1], off
.LBB70_1005:
	s_mov_b64 s[0:1], 0
.LBB70_1006:
	s_andn2_b64 vcc, exec, s[0:1]
	s_cbranch_vccnz .LBB70_1012
; %bb.1007:
	s_cmp_gt_i32 s42, 0
	s_cbranch_scc0 .LBB70_1009
; %bb.1008:
	global_load_sbyte v3, v[0:1], off
	s_mov_b64 s[0:1], 0
	s_branch .LBB70_1010
.LBB70_1009:
	s_mov_b64 s[0:1], -1
                                        ; implicit-def: $vgpr3
.LBB70_1010:
	s_andn2_b64 vcc, exec, s[0:1]
	s_cbranch_vccnz .LBB70_1012
; %bb.1011:
	global_load_ubyte v3, v[0:1], off
.LBB70_1012:
	s_mov_b64 s[0:1], -1
.LBB70_1013:
	s_andn2_b64 vcc, exec, s[0:1]
	s_cbranch_vccnz .LBB70_1021
; %bb.1014:
	v_mul_lo_u32 v1, v4, s12
	v_mov_b32_e32 v0, s2
	s_waitcnt vmcnt(0)
	v_cmp_lt_i32_e32 vcc, s15, v2
	v_cndmask_b32_e32 v0, v0, v3, vcc
	v_ashrrev_i32_e32 v3, 31, v1
	v_mov_b32_e32 v5, s9
	s_and_b32 s48, s3, 0xff
	v_add_co_u32_e32 v2, vcc, s8, v1
	s_cmp_lt_i32 s48, 11
	v_addc_co_u32_e32 v3, vcc, v5, v3, vcc
	s_cbranch_scc1 .LBB70_1022
; %bb.1015:
	s_and_b32 s49, 0xffff, s48
	s_cmp_gt_i32 s49, 25
	s_cbranch_scc0 .LBB70_1023
; %bb.1016:
	s_cmp_gt_i32 s49, 28
	s_cbranch_scc0 .LBB70_1024
; %bb.1017:
	s_cmp_gt_i32 s49, 43
	s_cbranch_scc0 .LBB70_1025
; %bb.1018:
	s_cmp_gt_i32 s49, 45
	s_cbranch_scc0 .LBB70_1026
; %bb.1019:
	s_mov_b64 s[44:45], 0
	s_mov_b64 s[0:1], -1
	s_cmp_eq_u32 s49, 46
	s_mov_b64 s[42:43], 0
	s_cbranch_scc0 .LBB70_1027
; %bb.1020:
	v_cvt_f32_i32_e32 v1, v0
	s_movk_i32 s0, 0x7fff
	s_mov_b64 s[42:43], -1
	v_bfe_u32 v5, v1, 16, 1
	v_add3_u32 v1, v1, v5, s0
	v_lshrrev_b32_e32 v1, 16, v1
	global_store_dword v[2:3], v1, off
	s_mov_b64 s[0:1], 0
	s_branch .LBB70_1027
.LBB70_1021:
	s_mov_b64 s[44:45], 0
                                        ; implicit-def: $vgpr4
	s_mov_b64 s[0:1], s[30:31]
	s_branch .LBB70_1137
.LBB70_1022:
	s_mov_b64 s[44:45], -1
	s_mov_b64 s[42:43], 0
	s_mov_b64 s[0:1], s[30:31]
	s_branch .LBB70_1096
.LBB70_1023:
	s_mov_b64 s[44:45], -1
	s_mov_b64 s[42:43], 0
	s_mov_b64 s[0:1], s[30:31]
	s_branch .LBB70_1054
.LBB70_1024:
	s_mov_b64 s[44:45], -1
	s_mov_b64 s[42:43], 0
	s_mov_b64 s[0:1], s[30:31]
	s_branch .LBB70_1037
.LBB70_1025:
	s_mov_b64 s[44:45], -1
	s_mov_b64 s[42:43], 0
	s_mov_b64 s[0:1], s[30:31]
	s_branch .LBB70_1033
.LBB70_1026:
	s_mov_b64 s[44:45], -1
	s_mov_b64 s[42:43], 0
	s_mov_b64 s[0:1], s[30:31]
.LBB70_1027:
	s_and_b64 vcc, exec, s[44:45]
	s_cbranch_vccz .LBB70_1032
; %bb.1028:
	s_cmp_eq_u32 s49, 44
	s_mov_b64 s[0:1], -1
	s_cbranch_scc0 .LBB70_1032
; %bb.1029:
	v_cvt_f32_i32_e32 v1, v0
	s_movk_i32 s0, 0xff
	v_mov_b32_e32 v6, 0xff
	v_bfe_u32 v5, v1, 23, 8
	v_cmp_ne_u32_e32 vcc, s0, v5
	s_and_saveexec_b64 s[42:43], vcc
; %bb.1030:
	s_mov_b32 s0, 0x3fffff
	v_lshrrev_b32_e32 v6, 23, v1
	v_and_b32_e32 v7, 0x400000, v1
	v_and_or_b32 v1, v1, s0, v5
	v_cmp_ne_u32_e32 vcc, 0, v7
	v_cmp_ne_u32_e64 s[0:1], 0, v1
	s_and_b64 s[0:1], vcc, s[0:1]
	v_cndmask_b32_e64 v1, 0, 1, s[0:1]
	v_add_u32_e32 v6, v6, v1
; %bb.1031:
	s_or_b64 exec, exec, s[42:43]
	s_mov_b64 s[42:43], -1
	s_mov_b64 s[0:1], 0
	global_store_byte v[2:3], v6, off
.LBB70_1032:
	s_mov_b64 s[44:45], 0
.LBB70_1033:
	s_and_b64 vcc, exec, s[44:45]
	s_cbranch_vccz .LBB70_1036
; %bb.1034:
	s_cmp_eq_u32 s49, 29
	s_mov_b64 s[0:1], -1
	s_cbranch_scc0 .LBB70_1036
; %bb.1035:
	v_ashrrev_i32_e32 v1, 31, v0
	global_store_dwordx2 v[2:3], v[0:1], off
	s_mov_b64 s[42:43], -1
	s_mov_b64 s[0:1], 0
.LBB70_1036:
	s_mov_b64 s[44:45], 0
.LBB70_1037:
	s_and_b64 vcc, exec, s[44:45]
	s_cbranch_vccz .LBB70_1053
; %bb.1038:
	s_cmp_lt_i32 s49, 27
	s_mov_b64 s[42:43], -1
	s_cbranch_scc1 .LBB70_1044
; %bb.1039:
	s_cmp_gt_i32 s49, 27
	s_cbranch_scc0 .LBB70_1041
; %bb.1040:
	s_mov_b64 s[42:43], 0
	global_store_dword v[2:3], v0, off
.LBB70_1041:
	s_andn2_b64 vcc, exec, s[42:43]
	s_cbranch_vccnz .LBB70_1043
; %bb.1042:
	global_store_short v[2:3], v0, off
.LBB70_1043:
	s_mov_b64 s[42:43], 0
.LBB70_1044:
	s_andn2_b64 vcc, exec, s[42:43]
	s_cbranch_vccnz .LBB70_1052
; %bb.1045:
	v_cvt_f32_i32_e32 v1, v0
	s_mov_b32 s42, 0x43800000
	v_mov_b32_e32 v6, 0x80
	v_and_b32_e32 v5, 0x7fffffff, v1
	v_cmp_gt_u32_e32 vcc, s42, v5
	s_and_saveexec_b64 s[42:43], vcc
	s_cbranch_execz .LBB70_1051
; %bb.1046:
	s_mov_b32 s44, 0x3bffffff
	v_cmp_lt_u32_e32 vcc, s44, v5
	s_mov_b64 s[44:45], 0
                                        ; implicit-def: $vgpr5
	s_and_saveexec_b64 s[46:47], vcc
	s_xor_b64 s[46:47], exec, s[46:47]
	s_cbranch_execz .LBB70_1153
; %bb.1047:
	v_bfe_u32 v5, v1, 20, 1
	s_mov_b32 s51, 0x487ffff
	v_add3_u32 v5, v1, v5, s51
	s_mov_b64 s[44:45], exec
	v_lshrrev_b32_e32 v5, 20, v5
	s_andn2_saveexec_b64 s[46:47], s[46:47]
	s_cbranch_execnz .LBB70_1154
.LBB70_1048:
	s_or_b64 exec, exec, s[46:47]
	v_mov_b32_e32 v6, 0
	s_and_saveexec_b64 s[46:47], s[44:45]
.LBB70_1049:
	v_lshrrev_b32_e32 v1, 24, v1
	s_movk_i32 s44, 0x80
	v_and_or_b32 v6, v1, s44, v5
.LBB70_1050:
	s_or_b64 exec, exec, s[46:47]
.LBB70_1051:
	s_or_b64 exec, exec, s[42:43]
	global_store_byte v[2:3], v6, off
.LBB70_1052:
	s_mov_b64 s[42:43], -1
.LBB70_1053:
	s_mov_b64 s[44:45], 0
.LBB70_1054:
	s_and_b64 vcc, exec, s[44:45]
	s_cbranch_vccz .LBB70_1095
; %bb.1055:
	s_cmp_gt_i32 s49, 22
	s_mov_b64 s[44:45], -1
	s_cbranch_scc0 .LBB70_1087
; %bb.1056:
	s_cmp_lt_i32 s49, 24
	s_mov_b64 s[42:43], -1
	s_cbranch_scc1 .LBB70_1076
; %bb.1057:
	s_cmp_gt_i32 s49, 24
	s_cbranch_scc0 .LBB70_1065
; %bb.1058:
	v_cvt_f32_i32_e32 v1, v0
	s_mov_b32 s42, 0x47800000
	v_mov_b32_e32 v6, 0x80
	v_and_b32_e32 v5, 0x7fffffff, v1
	v_cmp_gt_u32_e32 vcc, s42, v5
	s_and_saveexec_b64 s[42:43], vcc
	s_cbranch_execz .LBB70_1064
; %bb.1059:
	s_mov_b32 s44, 0x37ffffff
	v_cmp_lt_u32_e32 vcc, s44, v5
	s_mov_b64 s[44:45], 0
                                        ; implicit-def: $vgpr5
	s_and_saveexec_b64 s[46:47], vcc
	s_xor_b64 s[46:47], exec, s[46:47]
	s_cbranch_execz .LBB70_2147
; %bb.1060:
	v_bfe_u32 v5, v1, 21, 1
	s_mov_b32 s51, 0x88fffff
	v_add3_u32 v5, v1, v5, s51
	s_mov_b64 s[44:45], exec
	v_lshrrev_b32_e32 v5, 21, v5
	s_andn2_saveexec_b64 s[46:47], s[46:47]
	s_cbranch_execnz .LBB70_2148
.LBB70_1061:
	s_or_b64 exec, exec, s[46:47]
	v_mov_b32_e32 v6, 0
	s_and_saveexec_b64 s[46:47], s[44:45]
.LBB70_1062:
	v_lshrrev_b32_e32 v1, 24, v1
	s_movk_i32 s44, 0x80
	v_and_or_b32 v6, v1, s44, v5
.LBB70_1063:
	s_or_b64 exec, exec, s[46:47]
.LBB70_1064:
	s_or_b64 exec, exec, s[42:43]
	s_mov_b64 s[42:43], 0
	global_store_byte v[2:3], v6, off
.LBB70_1065:
	s_and_b64 vcc, exec, s[42:43]
	s_cbranch_vccz .LBB70_1075
; %bb.1066:
	v_cvt_f32_i32_e32 v1, v0
	s_mov_b32 s42, 0x43f00000
                                        ; implicit-def: $vgpr5
	v_and_b32_e32 v6, 0x7fffffff, v1
	v_cmp_gt_u32_e32 vcc, s42, v6
	s_and_saveexec_b64 s[42:43], vcc
	s_xor_b64 s[42:43], exec, s[42:43]
	s_cbranch_execz .LBB70_1072
; %bb.1067:
	s_mov_b32 s44, 0x3c7fffff
	v_cmp_lt_u32_e32 vcc, s44, v6
                                        ; implicit-def: $vgpr5
	s_and_saveexec_b64 s[44:45], vcc
	s_xor_b64 s[44:45], exec, s[44:45]
; %bb.1068:
	v_bfe_u32 v5, v1, 20, 1
	s_mov_b32 s46, 0x407ffff
	v_add3_u32 v5, v1, v5, s46
	v_lshrrev_b32_e32 v6, 20, v5
	v_and_b32_e32 v5, 0xff00000, v5
	s_mov_b32 s46, 0x7f00000
	v_mov_b32_e32 v7, 0x7e
	v_cmp_ne_u32_e32 vcc, s46, v5
	v_cndmask_b32_e32 v5, v7, v6, vcc
; %bb.1069:
	s_andn2_saveexec_b64 s[44:45], s[44:45]
; %bb.1070:
	s_mov_b32 s46, 0x46800000
	v_add_f32_e64 v5, |v1|, s46
; %bb.1071:
	s_or_b64 exec, exec, s[44:45]
                                        ; implicit-def: $vgpr6
.LBB70_1072:
	s_andn2_saveexec_b64 s[42:43], s[42:43]
; %bb.1073:
	s_mov_b32 s44, 0x7f800000
	v_mov_b32_e32 v5, 0x7e
	v_mov_b32_e32 v7, 0x7f
	v_cmp_lt_u32_e32 vcc, s44, v6
	v_cndmask_b32_e32 v5, v5, v7, vcc
; %bb.1074:
	s_or_b64 exec, exec, s[42:43]
	v_lshrrev_b32_e32 v1, 24, v1
	s_movk_i32 s42, 0x80
	v_and_or_b32 v1, v1, s42, v5
	global_store_byte v[2:3], v1, off
.LBB70_1075:
	s_mov_b64 s[42:43], 0
.LBB70_1076:
	s_andn2_b64 vcc, exec, s[42:43]
	s_cbranch_vccnz .LBB70_1086
; %bb.1077:
	v_cvt_f32_i32_e32 v1, v0
	s_mov_b32 s42, 0x47800000
                                        ; implicit-def: $vgpr5
	v_and_b32_e32 v6, 0x7fffffff, v1
	v_cmp_gt_u32_e32 vcc, s42, v6
	s_and_saveexec_b64 s[42:43], vcc
	s_xor_b64 s[42:43], exec, s[42:43]
	s_cbranch_execz .LBB70_1083
; %bb.1078:
	s_mov_b32 s44, 0x387fffff
	v_cmp_lt_u32_e32 vcc, s44, v6
                                        ; implicit-def: $vgpr5
	s_and_saveexec_b64 s[44:45], vcc
	s_xor_b64 s[44:45], exec, s[44:45]
; %bb.1079:
	v_bfe_u32 v5, v1, 21, 1
	s_mov_b32 s46, 0x80fffff
	v_add3_u32 v5, v1, v5, s46
	v_lshrrev_b32_e32 v5, 21, v5
; %bb.1080:
	s_andn2_saveexec_b64 s[44:45], s[44:45]
; %bb.1081:
	s_mov_b32 s46, 0x43000000
	v_add_f32_e64 v5, |v1|, s46
; %bb.1082:
	s_or_b64 exec, exec, s[44:45]
                                        ; implicit-def: $vgpr6
.LBB70_1083:
	s_andn2_saveexec_b64 s[42:43], s[42:43]
; %bb.1084:
	s_mov_b32 s44, 0x7f800000
	v_mov_b32_e32 v5, 0x7c
	v_mov_b32_e32 v7, 0x7f
	v_cmp_lt_u32_e32 vcc, s44, v6
	v_cndmask_b32_e32 v5, v5, v7, vcc
; %bb.1085:
	s_or_b64 exec, exec, s[42:43]
	v_lshrrev_b32_e32 v1, 24, v1
	s_movk_i32 s42, 0x80
	v_and_or_b32 v1, v1, s42, v5
	global_store_byte v[2:3], v1, off
.LBB70_1086:
	s_mov_b64 s[44:45], 0
	s_mov_b64 s[42:43], -1
.LBB70_1087:
	s_andn2_b64 vcc, exec, s[44:45]
	s_cbranch_vccnz .LBB70_1095
; %bb.1088:
	s_cmp_gt_i32 s49, 14
	s_mov_b64 s[44:45], -1
	s_cbranch_scc0 .LBB70_1092
; %bb.1089:
	s_cmp_eq_u32 s49, 15
	s_mov_b64 s[0:1], -1
	s_cbranch_scc0 .LBB70_1091
; %bb.1090:
	v_cvt_f32_i32_e32 v1, v0
	s_movk_i32 s0, 0x7fff
	s_mov_b64 s[42:43], -1
	v_bfe_u32 v5, v1, 16, 1
	v_add3_u32 v1, v1, v5, s0
	global_store_short_d16_hi v[2:3], v1, off
	s_mov_b64 s[0:1], 0
.LBB70_1091:
	s_mov_b64 s[44:45], 0
.LBB70_1092:
	s_and_b64 vcc, exec, s[44:45]
	s_cbranch_vccz .LBB70_1095
; %bb.1093:
	s_cmp_eq_u32 s49, 11
	s_mov_b64 s[0:1], -1
	s_cbranch_scc0 .LBB70_1095
; %bb.1094:
	v_cmp_ne_u32_e32 vcc, 0, v0
	v_cndmask_b32_e64 v1, 0, 1, vcc
	s_mov_b64 s[42:43], -1
	s_mov_b64 s[0:1], 0
	global_store_byte v[2:3], v1, off
.LBB70_1095:
	s_mov_b64 s[44:45], 0
.LBB70_1096:
	s_and_b64 vcc, exec, s[44:45]
	s_cbranch_vccz .LBB70_1135
; %bb.1097:
	s_and_b32 s44, 0xffff, s48
	s_cmp_lt_i32 s44, 5
	s_mov_b64 s[42:43], -1
	s_cbranch_scc1 .LBB70_1118
; %bb.1098:
	s_cmp_lt_i32 s44, 8
	s_cbranch_scc1 .LBB70_1108
; %bb.1099:
	s_cmp_lt_i32 s44, 9
	s_cbranch_scc1 .LBB70_1105
; %bb.1100:
	s_cmp_gt_i32 s44, 9
	s_cbranch_scc0 .LBB70_1102
; %bb.1101:
	v_cvt_f64_i32_e32 v[5:6], v0
	v_mov_b32_e32 v7, 0
	v_mov_b32_e32 v8, v7
	s_mov_b64 s[42:43], 0
	global_store_dwordx4 v[2:3], v[5:8], off
.LBB70_1102:
	s_andn2_b64 vcc, exec, s[42:43]
	s_cbranch_vccnz .LBB70_1104
; %bb.1103:
	v_cvt_f32_i32_e32 v5, v0
	v_mov_b32_e32 v6, 0
	global_store_dwordx2 v[2:3], v[5:6], off
.LBB70_1104:
	s_mov_b64 s[42:43], 0
.LBB70_1105:
	s_andn2_b64 vcc, exec, s[42:43]
	s_cbranch_vccnz .LBB70_1107
; %bb.1106:
	v_cvt_f32_i32_e32 v1, v0
	v_cvt_f16_f32_e32 v1, v1
	global_store_dword v[2:3], v1, off
.LBB70_1107:
	s_mov_b64 s[42:43], 0
.LBB70_1108:
	s_andn2_b64 vcc, exec, s[42:43]
	s_cbranch_vccnz .LBB70_1117
; %bb.1109:
	s_cmp_lt_i32 s44, 6
	s_mov_b64 s[42:43], -1
	s_cbranch_scc1 .LBB70_1115
; %bb.1110:
	s_cmp_gt_i32 s44, 6
	s_cbranch_scc0 .LBB70_1112
; %bb.1111:
	v_cvt_f64_i32_e32 v[5:6], v0
	s_mov_b64 s[42:43], 0
	global_store_dwordx2 v[2:3], v[5:6], off
.LBB70_1112:
	s_andn2_b64 vcc, exec, s[42:43]
	s_cbranch_vccnz .LBB70_1114
; %bb.1113:
	v_cvt_f32_i32_e32 v1, v0
	global_store_dword v[2:3], v1, off
.LBB70_1114:
	s_mov_b64 s[42:43], 0
.LBB70_1115:
	s_andn2_b64 vcc, exec, s[42:43]
	s_cbranch_vccnz .LBB70_1117
; %bb.1116:
	v_cvt_f32_i32_e32 v1, v0
	v_cvt_f16_f32_e32 v1, v1
	global_store_short v[2:3], v1, off
.LBB70_1117:
	s_mov_b64 s[42:43], 0
.LBB70_1118:
	s_andn2_b64 vcc, exec, s[42:43]
	s_cbranch_vccnz .LBB70_1134
; %bb.1119:
	s_cmp_lt_i32 s44, 2
	s_mov_b64 s[42:43], -1
	s_cbranch_scc1 .LBB70_1129
; %bb.1120:
	s_cmp_lt_i32 s44, 3
	s_cbranch_scc1 .LBB70_1126
; %bb.1121:
	s_cmp_gt_i32 s44, 3
	s_cbranch_scc0 .LBB70_1123
; %bb.1122:
	v_ashrrev_i32_e32 v1, 31, v0
	s_mov_b64 s[42:43], 0
	global_store_dwordx2 v[2:3], v[0:1], off
.LBB70_1123:
	s_andn2_b64 vcc, exec, s[42:43]
	s_cbranch_vccnz .LBB70_1125
; %bb.1124:
	global_store_dword v[2:3], v0, off
.LBB70_1125:
	s_mov_b64 s[42:43], 0
.LBB70_1126:
	s_andn2_b64 vcc, exec, s[42:43]
	s_cbranch_vccnz .LBB70_1128
; %bb.1127:
	global_store_short v[2:3], v0, off
.LBB70_1128:
	s_mov_b64 s[42:43], 0
.LBB70_1129:
	s_andn2_b64 vcc, exec, s[42:43]
	s_cbranch_vccnz .LBB70_1134
; %bb.1130:
	s_cmp_gt_i32 s44, 0
	s_mov_b64 s[42:43], -1
	s_cbranch_scc0 .LBB70_1132
; %bb.1131:
	s_mov_b64 s[42:43], 0
	global_store_byte v[2:3], v0, off
.LBB70_1132:
	s_andn2_b64 vcc, exec, s[42:43]
	s_cbranch_vccnz .LBB70_1134
; %bb.1133:
	global_store_byte v[2:3], v0, off
.LBB70_1134:
	s_mov_b64 s[42:43], -1
.LBB70_1135:
	s_andn2_b64 vcc, exec, s[42:43]
	s_cbranch_vccnz .LBB70_1148
; %bb.1136:
	v_add_u32_e32 v4, 0x80, v4
	s_mov_b64 s[44:45], -1
.LBB70_1137:
	s_andn2_b64 s[42:43], s[30:31], exec
	s_and_b64 s[0:1], s[0:1], exec
	s_or_b64 s[42:43], s[42:43], s[0:1]
	s_andn2_b64 s[0:1], s[28:29], exec
	s_and_b64 s[40:41], s[40:41], exec
	s_or_b64 s[40:41], s[0:1], s[40:41]
	;; [unrolled: 3-line block ×3, first 2 shown]
	s_orn2_b64 s[48:49], s[44:45], exec
.LBB70_1138:
	s_or_b64 exec, exec, s[36:37]
	s_mov_b64 s[44:45], 0
	s_mov_b64 s[38:39], 0
	;; [unrolled: 1-line block ×3, first 2 shown]
                                        ; implicit-def: $sgpr57
                                        ; implicit-def: $vgpr0_vgpr1
                                        ; implicit-def: $vgpr5
	s_and_saveexec_b64 s[36:37], s[48:49]
	s_cbranch_execz .LBB70_1218
; %bb.1139:
	v_cmp_gt_i32_e32 vcc, s50, v4
	s_mov_b64 s[48:49], 0
	s_mov_b64 s[50:51], s[0:1]
	;; [unrolled: 1-line block ×4, first 2 shown]
                                        ; implicit-def: $sgpr57
                                        ; implicit-def: $vgpr0_vgpr1
                                        ; implicit-def: $vgpr5
	s_and_saveexec_b64 s[38:39], vcc
	s_cbranch_execz .LBB70_1217
; %bb.1140:
	v_mul_lo_u32 v0, v4, s13
	v_mov_b32_e32 v1, s11
	s_and_b32 s57, s56, 0xff
	s_cmp_lt_i32 s57, 11
	s_waitcnt vmcnt(0)
	v_ashrrev_i32_e32 v2, 31, v0
	v_add_co_u32_e32 v0, vcc, s10, v0
	v_addc_co_u32_e32 v1, vcc, v1, v2, vcc
	s_cbranch_scc1 .LBB70_1147
; %bb.1141:
	s_and_b32 s52, 0xffff, s57
	s_cmp_gt_i32 s52, 25
	s_cbranch_scc0 .LBB70_1149
; %bb.1142:
	s_cmp_gt_i32 s52, 28
	s_cbranch_scc0 .LBB70_1150
; %bb.1143:
	;; [unrolled: 3-line block ×4, first 2 shown]
	s_cmp_eq_u32 s52, 46
	s_mov_b64 s[50:51], 0
	s_cbranch_scc0 .LBB70_1155
; %bb.1146:
	global_load_dword v2, v[0:1], off
	s_mov_b64 s[48:49], -1
	s_waitcnt vmcnt(0)
	v_lshlrev_b32_e32 v2, 16, v2
	v_cvt_i32_f32_e32 v5, v2
	s_branch .LBB70_1157
.LBB70_1147:
	s_mov_b64 s[50:51], -1
                                        ; implicit-def: $vgpr5
	s_mov_b64 s[44:45], s[0:1]
	s_branch .LBB70_1216
.LBB70_1148:
	s_mov_b64 s[44:45], 0
	s_branch .LBB70_894
.LBB70_1149:
	s_mov_b64 s[50:51], -1
	s_mov_b64 s[44:45], s[0:1]
                                        ; implicit-def: $vgpr5
	s_branch .LBB70_1184
.LBB70_1150:
	s_mov_b64 s[50:51], -1
	s_mov_b64 s[44:45], s[0:1]
                                        ; implicit-def: $vgpr5
	s_branch .LBB70_1167
.LBB70_1151:
	s_mov_b64 s[50:51], -1
	s_mov_b64 s[44:45], s[0:1]
                                        ; implicit-def: $vgpr5
	s_branch .LBB70_1162
.LBB70_1152:
	s_mov_b64 s[50:51], -1
	s_mov_b64 s[44:45], s[0:1]
	s_branch .LBB70_1156
.LBB70_1153:
	s_andn2_saveexec_b64 s[46:47], s[46:47]
	s_cbranch_execz .LBB70_1048
.LBB70_1154:
	s_mov_b32 s51, 0x46000000
	v_add_f32_e64 v5, |v1|, s51
	v_and_b32_e32 v5, 0xff, v5
	v_cmp_ne_u32_e32 vcc, 0, v5
	s_andn2_b64 s[44:45], s[44:45], exec
	s_and_b64 s[52:53], vcc, exec
	s_or_b64 s[44:45], s[44:45], s[52:53]
	s_or_b64 exec, exec, s[46:47]
	v_mov_b32_e32 v6, 0
	s_and_saveexec_b64 s[46:47], s[44:45]
	s_cbranch_execnz .LBB70_1049
	s_branch .LBB70_1050
.LBB70_1155:
	s_mov_b64 s[44:45], -1
.LBB70_1156:
                                        ; implicit-def: $vgpr5
.LBB70_1157:
	s_and_b64 vcc, exec, s[50:51]
	s_cbranch_vccz .LBB70_1161
; %bb.1158:
	s_cmp_eq_u32 s52, 44
	s_cbranch_scc0 .LBB70_1160
; %bb.1159:
	global_load_ubyte v2, v[0:1], off
	s_mov_b64 s[44:45], 0
	s_mov_b64 s[48:49], -1
	s_waitcnt vmcnt(0)
	v_lshlrev_b32_e32 v3, 23, v2
	v_cvt_i32_f32_e32 v3, v3
	v_cmp_ne_u32_e32 vcc, 0, v2
	v_cndmask_b32_e32 v5, 0, v3, vcc
	s_branch .LBB70_1161
.LBB70_1160:
	s_mov_b64 s[44:45], -1
                                        ; implicit-def: $vgpr5
.LBB70_1161:
	s_mov_b64 s[50:51], 0
.LBB70_1162:
	s_and_b64 vcc, exec, s[50:51]
	s_cbranch_vccz .LBB70_1166
; %bb.1163:
	s_cmp_eq_u32 s52, 29
	s_cbranch_scc0 .LBB70_1165
; %bb.1164:
	global_load_dword v5, v[0:1], off
	s_mov_b64 s[44:45], 0
	s_mov_b64 s[48:49], -1
	s_branch .LBB70_1166
.LBB70_1165:
	s_mov_b64 s[44:45], -1
                                        ; implicit-def: $vgpr5
.LBB70_1166:
	s_mov_b64 s[50:51], 0
.LBB70_1167:
	s_and_b64 vcc, exec, s[50:51]
	s_cbranch_vccz .LBB70_1183
; %bb.1168:
	s_cmp_lt_i32 s52, 27
	s_cbranch_scc1 .LBB70_1171
; %bb.1169:
	s_cmp_gt_i32 s52, 27
	s_cbranch_scc0 .LBB70_1172
; %bb.1170:
	global_load_dword v5, v[0:1], off
	s_mov_b64 s[48:49], 0
	s_branch .LBB70_1173
.LBB70_1171:
	s_mov_b64 s[48:49], -1
                                        ; implicit-def: $vgpr5
	s_branch .LBB70_1176
.LBB70_1172:
	s_mov_b64 s[48:49], -1
                                        ; implicit-def: $vgpr5
.LBB70_1173:
	s_andn2_b64 vcc, exec, s[48:49]
	s_cbranch_vccnz .LBB70_1175
; %bb.1174:
	global_load_ushort v5, v[0:1], off
.LBB70_1175:
	s_mov_b64 s[48:49], 0
.LBB70_1176:
	s_andn2_b64 vcc, exec, s[48:49]
	s_cbranch_vccnz .LBB70_1182
; %bb.1177:
	global_load_ubyte v2, v[0:1], off
	s_movk_i32 s48, 0x7f
	s_mov_b64 s[50:51], 0
	s_waitcnt vmcnt(0)
	v_cmp_lt_i16_e32 vcc, s48, v2
	s_and_saveexec_b64 s[48:49], vcc
	s_xor_b64 s[48:49], exec, s[48:49]
	s_cbranch_execz .LBB70_1194
; %bb.1178:
	s_movk_i32 s50, 0x80
	v_cmp_ne_u16_e32 vcc, s50, v2
	s_and_b64 s[50:51], vcc, exec
	s_andn2_saveexec_b64 s[48:49], s[48:49]
	s_cbranch_execnz .LBB70_1195
.LBB70_1179:
	s_or_b64 exec, exec, s[48:49]
	v_mov_b32_e32 v5, 0
	s_and_saveexec_b64 s[48:49], s[50:51]
	s_cbranch_execz .LBB70_1181
.LBB70_1180:
	v_lshlrev_b32_e32 v3, 24, v2
	v_and_b32_e32 v2, 0xffff, v2
	v_and_b32_e32 v5, 7, v2
	v_ffbh_u32_e32 v7, v5
	v_min_u32_e32 v7, 32, v7
	v_subrev_u32_e32 v8, 28, v7
	v_bfe_u32 v6, v2, 3, 4
	v_lshlrev_b32_e32 v2, v8, v2
	v_sub_u32_e32 v7, 29, v7
	v_and_b32_e32 v2, 7, v2
	v_cmp_eq_u32_e32 vcc, 0, v6
	v_cndmask_b32_e32 v6, v6, v7, vcc
	v_cndmask_b32_e32 v2, v5, v2, vcc
	v_mov_b32_e32 v5, 0x3b800000
	v_lshlrev_b32_e32 v2, 20, v2
	v_and_b32_e32 v3, 0x80000000, v3
	v_lshl_add_u32 v5, v6, 23, v5
	v_or3_b32 v2, v3, v5, v2
	v_cvt_i32_f32_e32 v5, v2
.LBB70_1181:
	s_or_b64 exec, exec, s[48:49]
.LBB70_1182:
	s_mov_b64 s[48:49], -1
.LBB70_1183:
	s_mov_b64 s[50:51], 0
.LBB70_1184:
	s_and_b64 vcc, exec, s[50:51]
	s_cbranch_vccz .LBB70_1215
; %bb.1185:
	s_cmp_gt_i32 s52, 22
	s_cbranch_scc0 .LBB70_1193
; %bb.1186:
	s_cmp_lt_i32 s52, 24
	s_cbranch_scc1 .LBB70_1196
; %bb.1187:
	s_cmp_gt_i32 s52, 24
	s_cbranch_scc0 .LBB70_1197
; %bb.1188:
	global_load_ubyte v2, v[0:1], off
	s_movk_i32 s46, 0x7f
	s_mov_b64 s[48:49], 0
	s_waitcnt vmcnt(0)
	v_cmp_lt_i16_e32 vcc, s46, v2
	s_and_saveexec_b64 s[46:47], vcc
	s_xor_b64 s[46:47], exec, s[46:47]
	s_cbranch_execz .LBB70_1209
; %bb.1189:
	s_movk_i32 s48, 0x80
	v_cmp_ne_u16_e32 vcc, s48, v2
	s_and_b64 s[48:49], vcc, exec
	s_andn2_saveexec_b64 s[46:47], s[46:47]
	s_cbranch_execnz .LBB70_1210
.LBB70_1190:
	s_or_b64 exec, exec, s[46:47]
	v_mov_b32_e32 v5, 0
	s_and_saveexec_b64 s[46:47], s[48:49]
	s_cbranch_execz .LBB70_1192
.LBB70_1191:
	v_lshlrev_b32_e32 v3, 24, v2
	v_and_b32_e32 v2, 0xffff, v2
	v_and_b32_e32 v5, 3, v2
	v_ffbh_u32_e32 v7, v5
	v_min_u32_e32 v7, 32, v7
	v_subrev_u32_e32 v8, 29, v7
	v_bfe_u32 v6, v2, 2, 5
	v_lshlrev_b32_e32 v2, v8, v2
	v_sub_u32_e32 v7, 30, v7
	v_and_b32_e32 v2, 3, v2
	v_cmp_eq_u32_e32 vcc, 0, v6
	v_cndmask_b32_e32 v6, v6, v7, vcc
	v_cndmask_b32_e32 v2, v5, v2, vcc
	v_mov_b32_e32 v5, 0x37800000
	v_lshlrev_b32_e32 v2, 21, v2
	v_and_b32_e32 v3, 0x80000000, v3
	v_lshl_add_u32 v5, v6, 23, v5
	v_or3_b32 v2, v3, v5, v2
	v_cvt_i32_f32_e32 v5, v2
.LBB70_1192:
	s_or_b64 exec, exec, s[46:47]
	s_mov_b64 s[46:47], 0
	s_branch .LBB70_1198
.LBB70_1193:
	s_mov_b64 s[46:47], -1
                                        ; implicit-def: $vgpr5
	s_branch .LBB70_1204
.LBB70_1194:
	s_andn2_saveexec_b64 s[48:49], s[48:49]
	s_cbranch_execz .LBB70_1179
.LBB70_1195:
	v_cmp_ne_u16_e32 vcc, 0, v2
	s_andn2_b64 s[50:51], s[50:51], exec
	s_and_b64 s[54:55], vcc, exec
	s_or_b64 s[50:51], s[50:51], s[54:55]
	s_or_b64 exec, exec, s[48:49]
	v_mov_b32_e32 v5, 0
	s_and_saveexec_b64 s[48:49], s[50:51]
	s_cbranch_execnz .LBB70_1180
	s_branch .LBB70_1181
.LBB70_1196:
	s_mov_b64 s[46:47], -1
                                        ; implicit-def: $vgpr5
	s_branch .LBB70_1201
.LBB70_1197:
	s_mov_b64 s[46:47], -1
                                        ; implicit-def: $vgpr5
.LBB70_1198:
	s_and_b64 vcc, exec, s[46:47]
	s_cbranch_vccz .LBB70_1200
; %bb.1199:
	global_load_ubyte v2, v[0:1], off
	s_mov_b32 s46, 0x7f800000
	s_waitcnt vmcnt(0)
	v_lshlrev_b32_e32 v2, 24, v2
	v_and_b32_e32 v3, 0x7f000000, v2
	v_ffbh_u32_e32 v5, v3
	v_min_u32_e32 v5, 32, v5
	v_sub_u32_e64 v5, v5, 4 clamp
	v_lshlrev_b32_e32 v7, v5, v3
	v_lshlrev_b32_e32 v5, 23, v5
	v_lshrrev_b32_e32 v7, 4, v7
	v_add_u32_e32 v6, 0x1000000, v3
	v_sub_u32_e32 v5, v7, v5
	v_ashrrev_i32_e32 v6, 8, v6
	v_add_u32_e32 v5, 0x3c000000, v5
	v_and_or_b32 v5, v6, s46, v5
	v_cmp_ne_u32_e32 vcc, 0, v3
	v_cndmask_b32_e32 v3, 0, v5, vcc
	s_brev_b32 s46, 1
	v_and_or_b32 v2, v2, s46, v3
	v_cvt_i32_f32_e32 v5, v2
.LBB70_1200:
	s_mov_b64 s[46:47], 0
.LBB70_1201:
	s_andn2_b64 vcc, exec, s[46:47]
	s_cbranch_vccnz .LBB70_1203
; %bb.1202:
	global_load_ubyte v2, v[0:1], off
	s_movk_i32 s46, 0x7f00
	s_brev_b32 s47, 16
	s_waitcnt vmcnt(0)
	v_lshlrev_b16_e32 v3, 8, v2
	v_lshlrev_b32_e32 v2, 25, v2
	v_lshrrev_b32_e32 v5, 4, v2
	v_and_or_b32 v6, v3, s46, 0.5
	v_or_b32_e32 v5, 0x70000000, v5
	v_add_f32_e32 v6, -0.5, v6
	v_mul_f32_e32 v5, 0x7800000, v5
	v_cmp_gt_u32_e32 vcc, s47, v2
	v_bfe_i32 v3, v3, 0, 16
	v_cndmask_b32_e32 v2, v5, v6, vcc
	s_brev_b32 s46, 1
	v_and_or_b32 v2, v3, s46, v2
	v_cvt_i32_f32_e32 v5, v2
.LBB70_1203:
	s_mov_b64 s[46:47], 0
	s_mov_b64 s[48:49], -1
.LBB70_1204:
	s_andn2_b64 vcc, exec, s[46:47]
	s_mov_b64 s[46:47], 0
	s_cbranch_vccnz .LBB70_1215
; %bb.1205:
	s_cmp_gt_i32 s52, 14
	s_cbranch_scc0 .LBB70_1208
; %bb.1206:
	s_cmp_eq_u32 s52, 15
	s_cbranch_scc0 .LBB70_1211
; %bb.1207:
	global_load_ushort v2, v[0:1], off
	s_mov_b64 s[44:45], 0
	s_mov_b64 s[48:49], -1
	s_waitcnt vmcnt(0)
	v_lshlrev_b32_e32 v2, 16, v2
	v_cvt_i32_f32_e32 v5, v2
	s_branch .LBB70_1212
.LBB70_1208:
	s_mov_b64 s[50:51], -1
                                        ; implicit-def: $vgpr5
	s_branch .LBB70_1213
.LBB70_1209:
	s_andn2_saveexec_b64 s[46:47], s[46:47]
	s_cbranch_execz .LBB70_1190
.LBB70_1210:
	v_cmp_ne_u16_e32 vcc, 0, v2
	s_andn2_b64 s[48:49], s[48:49], exec
	s_and_b64 s[50:51], vcc, exec
	s_or_b64 s[48:49], s[48:49], s[50:51]
	s_or_b64 exec, exec, s[46:47]
	v_mov_b32_e32 v5, 0
	s_and_saveexec_b64 s[46:47], s[48:49]
	s_cbranch_execnz .LBB70_1191
	s_branch .LBB70_1192
.LBB70_1211:
	s_mov_b64 s[44:45], -1
                                        ; implicit-def: $vgpr5
.LBB70_1212:
	s_mov_b64 s[50:51], 0
.LBB70_1213:
	s_and_b64 vcc, exec, s[50:51]
	s_cbranch_vccz .LBB70_1215
; %bb.1214:
	s_cmp_lg_u32 s52, 11
	s_cselect_b64 s[50:51], -1, 0
	s_andn2_b64 s[44:45], s[44:45], exec
	s_and_b64 s[50:51], s[50:51], exec
	s_mov_b64 s[46:47], -1
	s_or_b64 s[44:45], s[44:45], s[50:51]
.LBB70_1215:
	s_mov_b64 s[50:51], 0
.LBB70_1216:
	s_and_b64 s[54:55], s[48:49], exec
	s_and_b64 s[48:49], s[46:47], exec
	s_andn2_b64 s[46:47], s[0:1], exec
	s_and_b64 s[44:45], s[44:45], exec
	s_and_b64 s[52:53], s[50:51], exec
	s_or_b64 s[50:51], s[46:47], s[44:45]
.LBB70_1217:
	s_or_b64 exec, exec, s[38:39]
	s_and_b64 s[44:45], s[48:49], exec
	s_andn2_b64 s[0:1], s[0:1], exec
	s_and_b64 s[48:49], s[50:51], exec
	s_and_b64 s[46:47], s[54:55], exec
	;; [unrolled: 1-line block ×3, first 2 shown]
	s_or_b64 s[0:1], s[0:1], s[48:49]
.LBB70_1218:
	s_or_b64 exec, exec, s[36:37]
	s_andn2_b64 s[30:31], s[30:31], exec
	s_and_b64 s[36:37], s[42:43], exec
	s_or_b64 s[30:31], s[30:31], s[36:37]
	s_andn2_b64 s[28:29], s[28:29], exec
	s_and_b64 s[36:37], s[40:41], exec
	s_andn2_b64 s[26:27], s[26:27], exec
	s_and_b64 s[0:1], s[0:1], exec
	s_or_b64 s[28:29], s[28:29], s[36:37]
	s_and_b64 s[40:41], s[46:47], exec
	s_and_b64 s[38:39], s[38:39], exec
	;; [unrolled: 1-line block ×3, first 2 shown]
	s_or_b64 s[26:27], s[26:27], s[0:1]
.LBB70_1219:
	s_or_b64 exec, exec, s[34:35]
	s_andn2_b64 s[0:1], s[18:19], exec
	s_and_b64 s[18:19], s[30:31], exec
	s_or_b64 s[18:19], s[0:1], s[18:19]
	s_andn2_b64 s[0:1], s[20:21], exec
	s_and_b64 s[20:21], s[28:29], exec
	s_or_b64 s[20:21], s[0:1], s[20:21]
	s_andn2_b64 s[0:1], s[22:23], exec
	s_and_b64 s[22:23], s[26:27], exec
	s_and_b64 s[30:31], s[40:41], exec
	;; [unrolled: 1-line block ×4, first 2 shown]
	s_or_b64 s[22:23], s[0:1], s[22:23]
	s_or_b64 exec, exec, s[24:25]
	s_mov_b64 s[24:25], 0
	s_and_saveexec_b64 s[0:1], s[22:23]
	s_cbranch_execz .LBB70_385
.LBB70_1220:
	s_mov_b64 s[24:25], exec
	s_andn2_b64 s[28:29], s[28:29], exec
	s_trap 2
	s_or_b64 exec, exec, s[0:1]
	s_and_saveexec_b64 s[0:1], s[28:29]
	s_xor_b64 s[0:1], exec, s[0:1]
	s_cbranch_execnz .LBB70_386
.LBB70_1221:
	s_or_b64 exec, exec, s[0:1]
	s_and_saveexec_b64 s[0:1], s[34:35]
	s_cbranch_execz .LBB70_1267
.LBB70_1222:
	s_sext_i32_i16 s22, s57
	s_cmp_lt_i32 s22, 5
	s_cbranch_scc1 .LBB70_1227
; %bb.1223:
	s_cmp_lt_i32 s22, 8
	s_cbranch_scc1 .LBB70_1228
; %bb.1224:
	;; [unrolled: 3-line block ×3, first 2 shown]
	s_cmp_gt_i32 s22, 9
	s_cbranch_scc0 .LBB70_1230
; %bb.1226:
	global_load_dwordx2 v[2:3], v[0:1], off
	s_mov_b64 s[22:23], 0
	s_waitcnt vmcnt(0)
	v_cvt_i32_f64_e32 v5, v[2:3]
	s_branch .LBB70_1231
.LBB70_1227:
                                        ; implicit-def: $vgpr5
	s_branch .LBB70_1248
.LBB70_1228:
                                        ; implicit-def: $vgpr5
	s_branch .LBB70_1237
.LBB70_1229:
	s_mov_b64 s[22:23], -1
                                        ; implicit-def: $vgpr5
	s_branch .LBB70_1234
.LBB70_1230:
	s_mov_b64 s[22:23], -1
                                        ; implicit-def: $vgpr5
.LBB70_1231:
	s_andn2_b64 vcc, exec, s[22:23]
	s_cbranch_vccnz .LBB70_1233
; %bb.1232:
	global_load_dword v2, v[0:1], off
	s_waitcnt vmcnt(0)
	v_cvt_i32_f32_e32 v5, v2
.LBB70_1233:
	s_mov_b64 s[22:23], 0
.LBB70_1234:
	s_andn2_b64 vcc, exec, s[22:23]
	s_cbranch_vccnz .LBB70_1236
; %bb.1235:
	global_load_dword v2, v[0:1], off
	s_waitcnt vmcnt(0)
	v_cvt_f32_f16_e32 v2, v2
	v_cvt_i32_f32_e32 v5, v2
.LBB70_1236:
	s_cbranch_execnz .LBB70_1247
.LBB70_1237:
	s_sext_i32_i16 s22, s57
	s_cmp_lt_i32 s22, 6
	s_cbranch_scc1 .LBB70_1240
; %bb.1238:
	s_cmp_gt_i32 s22, 6
	s_cbranch_scc0 .LBB70_1241
; %bb.1239:
	global_load_dwordx2 v[2:3], v[0:1], off
	s_mov_b64 s[22:23], 0
	s_waitcnt vmcnt(0)
	v_cvt_i32_f64_e32 v5, v[2:3]
	s_branch .LBB70_1242
.LBB70_1240:
	s_mov_b64 s[22:23], -1
                                        ; implicit-def: $vgpr5
	s_branch .LBB70_1245
.LBB70_1241:
	s_mov_b64 s[22:23], -1
                                        ; implicit-def: $vgpr5
.LBB70_1242:
	s_andn2_b64 vcc, exec, s[22:23]
	s_cbranch_vccnz .LBB70_1244
; %bb.1243:
	global_load_dword v2, v[0:1], off
	s_waitcnt vmcnt(0)
	v_cvt_i32_f32_e32 v5, v2
.LBB70_1244:
	s_mov_b64 s[22:23], 0
.LBB70_1245:
	s_andn2_b64 vcc, exec, s[22:23]
	s_cbranch_vccnz .LBB70_1247
; %bb.1246:
	global_load_ushort v2, v[0:1], off
	s_waitcnt vmcnt(0)
	v_cvt_f32_f16_e32 v2, v2
	v_cvt_i32_f32_e32 v5, v2
.LBB70_1247:
	s_cbranch_execnz .LBB70_1266
.LBB70_1248:
	s_sext_i32_i16 s22, s57
	s_cmp_lt_i32 s22, 2
	s_cbranch_scc1 .LBB70_1252
; %bb.1249:
	s_cmp_lt_i32 s22, 3
	s_cbranch_scc1 .LBB70_1253
; %bb.1250:
	s_cmp_gt_i32 s22, 3
	s_cbranch_scc0 .LBB70_1254
; %bb.1251:
	global_load_dword v5, v[0:1], off
	s_mov_b64 s[22:23], 0
	s_branch .LBB70_1255
.LBB70_1252:
                                        ; implicit-def: $vgpr5
	s_branch .LBB70_1261
.LBB70_1253:
	s_mov_b64 s[22:23], -1
                                        ; implicit-def: $vgpr5
	s_branch .LBB70_1258
.LBB70_1254:
	s_mov_b64 s[22:23], -1
                                        ; implicit-def: $vgpr5
.LBB70_1255:
	s_andn2_b64 vcc, exec, s[22:23]
	s_cbranch_vccnz .LBB70_1257
; %bb.1256:
	global_load_dword v5, v[0:1], off
.LBB70_1257:
	s_mov_b64 s[22:23], 0
.LBB70_1258:
	s_andn2_b64 vcc, exec, s[22:23]
	s_cbranch_vccnz .LBB70_1260
; %bb.1259:
	global_load_sshort v5, v[0:1], off
.LBB70_1260:
	s_cbranch_execnz .LBB70_1266
.LBB70_1261:
	s_sext_i32_i16 s22, s57
	s_cmp_gt_i32 s22, 0
	s_cbranch_scc0 .LBB70_1263
; %bb.1262:
	global_load_sbyte v5, v[0:1], off
	s_mov_b64 s[22:23], 0
	s_branch .LBB70_1264
.LBB70_1263:
	s_mov_b64 s[22:23], -1
                                        ; implicit-def: $vgpr5
.LBB70_1264:
	s_andn2_b64 vcc, exec, s[22:23]
	s_cbranch_vccnz .LBB70_1266
; %bb.1265:
	global_load_ubyte v5, v[0:1], off
.LBB70_1266:
	s_or_b64 s[30:31], s[30:31], exec
.LBB70_1267:
	s_or_b64 exec, exec, s[0:1]
	s_mov_b64 s[28:29], 0
	s_mov_b64 s[34:35], 0
	;; [unrolled: 1-line block ×3, first 2 shown]
                                        ; implicit-def: $sgpr36
                                        ; implicit-def: $vgpr0_vgpr1
                                        ; implicit-def: $vgpr6
	s_and_saveexec_b64 s[0:1], s[30:31]
	s_cbranch_execz .LBB70_1275
; %bb.1268:
	v_mul_lo_u32 v0, v4, s14
	v_mov_b32_e32 v1, s17
	s_and_b32 s36, s33, 0xff
	s_cmp_lt_i32 s36, 11
	s_waitcnt vmcnt(0)
	v_ashrrev_i32_e32 v2, 31, v0
	v_add_co_u32_e32 v0, vcc, s16, v0
	v_addc_co_u32_e32 v1, vcc, v1, v2, vcc
	s_cbranch_scc1 .LBB70_1278
; %bb.1269:
	s_and_b32 s34, 0xffff, s36
	s_cmp_gt_i32 s34, 25
	s_cbranch_scc0 .LBB70_1279
; %bb.1270:
	s_cmp_gt_i32 s34, 28
	s_cbranch_scc0 .LBB70_1280
; %bb.1271:
	;; [unrolled: 3-line block ×4, first 2 shown]
	s_cmp_eq_u32 s34, 46
	s_mov_b64 s[30:31], 0
	s_cbranch_scc0 .LBB70_1283
; %bb.1274:
	global_load_dword v2, v[0:1], off
	s_mov_b64 s[22:23], 0
	s_mov_b64 s[26:27], -1
	s_waitcnt vmcnt(0)
	v_lshlrev_b32_e32 v2, 16, v2
	v_cvt_i32_f32_e32 v6, v2
	s_branch .LBB70_1285
.LBB70_1275:
	s_or_b64 exec, exec, s[0:1]
	s_and_saveexec_b64 s[0:1], s[20:21]
	s_cbranch_execnz .LBB70_1344
.LBB70_1276:
	s_or_b64 exec, exec, s[0:1]
	s_and_saveexec_b64 s[0:1], s[28:29]
	s_xor_b64 s[0:1], exec, s[0:1]
	s_cbranch_execz .LBB70_1345
.LBB70_1277:
	global_load_ubyte v2, v[0:1], off
	s_or_b64 s[26:27], s[26:27], exec
	s_waitcnt vmcnt(0)
	v_cmp_ne_u16_e32 vcc, 0, v2
	v_cndmask_b32_e64 v6, 0, 1, vcc
	s_or_b64 exec, exec, s[0:1]
	s_and_saveexec_b64 s[0:1], s[34:35]
	s_cbranch_execz .LBB70_1391
	s_branch .LBB70_1346
.LBB70_1278:
	s_mov_b64 s[30:31], -1
                                        ; implicit-def: $vgpr6
	s_mov_b64 s[22:23], s[20:21]
	s_branch .LBB70_1343
.LBB70_1279:
	s_mov_b64 s[22:23], s[20:21]
                                        ; implicit-def: $vgpr6
	s_cbranch_execnz .LBB70_1312
	s_branch .LBB70_1342
.LBB70_1280:
	s_mov_b64 s[30:31], -1
	s_mov_b64 s[22:23], s[20:21]
                                        ; implicit-def: $vgpr6
	s_branch .LBB70_1295
.LBB70_1281:
	s_mov_b64 s[30:31], -1
	s_mov_b64 s[22:23], s[20:21]
                                        ; implicit-def: $vgpr6
	s_branch .LBB70_1290
.LBB70_1282:
	s_mov_b64 s[30:31], -1
	s_mov_b64 s[22:23], s[20:21]
	s_branch .LBB70_1284
.LBB70_1283:
	s_mov_b64 s[22:23], -1
.LBB70_1284:
                                        ; implicit-def: $vgpr6
.LBB70_1285:
	s_and_b64 vcc, exec, s[30:31]
	s_cbranch_vccz .LBB70_1289
; %bb.1286:
	s_cmp_eq_u32 s34, 44
	s_cbranch_scc0 .LBB70_1288
; %bb.1287:
	global_load_ubyte v2, v[0:1], off
	s_mov_b64 s[22:23], 0
	s_mov_b64 s[26:27], -1
	s_waitcnt vmcnt(0)
	v_lshlrev_b32_e32 v3, 23, v2
	v_cvt_i32_f32_e32 v3, v3
	v_cmp_ne_u32_e32 vcc, 0, v2
	v_cndmask_b32_e32 v6, 0, v3, vcc
	s_branch .LBB70_1289
.LBB70_1288:
	s_mov_b64 s[22:23], -1
                                        ; implicit-def: $vgpr6
.LBB70_1289:
	s_mov_b64 s[30:31], 0
.LBB70_1290:
	s_and_b64 vcc, exec, s[30:31]
	s_cbranch_vccz .LBB70_1294
; %bb.1291:
	s_cmp_eq_u32 s34, 29
	s_cbranch_scc0 .LBB70_1293
; %bb.1292:
	global_load_dword v6, v[0:1], off
	s_mov_b64 s[22:23], 0
	s_mov_b64 s[26:27], -1
	s_branch .LBB70_1294
.LBB70_1293:
	s_mov_b64 s[22:23], -1
                                        ; implicit-def: $vgpr6
.LBB70_1294:
	s_mov_b64 s[30:31], 0
.LBB70_1295:
	s_and_b64 vcc, exec, s[30:31]
	s_cbranch_vccz .LBB70_1311
; %bb.1296:
	s_cmp_lt_i32 s34, 27
	s_cbranch_scc1 .LBB70_1299
; %bb.1297:
	s_cmp_gt_i32 s34, 27
	s_cbranch_scc0 .LBB70_1300
; %bb.1298:
	global_load_dword v6, v[0:1], off
	s_mov_b64 s[26:27], 0
	s_branch .LBB70_1301
.LBB70_1299:
	s_mov_b64 s[26:27], -1
                                        ; implicit-def: $vgpr6
	s_branch .LBB70_1304
.LBB70_1300:
	s_mov_b64 s[26:27], -1
                                        ; implicit-def: $vgpr6
.LBB70_1301:
	s_andn2_b64 vcc, exec, s[26:27]
	s_cbranch_vccnz .LBB70_1303
; %bb.1302:
	global_load_ushort v6, v[0:1], off
.LBB70_1303:
	s_mov_b64 s[26:27], 0
.LBB70_1304:
	s_andn2_b64 vcc, exec, s[26:27]
	s_cbranch_vccnz .LBB70_1310
; %bb.1305:
	global_load_ubyte v2, v[0:1], off
	s_movk_i32 s26, 0x7f
	s_mov_b64 s[30:31], 0
	s_waitcnt vmcnt(0)
	v_cmp_lt_i16_e32 vcc, s26, v2
	s_and_saveexec_b64 s[26:27], vcc
	s_xor_b64 s[26:27], exec, s[26:27]
	s_cbranch_execz .LBB70_1321
; %bb.1306:
	s_movk_i32 s30, 0x80
	v_cmp_ne_u16_e32 vcc, s30, v2
	s_and_b64 s[30:31], vcc, exec
	s_andn2_saveexec_b64 s[26:27], s[26:27]
	s_cbranch_execnz .LBB70_1322
.LBB70_1307:
	s_or_b64 exec, exec, s[26:27]
	v_mov_b32_e32 v6, 0
	s_and_saveexec_b64 s[26:27], s[30:31]
	s_cbranch_execz .LBB70_1309
.LBB70_1308:
	v_lshlrev_b32_e32 v3, 24, v2
	v_and_b32_e32 v2, 0xffff, v2
	v_and_b32_e32 v6, 7, v2
	v_ffbh_u32_e32 v8, v6
	v_min_u32_e32 v8, 32, v8
	v_subrev_u32_e32 v9, 28, v8
	v_bfe_u32 v7, v2, 3, 4
	v_lshlrev_b32_e32 v2, v9, v2
	v_sub_u32_e32 v8, 29, v8
	v_and_b32_e32 v2, 7, v2
	v_cmp_eq_u32_e32 vcc, 0, v7
	v_cndmask_b32_e32 v7, v7, v8, vcc
	v_cndmask_b32_e32 v2, v6, v2, vcc
	v_mov_b32_e32 v6, 0x3b800000
	v_lshlrev_b32_e32 v2, 20, v2
	v_and_b32_e32 v3, 0x80000000, v3
	v_lshl_add_u32 v6, v7, 23, v6
	v_or3_b32 v2, v3, v6, v2
	v_cvt_i32_f32_e32 v6, v2
.LBB70_1309:
	s_or_b64 exec, exec, s[26:27]
.LBB70_1310:
	s_mov_b64 s[26:27], -1
.LBB70_1311:
	s_branch .LBB70_1342
.LBB70_1312:
	s_cmp_gt_i32 s34, 22
	s_cbranch_scc0 .LBB70_1320
; %bb.1313:
	s_cmp_lt_i32 s34, 24
	s_cbranch_scc1 .LBB70_1323
; %bb.1314:
	s_cmp_gt_i32 s34, 24
	s_cbranch_scc0 .LBB70_1324
; %bb.1315:
	global_load_ubyte v2, v[0:1], off
	s_movk_i32 s26, 0x7f
	s_waitcnt vmcnt(0)
	v_cmp_lt_i16_e32 vcc, s26, v2
	s_and_saveexec_b64 s[26:27], vcc
	s_xor_b64 s[26:27], exec, s[26:27]
	s_cbranch_execz .LBB70_1336
; %bb.1316:
	s_movk_i32 s28, 0x80
	v_cmp_ne_u16_e32 vcc, s28, v2
	s_and_b64 s[28:29], vcc, exec
	s_andn2_saveexec_b64 s[26:27], s[26:27]
	s_cbranch_execnz .LBB70_1337
.LBB70_1317:
	s_or_b64 exec, exec, s[26:27]
	v_mov_b32_e32 v6, 0
	s_and_saveexec_b64 s[26:27], s[28:29]
	s_cbranch_execz .LBB70_1319
.LBB70_1318:
	v_lshlrev_b32_e32 v3, 24, v2
	v_and_b32_e32 v2, 0xffff, v2
	v_and_b32_e32 v6, 3, v2
	v_ffbh_u32_e32 v8, v6
	v_min_u32_e32 v8, 32, v8
	v_subrev_u32_e32 v9, 29, v8
	v_bfe_u32 v7, v2, 2, 5
	v_lshlrev_b32_e32 v2, v9, v2
	v_sub_u32_e32 v8, 30, v8
	v_and_b32_e32 v2, 3, v2
	v_cmp_eq_u32_e32 vcc, 0, v7
	v_cndmask_b32_e32 v7, v7, v8, vcc
	v_cndmask_b32_e32 v2, v6, v2, vcc
	v_mov_b32_e32 v6, 0x37800000
	v_lshlrev_b32_e32 v2, 21, v2
	v_and_b32_e32 v3, 0x80000000, v3
	v_lshl_add_u32 v6, v7, 23, v6
	v_or3_b32 v2, v3, v6, v2
	v_cvt_i32_f32_e32 v6, v2
.LBB70_1319:
	s_or_b64 exec, exec, s[26:27]
	s_mov_b64 s[26:27], 0
	s_branch .LBB70_1325
.LBB70_1320:
	s_mov_b64 s[28:29], -1
                                        ; implicit-def: $vgpr6
	s_branch .LBB70_1331
.LBB70_1321:
	s_andn2_saveexec_b64 s[26:27], s[26:27]
	s_cbranch_execz .LBB70_1307
.LBB70_1322:
	v_cmp_ne_u16_e32 vcc, 0, v2
	s_andn2_b64 s[30:31], s[30:31], exec
	s_and_b64 s[38:39], vcc, exec
	s_or_b64 s[30:31], s[30:31], s[38:39]
	s_or_b64 exec, exec, s[26:27]
	v_mov_b32_e32 v6, 0
	s_and_saveexec_b64 s[26:27], s[30:31]
	s_cbranch_execnz .LBB70_1308
	s_branch .LBB70_1309
.LBB70_1323:
	s_mov_b64 s[26:27], -1
                                        ; implicit-def: $vgpr6
	s_branch .LBB70_1328
.LBB70_1324:
	s_mov_b64 s[26:27], -1
                                        ; implicit-def: $vgpr6
.LBB70_1325:
	s_and_b64 vcc, exec, s[26:27]
	s_cbranch_vccz .LBB70_1327
; %bb.1326:
	global_load_ubyte v2, v[0:1], off
	s_mov_b32 s26, 0x7f800000
	s_waitcnt vmcnt(0)
	v_lshlrev_b32_e32 v2, 24, v2
	v_and_b32_e32 v3, 0x7f000000, v2
	v_ffbh_u32_e32 v6, v3
	v_min_u32_e32 v6, 32, v6
	v_sub_u32_e64 v6, v6, 4 clamp
	v_lshlrev_b32_e32 v8, v6, v3
	v_lshlrev_b32_e32 v6, 23, v6
	v_lshrrev_b32_e32 v8, 4, v8
	v_add_u32_e32 v7, 0x1000000, v3
	v_sub_u32_e32 v6, v8, v6
	v_ashrrev_i32_e32 v7, 8, v7
	v_add_u32_e32 v6, 0x3c000000, v6
	v_and_or_b32 v6, v7, s26, v6
	v_cmp_ne_u32_e32 vcc, 0, v3
	v_cndmask_b32_e32 v3, 0, v6, vcc
	s_brev_b32 s26, 1
	v_and_or_b32 v2, v2, s26, v3
	v_cvt_i32_f32_e32 v6, v2
.LBB70_1327:
	s_mov_b64 s[26:27], 0
.LBB70_1328:
	s_andn2_b64 vcc, exec, s[26:27]
	s_cbranch_vccnz .LBB70_1330
; %bb.1329:
	global_load_ubyte v2, v[0:1], off
	s_movk_i32 s26, 0x7f00
	s_brev_b32 s27, 16
	s_waitcnt vmcnt(0)
	v_lshlrev_b16_e32 v3, 8, v2
	v_lshlrev_b32_e32 v2, 25, v2
	v_lshrrev_b32_e32 v6, 4, v2
	v_and_or_b32 v7, v3, s26, 0.5
	v_or_b32_e32 v6, 0x70000000, v6
	v_add_f32_e32 v7, -0.5, v7
	v_mul_f32_e32 v6, 0x7800000, v6
	v_cmp_gt_u32_e32 vcc, s27, v2
	v_bfe_i32 v3, v3, 0, 16
	v_cndmask_b32_e32 v2, v6, v7, vcc
	s_brev_b32 s26, 1
	v_and_or_b32 v2, v3, s26, v2
	v_cvt_i32_f32_e32 v6, v2
.LBB70_1330:
	s_mov_b64 s[28:29], 0
	s_mov_b64 s[26:27], -1
.LBB70_1331:
	s_andn2_b64 vcc, exec, s[28:29]
	s_mov_b64 s[28:29], 0
	s_cbranch_vccnz .LBB70_1342
; %bb.1332:
	s_cmp_gt_i32 s34, 14
	s_cbranch_scc0 .LBB70_1335
; %bb.1333:
	s_cmp_eq_u32 s34, 15
	s_cbranch_scc0 .LBB70_1338
; %bb.1334:
	global_load_ushort v2, v[0:1], off
	s_mov_b64 s[22:23], 0
	s_mov_b64 s[26:27], -1
	s_waitcnt vmcnt(0)
	v_lshlrev_b32_e32 v2, 16, v2
	v_cvt_i32_f32_e32 v6, v2
	s_branch .LBB70_1339
.LBB70_1335:
	s_mov_b64 s[30:31], -1
                                        ; implicit-def: $vgpr6
	s_branch .LBB70_1340
.LBB70_1336:
	s_andn2_saveexec_b64 s[26:27], s[26:27]
	s_cbranch_execz .LBB70_1317
.LBB70_1337:
	v_cmp_ne_u16_e32 vcc, 0, v2
	s_andn2_b64 s[28:29], s[28:29], exec
	s_and_b64 s[30:31], vcc, exec
	s_or_b64 s[28:29], s[28:29], s[30:31]
	s_or_b64 exec, exec, s[26:27]
	v_mov_b32_e32 v6, 0
	s_and_saveexec_b64 s[26:27], s[28:29]
	s_cbranch_execnz .LBB70_1318
	s_branch .LBB70_1319
.LBB70_1338:
	s_mov_b64 s[22:23], -1
                                        ; implicit-def: $vgpr6
.LBB70_1339:
	s_mov_b64 s[30:31], 0
.LBB70_1340:
	s_and_b64 vcc, exec, s[30:31]
	s_cbranch_vccz .LBB70_1342
; %bb.1341:
	s_cmp_lg_u32 s34, 11
	s_cselect_b64 s[30:31], -1, 0
	s_andn2_b64 s[22:23], s[22:23], exec
	s_and_b64 s[30:31], s[30:31], exec
	s_mov_b64 s[28:29], -1
	s_or_b64 s[22:23], s[22:23], s[30:31]
.LBB70_1342:
	s_mov_b64 s[30:31], 0
.LBB70_1343:
	s_andn2_b64 s[20:21], s[20:21], exec
	s_and_b64 s[22:23], s[22:23], exec
	s_and_b64 s[26:27], s[26:27], exec
	;; [unrolled: 1-line block ×4, first 2 shown]
	s_or_b64 s[20:21], s[20:21], s[22:23]
	s_or_b64 exec, exec, s[0:1]
	s_and_saveexec_b64 s[0:1], s[20:21]
	s_cbranch_execz .LBB70_1276
.LBB70_1344:
	s_or_b64 s[24:25], s[24:25], exec
	s_andn2_b64 s[28:29], s[28:29], exec
	s_trap 2
	s_or_b64 exec, exec, s[0:1]
	s_and_saveexec_b64 s[0:1], s[28:29]
	s_xor_b64 s[0:1], exec, s[0:1]
	s_cbranch_execnz .LBB70_1277
.LBB70_1345:
	s_or_b64 exec, exec, s[0:1]
	s_and_saveexec_b64 s[0:1], s[34:35]
	s_cbranch_execz .LBB70_1391
.LBB70_1346:
	s_sext_i32_i16 s20, s36
	s_cmp_lt_i32 s20, 5
	s_cbranch_scc1 .LBB70_1351
; %bb.1347:
	s_cmp_lt_i32 s20, 8
	s_cbranch_scc1 .LBB70_1352
; %bb.1348:
	;; [unrolled: 3-line block ×3, first 2 shown]
	s_cmp_gt_i32 s20, 9
	s_cbranch_scc0 .LBB70_1354
; %bb.1350:
	global_load_dwordx2 v[2:3], v[0:1], off
	s_mov_b64 s[20:21], 0
	s_waitcnt vmcnt(0)
	v_cvt_i32_f64_e32 v6, v[2:3]
	s_branch .LBB70_1355
.LBB70_1351:
                                        ; implicit-def: $vgpr6
	s_branch .LBB70_1372
.LBB70_1352:
                                        ; implicit-def: $vgpr6
	s_branch .LBB70_1361
.LBB70_1353:
	s_mov_b64 s[20:21], -1
                                        ; implicit-def: $vgpr6
	s_branch .LBB70_1358
.LBB70_1354:
	s_mov_b64 s[20:21], -1
                                        ; implicit-def: $vgpr6
.LBB70_1355:
	s_andn2_b64 vcc, exec, s[20:21]
	s_cbranch_vccnz .LBB70_1357
; %bb.1356:
	global_load_dword v2, v[0:1], off
	s_waitcnt vmcnt(0)
	v_cvt_i32_f32_e32 v6, v2
.LBB70_1357:
	s_mov_b64 s[20:21], 0
.LBB70_1358:
	s_andn2_b64 vcc, exec, s[20:21]
	s_cbranch_vccnz .LBB70_1360
; %bb.1359:
	global_load_dword v2, v[0:1], off
	s_waitcnt vmcnt(0)
	v_cvt_f32_f16_e32 v2, v2
	v_cvt_i32_f32_e32 v6, v2
.LBB70_1360:
	s_cbranch_execnz .LBB70_1371
.LBB70_1361:
	s_sext_i32_i16 s20, s36
	s_cmp_lt_i32 s20, 6
	s_cbranch_scc1 .LBB70_1364
; %bb.1362:
	s_cmp_gt_i32 s20, 6
	s_cbranch_scc0 .LBB70_1365
; %bb.1363:
	global_load_dwordx2 v[2:3], v[0:1], off
	s_mov_b64 s[20:21], 0
	s_waitcnt vmcnt(0)
	v_cvt_i32_f64_e32 v6, v[2:3]
	s_branch .LBB70_1366
.LBB70_1364:
	s_mov_b64 s[20:21], -1
                                        ; implicit-def: $vgpr6
	s_branch .LBB70_1369
.LBB70_1365:
	s_mov_b64 s[20:21], -1
                                        ; implicit-def: $vgpr6
.LBB70_1366:
	s_andn2_b64 vcc, exec, s[20:21]
	s_cbranch_vccnz .LBB70_1368
; %bb.1367:
	global_load_dword v2, v[0:1], off
	s_waitcnt vmcnt(0)
	v_cvt_i32_f32_e32 v6, v2
.LBB70_1368:
	s_mov_b64 s[20:21], 0
.LBB70_1369:
	s_andn2_b64 vcc, exec, s[20:21]
	s_cbranch_vccnz .LBB70_1371
; %bb.1370:
	global_load_ushort v2, v[0:1], off
	s_waitcnt vmcnt(0)
	v_cvt_f32_f16_e32 v2, v2
	v_cvt_i32_f32_e32 v6, v2
.LBB70_1371:
	s_cbranch_execnz .LBB70_1390
.LBB70_1372:
	s_sext_i32_i16 s20, s36
	s_cmp_lt_i32 s20, 2
	s_cbranch_scc1 .LBB70_1376
; %bb.1373:
	s_cmp_lt_i32 s20, 3
	s_cbranch_scc1 .LBB70_1377
; %bb.1374:
	s_cmp_gt_i32 s20, 3
	s_cbranch_scc0 .LBB70_1378
; %bb.1375:
	global_load_dword v6, v[0:1], off
	s_mov_b64 s[20:21], 0
	s_branch .LBB70_1379
.LBB70_1376:
                                        ; implicit-def: $vgpr6
	s_branch .LBB70_1385
.LBB70_1377:
	s_mov_b64 s[20:21], -1
                                        ; implicit-def: $vgpr6
	s_branch .LBB70_1382
.LBB70_1378:
	s_mov_b64 s[20:21], -1
                                        ; implicit-def: $vgpr6
.LBB70_1379:
	s_andn2_b64 vcc, exec, s[20:21]
	s_cbranch_vccnz .LBB70_1381
; %bb.1380:
	global_load_dword v6, v[0:1], off
.LBB70_1381:
	s_mov_b64 s[20:21], 0
.LBB70_1382:
	s_andn2_b64 vcc, exec, s[20:21]
	s_cbranch_vccnz .LBB70_1384
; %bb.1383:
	global_load_sshort v6, v[0:1], off
.LBB70_1384:
	s_cbranch_execnz .LBB70_1390
.LBB70_1385:
	s_sext_i32_i16 s20, s36
	s_cmp_gt_i32 s20, 0
	s_cbranch_scc0 .LBB70_1387
; %bb.1386:
	global_load_sbyte v6, v[0:1], off
	s_mov_b64 s[20:21], 0
	s_branch .LBB70_1388
.LBB70_1387:
	s_mov_b64 s[20:21], -1
                                        ; implicit-def: $vgpr6
.LBB70_1388:
	s_andn2_b64 vcc, exec, s[20:21]
	s_cbranch_vccnz .LBB70_1390
; %bb.1389:
	global_load_ubyte v6, v[0:1], off
.LBB70_1390:
	s_or_b64 s[26:27], s[26:27], exec
.LBB70_1391:
	s_or_b64 exec, exec, s[0:1]
	s_mov_b64 s[28:29], 0
	s_mov_b64 s[22:23], 0
                                        ; implicit-def: $sgpr34
                                        ; implicit-def: $vgpr2_vgpr3
                                        ; implicit-def: $vgpr0
	s_and_saveexec_b64 s[20:21], s[26:27]
	s_cbranch_execz .LBB70_1399
; %bb.1392:
	v_mul_lo_u32 v1, v4, s12
	v_mov_b32_e32 v0, s2
	s_waitcnt vmcnt(0)
	v_cmp_lt_i32_e32 vcc, s15, v5
	v_cndmask_b32_e32 v0, v0, v6, vcc
	v_ashrrev_i32_e32 v3, 31, v1
	v_mov_b32_e32 v4, s9
	s_and_b32 s34, s3, 0xff
	v_add_co_u32_e32 v2, vcc, s8, v1
	s_cmp_lt_i32 s34, 11
	v_addc_co_u32_e32 v3, vcc, v4, v3, vcc
	s_cbranch_scc1 .LBB70_1402
; %bb.1393:
	s_and_b32 s35, 0xffff, s34
	s_mov_b64 s[26:27], -1
	s_cmp_gt_i32 s35, 25
	s_mov_b64 s[0:1], s[18:19]
	s_cbranch_scc0 .LBB70_1430
; %bb.1394:
	s_mov_b64 s[22:23], -1
	s_cmp_gt_i32 s35, 28
	s_mov_b64 s[0:1], s[18:19]
	s_cbranch_scc0 .LBB70_1414
; %bb.1395:
	s_cmp_gt_i32 s35, 43
	s_mov_b64 s[0:1], s[18:19]
	s_cbranch_scc0 .LBB70_1410
; %bb.1396:
	;; [unrolled: 4-line block ×3, first 2 shown]
	s_cmp_eq_u32 s35, 46
	s_mov_b64 s[0:1], -1
	s_cbranch_scc0 .LBB70_1403
; %bb.1398:
	v_cvt_f32_i32_e32 v1, v0
	s_movk_i32 s0, 0x7fff
	s_mov_b64 s[22:23], 0
	v_bfe_u32 v4, v1, 16, 1
	v_add3_u32 v1, v1, v4, s0
	v_lshrrev_b32_e32 v1, 16, v1
	global_store_dword v[2:3], v1, off
	s_mov_b64 s[0:1], 0
	s_branch .LBB70_1404
.LBB70_1399:
	s_or_b64 exec, exec, s[20:21]
	s_and_saveexec_b64 s[0:1], s[18:19]
	s_cbranch_execnz .LBB70_1472
.LBB70_1400:
	s_or_b64 exec, exec, s[0:1]
	s_and_saveexec_b64 s[0:1], s[28:29]
	s_xor_b64 s[0:1], exec, s[0:1]
	s_cbranch_execz .LBB70_1473
.LBB70_1401:
	v_cmp_ne_u32_e32 vcc, 0, v0
	v_cndmask_b32_e64 v1, 0, 1, vcc
	s_waitcnt vmcnt(0)
	global_store_byte v[2:3], v1, off
	s_or_b64 exec, exec, s[0:1]
	s_and_saveexec_b64 s[0:1], s[22:23]
	s_xor_b64 s[0:1], exec, s[0:1]
	s_cbranch_execz .LBB70_1511
	s_branch .LBB70_1474
.LBB70_1402:
	s_mov_b64 s[26:27], 0
	s_mov_b64 s[22:23], -1
	s_mov_b64 s[0:1], s[18:19]
	s_branch .LBB70_1471
.LBB70_1403:
	s_mov_b64 s[22:23], 0
.LBB70_1404:
	s_and_b64 vcc, exec, s[22:23]
	s_cbranch_vccz .LBB70_1409
; %bb.1405:
	s_cmp_eq_u32 s35, 44
	s_mov_b64 s[0:1], -1
	s_cbranch_scc0 .LBB70_1409
; %bb.1406:
	v_cvt_f32_i32_e32 v1, v0
	s_movk_i32 s0, 0xff
	v_mov_b32_e32 v5, 0xff
	v_bfe_u32 v4, v1, 23, 8
	v_cmp_ne_u32_e32 vcc, s0, v4
	s_and_saveexec_b64 s[22:23], vcc
; %bb.1407:
	s_mov_b32 s0, 0x3fffff
	v_lshrrev_b32_e32 v5, 23, v1
	v_and_b32_e32 v6, 0x400000, v1
	v_and_or_b32 v1, v1, s0, v4
	v_cmp_ne_u32_e32 vcc, 0, v6
	v_cmp_ne_u32_e64 s[0:1], 0, v1
	s_and_b64 s[0:1], vcc, s[0:1]
	v_cndmask_b32_e64 v1, 0, 1, s[0:1]
	v_add_u32_e32 v5, v5, v1
; %bb.1408:
	s_or_b64 exec, exec, s[22:23]
	s_mov_b64 s[0:1], 0
	global_store_byte v[2:3], v5, off
.LBB70_1409:
	s_mov_b64 s[22:23], 0
.LBB70_1410:
	s_and_b64 vcc, exec, s[22:23]
	s_cbranch_vccz .LBB70_1413
; %bb.1411:
	s_cmp_eq_u32 s35, 29
	s_mov_b64 s[0:1], -1
	s_cbranch_scc0 .LBB70_1413
; %bb.1412:
	v_ashrrev_i32_e32 v1, 31, v0
	global_store_dwordx2 v[2:3], v[0:1], off
	s_mov_b64 s[0:1], 0
.LBB70_1413:
	s_mov_b64 s[22:23], 0
.LBB70_1414:
	s_and_b64 vcc, exec, s[22:23]
	s_cbranch_vccz .LBB70_1429
; %bb.1415:
	s_cmp_lt_i32 s35, 27
	s_mov_b64 s[22:23], -1
	s_cbranch_scc1 .LBB70_1421
; %bb.1416:
	s_cmp_gt_i32 s35, 27
	s_cbranch_scc0 .LBB70_1418
; %bb.1417:
	s_mov_b64 s[22:23], 0
	global_store_dword v[2:3], v0, off
.LBB70_1418:
	s_andn2_b64 vcc, exec, s[22:23]
	s_cbranch_vccnz .LBB70_1420
; %bb.1419:
	global_store_short v[2:3], v0, off
.LBB70_1420:
	s_mov_b64 s[22:23], 0
.LBB70_1421:
	s_andn2_b64 vcc, exec, s[22:23]
	s_cbranch_vccnz .LBB70_1429
; %bb.1422:
	v_cvt_f32_i32_e32 v1, v0
	s_mov_b32 s22, 0x43800000
	v_mov_b32_e32 v5, 0x80
	v_and_b32_e32 v4, 0x7fffffff, v1
	v_cmp_gt_u32_e32 vcc, s22, v4
	s_and_saveexec_b64 s[22:23], vcc
	s_cbranch_execz .LBB70_1428
; %bb.1423:
	s_mov_b32 s26, 0x3bffffff
	v_cmp_lt_u32_e32 vcc, s26, v4
	s_mov_b64 s[26:27], 0
                                        ; implicit-def: $vgpr4
	s_and_saveexec_b64 s[28:29], vcc
	s_xor_b64 s[28:29], exec, s[28:29]
	s_cbranch_execz .LBB70_1526
; %bb.1424:
	v_bfe_u32 v4, v1, 20, 1
	s_mov_b32 s30, 0x487ffff
	v_add3_u32 v4, v1, v4, s30
	s_mov_b64 s[26:27], exec
	v_lshrrev_b32_e32 v4, 20, v4
	s_andn2_saveexec_b64 s[28:29], s[28:29]
	s_cbranch_execnz .LBB70_1527
.LBB70_1425:
	s_or_b64 exec, exec, s[28:29]
	v_mov_b32_e32 v5, 0
	s_and_saveexec_b64 s[28:29], s[26:27]
.LBB70_1426:
	v_lshrrev_b32_e32 v1, 24, v1
	s_movk_i32 s26, 0x80
	v_and_or_b32 v5, v1, s26, v4
.LBB70_1427:
	s_or_b64 exec, exec, s[28:29]
.LBB70_1428:
	s_or_b64 exec, exec, s[22:23]
	global_store_byte v[2:3], v5, off
.LBB70_1429:
	s_mov_b64 s[26:27], 0
.LBB70_1430:
	s_mov_b64 s[22:23], 0
	s_and_b64 vcc, exec, s[26:27]
	s_cbranch_vccz .LBB70_1470
; %bb.1431:
	s_cmp_gt_i32 s35, 22
	s_mov_b64 s[26:27], -1
	s_cbranch_scc0 .LBB70_1463
; %bb.1432:
	s_cmp_lt_i32 s35, 24
	s_cbranch_scc1 .LBB70_1452
; %bb.1433:
	s_cmp_gt_i32 s35, 24
	s_cbranch_scc0 .LBB70_1441
; %bb.1434:
	v_cvt_f32_i32_e32 v1, v0
	s_mov_b32 s26, 0x47800000
	v_mov_b32_e32 v5, 0x80
	v_and_b32_e32 v4, 0x7fffffff, v1
	v_cmp_gt_u32_e32 vcc, s26, v4
	s_and_saveexec_b64 s[26:27], vcc
	s_cbranch_execz .LBB70_1440
; %bb.1435:
	s_mov_b32 s28, 0x37ffffff
	v_cmp_lt_u32_e32 vcc, s28, v4
	s_mov_b64 s[28:29], 0
                                        ; implicit-def: $vgpr4
	s_and_saveexec_b64 s[30:31], vcc
	s_xor_b64 s[30:31], exec, s[30:31]
	s_cbranch_execz .LBB70_1646
; %bb.1436:
	v_bfe_u32 v4, v1, 21, 1
	s_mov_b32 s36, 0x88fffff
	v_add3_u32 v4, v1, v4, s36
	s_mov_b64 s[28:29], exec
	v_lshrrev_b32_e32 v4, 21, v4
	s_andn2_saveexec_b64 s[30:31], s[30:31]
	s_cbranch_execnz .LBB70_1647
.LBB70_1437:
	s_or_b64 exec, exec, s[30:31]
	v_mov_b32_e32 v5, 0
	s_and_saveexec_b64 s[30:31], s[28:29]
.LBB70_1438:
	v_lshrrev_b32_e32 v1, 24, v1
	s_movk_i32 s28, 0x80
	v_and_or_b32 v5, v1, s28, v4
.LBB70_1439:
	s_or_b64 exec, exec, s[30:31]
.LBB70_1440:
	s_or_b64 exec, exec, s[26:27]
	s_mov_b64 s[26:27], 0
	global_store_byte v[2:3], v5, off
.LBB70_1441:
	s_and_b64 vcc, exec, s[26:27]
	s_cbranch_vccz .LBB70_1451
; %bb.1442:
	v_cvt_f32_i32_e32 v1, v0
	s_mov_b32 s26, 0x43f00000
                                        ; implicit-def: $vgpr4
	v_and_b32_e32 v5, 0x7fffffff, v1
	v_cmp_gt_u32_e32 vcc, s26, v5
	s_and_saveexec_b64 s[26:27], vcc
	s_xor_b64 s[26:27], exec, s[26:27]
	s_cbranch_execz .LBB70_1448
; %bb.1443:
	s_mov_b32 s28, 0x3c7fffff
	v_cmp_lt_u32_e32 vcc, s28, v5
                                        ; implicit-def: $vgpr4
	s_and_saveexec_b64 s[28:29], vcc
	s_xor_b64 s[28:29], exec, s[28:29]
; %bb.1444:
	v_bfe_u32 v4, v1, 20, 1
	s_mov_b32 s30, 0x407ffff
	v_add3_u32 v4, v1, v4, s30
	v_lshrrev_b32_e32 v5, 20, v4
	v_and_b32_e32 v4, 0xff00000, v4
	s_mov_b32 s30, 0x7f00000
	v_mov_b32_e32 v6, 0x7e
	v_cmp_ne_u32_e32 vcc, s30, v4
	v_cndmask_b32_e32 v4, v6, v5, vcc
; %bb.1445:
	s_andn2_saveexec_b64 s[28:29], s[28:29]
; %bb.1446:
	s_mov_b32 s30, 0x46800000
	v_add_f32_e64 v4, |v1|, s30
; %bb.1447:
	s_or_b64 exec, exec, s[28:29]
                                        ; implicit-def: $vgpr5
.LBB70_1448:
	s_andn2_saveexec_b64 s[26:27], s[26:27]
; %bb.1449:
	s_mov_b32 s28, 0x7f800000
	v_mov_b32_e32 v4, 0x7e
	v_mov_b32_e32 v6, 0x7f
	v_cmp_lt_u32_e32 vcc, s28, v5
	v_cndmask_b32_e32 v4, v4, v6, vcc
; %bb.1450:
	s_or_b64 exec, exec, s[26:27]
	v_lshrrev_b32_e32 v1, 24, v1
	s_movk_i32 s26, 0x80
	v_and_or_b32 v1, v1, s26, v4
	global_store_byte v[2:3], v1, off
.LBB70_1451:
	s_mov_b64 s[26:27], 0
.LBB70_1452:
	s_andn2_b64 vcc, exec, s[26:27]
	s_cbranch_vccnz .LBB70_1462
; %bb.1453:
	v_cvt_f32_i32_e32 v1, v0
	s_mov_b32 s26, 0x47800000
                                        ; implicit-def: $vgpr4
	v_and_b32_e32 v5, 0x7fffffff, v1
	v_cmp_gt_u32_e32 vcc, s26, v5
	s_and_saveexec_b64 s[26:27], vcc
	s_xor_b64 s[26:27], exec, s[26:27]
	s_cbranch_execz .LBB70_1459
; %bb.1454:
	s_mov_b32 s28, 0x387fffff
	v_cmp_lt_u32_e32 vcc, s28, v5
                                        ; implicit-def: $vgpr4
	s_and_saveexec_b64 s[28:29], vcc
	s_xor_b64 s[28:29], exec, s[28:29]
; %bb.1455:
	v_bfe_u32 v4, v1, 21, 1
	s_mov_b32 s30, 0x80fffff
	v_add3_u32 v4, v1, v4, s30
	v_lshrrev_b32_e32 v4, 21, v4
; %bb.1456:
	s_andn2_saveexec_b64 s[28:29], s[28:29]
; %bb.1457:
	s_mov_b32 s30, 0x43000000
	v_add_f32_e64 v4, |v1|, s30
; %bb.1458:
	s_or_b64 exec, exec, s[28:29]
                                        ; implicit-def: $vgpr5
.LBB70_1459:
	s_andn2_saveexec_b64 s[26:27], s[26:27]
; %bb.1460:
	s_mov_b32 s28, 0x7f800000
	v_mov_b32_e32 v4, 0x7c
	v_mov_b32_e32 v6, 0x7f
	v_cmp_lt_u32_e32 vcc, s28, v5
	v_cndmask_b32_e32 v4, v4, v6, vcc
; %bb.1461:
	s_or_b64 exec, exec, s[26:27]
	v_lshrrev_b32_e32 v1, 24, v1
	s_movk_i32 s26, 0x80
	v_and_or_b32 v1, v1, s26, v4
	global_store_byte v[2:3], v1, off
.LBB70_1462:
	s_mov_b64 s[26:27], 0
.LBB70_1463:
	s_andn2_b64 vcc, exec, s[26:27]
	s_mov_b64 s[26:27], 0
	s_cbranch_vccnz .LBB70_1471
; %bb.1464:
	s_cmp_gt_i32 s35, 14
	s_mov_b64 s[28:29], -1
	s_cbranch_scc0 .LBB70_1468
; %bb.1465:
	s_cmp_eq_u32 s35, 15
	s_mov_b64 s[0:1], -1
	s_cbranch_scc0 .LBB70_1467
; %bb.1466:
	v_cvt_f32_i32_e32 v1, v0
	s_movk_i32 s0, 0x7fff
	v_bfe_u32 v4, v1, 16, 1
	v_add3_u32 v1, v1, v4, s0
	global_store_short_d16_hi v[2:3], v1, off
	s_mov_b64 s[0:1], 0
.LBB70_1467:
	s_mov_b64 s[28:29], 0
.LBB70_1468:
	s_and_b64 vcc, exec, s[28:29]
	s_cbranch_vccz .LBB70_1471
; %bb.1469:
	s_cmp_lg_u32 s35, 11
	s_cselect_b64 s[28:29], -1, 0
	s_andn2_b64 s[0:1], s[0:1], exec
	s_and_b64 s[28:29], s[28:29], exec
	s_mov_b64 s[26:27], -1
	s_or_b64 s[0:1], s[0:1], s[28:29]
	s_branch .LBB70_1471
.LBB70_1470:
	s_mov_b64 s[26:27], 0
.LBB70_1471:
	s_andn2_b64 s[18:19], s[18:19], exec
	s_and_b64 s[0:1], s[0:1], exec
	s_and_b64 s[22:23], s[22:23], exec
	;; [unrolled: 1-line block ×3, first 2 shown]
	s_or_b64 s[18:19], s[18:19], s[0:1]
	s_or_b64 exec, exec, s[20:21]
	s_and_saveexec_b64 s[0:1], s[18:19]
	s_cbranch_execz .LBB70_1400
.LBB70_1472:
	s_or_b64 s[24:25], s[24:25], exec
	s_andn2_b64 s[28:29], s[28:29], exec
	s_trap 2
	s_or_b64 exec, exec, s[0:1]
	s_and_saveexec_b64 s[0:1], s[28:29]
	s_xor_b64 s[0:1], exec, s[0:1]
	s_cbranch_execnz .LBB70_1401
.LBB70_1473:
	s_or_b64 exec, exec, s[0:1]
	s_and_saveexec_b64 s[0:1], s[22:23]
	s_xor_b64 s[0:1], exec, s[0:1]
	s_cbranch_execz .LBB70_1511
.LBB70_1474:
	s_sext_i32_i16 s20, s34
	s_cmp_lt_i32 s20, 5
	s_mov_b64 s[18:19], -1
	s_cbranch_scc1 .LBB70_1495
; %bb.1475:
	s_cmp_lt_i32 s20, 8
	s_cbranch_scc1 .LBB70_1485
; %bb.1476:
	s_cmp_lt_i32 s20, 9
	s_cbranch_scc1 .LBB70_1482
; %bb.1477:
	s_cmp_gt_i32 s20, 9
	s_cbranch_scc0 .LBB70_1479
; %bb.1478:
	s_waitcnt vmcnt(0)
	v_cvt_f64_i32_e32 v[4:5], v0
	v_mov_b32_e32 v6, 0
	v_mov_b32_e32 v7, v6
	s_mov_b64 s[18:19], 0
	global_store_dwordx4 v[2:3], v[4:7], off
.LBB70_1479:
	s_andn2_b64 vcc, exec, s[18:19]
	s_cbranch_vccnz .LBB70_1481
; %bb.1480:
	v_cvt_f32_i32_e32 v4, v0
	s_waitcnt vmcnt(0)
	v_mov_b32_e32 v5, 0
	global_store_dwordx2 v[2:3], v[4:5], off
.LBB70_1481:
	s_mov_b64 s[18:19], 0
.LBB70_1482:
	s_andn2_b64 vcc, exec, s[18:19]
	s_cbranch_vccnz .LBB70_1484
; %bb.1483:
	v_cvt_f32_i32_e32 v1, v0
	v_cvt_f16_f32_e32 v1, v1
	s_waitcnt vmcnt(0)
	global_store_dword v[2:3], v1, off
.LBB70_1484:
	s_mov_b64 s[18:19], 0
.LBB70_1485:
	s_andn2_b64 vcc, exec, s[18:19]
	s_cbranch_vccnz .LBB70_1494
; %bb.1486:
	s_sext_i32_i16 s20, s34
	s_cmp_lt_i32 s20, 6
	s_mov_b64 s[18:19], -1
	s_cbranch_scc1 .LBB70_1492
; %bb.1487:
	s_cmp_gt_i32 s20, 6
	s_cbranch_scc0 .LBB70_1489
; %bb.1488:
	s_waitcnt vmcnt(0)
	v_cvt_f64_i32_e32 v[4:5], v0
	s_mov_b64 s[18:19], 0
	global_store_dwordx2 v[2:3], v[4:5], off
.LBB70_1489:
	s_andn2_b64 vcc, exec, s[18:19]
	s_cbranch_vccnz .LBB70_1491
; %bb.1490:
	v_cvt_f32_i32_e32 v1, v0
	s_waitcnt vmcnt(0)
	global_store_dword v[2:3], v1, off
.LBB70_1491:
	s_mov_b64 s[18:19], 0
.LBB70_1492:
	s_andn2_b64 vcc, exec, s[18:19]
	s_cbranch_vccnz .LBB70_1494
; %bb.1493:
	v_cvt_f32_i32_e32 v1, v0
	v_cvt_f16_f32_e32 v1, v1
	s_waitcnt vmcnt(0)
	global_store_short v[2:3], v1, off
.LBB70_1494:
	s_mov_b64 s[18:19], 0
.LBB70_1495:
	s_andn2_b64 vcc, exec, s[18:19]
	s_cbranch_vccnz .LBB70_1511
; %bb.1496:
	s_sext_i32_i16 s20, s34
	s_cmp_lt_i32 s20, 2
	s_mov_b64 s[18:19], -1
	s_cbranch_scc1 .LBB70_1506
; %bb.1497:
	s_cmp_lt_i32 s20, 3
	s_cbranch_scc1 .LBB70_1503
; %bb.1498:
	s_cmp_gt_i32 s20, 3
	s_cbranch_scc0 .LBB70_1500
; %bb.1499:
	v_ashrrev_i32_e32 v1, 31, v0
	s_mov_b64 s[18:19], 0
	s_waitcnt vmcnt(0)
	global_store_dwordx2 v[2:3], v[0:1], off
.LBB70_1500:
	s_andn2_b64 vcc, exec, s[18:19]
	s_cbranch_vccnz .LBB70_1502
; %bb.1501:
	s_waitcnt vmcnt(0)
	global_store_dword v[2:3], v0, off
.LBB70_1502:
	s_mov_b64 s[18:19], 0
.LBB70_1503:
	s_andn2_b64 vcc, exec, s[18:19]
	s_cbranch_vccnz .LBB70_1505
; %bb.1504:
	s_waitcnt vmcnt(0)
	global_store_short v[2:3], v0, off
.LBB70_1505:
	s_mov_b64 s[18:19], 0
.LBB70_1506:
	s_andn2_b64 vcc, exec, s[18:19]
	s_cbranch_vccnz .LBB70_1511
; %bb.1507:
	s_sext_i32_i16 s18, s34
	s_cmp_gt_i32 s18, 0
	s_mov_b64 s[18:19], -1
	s_cbranch_scc0 .LBB70_1509
; %bb.1508:
	s_mov_b64 s[18:19], 0
	s_waitcnt vmcnt(0)
	global_store_byte v[2:3], v0, off
.LBB70_1509:
	s_andn2_b64 vcc, exec, s[18:19]
	s_cbranch_vccnz .LBB70_1511
; %bb.1510:
	s_waitcnt vmcnt(0)
	global_store_byte v[2:3], v0, off
.LBB70_1511:
	s_or_b64 exec, exec, s[0:1]
	s_and_b64 s[18:19], s[24:25], exec
                                        ; implicit-def: $vgpr4
.LBB70_1512:
	s_or_saveexec_b64 s[6:7], s[6:7]
	s_mov_b64 s[0:1], 0
                                        ; implicit-def: $sgpr24
                                        ; implicit-def: $vgpr0_vgpr1
                                        ; implicit-def: $vgpr2
	s_xor_b64 exec, exec, s[6:7]
	s_cbranch_execz .LBB70_2949
; %bb.1513:
	s_waitcnt vmcnt(0)
	v_mul_lo_u32 v5, s13, v4
	v_mov_b32_e32 v1, s11
	s_and_b32 s26, s56, 0xff
	s_cmp_lt_i32 s26, 11
	v_ashrrev_i32_e32 v2, 31, v5
	v_add_co_u32_e32 v0, vcc, s10, v5
	v_addc_co_u32_e32 v1, vcc, v1, v2, vcc
	s_cbranch_scc1 .LBB70_1520
; %bb.1514:
	s_and_b32 s24, 0xffff, s26
	s_cmp_gt_i32 s24, 25
	s_cbranch_scc0 .LBB70_1522
; %bb.1515:
	s_cmp_gt_i32 s24, 28
	s_cbranch_scc0 .LBB70_1523
; %bb.1516:
	;; [unrolled: 3-line block ×4, first 2 shown]
	s_cmp_eq_u32 s24, 46
	s_mov_b64 s[20:21], 0
	s_cbranch_scc0 .LBB70_1528
; %bb.1519:
	global_load_dword v2, v[0:1], off
	s_mov_b64 s[22:23], -1
	s_waitcnt vmcnt(0)
	v_lshlrev_b32_e32 v2, 16, v2
	v_cvt_i32_f32_e32 v2, v2
	s_branch .LBB70_1529
.LBB70_1520:
	s_mov_b64 s[22:23], 0
                                        ; implicit-def: $vgpr2
	s_mov_b64 s[20:21], s[18:19]
	s_cbranch_execnz .LBB70_1587
.LBB70_1521:
	s_andn2_b64 vcc, exec, s[22:23]
	s_cbranch_vccz .LBB70_1632
	s_branch .LBB70_2947
.LBB70_1522:
	s_mov_b64 s[22:23], 0
                                        ; implicit-def: $vgpr2
	s_cbranch_execnz .LBB70_1554
	s_branch .LBB70_1583
.LBB70_1523:
	s_mov_b64 s[22:23], 0
                                        ; implicit-def: $vgpr2
	s_cbranch_execz .LBB70_1553
	s_branch .LBB70_1538
.LBB70_1524:
	s_mov_b64 s[22:23], 0
                                        ; implicit-def: $vgpr2
	s_cbranch_execnz .LBB70_1534
	s_branch .LBB70_1537
.LBB70_1525:
	s_mov_b64 s[20:21], -1
	s_mov_b64 s[22:23], 0
                                        ; implicit-def: $vgpr2
	s_branch .LBB70_1529
.LBB70_1526:
	s_andn2_saveexec_b64 s[28:29], s[28:29]
	s_cbranch_execz .LBB70_1425
.LBB70_1527:
	s_mov_b32 s30, 0x46000000
	v_add_f32_e64 v4, |v1|, s30
	v_and_b32_e32 v4, 0xff, v4
	v_cmp_ne_u32_e32 vcc, 0, v4
	s_andn2_b64 s[26:27], s[26:27], exec
	s_and_b64 s[30:31], vcc, exec
	s_or_b64 s[26:27], s[26:27], s[30:31]
	s_or_b64 exec, exec, s[28:29]
	v_mov_b32_e32 v5, 0
	s_and_saveexec_b64 s[28:29], s[26:27]
	s_cbranch_execnz .LBB70_1426
	s_branch .LBB70_1427
.LBB70_1528:
	s_mov_b64 s[0:1], -1
                                        ; implicit-def: $vgpr2
	s_mov_b64 s[22:23], 0
.LBB70_1529:
	s_and_b64 vcc, exec, s[20:21]
	s_cbranch_vccz .LBB70_1532
; %bb.1530:
	s_cmp_eq_u32 s24, 44
	s_cbranch_scc0 .LBB70_1533
; %bb.1531:
	global_load_ubyte v2, v[0:1], off
	s_mov_b64 s[0:1], 0
	s_mov_b64 s[22:23], -1
	s_waitcnt vmcnt(0)
	v_lshlrev_b32_e32 v3, 23, v2
	v_cvt_i32_f32_e32 v3, v3
	v_cmp_ne_u32_e32 vcc, 0, v2
	v_cndmask_b32_e32 v2, 0, v3, vcc
.LBB70_1532:
	s_branch .LBB70_1537
.LBB70_1533:
	s_mov_b64 s[0:1], -1
                                        ; implicit-def: $vgpr2
	s_branch .LBB70_1537
.LBB70_1534:
	s_cmp_eq_u32 s24, 29
	s_cbranch_scc0 .LBB70_1536
; %bb.1535:
	global_load_dword v2, v[0:1], off
	s_mov_b64 s[0:1], 0
	s_mov_b64 s[22:23], -1
	s_branch .LBB70_1537
.LBB70_1536:
	s_mov_b64 s[0:1], -1
                                        ; implicit-def: $vgpr2
.LBB70_1537:
	s_branch .LBB70_1553
.LBB70_1538:
	s_cmp_lt_i32 s24, 27
	s_cbranch_scc1 .LBB70_1541
; %bb.1539:
	s_cmp_gt_i32 s24, 27
	s_cbranch_scc0 .LBB70_1542
; %bb.1540:
	global_load_dword v2, v[0:1], off
	s_mov_b64 s[20:21], 0
	s_branch .LBB70_1543
.LBB70_1541:
	s_mov_b64 s[20:21], -1
                                        ; implicit-def: $vgpr2
	s_branch .LBB70_1546
.LBB70_1542:
	s_mov_b64 s[20:21], -1
                                        ; implicit-def: $vgpr2
.LBB70_1543:
	s_andn2_b64 vcc, exec, s[20:21]
	s_cbranch_vccnz .LBB70_1545
; %bb.1544:
	global_load_ushort v2, v[0:1], off
.LBB70_1545:
	s_mov_b64 s[20:21], 0
.LBB70_1546:
	s_andn2_b64 vcc, exec, s[20:21]
	s_cbranch_vccnz .LBB70_1552
; %bb.1547:
	global_load_ubyte v3, v[0:1], off
	s_movk_i32 s20, 0x7f
	s_mov_b64 s[22:23], 0
	s_waitcnt vmcnt(0)
	v_cmp_lt_i16_e32 vcc, s20, v3
	s_and_saveexec_b64 s[20:21], vcc
	s_xor_b64 s[20:21], exec, s[20:21]
	s_cbranch_execz .LBB70_1563
; %bb.1548:
	s_movk_i32 s22, 0x80
	v_cmp_ne_u16_e32 vcc, s22, v3
	s_and_b64 s[22:23], vcc, exec
	s_andn2_saveexec_b64 s[20:21], s[20:21]
	s_cbranch_execnz .LBB70_1564
.LBB70_1549:
	s_or_b64 exec, exec, s[20:21]
	v_mov_b32_e32 v2, 0
	s_and_saveexec_b64 s[20:21], s[22:23]
	s_cbranch_execz .LBB70_1551
.LBB70_1550:
	v_lshlrev_b32_e32 v2, 24, v3
	v_and_b32_e32 v3, 0xffff, v3
	v_and_b32_e32 v6, 7, v3
	v_ffbh_u32_e32 v8, v6
	v_min_u32_e32 v8, 32, v8
	v_subrev_u32_e32 v9, 28, v8
	v_bfe_u32 v7, v3, 3, 4
	v_lshlrev_b32_e32 v3, v9, v3
	v_sub_u32_e32 v8, 29, v8
	v_and_b32_e32 v3, 7, v3
	v_cmp_eq_u32_e32 vcc, 0, v7
	v_cndmask_b32_e32 v7, v7, v8, vcc
	v_cndmask_b32_e32 v3, v6, v3, vcc
	v_mov_b32_e32 v6, 0x3b800000
	v_lshlrev_b32_e32 v3, 20, v3
	v_and_b32_e32 v2, 0x80000000, v2
	v_lshl_add_u32 v6, v7, 23, v6
	v_or3_b32 v2, v2, v6, v3
	v_cvt_i32_f32_e32 v2, v2
.LBB70_1551:
	s_or_b64 exec, exec, s[20:21]
.LBB70_1552:
	s_mov_b64 s[22:23], -1
.LBB70_1553:
	s_branch .LBB70_1583
.LBB70_1554:
	s_cmp_gt_i32 s24, 22
	s_cbranch_scc0 .LBB70_1562
; %bb.1555:
	s_cmp_lt_i32 s24, 24
	s_cbranch_scc1 .LBB70_1565
; %bb.1556:
	s_cmp_gt_i32 s24, 24
	s_cbranch_scc0 .LBB70_1566
; %bb.1557:
	global_load_ubyte v3, v[0:1], off
	s_movk_i32 s4, 0x7f
	s_mov_b64 s[20:21], 0
	s_waitcnt vmcnt(0)
	v_cmp_lt_i16_e32 vcc, s4, v3
	s_and_saveexec_b64 s[4:5], vcc
	s_xor_b64 s[4:5], exec, s[4:5]
	s_cbranch_execz .LBB70_1577
; %bb.1558:
	s_movk_i32 s20, 0x80
	v_cmp_ne_u16_e32 vcc, s20, v3
	s_and_b64 s[20:21], vcc, exec
	s_andn2_saveexec_b64 s[4:5], s[4:5]
	s_cbranch_execnz .LBB70_1578
.LBB70_1559:
	s_or_b64 exec, exec, s[4:5]
	v_mov_b32_e32 v2, 0
	s_and_saveexec_b64 s[4:5], s[20:21]
	s_cbranch_execz .LBB70_1561
.LBB70_1560:
	v_lshlrev_b32_e32 v2, 24, v3
	v_and_b32_e32 v3, 0xffff, v3
	v_and_b32_e32 v6, 3, v3
	v_ffbh_u32_e32 v8, v6
	v_min_u32_e32 v8, 32, v8
	v_subrev_u32_e32 v9, 29, v8
	v_bfe_u32 v7, v3, 2, 5
	v_lshlrev_b32_e32 v3, v9, v3
	v_sub_u32_e32 v8, 30, v8
	v_and_b32_e32 v3, 3, v3
	v_cmp_eq_u32_e32 vcc, 0, v7
	v_cndmask_b32_e32 v7, v7, v8, vcc
	v_cndmask_b32_e32 v3, v6, v3, vcc
	v_mov_b32_e32 v6, 0x37800000
	v_lshlrev_b32_e32 v3, 21, v3
	v_and_b32_e32 v2, 0x80000000, v2
	v_lshl_add_u32 v6, v7, 23, v6
	v_or3_b32 v2, v2, v6, v3
	v_cvt_i32_f32_e32 v2, v2
.LBB70_1561:
	s_or_b64 exec, exec, s[4:5]
	s_mov_b64 s[4:5], 0
	s_branch .LBB70_1567
.LBB70_1562:
                                        ; implicit-def: $vgpr2
	s_mov_b64 s[4:5], 0
	s_branch .LBB70_1573
.LBB70_1563:
	s_andn2_saveexec_b64 s[20:21], s[20:21]
	s_cbranch_execz .LBB70_1549
.LBB70_1564:
	v_cmp_ne_u16_e32 vcc, 0, v3
	s_andn2_b64 s[22:23], s[22:23], exec
	s_and_b64 s[28:29], vcc, exec
	s_or_b64 s[22:23], s[22:23], s[28:29]
	s_or_b64 exec, exec, s[20:21]
	v_mov_b32_e32 v2, 0
	s_and_saveexec_b64 s[20:21], s[22:23]
	s_cbranch_execnz .LBB70_1550
	s_branch .LBB70_1551
.LBB70_1565:
	s_mov_b64 s[4:5], -1
                                        ; implicit-def: $vgpr2
	s_branch .LBB70_1570
.LBB70_1566:
	s_mov_b64 s[4:5], -1
                                        ; implicit-def: $vgpr2
.LBB70_1567:
	s_and_b64 vcc, exec, s[4:5]
	s_cbranch_vccz .LBB70_1569
; %bb.1568:
	global_load_ubyte v2, v[0:1], off
	s_mov_b32 s4, 0x7f800000
	s_waitcnt vmcnt(0)
	v_lshlrev_b32_e32 v2, 24, v2
	v_and_b32_e32 v3, 0x7f000000, v2
	v_ffbh_u32_e32 v6, v3
	v_min_u32_e32 v6, 32, v6
	v_sub_u32_e64 v6, v6, 4 clamp
	v_lshlrev_b32_e32 v8, v6, v3
	v_lshlrev_b32_e32 v6, 23, v6
	v_lshrrev_b32_e32 v8, 4, v8
	v_add_u32_e32 v7, 0x1000000, v3
	v_sub_u32_e32 v6, v8, v6
	v_ashrrev_i32_e32 v7, 8, v7
	v_add_u32_e32 v6, 0x3c000000, v6
	v_and_or_b32 v6, v7, s4, v6
	v_cmp_ne_u32_e32 vcc, 0, v3
	v_cndmask_b32_e32 v3, 0, v6, vcc
	s_brev_b32 s4, 1
	v_and_or_b32 v2, v2, s4, v3
	v_cvt_i32_f32_e32 v2, v2
.LBB70_1569:
	s_mov_b64 s[4:5], 0
.LBB70_1570:
	s_andn2_b64 vcc, exec, s[4:5]
	s_cbranch_vccnz .LBB70_1572
; %bb.1571:
	global_load_ubyte v2, v[0:1], off
	s_movk_i32 s4, 0x7f00
	s_brev_b32 s5, 16
	s_waitcnt vmcnt(0)
	v_lshlrev_b16_e32 v3, 8, v2
	v_lshlrev_b32_e32 v2, 25, v2
	v_lshrrev_b32_e32 v6, 4, v2
	v_and_or_b32 v7, v3, s4, 0.5
	v_or_b32_e32 v6, 0x70000000, v6
	v_add_f32_e32 v7, -0.5, v7
	v_mul_f32_e32 v6, 0x7800000, v6
	v_cmp_gt_u32_e32 vcc, s5, v2
	v_bfe_i32 v3, v3, 0, 16
	v_cndmask_b32_e32 v2, v6, v7, vcc
	s_brev_b32 s4, 1
	v_and_or_b32 v2, v3, s4, v2
	v_cvt_i32_f32_e32 v2, v2
.LBB70_1572:
	s_mov_b64 s[22:23], -1
	s_mov_b64 s[4:5], 0
	s_cbranch_execnz .LBB70_1583
.LBB70_1573:
	s_cmp_gt_i32 s24, 14
	s_cbranch_scc0 .LBB70_1576
; %bb.1574:
	s_cmp_eq_u32 s24, 15
	s_cbranch_scc0 .LBB70_1579
; %bb.1575:
	global_load_ushort v2, v[0:1], off
	s_mov_b64 s[0:1], 0
	s_mov_b64 s[22:23], -1
	s_waitcnt vmcnt(0)
	v_lshlrev_b32_e32 v2, 16, v2
	v_cvt_i32_f32_e32 v2, v2
	s_branch .LBB70_1580
.LBB70_1576:
	s_mov_b64 s[20:21], -1
                                        ; implicit-def: $vgpr2
	s_branch .LBB70_1581
.LBB70_1577:
	s_andn2_saveexec_b64 s[4:5], s[4:5]
	s_cbranch_execz .LBB70_1559
.LBB70_1578:
	v_cmp_ne_u16_e32 vcc, 0, v3
	s_andn2_b64 s[20:21], s[20:21], exec
	s_and_b64 s[22:23], vcc, exec
	s_or_b64 s[20:21], s[20:21], s[22:23]
	s_or_b64 exec, exec, s[4:5]
	v_mov_b32_e32 v2, 0
	s_and_saveexec_b64 s[4:5], s[20:21]
	s_cbranch_execnz .LBB70_1560
	s_branch .LBB70_1561
.LBB70_1579:
	s_mov_b64 s[0:1], -1
                                        ; implicit-def: $vgpr2
.LBB70_1580:
	s_mov_b64 s[20:21], 0
.LBB70_1581:
	s_and_b64 vcc, exec, s[20:21]
	s_cbranch_vccz .LBB70_1583
; %bb.1582:
	s_cmp_lg_u32 s24, 11
	s_mov_b64 s[4:5], -1
	s_cselect_b64 s[0:1], -1, 0
.LBB70_1583:
	s_and_b64 vcc, exec, s[0:1]
	s_mov_b64 s[20:21], s[18:19]
	s_cbranch_vccnz .LBB70_1644
; %bb.1584:
	s_andn2_b64 vcc, exec, s[4:5]
	s_cbranch_vccnz .LBB70_1586
.LBB70_1585:
	global_load_ubyte v2, v[0:1], off
	s_mov_b64 s[22:23], -1
	s_waitcnt vmcnt(0)
	v_cmp_ne_u16_e32 vcc, 0, v2
	v_cndmask_b32_e64 v2, 0, 1, vcc
.LBB70_1586:
	s_branch .LBB70_1521
.LBB70_1587:
	s_and_b32 s4, 0xffff, s26
	s_cmp_lt_i32 s4, 5
	s_cbranch_scc1 .LBB70_1592
; %bb.1588:
	s_cmp_lt_i32 s4, 8
	s_cbranch_scc1 .LBB70_1593
; %bb.1589:
	;; [unrolled: 3-line block ×3, first 2 shown]
	s_cmp_gt_i32 s4, 9
	s_cbranch_scc0 .LBB70_1595
; %bb.1591:
	global_load_dwordx2 v[2:3], v[0:1], off
	s_mov_b64 s[0:1], 0
	s_waitcnt vmcnt(0)
	v_cvt_i32_f64_e32 v2, v[2:3]
	s_branch .LBB70_1596
.LBB70_1592:
                                        ; implicit-def: $vgpr2
	s_branch .LBB70_1613
.LBB70_1593:
                                        ; implicit-def: $vgpr2
	s_branch .LBB70_1602
.LBB70_1594:
	s_mov_b64 s[0:1], -1
                                        ; implicit-def: $vgpr2
	s_branch .LBB70_1599
.LBB70_1595:
	s_mov_b64 s[0:1], -1
                                        ; implicit-def: $vgpr2
.LBB70_1596:
	s_andn2_b64 vcc, exec, s[0:1]
	s_cbranch_vccnz .LBB70_1598
; %bb.1597:
	global_load_dword v2, v[0:1], off
	s_waitcnt vmcnt(0)
	v_cvt_i32_f32_e32 v2, v2
.LBB70_1598:
	s_mov_b64 s[0:1], 0
.LBB70_1599:
	s_andn2_b64 vcc, exec, s[0:1]
	s_cbranch_vccnz .LBB70_1601
; %bb.1600:
	global_load_dword v2, v[0:1], off
	s_waitcnt vmcnt(0)
	v_cvt_f32_f16_e32 v2, v2
	v_cvt_i32_f32_e32 v2, v2
.LBB70_1601:
	s_cbranch_execnz .LBB70_1612
.LBB70_1602:
	s_cmp_lt_i32 s4, 6
	s_cbranch_scc1 .LBB70_1605
; %bb.1603:
	s_cmp_gt_i32 s4, 6
	s_cbranch_scc0 .LBB70_1606
; %bb.1604:
	global_load_dwordx2 v[2:3], v[0:1], off
	s_mov_b64 s[0:1], 0
	s_waitcnt vmcnt(0)
	v_cvt_i32_f64_e32 v2, v[2:3]
	s_branch .LBB70_1607
.LBB70_1605:
	s_mov_b64 s[0:1], -1
                                        ; implicit-def: $vgpr2
	s_branch .LBB70_1610
.LBB70_1606:
	s_mov_b64 s[0:1], -1
                                        ; implicit-def: $vgpr2
.LBB70_1607:
	s_andn2_b64 vcc, exec, s[0:1]
	s_cbranch_vccnz .LBB70_1609
; %bb.1608:
	global_load_dword v2, v[0:1], off
	s_waitcnt vmcnt(0)
	v_cvt_i32_f32_e32 v2, v2
.LBB70_1609:
	s_mov_b64 s[0:1], 0
.LBB70_1610:
	s_andn2_b64 vcc, exec, s[0:1]
	s_cbranch_vccnz .LBB70_1612
; %bb.1611:
	global_load_ushort v2, v[0:1], off
	s_waitcnt vmcnt(0)
	v_cvt_f32_f16_e32 v2, v2
	v_cvt_i32_f32_e32 v2, v2
.LBB70_1612:
	s_cbranch_execnz .LBB70_1631
.LBB70_1613:
	s_cmp_lt_i32 s4, 2
	s_cbranch_scc1 .LBB70_1617
; %bb.1614:
	s_cmp_lt_i32 s4, 3
	s_cbranch_scc1 .LBB70_1618
; %bb.1615:
	s_cmp_gt_i32 s4, 3
	s_cbranch_scc0 .LBB70_1619
; %bb.1616:
	global_load_dword v2, v[0:1], off
	s_mov_b64 s[0:1], 0
	s_branch .LBB70_1620
.LBB70_1617:
                                        ; implicit-def: $vgpr2
	s_branch .LBB70_1626
.LBB70_1618:
	s_mov_b64 s[0:1], -1
                                        ; implicit-def: $vgpr2
	s_branch .LBB70_1623
.LBB70_1619:
	s_mov_b64 s[0:1], -1
                                        ; implicit-def: $vgpr2
.LBB70_1620:
	s_andn2_b64 vcc, exec, s[0:1]
	s_cbranch_vccnz .LBB70_1622
; %bb.1621:
	global_load_dword v2, v[0:1], off
.LBB70_1622:
	s_mov_b64 s[0:1], 0
.LBB70_1623:
	s_andn2_b64 vcc, exec, s[0:1]
	s_cbranch_vccnz .LBB70_1625
; %bb.1624:
	global_load_sshort v2, v[0:1], off
.LBB70_1625:
	s_cbranch_execnz .LBB70_1631
.LBB70_1626:
	s_cmp_gt_i32 s4, 0
	s_cbranch_scc0 .LBB70_1628
; %bb.1627:
	global_load_sbyte v2, v[0:1], off
	s_mov_b64 s[0:1], 0
	s_branch .LBB70_1629
.LBB70_1628:
	s_mov_b64 s[0:1], -1
                                        ; implicit-def: $vgpr2
.LBB70_1629:
	s_andn2_b64 vcc, exec, s[0:1]
	s_cbranch_vccnz .LBB70_1631
; %bb.1630:
	global_load_ubyte v2, v[0:1], off
.LBB70_1631:
.LBB70_1632:
	v_mul_lo_u32 v6, s14, v4
	v_mov_b32_e32 v1, s17
	s_and_b32 s27, s33, 0xff
	s_cmp_lt_i32 s27, 11
	v_ashrrev_i32_e32 v3, 31, v6
	v_add_co_u32_e32 v0, vcc, s16, v6
	v_addc_co_u32_e32 v1, vcc, v1, v3, vcc
	s_cbranch_scc1 .LBB70_1639
; %bb.1633:
	s_and_b32 s28, 0xffff, s27
	s_cmp_gt_i32 s28, 25
	s_mov_b64 s[4:5], 0
	s_cbranch_scc0 .LBB70_1641
; %bb.1634:
	s_cmp_gt_i32 s28, 28
	s_cbranch_scc0 .LBB70_1642
; %bb.1635:
	s_cmp_gt_i32 s28, 43
	;; [unrolled: 3-line block ×3, first 2 shown]
	s_cbranch_scc0 .LBB70_1645
; %bb.1637:
	s_cmp_eq_u32 s28, 46
	s_mov_b64 s[24:25], 0
	s_cbranch_scc0 .LBB70_1648
; %bb.1638:
	global_load_dword v3, v[0:1], off
	s_mov_b64 s[0:1], 0
	s_mov_b64 s[22:23], -1
	s_waitcnt vmcnt(0)
	v_lshlrev_b32_e32 v3, 16, v3
	v_cvt_i32_f32_e32 v3, v3
	s_branch .LBB70_1649
.LBB70_1639:
	s_mov_b64 s[22:23], 0
                                        ; implicit-def: $vgpr3
	s_cbranch_execnz .LBB70_1710
.LBB70_1640:
	s_andn2_b64 vcc, exec, s[22:23]
	s_cbranch_vccnz .LBB70_2947
	s_branch .LBB70_1757
.LBB70_1641:
	s_mov_b64 s[22:23], 0
	s_mov_b64 s[0:1], 0
                                        ; implicit-def: $vgpr3
	s_cbranch_execnz .LBB70_1676
	s_branch .LBB70_1706
.LBB70_1642:
	s_mov_b64 s[24:25], -1
	s_mov_b64 s[22:23], 0
	s_mov_b64 s[0:1], 0
                                        ; implicit-def: $vgpr3
	s_branch .LBB70_1659
.LBB70_1643:
	s_mov_b64 s[24:25], -1
	s_mov_b64 s[22:23], 0
	s_mov_b64 s[0:1], 0
                                        ; implicit-def: $vgpr3
	s_branch .LBB70_1654
.LBB70_1644:
	s_or_b64 s[20:21], s[18:19], exec
	s_trap 2
	s_cbranch_execz .LBB70_1585
	s_branch .LBB70_1586
.LBB70_1645:
	s_mov_b64 s[24:25], -1
	s_mov_b64 s[22:23], 0
	s_mov_b64 s[0:1], 0
                                        ; implicit-def: $vgpr3
	s_branch .LBB70_1649
.LBB70_1646:
	s_andn2_saveexec_b64 s[30:31], s[30:31]
	s_cbranch_execz .LBB70_1437
.LBB70_1647:
	s_mov_b32 s36, 0x42800000
	v_add_f32_e64 v4, |v1|, s36
	v_and_b32_e32 v4, 0xff, v4
	v_cmp_ne_u32_e32 vcc, 0, v4
	s_andn2_b64 s[28:29], s[28:29], exec
	s_and_b64 s[36:37], vcc, exec
	s_or_b64 s[28:29], s[28:29], s[36:37]
	s_or_b64 exec, exec, s[30:31]
	v_mov_b32_e32 v5, 0
	s_and_saveexec_b64 s[30:31], s[28:29]
	s_cbranch_execnz .LBB70_1438
	s_branch .LBB70_1439
.LBB70_1648:
	s_mov_b64 s[0:1], -1
                                        ; implicit-def: $vgpr3
	s_mov_b64 s[22:23], 0
.LBB70_1649:
	s_and_b64 vcc, exec, s[24:25]
	s_cbranch_vccz .LBB70_1653
; %bb.1650:
	s_cmp_eq_u32 s28, 44
	s_cbranch_scc0 .LBB70_1652
; %bb.1651:
	global_load_ubyte v3, v[0:1], off
	s_mov_b64 s[0:1], 0
	s_mov_b64 s[22:23], -1
	s_waitcnt vmcnt(0)
	v_lshlrev_b32_e32 v7, 23, v3
	v_cvt_i32_f32_e32 v7, v7
	v_cmp_ne_u32_e32 vcc, 0, v3
	v_cndmask_b32_e32 v3, 0, v7, vcc
	s_branch .LBB70_1653
.LBB70_1652:
	s_mov_b64 s[0:1], -1
                                        ; implicit-def: $vgpr3
.LBB70_1653:
	s_mov_b64 s[24:25], 0
.LBB70_1654:
	s_and_b64 vcc, exec, s[24:25]
	s_cbranch_vccz .LBB70_1658
; %bb.1655:
	s_cmp_eq_u32 s28, 29
	s_cbranch_scc0 .LBB70_1657
; %bb.1656:
	global_load_dword v3, v[0:1], off
	s_mov_b64 s[0:1], 0
	s_mov_b64 s[22:23], -1
	s_branch .LBB70_1658
.LBB70_1657:
	s_mov_b64 s[0:1], -1
                                        ; implicit-def: $vgpr3
.LBB70_1658:
	s_mov_b64 s[24:25], 0
.LBB70_1659:
	s_and_b64 vcc, exec, s[24:25]
	s_cbranch_vccz .LBB70_1675
; %bb.1660:
	s_cmp_lt_i32 s28, 27
	s_cbranch_scc1 .LBB70_1663
; %bb.1661:
	s_cmp_gt_i32 s28, 27
	s_cbranch_scc0 .LBB70_1664
; %bb.1662:
	global_load_dword v3, v[0:1], off
	s_mov_b64 s[22:23], 0
	s_branch .LBB70_1665
.LBB70_1663:
	s_mov_b64 s[22:23], -1
                                        ; implicit-def: $vgpr3
	s_branch .LBB70_1668
.LBB70_1664:
	s_mov_b64 s[22:23], -1
                                        ; implicit-def: $vgpr3
.LBB70_1665:
	s_andn2_b64 vcc, exec, s[22:23]
	s_cbranch_vccnz .LBB70_1667
; %bb.1666:
	global_load_ushort v3, v[0:1], off
.LBB70_1667:
	s_mov_b64 s[22:23], 0
.LBB70_1668:
	s_andn2_b64 vcc, exec, s[22:23]
	s_cbranch_vccnz .LBB70_1674
; %bb.1669:
	global_load_ubyte v7, v[0:1], off
	s_movk_i32 s22, 0x7f
	s_mov_b64 s[24:25], 0
	s_waitcnt vmcnt(0)
	v_cmp_lt_i16_e32 vcc, s22, v7
	s_and_saveexec_b64 s[22:23], vcc
	s_xor_b64 s[22:23], exec, s[22:23]
	s_cbranch_execz .LBB70_1685
; %bb.1670:
	s_movk_i32 s24, 0x80
	v_cmp_ne_u16_e32 vcc, s24, v7
	s_and_b64 s[24:25], vcc, exec
	s_andn2_saveexec_b64 s[22:23], s[22:23]
	s_cbranch_execnz .LBB70_1686
.LBB70_1671:
	s_or_b64 exec, exec, s[22:23]
	v_mov_b32_e32 v3, 0
	s_and_saveexec_b64 s[22:23], s[24:25]
	s_cbranch_execz .LBB70_1673
.LBB70_1672:
	v_lshlrev_b32_e32 v3, 24, v7
	v_and_b32_e32 v7, 0xffff, v7
	v_and_b32_e32 v8, 7, v7
	v_ffbh_u32_e32 v10, v8
	v_min_u32_e32 v10, 32, v10
	v_subrev_u32_e32 v11, 28, v10
	v_bfe_u32 v9, v7, 3, 4
	v_lshlrev_b32_e32 v7, v11, v7
	v_sub_u32_e32 v10, 29, v10
	v_and_b32_e32 v7, 7, v7
	v_cmp_eq_u32_e32 vcc, 0, v9
	v_cndmask_b32_e32 v9, v9, v10, vcc
	v_cndmask_b32_e32 v7, v8, v7, vcc
	v_mov_b32_e32 v8, 0x3b800000
	v_lshlrev_b32_e32 v7, 20, v7
	v_and_b32_e32 v3, 0x80000000, v3
	v_lshl_add_u32 v8, v9, 23, v8
	v_or3_b32 v3, v3, v8, v7
	v_cvt_i32_f32_e32 v3, v3
.LBB70_1673:
	s_or_b64 exec, exec, s[22:23]
.LBB70_1674:
	s_mov_b64 s[22:23], -1
.LBB70_1675:
	s_branch .LBB70_1706
.LBB70_1676:
	s_cmp_gt_i32 s28, 22
	s_cbranch_scc0 .LBB70_1684
; %bb.1677:
	s_cmp_lt_i32 s28, 24
	s_cbranch_scc1 .LBB70_1687
; %bb.1678:
	s_cmp_gt_i32 s28, 24
	s_cbranch_scc0 .LBB70_1688
; %bb.1679:
	global_load_ubyte v7, v[0:1], off
	s_movk_i32 s4, 0x7f
	s_mov_b64 s[22:23], 0
	s_waitcnt vmcnt(0)
	v_cmp_lt_i16_e32 vcc, s4, v7
	s_and_saveexec_b64 s[4:5], vcc
	s_xor_b64 s[4:5], exec, s[4:5]
	s_cbranch_execz .LBB70_1700
; %bb.1680:
	s_movk_i32 s22, 0x80
	v_cmp_ne_u16_e32 vcc, s22, v7
	s_and_b64 s[22:23], vcc, exec
	s_andn2_saveexec_b64 s[4:5], s[4:5]
	s_cbranch_execnz .LBB70_1701
.LBB70_1681:
	s_or_b64 exec, exec, s[4:5]
	v_mov_b32_e32 v3, 0
	s_and_saveexec_b64 s[4:5], s[22:23]
	s_cbranch_execz .LBB70_1683
.LBB70_1682:
	v_lshlrev_b32_e32 v3, 24, v7
	v_and_b32_e32 v7, 0xffff, v7
	v_and_b32_e32 v8, 3, v7
	v_ffbh_u32_e32 v10, v8
	v_min_u32_e32 v10, 32, v10
	v_subrev_u32_e32 v11, 29, v10
	v_bfe_u32 v9, v7, 2, 5
	v_lshlrev_b32_e32 v7, v11, v7
	v_sub_u32_e32 v10, 30, v10
	v_and_b32_e32 v7, 3, v7
	v_cmp_eq_u32_e32 vcc, 0, v9
	v_cndmask_b32_e32 v9, v9, v10, vcc
	v_cndmask_b32_e32 v7, v8, v7, vcc
	v_mov_b32_e32 v8, 0x37800000
	v_lshlrev_b32_e32 v7, 21, v7
	v_and_b32_e32 v3, 0x80000000, v3
	v_lshl_add_u32 v8, v9, 23, v8
	v_or3_b32 v3, v3, v8, v7
	v_cvt_i32_f32_e32 v3, v3
.LBB70_1683:
	s_or_b64 exec, exec, s[4:5]
	s_mov_b64 s[4:5], 0
	s_branch .LBB70_1689
.LBB70_1684:
	s_mov_b64 s[4:5], -1
                                        ; implicit-def: $vgpr3
	s_branch .LBB70_1695
.LBB70_1685:
	s_andn2_saveexec_b64 s[22:23], s[22:23]
	s_cbranch_execz .LBB70_1671
.LBB70_1686:
	v_cmp_ne_u16_e32 vcc, 0, v7
	s_andn2_b64 s[24:25], s[24:25], exec
	s_and_b64 s[30:31], vcc, exec
	s_or_b64 s[24:25], s[24:25], s[30:31]
	s_or_b64 exec, exec, s[22:23]
	v_mov_b32_e32 v3, 0
	s_and_saveexec_b64 s[22:23], s[24:25]
	s_cbranch_execnz .LBB70_1672
	s_branch .LBB70_1673
.LBB70_1687:
	s_mov_b64 s[4:5], -1
                                        ; implicit-def: $vgpr3
	s_branch .LBB70_1692
.LBB70_1688:
	s_mov_b64 s[4:5], -1
                                        ; implicit-def: $vgpr3
.LBB70_1689:
	s_and_b64 vcc, exec, s[4:5]
	s_cbranch_vccz .LBB70_1691
; %bb.1690:
	global_load_ubyte v3, v[0:1], off
	s_mov_b32 s4, 0x7f800000
	s_waitcnt vmcnt(0)
	v_lshlrev_b32_e32 v3, 24, v3
	v_and_b32_e32 v7, 0x7f000000, v3
	v_ffbh_u32_e32 v8, v7
	v_min_u32_e32 v8, 32, v8
	v_sub_u32_e64 v8, v8, 4 clamp
	v_lshlrev_b32_e32 v10, v8, v7
	v_lshlrev_b32_e32 v8, 23, v8
	v_lshrrev_b32_e32 v10, 4, v10
	v_add_u32_e32 v9, 0x1000000, v7
	v_sub_u32_e32 v8, v10, v8
	v_ashrrev_i32_e32 v9, 8, v9
	v_add_u32_e32 v8, 0x3c000000, v8
	v_and_or_b32 v8, v9, s4, v8
	v_cmp_ne_u32_e32 vcc, 0, v7
	v_cndmask_b32_e32 v7, 0, v8, vcc
	s_brev_b32 s4, 1
	v_and_or_b32 v3, v3, s4, v7
	v_cvt_i32_f32_e32 v3, v3
.LBB70_1691:
	s_mov_b64 s[4:5], 0
.LBB70_1692:
	s_andn2_b64 vcc, exec, s[4:5]
	s_cbranch_vccnz .LBB70_1694
; %bb.1693:
	global_load_ubyte v3, v[0:1], off
	s_movk_i32 s4, 0x7f00
	s_brev_b32 s5, 16
	s_waitcnt vmcnt(0)
	v_lshlrev_b16_e32 v7, 8, v3
	v_lshlrev_b32_e32 v3, 25, v3
	v_lshrrev_b32_e32 v8, 4, v3
	v_and_or_b32 v9, v7, s4, 0.5
	v_or_b32_e32 v8, 0x70000000, v8
	v_add_f32_e32 v9, -0.5, v9
	v_mul_f32_e32 v8, 0x7800000, v8
	v_cmp_gt_u32_e32 vcc, s5, v3
	v_bfe_i32 v7, v7, 0, 16
	v_cndmask_b32_e32 v3, v8, v9, vcc
	s_brev_b32 s4, 1
	v_and_or_b32 v3, v7, s4, v3
	v_cvt_i32_f32_e32 v3, v3
.LBB70_1694:
	s_mov_b64 s[4:5], 0
	s_mov_b64 s[22:23], -1
.LBB70_1695:
	s_andn2_b64 vcc, exec, s[4:5]
	s_mov_b64 s[4:5], 0
	s_cbranch_vccnz .LBB70_1706
; %bb.1696:
	s_cmp_gt_i32 s28, 14
	s_cbranch_scc0 .LBB70_1699
; %bb.1697:
	s_cmp_eq_u32 s28, 15
	s_cbranch_scc0 .LBB70_1702
; %bb.1698:
	global_load_ushort v3, v[0:1], off
	s_mov_b64 s[0:1], 0
	s_mov_b64 s[22:23], -1
	s_waitcnt vmcnt(0)
	v_lshlrev_b32_e32 v3, 16, v3
	v_cvt_i32_f32_e32 v3, v3
	s_branch .LBB70_1703
.LBB70_1699:
	s_mov_b64 s[24:25], -1
                                        ; implicit-def: $vgpr3
	s_branch .LBB70_1704
.LBB70_1700:
	s_andn2_saveexec_b64 s[4:5], s[4:5]
	s_cbranch_execz .LBB70_1681
.LBB70_1701:
	v_cmp_ne_u16_e32 vcc, 0, v7
	s_andn2_b64 s[22:23], s[22:23], exec
	s_and_b64 s[24:25], vcc, exec
	s_or_b64 s[22:23], s[22:23], s[24:25]
	s_or_b64 exec, exec, s[4:5]
	v_mov_b32_e32 v3, 0
	s_and_saveexec_b64 s[4:5], s[22:23]
	s_cbranch_execnz .LBB70_1682
	s_branch .LBB70_1683
.LBB70_1702:
	s_mov_b64 s[0:1], -1
                                        ; implicit-def: $vgpr3
.LBB70_1703:
	s_mov_b64 s[24:25], 0
.LBB70_1704:
	s_and_b64 vcc, exec, s[24:25]
	s_cbranch_vccz .LBB70_1706
; %bb.1705:
	s_cmp_lg_u32 s28, 11
	s_mov_b64 s[4:5], -1
	s_cselect_b64 s[0:1], -1, 0
.LBB70_1706:
	s_and_b64 vcc, exec, s[0:1]
	s_cbranch_vccnz .LBB70_1769
; %bb.1707:
	s_andn2_b64 vcc, exec, s[4:5]
	s_cbranch_vccnz .LBB70_1709
.LBB70_1708:
	global_load_ubyte v3, v[0:1], off
	s_mov_b64 s[22:23], -1
	s_waitcnt vmcnt(0)
	v_cmp_ne_u16_e32 vcc, 0, v3
	v_cndmask_b32_e64 v3, 0, 1, vcc
.LBB70_1709:
	s_branch .LBB70_1640
.LBB70_1710:
	s_and_b32 s4, 0xffff, s27
	s_cmp_lt_i32 s4, 5
	s_cbranch_scc1 .LBB70_1715
; %bb.1711:
	s_cmp_lt_i32 s4, 8
	s_cbranch_scc1 .LBB70_1716
; %bb.1712:
	;; [unrolled: 3-line block ×3, first 2 shown]
	s_cmp_gt_i32 s4, 9
	s_cbranch_scc0 .LBB70_1718
; %bb.1714:
	global_load_dwordx2 v[7:8], v[0:1], off
	s_mov_b64 s[0:1], 0
	s_waitcnt vmcnt(0)
	v_cvt_i32_f64_e32 v3, v[7:8]
	s_branch .LBB70_1719
.LBB70_1715:
                                        ; implicit-def: $vgpr3
	s_branch .LBB70_1737
.LBB70_1716:
	s_mov_b64 s[0:1], -1
                                        ; implicit-def: $vgpr3
	s_branch .LBB70_1725
.LBB70_1717:
	s_mov_b64 s[0:1], -1
                                        ; implicit-def: $vgpr3
	s_branch .LBB70_1722
.LBB70_1718:
	s_mov_b64 s[0:1], -1
                                        ; implicit-def: $vgpr3
.LBB70_1719:
	s_andn2_b64 vcc, exec, s[0:1]
	s_cbranch_vccnz .LBB70_1721
; %bb.1720:
	global_load_dword v3, v[0:1], off
	s_waitcnt vmcnt(0)
	v_cvt_i32_f32_e32 v3, v3
.LBB70_1721:
	s_mov_b64 s[0:1], 0
.LBB70_1722:
	s_andn2_b64 vcc, exec, s[0:1]
	s_cbranch_vccnz .LBB70_1724
; %bb.1723:
	global_load_dword v3, v[0:1], off
	s_waitcnt vmcnt(0)
	v_cvt_f32_f16_e32 v3, v3
	v_cvt_i32_f32_e32 v3, v3
.LBB70_1724:
	s_mov_b64 s[0:1], 0
.LBB70_1725:
	s_andn2_b64 vcc, exec, s[0:1]
	s_cbranch_vccnz .LBB70_1736
; %bb.1726:
	s_cmp_lt_i32 s4, 6
	s_cbranch_scc1 .LBB70_1729
; %bb.1727:
	s_cmp_gt_i32 s4, 6
	s_cbranch_scc0 .LBB70_1730
; %bb.1728:
	global_load_dwordx2 v[7:8], v[0:1], off
	s_mov_b64 s[0:1], 0
	s_waitcnt vmcnt(0)
	v_cvt_i32_f64_e32 v3, v[7:8]
	s_branch .LBB70_1731
.LBB70_1729:
	s_mov_b64 s[0:1], -1
                                        ; implicit-def: $vgpr3
	s_branch .LBB70_1734
.LBB70_1730:
	s_mov_b64 s[0:1], -1
                                        ; implicit-def: $vgpr3
.LBB70_1731:
	s_andn2_b64 vcc, exec, s[0:1]
	s_cbranch_vccnz .LBB70_1733
; %bb.1732:
	global_load_dword v3, v[0:1], off
	s_waitcnt vmcnt(0)
	v_cvt_i32_f32_e32 v3, v3
.LBB70_1733:
	s_mov_b64 s[0:1], 0
.LBB70_1734:
	s_andn2_b64 vcc, exec, s[0:1]
	s_cbranch_vccnz .LBB70_1736
; %bb.1735:
	global_load_ushort v3, v[0:1], off
	s_waitcnt vmcnt(0)
	v_cvt_f32_f16_e32 v3, v3
	v_cvt_i32_f32_e32 v3, v3
.LBB70_1736:
	s_cbranch_execnz .LBB70_1756
.LBB70_1737:
	s_cmp_lt_i32 s4, 2
	s_cbranch_scc1 .LBB70_1741
; %bb.1738:
	s_cmp_lt_i32 s4, 3
	s_cbranch_scc1 .LBB70_1742
; %bb.1739:
	s_cmp_gt_i32 s4, 3
	s_cbranch_scc0 .LBB70_1743
; %bb.1740:
	global_load_dword v3, v[0:1], off
	s_mov_b64 s[0:1], 0
	s_branch .LBB70_1744
.LBB70_1741:
	s_mov_b64 s[0:1], -1
                                        ; implicit-def: $vgpr3
	s_branch .LBB70_1750
.LBB70_1742:
	s_mov_b64 s[0:1], -1
                                        ; implicit-def: $vgpr3
	s_branch .LBB70_1747
.LBB70_1743:
	s_mov_b64 s[0:1], -1
                                        ; implicit-def: $vgpr3
.LBB70_1744:
	s_andn2_b64 vcc, exec, s[0:1]
	s_cbranch_vccnz .LBB70_1746
; %bb.1745:
	global_load_dword v3, v[0:1], off
.LBB70_1746:
	s_mov_b64 s[0:1], 0
.LBB70_1747:
	s_andn2_b64 vcc, exec, s[0:1]
	s_cbranch_vccnz .LBB70_1749
; %bb.1748:
	global_load_sshort v3, v[0:1], off
.LBB70_1749:
	s_mov_b64 s[0:1], 0
.LBB70_1750:
	s_andn2_b64 vcc, exec, s[0:1]
	s_cbranch_vccnz .LBB70_1756
; %bb.1751:
	s_cmp_gt_i32 s4, 0
	s_cbranch_scc0 .LBB70_1753
; %bb.1752:
	global_load_sbyte v3, v[0:1], off
	s_mov_b64 s[0:1], 0
	s_branch .LBB70_1754
.LBB70_1753:
	s_mov_b64 s[0:1], -1
                                        ; implicit-def: $vgpr3
.LBB70_1754:
	s_andn2_b64 vcc, exec, s[0:1]
	s_cbranch_vccnz .LBB70_1756
; %bb.1755:
	global_load_ubyte v3, v[0:1], off
.LBB70_1756:
.LBB70_1757:
	s_lshl_b32 s13, s13, 7
	v_add_u32_e32 v8, s13, v5
	v_ashrrev_i32_e32 v1, 31, v8
	v_mov_b32_e32 v5, s11
	v_add_co_u32_e32 v0, vcc, s10, v8
	s_cmp_lt_i32 s26, 11
	v_addc_co_u32_e32 v1, vcc, v5, v1, vcc
	s_cbranch_scc1 .LBB70_1764
; %bb.1758:
	s_and_b32 s28, 0xffff, s26
	s_cmp_gt_i32 s28, 25
	s_mov_b64 s[4:5], 0
	s_cbranch_scc0 .LBB70_1766
; %bb.1759:
	s_cmp_gt_i32 s28, 28
	s_cbranch_scc0 .LBB70_1767
; %bb.1760:
	s_cmp_gt_i32 s28, 43
	;; [unrolled: 3-line block ×3, first 2 shown]
	s_cbranch_scc0 .LBB70_1770
; %bb.1762:
	s_cmp_eq_u32 s28, 46
	s_mov_b64 s[24:25], 0
	s_cbranch_scc0 .LBB70_1771
; %bb.1763:
	global_load_dword v5, v[0:1], off
	s_mov_b64 s[0:1], 0
	s_mov_b64 s[22:23], -1
	s_waitcnt vmcnt(0)
	v_lshlrev_b32_e32 v5, 16, v5
	v_cvt_i32_f32_e32 v5, v5
	s_branch .LBB70_1772
.LBB70_1764:
	s_mov_b64 s[22:23], 0
                                        ; implicit-def: $vgpr5
	s_cbranch_execnz .LBB70_1834
.LBB70_1765:
	s_andn2_b64 vcc, exec, s[22:23]
	s_cbranch_vccnz .LBB70_2947
	s_branch .LBB70_1882
.LBB70_1766:
	s_mov_b64 s[24:25], -1
	s_mov_b64 s[22:23], 0
	s_mov_b64 s[0:1], 0
                                        ; implicit-def: $vgpr5
	s_branch .LBB70_1799
.LBB70_1767:
	s_mov_b64 s[24:25], -1
	s_mov_b64 s[22:23], 0
	s_mov_b64 s[0:1], 0
                                        ; implicit-def: $vgpr5
	s_branch .LBB70_1782
.LBB70_1768:
	s_mov_b64 s[24:25], -1
	s_mov_b64 s[22:23], 0
	s_mov_b64 s[0:1], 0
                                        ; implicit-def: $vgpr5
	s_branch .LBB70_1777
.LBB70_1769:
	s_trap 2
	s_or_b64 s[20:21], s[20:21], exec
	s_cbranch_execz .LBB70_1708
	s_branch .LBB70_1709
.LBB70_1770:
	s_mov_b64 s[24:25], -1
	s_mov_b64 s[22:23], 0
	s_mov_b64 s[0:1], 0
                                        ; implicit-def: $vgpr5
	s_branch .LBB70_1772
.LBB70_1771:
	s_mov_b64 s[0:1], -1
                                        ; implicit-def: $vgpr5
	s_mov_b64 s[22:23], 0
.LBB70_1772:
	s_and_b64 vcc, exec, s[24:25]
	s_cbranch_vccz .LBB70_1776
; %bb.1773:
	s_cmp_eq_u32 s28, 44
	s_cbranch_scc0 .LBB70_1775
; %bb.1774:
	global_load_ubyte v5, v[0:1], off
	s_mov_b64 s[0:1], 0
	s_mov_b64 s[22:23], -1
	s_waitcnt vmcnt(0)
	v_lshlrev_b32_e32 v7, 23, v5
	v_cvt_i32_f32_e32 v7, v7
	v_cmp_ne_u32_e32 vcc, 0, v5
	v_cndmask_b32_e32 v5, 0, v7, vcc
	s_branch .LBB70_1776
.LBB70_1775:
	s_mov_b64 s[0:1], -1
                                        ; implicit-def: $vgpr5
.LBB70_1776:
	s_mov_b64 s[24:25], 0
.LBB70_1777:
	s_and_b64 vcc, exec, s[24:25]
	s_cbranch_vccz .LBB70_1781
; %bb.1778:
	s_cmp_eq_u32 s28, 29
	s_cbranch_scc0 .LBB70_1780
; %bb.1779:
	global_load_dword v5, v[0:1], off
	s_mov_b64 s[0:1], 0
	s_mov_b64 s[22:23], -1
	s_branch .LBB70_1781
.LBB70_1780:
	s_mov_b64 s[0:1], -1
                                        ; implicit-def: $vgpr5
.LBB70_1781:
	s_mov_b64 s[24:25], 0
.LBB70_1782:
	s_and_b64 vcc, exec, s[24:25]
	s_cbranch_vccz .LBB70_1798
; %bb.1783:
	s_cmp_lt_i32 s28, 27
	s_cbranch_scc1 .LBB70_1786
; %bb.1784:
	s_cmp_gt_i32 s28, 27
	s_cbranch_scc0 .LBB70_1787
; %bb.1785:
	global_load_dword v5, v[0:1], off
	s_mov_b64 s[22:23], 0
	s_branch .LBB70_1788
.LBB70_1786:
	s_mov_b64 s[22:23], -1
                                        ; implicit-def: $vgpr5
	s_branch .LBB70_1791
.LBB70_1787:
	s_mov_b64 s[22:23], -1
                                        ; implicit-def: $vgpr5
.LBB70_1788:
	s_andn2_b64 vcc, exec, s[22:23]
	s_cbranch_vccnz .LBB70_1790
; %bb.1789:
	global_load_ushort v5, v[0:1], off
.LBB70_1790:
	s_mov_b64 s[22:23], 0
.LBB70_1791:
	s_andn2_b64 vcc, exec, s[22:23]
	s_cbranch_vccnz .LBB70_1797
; %bb.1792:
	global_load_ubyte v7, v[0:1], off
	s_movk_i32 s22, 0x7f
	s_mov_b64 s[24:25], 0
	s_waitcnt vmcnt(0)
	v_cmp_lt_i16_e32 vcc, s22, v7
	s_and_saveexec_b64 s[22:23], vcc
	s_xor_b64 s[22:23], exec, s[22:23]
	s_cbranch_execz .LBB70_1809
; %bb.1793:
	s_movk_i32 s24, 0x80
	v_cmp_ne_u16_e32 vcc, s24, v7
	s_and_b64 s[24:25], vcc, exec
	s_andn2_saveexec_b64 s[22:23], s[22:23]
	s_cbranch_execnz .LBB70_1810
.LBB70_1794:
	s_or_b64 exec, exec, s[22:23]
	v_mov_b32_e32 v5, 0
	s_and_saveexec_b64 s[22:23], s[24:25]
	s_cbranch_execz .LBB70_1796
.LBB70_1795:
	v_lshlrev_b32_e32 v5, 24, v7
	v_and_b32_e32 v7, 0xffff, v7
	v_and_b32_e32 v9, 7, v7
	v_ffbh_u32_e32 v11, v9
	v_min_u32_e32 v11, 32, v11
	v_subrev_u32_e32 v12, 28, v11
	v_bfe_u32 v10, v7, 3, 4
	v_lshlrev_b32_e32 v7, v12, v7
	v_sub_u32_e32 v11, 29, v11
	v_and_b32_e32 v7, 7, v7
	v_cmp_eq_u32_e32 vcc, 0, v10
	v_cndmask_b32_e32 v10, v10, v11, vcc
	v_cndmask_b32_e32 v7, v9, v7, vcc
	v_mov_b32_e32 v9, 0x3b800000
	v_lshlrev_b32_e32 v7, 20, v7
	v_and_b32_e32 v5, 0x80000000, v5
	v_lshl_add_u32 v9, v10, 23, v9
	v_or3_b32 v5, v5, v9, v7
	v_cvt_i32_f32_e32 v5, v5
.LBB70_1796:
	s_or_b64 exec, exec, s[22:23]
.LBB70_1797:
	s_mov_b64 s[22:23], -1
.LBB70_1798:
	s_mov_b64 s[24:25], 0
.LBB70_1799:
	s_and_b64 vcc, exec, s[24:25]
	s_cbranch_vccz .LBB70_1830
; %bb.1800:
	s_cmp_gt_i32 s28, 22
	s_cbranch_scc0 .LBB70_1808
; %bb.1801:
	s_cmp_lt_i32 s28, 24
	s_cbranch_scc1 .LBB70_1811
; %bb.1802:
	s_cmp_gt_i32 s28, 24
	s_cbranch_scc0 .LBB70_1812
; %bb.1803:
	global_load_ubyte v7, v[0:1], off
	s_movk_i32 s4, 0x7f
	s_mov_b64 s[22:23], 0
	s_waitcnt vmcnt(0)
	v_cmp_lt_i16_e32 vcc, s4, v7
	s_and_saveexec_b64 s[4:5], vcc
	s_xor_b64 s[4:5], exec, s[4:5]
	s_cbranch_execz .LBB70_1824
; %bb.1804:
	s_movk_i32 s22, 0x80
	v_cmp_ne_u16_e32 vcc, s22, v7
	s_and_b64 s[22:23], vcc, exec
	s_andn2_saveexec_b64 s[4:5], s[4:5]
	s_cbranch_execnz .LBB70_1825
.LBB70_1805:
	s_or_b64 exec, exec, s[4:5]
	v_mov_b32_e32 v5, 0
	s_and_saveexec_b64 s[4:5], s[22:23]
	s_cbranch_execz .LBB70_1807
.LBB70_1806:
	v_lshlrev_b32_e32 v5, 24, v7
	v_and_b32_e32 v7, 0xffff, v7
	v_and_b32_e32 v9, 3, v7
	v_ffbh_u32_e32 v11, v9
	v_min_u32_e32 v11, 32, v11
	v_subrev_u32_e32 v12, 29, v11
	v_bfe_u32 v10, v7, 2, 5
	v_lshlrev_b32_e32 v7, v12, v7
	v_sub_u32_e32 v11, 30, v11
	v_and_b32_e32 v7, 3, v7
	v_cmp_eq_u32_e32 vcc, 0, v10
	v_cndmask_b32_e32 v10, v10, v11, vcc
	v_cndmask_b32_e32 v7, v9, v7, vcc
	v_mov_b32_e32 v9, 0x37800000
	v_lshlrev_b32_e32 v7, 21, v7
	v_and_b32_e32 v5, 0x80000000, v5
	v_lshl_add_u32 v9, v10, 23, v9
	v_or3_b32 v5, v5, v9, v7
	v_cvt_i32_f32_e32 v5, v5
.LBB70_1807:
	s_or_b64 exec, exec, s[4:5]
	s_mov_b64 s[4:5], 0
	s_branch .LBB70_1813
.LBB70_1808:
	s_mov_b64 s[4:5], -1
                                        ; implicit-def: $vgpr5
	s_branch .LBB70_1819
.LBB70_1809:
	s_andn2_saveexec_b64 s[22:23], s[22:23]
	s_cbranch_execz .LBB70_1794
.LBB70_1810:
	v_cmp_ne_u16_e32 vcc, 0, v7
	s_andn2_b64 s[24:25], s[24:25], exec
	s_and_b64 s[30:31], vcc, exec
	s_or_b64 s[24:25], s[24:25], s[30:31]
	s_or_b64 exec, exec, s[22:23]
	v_mov_b32_e32 v5, 0
	s_and_saveexec_b64 s[22:23], s[24:25]
	s_cbranch_execnz .LBB70_1795
	s_branch .LBB70_1796
.LBB70_1811:
	s_mov_b64 s[4:5], -1
                                        ; implicit-def: $vgpr5
	s_branch .LBB70_1816
.LBB70_1812:
	s_mov_b64 s[4:5], -1
                                        ; implicit-def: $vgpr5
.LBB70_1813:
	s_and_b64 vcc, exec, s[4:5]
	s_cbranch_vccz .LBB70_1815
; %bb.1814:
	global_load_ubyte v5, v[0:1], off
	s_mov_b32 s4, 0x7f800000
	s_waitcnt vmcnt(0)
	v_lshlrev_b32_e32 v5, 24, v5
	v_and_b32_e32 v7, 0x7f000000, v5
	v_ffbh_u32_e32 v9, v7
	v_min_u32_e32 v9, 32, v9
	v_sub_u32_e64 v9, v9, 4 clamp
	v_lshlrev_b32_e32 v11, v9, v7
	v_lshlrev_b32_e32 v9, 23, v9
	v_lshrrev_b32_e32 v11, 4, v11
	v_add_u32_e32 v10, 0x1000000, v7
	v_sub_u32_e32 v9, v11, v9
	v_ashrrev_i32_e32 v10, 8, v10
	v_add_u32_e32 v9, 0x3c000000, v9
	v_and_or_b32 v9, v10, s4, v9
	v_cmp_ne_u32_e32 vcc, 0, v7
	v_cndmask_b32_e32 v7, 0, v9, vcc
	s_brev_b32 s4, 1
	v_and_or_b32 v5, v5, s4, v7
	v_cvt_i32_f32_e32 v5, v5
.LBB70_1815:
	s_mov_b64 s[4:5], 0
.LBB70_1816:
	s_andn2_b64 vcc, exec, s[4:5]
	s_cbranch_vccnz .LBB70_1818
; %bb.1817:
	global_load_ubyte v5, v[0:1], off
	s_movk_i32 s4, 0x7f00
	s_brev_b32 s5, 16
	s_waitcnt vmcnt(0)
	v_lshlrev_b16_e32 v7, 8, v5
	v_lshlrev_b32_e32 v5, 25, v5
	v_lshrrev_b32_e32 v9, 4, v5
	v_and_or_b32 v10, v7, s4, 0.5
	v_or_b32_e32 v9, 0x70000000, v9
	v_add_f32_e32 v10, -0.5, v10
	v_mul_f32_e32 v9, 0x7800000, v9
	v_cmp_gt_u32_e32 vcc, s5, v5
	v_bfe_i32 v7, v7, 0, 16
	v_cndmask_b32_e32 v5, v9, v10, vcc
	s_brev_b32 s4, 1
	v_and_or_b32 v5, v7, s4, v5
	v_cvt_i32_f32_e32 v5, v5
.LBB70_1818:
	s_mov_b64 s[4:5], 0
	s_mov_b64 s[22:23], -1
.LBB70_1819:
	s_andn2_b64 vcc, exec, s[4:5]
	s_mov_b64 s[4:5], 0
	s_cbranch_vccnz .LBB70_1830
; %bb.1820:
	s_cmp_gt_i32 s28, 14
	s_cbranch_scc0 .LBB70_1823
; %bb.1821:
	s_cmp_eq_u32 s28, 15
	s_cbranch_scc0 .LBB70_1826
; %bb.1822:
	global_load_ushort v5, v[0:1], off
	s_mov_b64 s[0:1], 0
	s_mov_b64 s[22:23], -1
	s_waitcnt vmcnt(0)
	v_lshlrev_b32_e32 v5, 16, v5
	v_cvt_i32_f32_e32 v5, v5
	s_branch .LBB70_1827
.LBB70_1823:
	s_mov_b64 s[24:25], -1
                                        ; implicit-def: $vgpr5
	s_branch .LBB70_1828
.LBB70_1824:
	s_andn2_saveexec_b64 s[4:5], s[4:5]
	s_cbranch_execz .LBB70_1805
.LBB70_1825:
	v_cmp_ne_u16_e32 vcc, 0, v7
	s_andn2_b64 s[22:23], s[22:23], exec
	s_and_b64 s[24:25], vcc, exec
	s_or_b64 s[22:23], s[22:23], s[24:25]
	s_or_b64 exec, exec, s[4:5]
	v_mov_b32_e32 v5, 0
	s_and_saveexec_b64 s[4:5], s[22:23]
	s_cbranch_execnz .LBB70_1806
	s_branch .LBB70_1807
.LBB70_1826:
	s_mov_b64 s[0:1], -1
                                        ; implicit-def: $vgpr5
.LBB70_1827:
	s_mov_b64 s[24:25], 0
.LBB70_1828:
	s_and_b64 vcc, exec, s[24:25]
	s_cbranch_vccz .LBB70_1830
; %bb.1829:
	s_cmp_lg_u32 s28, 11
	s_mov_b64 s[4:5], -1
	s_cselect_b64 s[0:1], -1, 0
.LBB70_1830:
	s_and_b64 vcc, exec, s[0:1]
	s_cbranch_vccnz .LBB70_1893
; %bb.1831:
	s_andn2_b64 vcc, exec, s[4:5]
	s_cbranch_vccnz .LBB70_1833
.LBB70_1832:
	global_load_ubyte v5, v[0:1], off
	s_mov_b64 s[22:23], -1
	s_waitcnt vmcnt(0)
	v_cmp_ne_u16_e32 vcc, 0, v5
	v_cndmask_b32_e64 v5, 0, 1, vcc
.LBB70_1833:
	s_branch .LBB70_1765
.LBB70_1834:
	s_and_b32 s4, 0xffff, s26
	s_cmp_lt_i32 s4, 5
	s_cbranch_scc1 .LBB70_1839
; %bb.1835:
	s_cmp_lt_i32 s4, 8
	s_cbranch_scc1 .LBB70_1840
; %bb.1836:
	;; [unrolled: 3-line block ×3, first 2 shown]
	s_cmp_gt_i32 s4, 9
	s_cbranch_scc0 .LBB70_1842
; %bb.1838:
	global_load_dwordx2 v[9:10], v[0:1], off
	s_mov_b64 s[0:1], 0
	s_waitcnt vmcnt(0)
	v_cvt_i32_f64_e32 v5, v[9:10]
	s_branch .LBB70_1843
.LBB70_1839:
	s_mov_b64 s[0:1], -1
                                        ; implicit-def: $vgpr5
	s_branch .LBB70_1861
.LBB70_1840:
	s_mov_b64 s[0:1], -1
                                        ; implicit-def: $vgpr5
	s_branch .LBB70_1849
.LBB70_1841:
	s_mov_b64 s[0:1], -1
                                        ; implicit-def: $vgpr5
	s_branch .LBB70_1846
.LBB70_1842:
	s_mov_b64 s[0:1], -1
                                        ; implicit-def: $vgpr5
.LBB70_1843:
	s_andn2_b64 vcc, exec, s[0:1]
	s_cbranch_vccnz .LBB70_1845
; %bb.1844:
	global_load_dword v5, v[0:1], off
	s_waitcnt vmcnt(0)
	v_cvt_i32_f32_e32 v5, v5
.LBB70_1845:
	s_mov_b64 s[0:1], 0
.LBB70_1846:
	s_andn2_b64 vcc, exec, s[0:1]
	s_cbranch_vccnz .LBB70_1848
; %bb.1847:
	global_load_dword v5, v[0:1], off
	s_waitcnt vmcnt(0)
	v_cvt_f32_f16_e32 v5, v5
	v_cvt_i32_f32_e32 v5, v5
.LBB70_1848:
	s_mov_b64 s[0:1], 0
.LBB70_1849:
	s_andn2_b64 vcc, exec, s[0:1]
	s_cbranch_vccnz .LBB70_1860
; %bb.1850:
	s_cmp_lt_i32 s4, 6
	s_cbranch_scc1 .LBB70_1853
; %bb.1851:
	s_cmp_gt_i32 s4, 6
	s_cbranch_scc0 .LBB70_1854
; %bb.1852:
	global_load_dwordx2 v[9:10], v[0:1], off
	s_mov_b64 s[0:1], 0
	s_waitcnt vmcnt(0)
	v_cvt_i32_f64_e32 v5, v[9:10]
	s_branch .LBB70_1855
.LBB70_1853:
	s_mov_b64 s[0:1], -1
                                        ; implicit-def: $vgpr5
	s_branch .LBB70_1858
.LBB70_1854:
	s_mov_b64 s[0:1], -1
                                        ; implicit-def: $vgpr5
.LBB70_1855:
	s_andn2_b64 vcc, exec, s[0:1]
	s_cbranch_vccnz .LBB70_1857
; %bb.1856:
	global_load_dword v5, v[0:1], off
	s_waitcnt vmcnt(0)
	v_cvt_i32_f32_e32 v5, v5
.LBB70_1857:
	s_mov_b64 s[0:1], 0
.LBB70_1858:
	s_andn2_b64 vcc, exec, s[0:1]
	s_cbranch_vccnz .LBB70_1860
; %bb.1859:
	global_load_ushort v5, v[0:1], off
	s_waitcnt vmcnt(0)
	v_cvt_f32_f16_e32 v5, v5
	v_cvt_i32_f32_e32 v5, v5
.LBB70_1860:
	s_mov_b64 s[0:1], 0
.LBB70_1861:
	s_andn2_b64 vcc, exec, s[0:1]
	s_cbranch_vccnz .LBB70_1881
; %bb.1862:
	s_cmp_lt_i32 s4, 2
	s_cbranch_scc1 .LBB70_1866
; %bb.1863:
	s_cmp_lt_i32 s4, 3
	s_cbranch_scc1 .LBB70_1867
; %bb.1864:
	s_cmp_gt_i32 s4, 3
	s_cbranch_scc0 .LBB70_1868
; %bb.1865:
	global_load_dword v5, v[0:1], off
	s_mov_b64 s[0:1], 0
	s_branch .LBB70_1869
.LBB70_1866:
	s_mov_b64 s[0:1], -1
                                        ; implicit-def: $vgpr5
	s_branch .LBB70_1875
.LBB70_1867:
	s_mov_b64 s[0:1], -1
                                        ; implicit-def: $vgpr5
	s_branch .LBB70_1872
.LBB70_1868:
	s_mov_b64 s[0:1], -1
                                        ; implicit-def: $vgpr5
.LBB70_1869:
	s_andn2_b64 vcc, exec, s[0:1]
	s_cbranch_vccnz .LBB70_1871
; %bb.1870:
	global_load_dword v5, v[0:1], off
.LBB70_1871:
	s_mov_b64 s[0:1], 0
.LBB70_1872:
	s_andn2_b64 vcc, exec, s[0:1]
	s_cbranch_vccnz .LBB70_1874
; %bb.1873:
	global_load_sshort v5, v[0:1], off
.LBB70_1874:
	s_mov_b64 s[0:1], 0
.LBB70_1875:
	s_andn2_b64 vcc, exec, s[0:1]
	s_cbranch_vccnz .LBB70_1881
; %bb.1876:
	s_cmp_gt_i32 s4, 0
	s_cbranch_scc0 .LBB70_1878
; %bb.1877:
	global_load_sbyte v5, v[0:1], off
	s_mov_b64 s[0:1], 0
	s_branch .LBB70_1879
.LBB70_1878:
	s_mov_b64 s[0:1], -1
                                        ; implicit-def: $vgpr5
.LBB70_1879:
	s_andn2_b64 vcc, exec, s[0:1]
	s_cbranch_vccnz .LBB70_1881
; %bb.1880:
	global_load_ubyte v5, v[0:1], off
.LBB70_1881:
.LBB70_1882:
	s_lshl_b32 s14, s14, 7
	v_add_u32_e32 v9, s14, v6
	v_ashrrev_i32_e32 v1, 31, v9
	v_mov_b32_e32 v6, s17
	v_add_co_u32_e32 v0, vcc, s16, v9
	s_cmp_lt_i32 s27, 11
	v_addc_co_u32_e32 v1, vcc, v6, v1, vcc
	s_cbranch_scc1 .LBB70_1889
; %bb.1883:
	s_and_b32 s28, 0xffff, s27
	s_cmp_gt_i32 s28, 25
	s_mov_b64 s[4:5], 0
	s_cbranch_scc0 .LBB70_1890
; %bb.1884:
	s_cmp_gt_i32 s28, 28
	s_cbranch_scc0 .LBB70_1891
; %bb.1885:
	s_cmp_gt_i32 s28, 43
	;; [unrolled: 3-line block ×3, first 2 shown]
	s_cbranch_scc0 .LBB70_1894
; %bb.1887:
	s_cmp_eq_u32 s28, 46
	s_mov_b64 s[24:25], 0
	s_cbranch_scc0 .LBB70_1895
; %bb.1888:
	global_load_dword v6, v[0:1], off
	s_mov_b64 s[0:1], 0
	s_mov_b64 s[22:23], -1
	s_waitcnt vmcnt(0)
	v_lshlrev_b32_e32 v6, 16, v6
	v_cvt_i32_f32_e32 v7, v6
	s_branch .LBB70_1896
.LBB70_1889:
	s_mov_b64 s[0:1], -1
	s_mov_b64 s[22:23], 0
                                        ; implicit-def: $vgpr7
	s_branch .LBB70_1958
.LBB70_1890:
	s_mov_b64 s[24:25], -1
	s_mov_b64 s[22:23], 0
	s_mov_b64 s[0:1], 0
                                        ; implicit-def: $vgpr7
	s_branch .LBB70_1923
.LBB70_1891:
	s_mov_b64 s[24:25], -1
	s_mov_b64 s[22:23], 0
	s_mov_b64 s[0:1], 0
                                        ; implicit-def: $vgpr7
	s_branch .LBB70_1906
.LBB70_1892:
	s_mov_b64 s[24:25], -1
	s_mov_b64 s[22:23], 0
	s_mov_b64 s[0:1], 0
                                        ; implicit-def: $vgpr7
	s_branch .LBB70_1901
.LBB70_1893:
	s_trap 2
	s_or_b64 s[20:21], s[20:21], exec
	s_cbranch_execz .LBB70_1832
	s_branch .LBB70_1833
.LBB70_1894:
	s_mov_b64 s[24:25], -1
	s_mov_b64 s[22:23], 0
	s_mov_b64 s[0:1], 0
                                        ; implicit-def: $vgpr7
	s_branch .LBB70_1896
.LBB70_1895:
	s_mov_b64 s[0:1], -1
                                        ; implicit-def: $vgpr7
	s_mov_b64 s[22:23], 0
.LBB70_1896:
	s_and_b64 vcc, exec, s[24:25]
	s_cbranch_vccz .LBB70_1900
; %bb.1897:
	s_cmp_eq_u32 s28, 44
	s_cbranch_scc0 .LBB70_1899
; %bb.1898:
	global_load_ubyte v6, v[0:1], off
	s_mov_b64 s[0:1], 0
	s_mov_b64 s[22:23], -1
	s_waitcnt vmcnt(0)
	v_lshlrev_b32_e32 v7, 23, v6
	v_cvt_i32_f32_e32 v7, v7
	v_cmp_ne_u32_e32 vcc, 0, v6
	v_cndmask_b32_e32 v7, 0, v7, vcc
	s_branch .LBB70_1900
.LBB70_1899:
	s_mov_b64 s[0:1], -1
                                        ; implicit-def: $vgpr7
.LBB70_1900:
	s_mov_b64 s[24:25], 0
.LBB70_1901:
	s_and_b64 vcc, exec, s[24:25]
	s_cbranch_vccz .LBB70_1905
; %bb.1902:
	s_cmp_eq_u32 s28, 29
	s_cbranch_scc0 .LBB70_1904
; %bb.1903:
	global_load_dword v7, v[0:1], off
	s_mov_b64 s[0:1], 0
	s_mov_b64 s[22:23], -1
	s_branch .LBB70_1905
.LBB70_1904:
	s_mov_b64 s[0:1], -1
                                        ; implicit-def: $vgpr7
.LBB70_1905:
	s_mov_b64 s[24:25], 0
.LBB70_1906:
	s_and_b64 vcc, exec, s[24:25]
	s_cbranch_vccz .LBB70_1922
; %bb.1907:
	s_cmp_lt_i32 s28, 27
	s_cbranch_scc1 .LBB70_1910
; %bb.1908:
	s_cmp_gt_i32 s28, 27
	s_cbranch_scc0 .LBB70_1911
; %bb.1909:
	global_load_dword v7, v[0:1], off
	s_mov_b64 s[22:23], 0
	s_branch .LBB70_1912
.LBB70_1910:
	s_mov_b64 s[22:23], -1
                                        ; implicit-def: $vgpr7
	s_branch .LBB70_1915
.LBB70_1911:
	s_mov_b64 s[22:23], -1
                                        ; implicit-def: $vgpr7
.LBB70_1912:
	s_andn2_b64 vcc, exec, s[22:23]
	s_cbranch_vccnz .LBB70_1914
; %bb.1913:
	global_load_ushort v7, v[0:1], off
.LBB70_1914:
	s_mov_b64 s[22:23], 0
.LBB70_1915:
	s_andn2_b64 vcc, exec, s[22:23]
	s_cbranch_vccnz .LBB70_1921
; %bb.1916:
	global_load_ubyte v6, v[0:1], off
	s_movk_i32 s22, 0x7f
	s_mov_b64 s[24:25], 0
	s_waitcnt vmcnt(0)
	v_cmp_lt_i16_e32 vcc, s22, v6
	s_and_saveexec_b64 s[22:23], vcc
	s_xor_b64 s[22:23], exec, s[22:23]
	s_cbranch_execz .LBB70_1933
; %bb.1917:
	s_movk_i32 s24, 0x80
	v_cmp_ne_u16_e32 vcc, s24, v6
	s_and_b64 s[24:25], vcc, exec
	s_andn2_saveexec_b64 s[22:23], s[22:23]
	s_cbranch_execnz .LBB70_1934
.LBB70_1918:
	s_or_b64 exec, exec, s[22:23]
	v_mov_b32_e32 v7, 0
	s_and_saveexec_b64 s[22:23], s[24:25]
	s_cbranch_execz .LBB70_1920
.LBB70_1919:
	v_lshlrev_b32_e32 v7, 24, v6
	v_and_b32_e32 v6, 0xffff, v6
	v_and_b32_e32 v10, 7, v6
	v_ffbh_u32_e32 v12, v10
	v_min_u32_e32 v12, 32, v12
	v_subrev_u32_e32 v13, 28, v12
	v_bfe_u32 v11, v6, 3, 4
	v_lshlrev_b32_e32 v6, v13, v6
	v_sub_u32_e32 v12, 29, v12
	v_and_b32_e32 v6, 7, v6
	v_cmp_eq_u32_e32 vcc, 0, v11
	v_cndmask_b32_e32 v11, v11, v12, vcc
	v_cndmask_b32_e32 v6, v10, v6, vcc
	v_mov_b32_e32 v10, 0x3b800000
	v_lshlrev_b32_e32 v6, 20, v6
	v_and_b32_e32 v7, 0x80000000, v7
	v_lshl_add_u32 v10, v11, 23, v10
	v_or3_b32 v6, v7, v10, v6
	v_cvt_i32_f32_e32 v7, v6
.LBB70_1920:
	s_or_b64 exec, exec, s[22:23]
.LBB70_1921:
	s_mov_b64 s[22:23], -1
.LBB70_1922:
	s_mov_b64 s[24:25], 0
.LBB70_1923:
	s_and_b64 vcc, exec, s[24:25]
	s_cbranch_vccz .LBB70_1954
; %bb.1924:
	s_cmp_gt_i32 s28, 22
	s_cbranch_scc0 .LBB70_1932
; %bb.1925:
	s_cmp_lt_i32 s28, 24
	s_cbranch_scc1 .LBB70_1935
; %bb.1926:
	s_cmp_gt_i32 s28, 24
	s_cbranch_scc0 .LBB70_1936
; %bb.1927:
	global_load_ubyte v6, v[0:1], off
	s_movk_i32 s4, 0x7f
	s_mov_b64 s[22:23], 0
	s_waitcnt vmcnt(0)
	v_cmp_lt_i16_e32 vcc, s4, v6
	s_and_saveexec_b64 s[4:5], vcc
	s_xor_b64 s[4:5], exec, s[4:5]
	s_cbranch_execz .LBB70_1948
; %bb.1928:
	s_movk_i32 s22, 0x80
	v_cmp_ne_u16_e32 vcc, s22, v6
	s_and_b64 s[22:23], vcc, exec
	s_andn2_saveexec_b64 s[4:5], s[4:5]
	s_cbranch_execnz .LBB70_1949
.LBB70_1929:
	s_or_b64 exec, exec, s[4:5]
	v_mov_b32_e32 v7, 0
	s_and_saveexec_b64 s[4:5], s[22:23]
	s_cbranch_execz .LBB70_1931
.LBB70_1930:
	v_lshlrev_b32_e32 v7, 24, v6
	v_and_b32_e32 v6, 0xffff, v6
	v_and_b32_e32 v10, 3, v6
	v_ffbh_u32_e32 v12, v10
	v_min_u32_e32 v12, 32, v12
	v_subrev_u32_e32 v13, 29, v12
	v_bfe_u32 v11, v6, 2, 5
	v_lshlrev_b32_e32 v6, v13, v6
	v_sub_u32_e32 v12, 30, v12
	v_and_b32_e32 v6, 3, v6
	v_cmp_eq_u32_e32 vcc, 0, v11
	v_cndmask_b32_e32 v11, v11, v12, vcc
	v_cndmask_b32_e32 v6, v10, v6, vcc
	v_mov_b32_e32 v10, 0x37800000
	v_lshlrev_b32_e32 v6, 21, v6
	v_and_b32_e32 v7, 0x80000000, v7
	v_lshl_add_u32 v10, v11, 23, v10
	v_or3_b32 v6, v7, v10, v6
	v_cvt_i32_f32_e32 v7, v6
.LBB70_1931:
	s_or_b64 exec, exec, s[4:5]
	s_mov_b64 s[4:5], 0
	s_branch .LBB70_1937
.LBB70_1932:
	s_mov_b64 s[4:5], -1
                                        ; implicit-def: $vgpr7
	s_branch .LBB70_1943
.LBB70_1933:
	s_andn2_saveexec_b64 s[22:23], s[22:23]
	s_cbranch_execz .LBB70_1918
.LBB70_1934:
	v_cmp_ne_u16_e32 vcc, 0, v6
	s_andn2_b64 s[24:25], s[24:25], exec
	s_and_b64 s[30:31], vcc, exec
	s_or_b64 s[24:25], s[24:25], s[30:31]
	s_or_b64 exec, exec, s[22:23]
	v_mov_b32_e32 v7, 0
	s_and_saveexec_b64 s[22:23], s[24:25]
	s_cbranch_execnz .LBB70_1919
	s_branch .LBB70_1920
.LBB70_1935:
	s_mov_b64 s[4:5], -1
                                        ; implicit-def: $vgpr7
	s_branch .LBB70_1940
.LBB70_1936:
	s_mov_b64 s[4:5], -1
                                        ; implicit-def: $vgpr7
.LBB70_1937:
	s_and_b64 vcc, exec, s[4:5]
	s_cbranch_vccz .LBB70_1939
; %bb.1938:
	global_load_ubyte v6, v[0:1], off
	s_mov_b32 s4, 0x7f800000
	s_waitcnt vmcnt(0)
	v_lshlrev_b32_e32 v6, 24, v6
	v_and_b32_e32 v7, 0x7f000000, v6
	v_ffbh_u32_e32 v10, v7
	v_min_u32_e32 v10, 32, v10
	v_sub_u32_e64 v10, v10, 4 clamp
	v_lshlrev_b32_e32 v12, v10, v7
	v_lshlrev_b32_e32 v10, 23, v10
	v_lshrrev_b32_e32 v12, 4, v12
	v_add_u32_e32 v11, 0x1000000, v7
	v_sub_u32_e32 v10, v12, v10
	v_ashrrev_i32_e32 v11, 8, v11
	v_add_u32_e32 v10, 0x3c000000, v10
	v_and_or_b32 v10, v11, s4, v10
	v_cmp_ne_u32_e32 vcc, 0, v7
	v_cndmask_b32_e32 v7, 0, v10, vcc
	s_brev_b32 s4, 1
	v_and_or_b32 v6, v6, s4, v7
	v_cvt_i32_f32_e32 v7, v6
.LBB70_1939:
	s_mov_b64 s[4:5], 0
.LBB70_1940:
	s_andn2_b64 vcc, exec, s[4:5]
	s_cbranch_vccnz .LBB70_1942
; %bb.1941:
	global_load_ubyte v6, v[0:1], off
	s_movk_i32 s4, 0x7f00
	s_brev_b32 s5, 16
	s_waitcnt vmcnt(0)
	v_lshlrev_b16_e32 v7, 8, v6
	v_lshlrev_b32_e32 v6, 25, v6
	v_lshrrev_b32_e32 v10, 4, v6
	v_and_or_b32 v11, v7, s4, 0.5
	v_or_b32_e32 v10, 0x70000000, v10
	v_add_f32_e32 v11, -0.5, v11
	v_mul_f32_e32 v10, 0x7800000, v10
	v_cmp_gt_u32_e32 vcc, s5, v6
	v_bfe_i32 v7, v7, 0, 16
	v_cndmask_b32_e32 v6, v10, v11, vcc
	s_brev_b32 s4, 1
	v_and_or_b32 v6, v7, s4, v6
	v_cvt_i32_f32_e32 v7, v6
.LBB70_1942:
	s_mov_b64 s[4:5], 0
	s_mov_b64 s[22:23], -1
.LBB70_1943:
	s_andn2_b64 vcc, exec, s[4:5]
	s_mov_b64 s[4:5], 0
	s_cbranch_vccnz .LBB70_1954
; %bb.1944:
	s_cmp_gt_i32 s28, 14
	s_cbranch_scc0 .LBB70_1947
; %bb.1945:
	s_cmp_eq_u32 s28, 15
	s_cbranch_scc0 .LBB70_1950
; %bb.1946:
	global_load_ushort v6, v[0:1], off
	s_mov_b64 s[0:1], 0
	s_mov_b64 s[22:23], -1
	s_waitcnt vmcnt(0)
	v_lshlrev_b32_e32 v6, 16, v6
	v_cvt_i32_f32_e32 v7, v6
	s_branch .LBB70_1951
.LBB70_1947:
	s_mov_b64 s[24:25], -1
                                        ; implicit-def: $vgpr7
	s_branch .LBB70_1952
.LBB70_1948:
	s_andn2_saveexec_b64 s[4:5], s[4:5]
	s_cbranch_execz .LBB70_1929
.LBB70_1949:
	v_cmp_ne_u16_e32 vcc, 0, v6
	s_andn2_b64 s[22:23], s[22:23], exec
	s_and_b64 s[24:25], vcc, exec
	s_or_b64 s[22:23], s[22:23], s[24:25]
	s_or_b64 exec, exec, s[4:5]
	v_mov_b32_e32 v7, 0
	s_and_saveexec_b64 s[4:5], s[22:23]
	s_cbranch_execnz .LBB70_1930
	s_branch .LBB70_1931
.LBB70_1950:
	s_mov_b64 s[0:1], -1
                                        ; implicit-def: $vgpr7
.LBB70_1951:
	s_mov_b64 s[24:25], 0
.LBB70_1952:
	s_and_b64 vcc, exec, s[24:25]
	s_cbranch_vccz .LBB70_1954
; %bb.1953:
	s_cmp_lg_u32 s28, 11
	s_mov_b64 s[4:5], -1
	s_cselect_b64 s[0:1], -1, 0
.LBB70_1954:
	s_and_b64 vcc, exec, s[0:1]
	s_cbranch_vccnz .LBB70_2019
; %bb.1955:
	s_andn2_b64 vcc, exec, s[4:5]
	s_cbranch_vccnz .LBB70_1957
.LBB70_1956:
	global_load_ubyte v6, v[0:1], off
	s_mov_b64 s[22:23], -1
	s_waitcnt vmcnt(0)
	v_cmp_ne_u16_e32 vcc, 0, v6
	v_cndmask_b32_e64 v7, 0, 1, vcc
.LBB70_1957:
	s_mov_b64 s[0:1], 0
.LBB70_1958:
	s_and_b64 vcc, exec, s[0:1]
	s_cbranch_vccz .LBB70_2007
; %bb.1959:
	s_and_b32 s4, 0xffff, s27
	s_cmp_lt_i32 s4, 5
	s_cbranch_scc1 .LBB70_1964
; %bb.1960:
	s_cmp_lt_i32 s4, 8
	s_cbranch_scc1 .LBB70_1965
; %bb.1961:
	;; [unrolled: 3-line block ×3, first 2 shown]
	s_cmp_gt_i32 s4, 9
	s_cbranch_scc0 .LBB70_1967
; %bb.1963:
	global_load_dwordx2 v[6:7], v[0:1], off
	s_mov_b64 s[0:1], 0
	s_waitcnt vmcnt(0)
	v_cvt_i32_f64_e32 v7, v[6:7]
	s_branch .LBB70_1968
.LBB70_1964:
	s_mov_b64 s[0:1], -1
                                        ; implicit-def: $vgpr7
	s_branch .LBB70_1986
.LBB70_1965:
	s_mov_b64 s[0:1], -1
                                        ; implicit-def: $vgpr7
	s_branch .LBB70_1974
.LBB70_1966:
	s_mov_b64 s[0:1], -1
                                        ; implicit-def: $vgpr7
	s_branch .LBB70_1971
.LBB70_1967:
	s_mov_b64 s[0:1], -1
                                        ; implicit-def: $vgpr7
.LBB70_1968:
	s_andn2_b64 vcc, exec, s[0:1]
	s_cbranch_vccnz .LBB70_1970
; %bb.1969:
	global_load_dword v6, v[0:1], off
	s_waitcnt vmcnt(0)
	v_cvt_i32_f32_e32 v7, v6
.LBB70_1970:
	s_mov_b64 s[0:1], 0
.LBB70_1971:
	s_andn2_b64 vcc, exec, s[0:1]
	s_cbranch_vccnz .LBB70_1973
; %bb.1972:
	global_load_dword v6, v[0:1], off
	s_waitcnt vmcnt(0)
	v_cvt_f32_f16_e32 v6, v6
	v_cvt_i32_f32_e32 v7, v6
.LBB70_1973:
	s_mov_b64 s[0:1], 0
.LBB70_1974:
	s_andn2_b64 vcc, exec, s[0:1]
	s_cbranch_vccnz .LBB70_1985
; %bb.1975:
	s_cmp_lt_i32 s4, 6
	s_cbranch_scc1 .LBB70_1978
; %bb.1976:
	s_cmp_gt_i32 s4, 6
	s_cbranch_scc0 .LBB70_1979
; %bb.1977:
	global_load_dwordx2 v[6:7], v[0:1], off
	s_mov_b64 s[0:1], 0
	s_waitcnt vmcnt(0)
	v_cvt_i32_f64_e32 v7, v[6:7]
	s_branch .LBB70_1980
.LBB70_1978:
	s_mov_b64 s[0:1], -1
                                        ; implicit-def: $vgpr7
	s_branch .LBB70_1983
.LBB70_1979:
	s_mov_b64 s[0:1], -1
                                        ; implicit-def: $vgpr7
.LBB70_1980:
	s_andn2_b64 vcc, exec, s[0:1]
	s_cbranch_vccnz .LBB70_1982
; %bb.1981:
	global_load_dword v6, v[0:1], off
	s_waitcnt vmcnt(0)
	v_cvt_i32_f32_e32 v7, v6
.LBB70_1982:
	s_mov_b64 s[0:1], 0
.LBB70_1983:
	s_andn2_b64 vcc, exec, s[0:1]
	s_cbranch_vccnz .LBB70_1985
; %bb.1984:
	global_load_ushort v6, v[0:1], off
	s_waitcnt vmcnt(0)
	v_cvt_f32_f16_e32 v6, v6
	v_cvt_i32_f32_e32 v7, v6
.LBB70_1985:
	s_mov_b64 s[0:1], 0
.LBB70_1986:
	s_andn2_b64 vcc, exec, s[0:1]
	s_cbranch_vccnz .LBB70_2006
; %bb.1987:
	s_cmp_lt_i32 s4, 2
	s_cbranch_scc1 .LBB70_1991
; %bb.1988:
	s_cmp_lt_i32 s4, 3
	s_cbranch_scc1 .LBB70_1992
; %bb.1989:
	s_cmp_gt_i32 s4, 3
	s_cbranch_scc0 .LBB70_1993
; %bb.1990:
	global_load_dword v7, v[0:1], off
	s_mov_b64 s[0:1], 0
	s_branch .LBB70_1994
.LBB70_1991:
	s_mov_b64 s[0:1], -1
                                        ; implicit-def: $vgpr7
	s_branch .LBB70_2000
.LBB70_1992:
	s_mov_b64 s[0:1], -1
                                        ; implicit-def: $vgpr7
	s_branch .LBB70_1997
.LBB70_1993:
	s_mov_b64 s[0:1], -1
                                        ; implicit-def: $vgpr7
.LBB70_1994:
	s_andn2_b64 vcc, exec, s[0:1]
	s_cbranch_vccnz .LBB70_1996
; %bb.1995:
	global_load_dword v7, v[0:1], off
.LBB70_1996:
	s_mov_b64 s[0:1], 0
.LBB70_1997:
	s_andn2_b64 vcc, exec, s[0:1]
	s_cbranch_vccnz .LBB70_1999
; %bb.1998:
	global_load_sshort v7, v[0:1], off
.LBB70_1999:
	s_mov_b64 s[0:1], 0
.LBB70_2000:
	s_andn2_b64 vcc, exec, s[0:1]
	s_cbranch_vccnz .LBB70_2006
; %bb.2001:
	s_cmp_gt_i32 s4, 0
	s_cbranch_scc0 .LBB70_2003
; %bb.2002:
	global_load_sbyte v7, v[0:1], off
	s_mov_b64 s[0:1], 0
	s_branch .LBB70_2004
.LBB70_2003:
	s_mov_b64 s[0:1], -1
                                        ; implicit-def: $vgpr7
.LBB70_2004:
	s_andn2_b64 vcc, exec, s[0:1]
	s_cbranch_vccnz .LBB70_2006
; %bb.2005:
	global_load_ubyte v7, v[0:1], off
.LBB70_2006:
	s_mov_b64 s[22:23], -1
.LBB70_2007:
	s_andn2_b64 vcc, exec, s[22:23]
	s_cbranch_vccnz .LBB70_2947
; %bb.2008:
	v_add_u32_e32 v8, s13, v8
	v_ashrrev_i32_e32 v1, 31, v8
	v_mov_b32_e32 v6, s11
	v_add_co_u32_e32 v0, vcc, s10, v8
	s_cmp_lt_i32 s26, 11
	v_addc_co_u32_e32 v1, vcc, v6, v1, vcc
	s_cbranch_scc1 .LBB70_2015
; %bb.2009:
	s_and_b32 s28, 0xffff, s26
	s_cmp_gt_i32 s28, 25
	s_mov_b64 s[4:5], 0
	s_cbranch_scc0 .LBB70_2016
; %bb.2010:
	s_cmp_gt_i32 s28, 28
	s_cbranch_scc0 .LBB70_2017
; %bb.2011:
	s_cmp_gt_i32 s28, 43
	s_cbranch_scc0 .LBB70_2018
; %bb.2012:
	s_cmp_gt_i32 s28, 45
	s_cbranch_scc0 .LBB70_2020
; %bb.2013:
	s_cmp_eq_u32 s28, 46
	s_mov_b64 s[24:25], 0
	s_cbranch_scc0 .LBB70_2021
; %bb.2014:
	global_load_dword v6, v[0:1], off
	s_mov_b64 s[0:1], 0
	s_mov_b64 s[22:23], -1
	s_waitcnt vmcnt(0)
	v_lshlrev_b32_e32 v6, 16, v6
	v_cvt_i32_f32_e32 v6, v6
	s_branch .LBB70_2022
.LBB70_2015:
	s_mov_b64 s[0:1], -1
	s_mov_b64 s[22:23], 0
                                        ; implicit-def: $vgpr6
	s_branch .LBB70_2084
.LBB70_2016:
	s_mov_b64 s[24:25], -1
	s_mov_b64 s[22:23], 0
	s_mov_b64 s[0:1], 0
                                        ; implicit-def: $vgpr6
	s_branch .LBB70_2049
.LBB70_2017:
	s_mov_b64 s[24:25], -1
	s_mov_b64 s[22:23], 0
	s_mov_b64 s[0:1], 0
                                        ; implicit-def: $vgpr6
	s_branch .LBB70_2032
.LBB70_2018:
	s_mov_b64 s[24:25], -1
	s_mov_b64 s[22:23], 0
	s_mov_b64 s[0:1], 0
                                        ; implicit-def: $vgpr6
	s_branch .LBB70_2027
.LBB70_2019:
	s_trap 2
	s_or_b64 s[20:21], s[20:21], exec
	s_cbranch_execz .LBB70_1956
	s_branch .LBB70_1957
.LBB70_2020:
	s_mov_b64 s[24:25], -1
	s_mov_b64 s[22:23], 0
	s_mov_b64 s[0:1], 0
                                        ; implicit-def: $vgpr6
	s_branch .LBB70_2022
.LBB70_2021:
	s_mov_b64 s[0:1], -1
                                        ; implicit-def: $vgpr6
	s_mov_b64 s[22:23], 0
.LBB70_2022:
	s_and_b64 vcc, exec, s[24:25]
	s_cbranch_vccz .LBB70_2026
; %bb.2023:
	s_cmp_eq_u32 s28, 44
	s_cbranch_scc0 .LBB70_2025
; %bb.2024:
	global_load_ubyte v6, v[0:1], off
	s_mov_b64 s[0:1], 0
	s_mov_b64 s[22:23], -1
	s_waitcnt vmcnt(0)
	v_lshlrev_b32_e32 v10, 23, v6
	v_cvt_i32_f32_e32 v10, v10
	v_cmp_ne_u32_e32 vcc, 0, v6
	v_cndmask_b32_e32 v6, 0, v10, vcc
	s_branch .LBB70_2026
.LBB70_2025:
	s_mov_b64 s[0:1], -1
                                        ; implicit-def: $vgpr6
.LBB70_2026:
	s_mov_b64 s[24:25], 0
.LBB70_2027:
	s_and_b64 vcc, exec, s[24:25]
	s_cbranch_vccz .LBB70_2031
; %bb.2028:
	s_cmp_eq_u32 s28, 29
	s_cbranch_scc0 .LBB70_2030
; %bb.2029:
	global_load_dword v6, v[0:1], off
	s_mov_b64 s[0:1], 0
	s_mov_b64 s[22:23], -1
	s_branch .LBB70_2031
.LBB70_2030:
	s_mov_b64 s[0:1], -1
                                        ; implicit-def: $vgpr6
.LBB70_2031:
	s_mov_b64 s[24:25], 0
.LBB70_2032:
	s_and_b64 vcc, exec, s[24:25]
	s_cbranch_vccz .LBB70_2048
; %bb.2033:
	s_cmp_lt_i32 s28, 27
	s_cbranch_scc1 .LBB70_2036
; %bb.2034:
	s_cmp_gt_i32 s28, 27
	s_cbranch_scc0 .LBB70_2037
; %bb.2035:
	global_load_dword v6, v[0:1], off
	s_mov_b64 s[22:23], 0
	s_branch .LBB70_2038
.LBB70_2036:
	s_mov_b64 s[22:23], -1
                                        ; implicit-def: $vgpr6
	s_branch .LBB70_2041
.LBB70_2037:
	s_mov_b64 s[22:23], -1
                                        ; implicit-def: $vgpr6
.LBB70_2038:
	s_andn2_b64 vcc, exec, s[22:23]
	s_cbranch_vccnz .LBB70_2040
; %bb.2039:
	global_load_ushort v6, v[0:1], off
.LBB70_2040:
	s_mov_b64 s[22:23], 0
.LBB70_2041:
	s_andn2_b64 vcc, exec, s[22:23]
	s_cbranch_vccnz .LBB70_2047
; %bb.2042:
	global_load_ubyte v10, v[0:1], off
	s_movk_i32 s22, 0x7f
	s_mov_b64 s[24:25], 0
	s_waitcnt vmcnt(0)
	v_cmp_lt_i16_e32 vcc, s22, v10
	s_and_saveexec_b64 s[22:23], vcc
	s_xor_b64 s[22:23], exec, s[22:23]
	s_cbranch_execz .LBB70_2059
; %bb.2043:
	s_movk_i32 s24, 0x80
	v_cmp_ne_u16_e32 vcc, s24, v10
	s_and_b64 s[24:25], vcc, exec
	s_andn2_saveexec_b64 s[22:23], s[22:23]
	s_cbranch_execnz .LBB70_2060
.LBB70_2044:
	s_or_b64 exec, exec, s[22:23]
	v_mov_b32_e32 v6, 0
	s_and_saveexec_b64 s[22:23], s[24:25]
	s_cbranch_execz .LBB70_2046
.LBB70_2045:
	v_lshlrev_b32_e32 v6, 24, v10
	v_and_b32_e32 v10, 0xffff, v10
	v_and_b32_e32 v11, 7, v10
	v_ffbh_u32_e32 v13, v11
	v_min_u32_e32 v13, 32, v13
	v_subrev_u32_e32 v14, 28, v13
	v_bfe_u32 v12, v10, 3, 4
	v_lshlrev_b32_e32 v10, v14, v10
	v_sub_u32_e32 v13, 29, v13
	v_and_b32_e32 v10, 7, v10
	v_cmp_eq_u32_e32 vcc, 0, v12
	v_cndmask_b32_e32 v12, v12, v13, vcc
	v_cndmask_b32_e32 v10, v11, v10, vcc
	v_mov_b32_e32 v11, 0x3b800000
	v_lshlrev_b32_e32 v10, 20, v10
	v_and_b32_e32 v6, 0x80000000, v6
	v_lshl_add_u32 v11, v12, 23, v11
	v_or3_b32 v6, v6, v11, v10
	v_cvt_i32_f32_e32 v6, v6
.LBB70_2046:
	s_or_b64 exec, exec, s[22:23]
.LBB70_2047:
	s_mov_b64 s[22:23], -1
.LBB70_2048:
	s_mov_b64 s[24:25], 0
.LBB70_2049:
	s_and_b64 vcc, exec, s[24:25]
	s_cbranch_vccz .LBB70_2080
; %bb.2050:
	s_cmp_gt_i32 s28, 22
	s_cbranch_scc0 .LBB70_2058
; %bb.2051:
	s_cmp_lt_i32 s28, 24
	s_cbranch_scc1 .LBB70_2061
; %bb.2052:
	s_cmp_gt_i32 s28, 24
	s_cbranch_scc0 .LBB70_2062
; %bb.2053:
	global_load_ubyte v10, v[0:1], off
	s_movk_i32 s4, 0x7f
	s_mov_b64 s[22:23], 0
	s_waitcnt vmcnt(0)
	v_cmp_lt_i16_e32 vcc, s4, v10
	s_and_saveexec_b64 s[4:5], vcc
	s_xor_b64 s[4:5], exec, s[4:5]
	s_cbranch_execz .LBB70_2074
; %bb.2054:
	s_movk_i32 s22, 0x80
	v_cmp_ne_u16_e32 vcc, s22, v10
	s_and_b64 s[22:23], vcc, exec
	s_andn2_saveexec_b64 s[4:5], s[4:5]
	s_cbranch_execnz .LBB70_2075
.LBB70_2055:
	s_or_b64 exec, exec, s[4:5]
	v_mov_b32_e32 v6, 0
	s_and_saveexec_b64 s[4:5], s[22:23]
	s_cbranch_execz .LBB70_2057
.LBB70_2056:
	v_lshlrev_b32_e32 v6, 24, v10
	v_and_b32_e32 v10, 0xffff, v10
	v_and_b32_e32 v11, 3, v10
	v_ffbh_u32_e32 v13, v11
	v_min_u32_e32 v13, 32, v13
	v_subrev_u32_e32 v14, 29, v13
	v_bfe_u32 v12, v10, 2, 5
	v_lshlrev_b32_e32 v10, v14, v10
	v_sub_u32_e32 v13, 30, v13
	v_and_b32_e32 v10, 3, v10
	v_cmp_eq_u32_e32 vcc, 0, v12
	v_cndmask_b32_e32 v12, v12, v13, vcc
	v_cndmask_b32_e32 v10, v11, v10, vcc
	v_mov_b32_e32 v11, 0x37800000
	v_lshlrev_b32_e32 v10, 21, v10
	v_and_b32_e32 v6, 0x80000000, v6
	v_lshl_add_u32 v11, v12, 23, v11
	v_or3_b32 v6, v6, v11, v10
	v_cvt_i32_f32_e32 v6, v6
.LBB70_2057:
	s_or_b64 exec, exec, s[4:5]
	s_mov_b64 s[4:5], 0
	s_branch .LBB70_2063
.LBB70_2058:
	s_mov_b64 s[4:5], -1
                                        ; implicit-def: $vgpr6
	s_branch .LBB70_2069
.LBB70_2059:
	s_andn2_saveexec_b64 s[22:23], s[22:23]
	s_cbranch_execz .LBB70_2044
.LBB70_2060:
	v_cmp_ne_u16_e32 vcc, 0, v10
	s_andn2_b64 s[24:25], s[24:25], exec
	s_and_b64 s[30:31], vcc, exec
	s_or_b64 s[24:25], s[24:25], s[30:31]
	s_or_b64 exec, exec, s[22:23]
	v_mov_b32_e32 v6, 0
	s_and_saveexec_b64 s[22:23], s[24:25]
	s_cbranch_execnz .LBB70_2045
	s_branch .LBB70_2046
.LBB70_2061:
	s_mov_b64 s[4:5], -1
                                        ; implicit-def: $vgpr6
	s_branch .LBB70_2066
.LBB70_2062:
	s_mov_b64 s[4:5], -1
                                        ; implicit-def: $vgpr6
.LBB70_2063:
	s_and_b64 vcc, exec, s[4:5]
	s_cbranch_vccz .LBB70_2065
; %bb.2064:
	global_load_ubyte v6, v[0:1], off
	s_mov_b32 s4, 0x7f800000
	s_waitcnt vmcnt(0)
	v_lshlrev_b32_e32 v6, 24, v6
	v_and_b32_e32 v10, 0x7f000000, v6
	v_ffbh_u32_e32 v11, v10
	v_min_u32_e32 v11, 32, v11
	v_sub_u32_e64 v11, v11, 4 clamp
	v_lshlrev_b32_e32 v13, v11, v10
	v_lshlrev_b32_e32 v11, 23, v11
	v_lshrrev_b32_e32 v13, 4, v13
	v_add_u32_e32 v12, 0x1000000, v10
	v_sub_u32_e32 v11, v13, v11
	v_ashrrev_i32_e32 v12, 8, v12
	v_add_u32_e32 v11, 0x3c000000, v11
	v_and_or_b32 v11, v12, s4, v11
	v_cmp_ne_u32_e32 vcc, 0, v10
	v_cndmask_b32_e32 v10, 0, v11, vcc
	s_brev_b32 s4, 1
	v_and_or_b32 v6, v6, s4, v10
	v_cvt_i32_f32_e32 v6, v6
.LBB70_2065:
	s_mov_b64 s[4:5], 0
.LBB70_2066:
	s_andn2_b64 vcc, exec, s[4:5]
	s_cbranch_vccnz .LBB70_2068
; %bb.2067:
	global_load_ubyte v6, v[0:1], off
	s_movk_i32 s4, 0x7f00
	s_brev_b32 s5, 16
	s_waitcnt vmcnt(0)
	v_lshlrev_b16_e32 v10, 8, v6
	v_lshlrev_b32_e32 v6, 25, v6
	v_lshrrev_b32_e32 v11, 4, v6
	v_and_or_b32 v12, v10, s4, 0.5
	v_or_b32_e32 v11, 0x70000000, v11
	v_add_f32_e32 v12, -0.5, v12
	v_mul_f32_e32 v11, 0x7800000, v11
	v_cmp_gt_u32_e32 vcc, s5, v6
	v_bfe_i32 v10, v10, 0, 16
	v_cndmask_b32_e32 v6, v11, v12, vcc
	s_brev_b32 s4, 1
	v_and_or_b32 v6, v10, s4, v6
	v_cvt_i32_f32_e32 v6, v6
.LBB70_2068:
	s_mov_b64 s[4:5], 0
	s_mov_b64 s[22:23], -1
.LBB70_2069:
	s_andn2_b64 vcc, exec, s[4:5]
	s_mov_b64 s[4:5], 0
	s_cbranch_vccnz .LBB70_2080
; %bb.2070:
	s_cmp_gt_i32 s28, 14
	s_cbranch_scc0 .LBB70_2073
; %bb.2071:
	s_cmp_eq_u32 s28, 15
	s_cbranch_scc0 .LBB70_2076
; %bb.2072:
	global_load_ushort v6, v[0:1], off
	s_mov_b64 s[0:1], 0
	s_mov_b64 s[22:23], -1
	s_waitcnt vmcnt(0)
	v_lshlrev_b32_e32 v6, 16, v6
	v_cvt_i32_f32_e32 v6, v6
	s_branch .LBB70_2077
.LBB70_2073:
	s_mov_b64 s[24:25], -1
                                        ; implicit-def: $vgpr6
	s_branch .LBB70_2078
.LBB70_2074:
	s_andn2_saveexec_b64 s[4:5], s[4:5]
	s_cbranch_execz .LBB70_2055
.LBB70_2075:
	v_cmp_ne_u16_e32 vcc, 0, v10
	s_andn2_b64 s[22:23], s[22:23], exec
	s_and_b64 s[24:25], vcc, exec
	s_or_b64 s[22:23], s[22:23], s[24:25]
	s_or_b64 exec, exec, s[4:5]
	v_mov_b32_e32 v6, 0
	s_and_saveexec_b64 s[4:5], s[22:23]
	s_cbranch_execnz .LBB70_2056
	s_branch .LBB70_2057
.LBB70_2076:
	s_mov_b64 s[0:1], -1
                                        ; implicit-def: $vgpr6
.LBB70_2077:
	s_mov_b64 s[24:25], 0
.LBB70_2078:
	s_and_b64 vcc, exec, s[24:25]
	s_cbranch_vccz .LBB70_2080
; %bb.2079:
	s_cmp_lg_u32 s28, 11
	s_mov_b64 s[4:5], -1
	s_cselect_b64 s[0:1], -1, 0
.LBB70_2080:
	s_and_b64 vcc, exec, s[0:1]
	s_cbranch_vccnz .LBB70_2145
; %bb.2081:
	s_andn2_b64 vcc, exec, s[4:5]
	s_cbranch_vccnz .LBB70_2083
.LBB70_2082:
	global_load_ubyte v6, v[0:1], off
	s_mov_b64 s[22:23], -1
	s_waitcnt vmcnt(0)
	v_cmp_ne_u16_e32 vcc, 0, v6
	v_cndmask_b32_e64 v6, 0, 1, vcc
.LBB70_2083:
	s_mov_b64 s[0:1], 0
.LBB70_2084:
	s_and_b64 vcc, exec, s[0:1]
	s_cbranch_vccz .LBB70_2133
; %bb.2085:
	s_and_b32 s4, 0xffff, s26
	s_cmp_lt_i32 s4, 5
	s_cbranch_scc1 .LBB70_2090
; %bb.2086:
	s_cmp_lt_i32 s4, 8
	s_cbranch_scc1 .LBB70_2091
; %bb.2087:
	;; [unrolled: 3-line block ×3, first 2 shown]
	s_cmp_gt_i32 s4, 9
	s_cbranch_scc0 .LBB70_2093
; %bb.2089:
	global_load_dwordx2 v[10:11], v[0:1], off
	s_mov_b64 s[0:1], 0
	s_waitcnt vmcnt(0)
	v_cvt_i32_f64_e32 v6, v[10:11]
	s_branch .LBB70_2094
.LBB70_2090:
	s_mov_b64 s[0:1], -1
                                        ; implicit-def: $vgpr6
	s_branch .LBB70_2112
.LBB70_2091:
	s_mov_b64 s[0:1], -1
                                        ; implicit-def: $vgpr6
	s_branch .LBB70_2100
.LBB70_2092:
	s_mov_b64 s[0:1], -1
                                        ; implicit-def: $vgpr6
	s_branch .LBB70_2097
.LBB70_2093:
	s_mov_b64 s[0:1], -1
                                        ; implicit-def: $vgpr6
.LBB70_2094:
	s_andn2_b64 vcc, exec, s[0:1]
	s_cbranch_vccnz .LBB70_2096
; %bb.2095:
	global_load_dword v6, v[0:1], off
	s_waitcnt vmcnt(0)
	v_cvt_i32_f32_e32 v6, v6
.LBB70_2096:
	s_mov_b64 s[0:1], 0
.LBB70_2097:
	s_andn2_b64 vcc, exec, s[0:1]
	s_cbranch_vccnz .LBB70_2099
; %bb.2098:
	global_load_dword v6, v[0:1], off
	s_waitcnt vmcnt(0)
	v_cvt_f32_f16_e32 v6, v6
	v_cvt_i32_f32_e32 v6, v6
.LBB70_2099:
	s_mov_b64 s[0:1], 0
.LBB70_2100:
	s_andn2_b64 vcc, exec, s[0:1]
	s_cbranch_vccnz .LBB70_2111
; %bb.2101:
	s_cmp_lt_i32 s4, 6
	s_cbranch_scc1 .LBB70_2104
; %bb.2102:
	s_cmp_gt_i32 s4, 6
	s_cbranch_scc0 .LBB70_2105
; %bb.2103:
	global_load_dwordx2 v[10:11], v[0:1], off
	s_mov_b64 s[0:1], 0
	s_waitcnt vmcnt(0)
	v_cvt_i32_f64_e32 v6, v[10:11]
	s_branch .LBB70_2106
.LBB70_2104:
	s_mov_b64 s[0:1], -1
                                        ; implicit-def: $vgpr6
	s_branch .LBB70_2109
.LBB70_2105:
	s_mov_b64 s[0:1], -1
                                        ; implicit-def: $vgpr6
.LBB70_2106:
	s_andn2_b64 vcc, exec, s[0:1]
	s_cbranch_vccnz .LBB70_2108
; %bb.2107:
	global_load_dword v6, v[0:1], off
	s_waitcnt vmcnt(0)
	v_cvt_i32_f32_e32 v6, v6
.LBB70_2108:
	s_mov_b64 s[0:1], 0
.LBB70_2109:
	s_andn2_b64 vcc, exec, s[0:1]
	s_cbranch_vccnz .LBB70_2111
; %bb.2110:
	global_load_ushort v6, v[0:1], off
	s_waitcnt vmcnt(0)
	v_cvt_f32_f16_e32 v6, v6
	v_cvt_i32_f32_e32 v6, v6
.LBB70_2111:
	s_mov_b64 s[0:1], 0
.LBB70_2112:
	s_andn2_b64 vcc, exec, s[0:1]
	s_cbranch_vccnz .LBB70_2132
; %bb.2113:
	s_cmp_lt_i32 s4, 2
	s_cbranch_scc1 .LBB70_2117
; %bb.2114:
	s_cmp_lt_i32 s4, 3
	s_cbranch_scc1 .LBB70_2118
; %bb.2115:
	s_cmp_gt_i32 s4, 3
	s_cbranch_scc0 .LBB70_2119
; %bb.2116:
	global_load_dword v6, v[0:1], off
	s_mov_b64 s[0:1], 0
	s_branch .LBB70_2120
.LBB70_2117:
	s_mov_b64 s[0:1], -1
                                        ; implicit-def: $vgpr6
	s_branch .LBB70_2126
.LBB70_2118:
	s_mov_b64 s[0:1], -1
                                        ; implicit-def: $vgpr6
	s_branch .LBB70_2123
.LBB70_2119:
	s_mov_b64 s[0:1], -1
                                        ; implicit-def: $vgpr6
.LBB70_2120:
	s_andn2_b64 vcc, exec, s[0:1]
	s_cbranch_vccnz .LBB70_2122
; %bb.2121:
	global_load_dword v6, v[0:1], off
.LBB70_2122:
	s_mov_b64 s[0:1], 0
.LBB70_2123:
	s_andn2_b64 vcc, exec, s[0:1]
	s_cbranch_vccnz .LBB70_2125
; %bb.2124:
	global_load_sshort v6, v[0:1], off
.LBB70_2125:
	s_mov_b64 s[0:1], 0
.LBB70_2126:
	s_andn2_b64 vcc, exec, s[0:1]
	s_cbranch_vccnz .LBB70_2132
; %bb.2127:
	s_cmp_gt_i32 s4, 0
	s_cbranch_scc0 .LBB70_2129
; %bb.2128:
	global_load_sbyte v6, v[0:1], off
	s_mov_b64 s[0:1], 0
	s_branch .LBB70_2130
.LBB70_2129:
	s_mov_b64 s[0:1], -1
                                        ; implicit-def: $vgpr6
.LBB70_2130:
	s_andn2_b64 vcc, exec, s[0:1]
	s_cbranch_vccnz .LBB70_2132
; %bb.2131:
	global_load_ubyte v6, v[0:1], off
.LBB70_2132:
	s_mov_b64 s[22:23], -1
.LBB70_2133:
	s_andn2_b64 vcc, exec, s[22:23]
	s_cbranch_vccnz .LBB70_2947
; %bb.2134:
	v_add_u32_e32 v10, s14, v9
	v_ashrrev_i32_e32 v1, 31, v10
	v_mov_b32_e32 v9, s17
	v_add_co_u32_e32 v0, vcc, s16, v10
	s_cmp_lt_i32 s27, 11
	v_addc_co_u32_e32 v1, vcc, v9, v1, vcc
	s_cbranch_scc1 .LBB70_2141
; %bb.2135:
	s_and_b32 s28, 0xffff, s27
	s_cmp_gt_i32 s28, 25
	s_mov_b64 s[4:5], 0
	s_cbranch_scc0 .LBB70_2142
; %bb.2136:
	s_cmp_gt_i32 s28, 28
	s_cbranch_scc0 .LBB70_2143
; %bb.2137:
	s_cmp_gt_i32 s28, 43
	;; [unrolled: 3-line block ×3, first 2 shown]
	s_cbranch_scc0 .LBB70_2146
; %bb.2139:
	s_cmp_eq_u32 s28, 46
	s_mov_b64 s[24:25], 0
	s_cbranch_scc0 .LBB70_2149
; %bb.2140:
	global_load_dword v9, v[0:1], off
	s_mov_b64 s[0:1], 0
	s_mov_b64 s[22:23], -1
	s_waitcnt vmcnt(0)
	v_lshlrev_b32_e32 v9, 16, v9
	v_cvt_i32_f32_e32 v9, v9
	s_branch .LBB70_2150
.LBB70_2141:
	s_mov_b64 s[0:1], -1
	s_mov_b64 s[22:23], 0
                                        ; implicit-def: $vgpr9
	s_branch .LBB70_2212
.LBB70_2142:
	s_mov_b64 s[24:25], -1
	s_mov_b64 s[22:23], 0
	s_mov_b64 s[0:1], 0
                                        ; implicit-def: $vgpr9
	s_branch .LBB70_2177
.LBB70_2143:
	s_mov_b64 s[24:25], -1
	s_mov_b64 s[22:23], 0
	s_mov_b64 s[0:1], 0
                                        ; implicit-def: $vgpr9
	s_branch .LBB70_2160
.LBB70_2144:
	s_mov_b64 s[24:25], -1
	s_mov_b64 s[22:23], 0
	s_mov_b64 s[0:1], 0
                                        ; implicit-def: $vgpr9
	s_branch .LBB70_2155
.LBB70_2145:
	s_trap 2
	s_or_b64 s[20:21], s[20:21], exec
	s_cbranch_execz .LBB70_2082
	s_branch .LBB70_2083
.LBB70_2146:
	s_mov_b64 s[24:25], -1
	s_mov_b64 s[22:23], 0
	s_mov_b64 s[0:1], 0
                                        ; implicit-def: $vgpr9
	s_branch .LBB70_2150
.LBB70_2147:
	s_andn2_saveexec_b64 s[46:47], s[46:47]
	s_cbranch_execz .LBB70_1061
.LBB70_2148:
	s_mov_b32 s51, 0x42800000
	v_add_f32_e64 v5, |v1|, s51
	v_and_b32_e32 v5, 0xff, v5
	v_cmp_ne_u32_e32 vcc, 0, v5
	s_andn2_b64 s[44:45], s[44:45], exec
	s_and_b64 s[52:53], vcc, exec
	s_or_b64 s[44:45], s[44:45], s[52:53]
	s_or_b64 exec, exec, s[46:47]
	v_mov_b32_e32 v6, 0
	s_and_saveexec_b64 s[46:47], s[44:45]
	s_cbranch_execnz .LBB70_1062
	s_branch .LBB70_1063
.LBB70_2149:
	s_mov_b64 s[0:1], -1
                                        ; implicit-def: $vgpr9
	s_mov_b64 s[22:23], 0
.LBB70_2150:
	s_and_b64 vcc, exec, s[24:25]
	s_cbranch_vccz .LBB70_2154
; %bb.2151:
	s_cmp_eq_u32 s28, 44
	s_cbranch_scc0 .LBB70_2153
; %bb.2152:
	global_load_ubyte v9, v[0:1], off
	s_mov_b64 s[0:1], 0
	s_mov_b64 s[22:23], -1
	s_waitcnt vmcnt(0)
	v_lshlrev_b32_e32 v11, 23, v9
	v_cvt_i32_f32_e32 v11, v11
	v_cmp_ne_u32_e32 vcc, 0, v9
	v_cndmask_b32_e32 v9, 0, v11, vcc
	s_branch .LBB70_2154
.LBB70_2153:
	s_mov_b64 s[0:1], -1
                                        ; implicit-def: $vgpr9
.LBB70_2154:
	s_mov_b64 s[24:25], 0
.LBB70_2155:
	s_and_b64 vcc, exec, s[24:25]
	s_cbranch_vccz .LBB70_2159
; %bb.2156:
	s_cmp_eq_u32 s28, 29
	s_cbranch_scc0 .LBB70_2158
; %bb.2157:
	global_load_dword v9, v[0:1], off
	s_mov_b64 s[0:1], 0
	s_mov_b64 s[22:23], -1
	s_branch .LBB70_2159
.LBB70_2158:
	s_mov_b64 s[0:1], -1
                                        ; implicit-def: $vgpr9
.LBB70_2159:
	s_mov_b64 s[24:25], 0
.LBB70_2160:
	s_and_b64 vcc, exec, s[24:25]
	s_cbranch_vccz .LBB70_2176
; %bb.2161:
	s_cmp_lt_i32 s28, 27
	s_cbranch_scc1 .LBB70_2164
; %bb.2162:
	s_cmp_gt_i32 s28, 27
	s_cbranch_scc0 .LBB70_2165
; %bb.2163:
	global_load_dword v9, v[0:1], off
	s_mov_b64 s[22:23], 0
	s_branch .LBB70_2166
.LBB70_2164:
	s_mov_b64 s[22:23], -1
                                        ; implicit-def: $vgpr9
	s_branch .LBB70_2169
.LBB70_2165:
	s_mov_b64 s[22:23], -1
                                        ; implicit-def: $vgpr9
.LBB70_2166:
	s_andn2_b64 vcc, exec, s[22:23]
	s_cbranch_vccnz .LBB70_2168
; %bb.2167:
	global_load_ushort v9, v[0:1], off
.LBB70_2168:
	s_mov_b64 s[22:23], 0
.LBB70_2169:
	s_andn2_b64 vcc, exec, s[22:23]
	s_cbranch_vccnz .LBB70_2175
; %bb.2170:
	global_load_ubyte v11, v[0:1], off
	s_movk_i32 s22, 0x7f
	s_mov_b64 s[24:25], 0
	s_waitcnt vmcnt(0)
	v_cmp_lt_i16_e32 vcc, s22, v11
	s_and_saveexec_b64 s[22:23], vcc
	s_xor_b64 s[22:23], exec, s[22:23]
	s_cbranch_execz .LBB70_2187
; %bb.2171:
	s_movk_i32 s24, 0x80
	v_cmp_ne_u16_e32 vcc, s24, v11
	s_and_b64 s[24:25], vcc, exec
	s_andn2_saveexec_b64 s[22:23], s[22:23]
	s_cbranch_execnz .LBB70_2188
.LBB70_2172:
	s_or_b64 exec, exec, s[22:23]
	v_mov_b32_e32 v9, 0
	s_and_saveexec_b64 s[22:23], s[24:25]
	s_cbranch_execz .LBB70_2174
.LBB70_2173:
	v_lshlrev_b32_e32 v9, 24, v11
	v_and_b32_e32 v11, 0xffff, v11
	v_and_b32_e32 v12, 7, v11
	v_ffbh_u32_e32 v14, v12
	v_min_u32_e32 v14, 32, v14
	v_subrev_u32_e32 v15, 28, v14
	v_bfe_u32 v13, v11, 3, 4
	v_lshlrev_b32_e32 v11, v15, v11
	v_sub_u32_e32 v14, 29, v14
	v_and_b32_e32 v11, 7, v11
	v_cmp_eq_u32_e32 vcc, 0, v13
	v_cndmask_b32_e32 v13, v13, v14, vcc
	v_cndmask_b32_e32 v11, v12, v11, vcc
	v_mov_b32_e32 v12, 0x3b800000
	v_lshlrev_b32_e32 v11, 20, v11
	v_and_b32_e32 v9, 0x80000000, v9
	v_lshl_add_u32 v12, v13, 23, v12
	v_or3_b32 v9, v9, v12, v11
	v_cvt_i32_f32_e32 v9, v9
.LBB70_2174:
	s_or_b64 exec, exec, s[22:23]
.LBB70_2175:
	s_mov_b64 s[22:23], -1
.LBB70_2176:
	s_mov_b64 s[24:25], 0
.LBB70_2177:
	s_and_b64 vcc, exec, s[24:25]
	s_cbranch_vccz .LBB70_2208
; %bb.2178:
	s_cmp_gt_i32 s28, 22
	s_cbranch_scc0 .LBB70_2186
; %bb.2179:
	s_cmp_lt_i32 s28, 24
	s_cbranch_scc1 .LBB70_2189
; %bb.2180:
	s_cmp_gt_i32 s28, 24
	s_cbranch_scc0 .LBB70_2190
; %bb.2181:
	global_load_ubyte v11, v[0:1], off
	s_movk_i32 s4, 0x7f
	s_mov_b64 s[22:23], 0
	s_waitcnt vmcnt(0)
	v_cmp_lt_i16_e32 vcc, s4, v11
	s_and_saveexec_b64 s[4:5], vcc
	s_xor_b64 s[4:5], exec, s[4:5]
	s_cbranch_execz .LBB70_2202
; %bb.2182:
	s_movk_i32 s22, 0x80
	v_cmp_ne_u16_e32 vcc, s22, v11
	s_and_b64 s[22:23], vcc, exec
	s_andn2_saveexec_b64 s[4:5], s[4:5]
	s_cbranch_execnz .LBB70_2203
.LBB70_2183:
	s_or_b64 exec, exec, s[4:5]
	v_mov_b32_e32 v9, 0
	s_and_saveexec_b64 s[4:5], s[22:23]
	s_cbranch_execz .LBB70_2185
.LBB70_2184:
	v_lshlrev_b32_e32 v9, 24, v11
	v_and_b32_e32 v11, 0xffff, v11
	v_and_b32_e32 v12, 3, v11
	v_ffbh_u32_e32 v14, v12
	v_min_u32_e32 v14, 32, v14
	v_subrev_u32_e32 v15, 29, v14
	v_bfe_u32 v13, v11, 2, 5
	v_lshlrev_b32_e32 v11, v15, v11
	v_sub_u32_e32 v14, 30, v14
	v_and_b32_e32 v11, 3, v11
	v_cmp_eq_u32_e32 vcc, 0, v13
	v_cndmask_b32_e32 v13, v13, v14, vcc
	v_cndmask_b32_e32 v11, v12, v11, vcc
	v_mov_b32_e32 v12, 0x37800000
	v_lshlrev_b32_e32 v11, 21, v11
	v_and_b32_e32 v9, 0x80000000, v9
	v_lshl_add_u32 v12, v13, 23, v12
	v_or3_b32 v9, v9, v12, v11
	v_cvt_i32_f32_e32 v9, v9
.LBB70_2185:
	s_or_b64 exec, exec, s[4:5]
	s_mov_b64 s[4:5], 0
	s_branch .LBB70_2191
.LBB70_2186:
	s_mov_b64 s[4:5], -1
                                        ; implicit-def: $vgpr9
	s_branch .LBB70_2197
.LBB70_2187:
	s_andn2_saveexec_b64 s[22:23], s[22:23]
	s_cbranch_execz .LBB70_2172
.LBB70_2188:
	v_cmp_ne_u16_e32 vcc, 0, v11
	s_andn2_b64 s[24:25], s[24:25], exec
	s_and_b64 s[30:31], vcc, exec
	s_or_b64 s[24:25], s[24:25], s[30:31]
	s_or_b64 exec, exec, s[22:23]
	v_mov_b32_e32 v9, 0
	s_and_saveexec_b64 s[22:23], s[24:25]
	s_cbranch_execnz .LBB70_2173
	s_branch .LBB70_2174
.LBB70_2189:
	s_mov_b64 s[4:5], -1
                                        ; implicit-def: $vgpr9
	s_branch .LBB70_2194
.LBB70_2190:
	s_mov_b64 s[4:5], -1
                                        ; implicit-def: $vgpr9
.LBB70_2191:
	s_and_b64 vcc, exec, s[4:5]
	s_cbranch_vccz .LBB70_2193
; %bb.2192:
	global_load_ubyte v9, v[0:1], off
	s_mov_b32 s4, 0x7f800000
	s_waitcnt vmcnt(0)
	v_lshlrev_b32_e32 v9, 24, v9
	v_and_b32_e32 v11, 0x7f000000, v9
	v_ffbh_u32_e32 v12, v11
	v_min_u32_e32 v12, 32, v12
	v_sub_u32_e64 v12, v12, 4 clamp
	v_lshlrev_b32_e32 v14, v12, v11
	v_lshlrev_b32_e32 v12, 23, v12
	v_lshrrev_b32_e32 v14, 4, v14
	v_add_u32_e32 v13, 0x1000000, v11
	v_sub_u32_e32 v12, v14, v12
	v_ashrrev_i32_e32 v13, 8, v13
	v_add_u32_e32 v12, 0x3c000000, v12
	v_and_or_b32 v12, v13, s4, v12
	v_cmp_ne_u32_e32 vcc, 0, v11
	v_cndmask_b32_e32 v11, 0, v12, vcc
	s_brev_b32 s4, 1
	v_and_or_b32 v9, v9, s4, v11
	v_cvt_i32_f32_e32 v9, v9
.LBB70_2193:
	s_mov_b64 s[4:5], 0
.LBB70_2194:
	s_andn2_b64 vcc, exec, s[4:5]
	s_cbranch_vccnz .LBB70_2196
; %bb.2195:
	global_load_ubyte v9, v[0:1], off
	s_movk_i32 s4, 0x7f00
	s_brev_b32 s5, 16
	s_waitcnt vmcnt(0)
	v_lshlrev_b16_e32 v11, 8, v9
	v_lshlrev_b32_e32 v9, 25, v9
	v_lshrrev_b32_e32 v12, 4, v9
	v_and_or_b32 v13, v11, s4, 0.5
	v_or_b32_e32 v12, 0x70000000, v12
	v_add_f32_e32 v13, -0.5, v13
	v_mul_f32_e32 v12, 0x7800000, v12
	v_cmp_gt_u32_e32 vcc, s5, v9
	v_bfe_i32 v11, v11, 0, 16
	v_cndmask_b32_e32 v9, v12, v13, vcc
	s_brev_b32 s4, 1
	v_and_or_b32 v9, v11, s4, v9
	v_cvt_i32_f32_e32 v9, v9
.LBB70_2196:
	s_mov_b64 s[4:5], 0
	s_mov_b64 s[22:23], -1
.LBB70_2197:
	s_andn2_b64 vcc, exec, s[4:5]
	s_mov_b64 s[4:5], 0
	s_cbranch_vccnz .LBB70_2208
; %bb.2198:
	s_cmp_gt_i32 s28, 14
	s_cbranch_scc0 .LBB70_2201
; %bb.2199:
	s_cmp_eq_u32 s28, 15
	s_cbranch_scc0 .LBB70_2204
; %bb.2200:
	global_load_ushort v9, v[0:1], off
	s_mov_b64 s[0:1], 0
	s_mov_b64 s[22:23], -1
	s_waitcnt vmcnt(0)
	v_lshlrev_b32_e32 v9, 16, v9
	v_cvt_i32_f32_e32 v9, v9
	s_branch .LBB70_2205
.LBB70_2201:
	s_mov_b64 s[24:25], -1
                                        ; implicit-def: $vgpr9
	s_branch .LBB70_2206
.LBB70_2202:
	s_andn2_saveexec_b64 s[4:5], s[4:5]
	s_cbranch_execz .LBB70_2183
.LBB70_2203:
	v_cmp_ne_u16_e32 vcc, 0, v11
	s_andn2_b64 s[22:23], s[22:23], exec
	s_and_b64 s[24:25], vcc, exec
	s_or_b64 s[22:23], s[22:23], s[24:25]
	s_or_b64 exec, exec, s[4:5]
	v_mov_b32_e32 v9, 0
	s_and_saveexec_b64 s[4:5], s[22:23]
	s_cbranch_execnz .LBB70_2184
	s_branch .LBB70_2185
.LBB70_2204:
	s_mov_b64 s[0:1], -1
                                        ; implicit-def: $vgpr9
.LBB70_2205:
	s_mov_b64 s[24:25], 0
.LBB70_2206:
	s_and_b64 vcc, exec, s[24:25]
	s_cbranch_vccz .LBB70_2208
; %bb.2207:
	s_cmp_lg_u32 s28, 11
	s_mov_b64 s[4:5], -1
	s_cselect_b64 s[0:1], -1, 0
.LBB70_2208:
	s_and_b64 vcc, exec, s[0:1]
	s_cbranch_vccnz .LBB70_2273
; %bb.2209:
	s_andn2_b64 vcc, exec, s[4:5]
	s_cbranch_vccnz .LBB70_2211
.LBB70_2210:
	global_load_ubyte v9, v[0:1], off
	s_mov_b64 s[22:23], -1
	s_waitcnt vmcnt(0)
	v_cmp_ne_u16_e32 vcc, 0, v9
	v_cndmask_b32_e64 v9, 0, 1, vcc
.LBB70_2211:
	s_mov_b64 s[0:1], 0
.LBB70_2212:
	s_and_b64 vcc, exec, s[0:1]
	s_cbranch_vccz .LBB70_2261
; %bb.2213:
	s_and_b32 s4, 0xffff, s27
	s_cmp_lt_i32 s4, 5
	s_cbranch_scc1 .LBB70_2218
; %bb.2214:
	s_cmp_lt_i32 s4, 8
	s_cbranch_scc1 .LBB70_2219
; %bb.2215:
	;; [unrolled: 3-line block ×3, first 2 shown]
	s_cmp_gt_i32 s4, 9
	s_cbranch_scc0 .LBB70_2221
; %bb.2217:
	global_load_dwordx2 v[11:12], v[0:1], off
	s_mov_b64 s[0:1], 0
	s_waitcnt vmcnt(0)
	v_cvt_i32_f64_e32 v9, v[11:12]
	s_branch .LBB70_2222
.LBB70_2218:
	s_mov_b64 s[0:1], -1
                                        ; implicit-def: $vgpr9
	s_branch .LBB70_2240
.LBB70_2219:
	s_mov_b64 s[0:1], -1
                                        ; implicit-def: $vgpr9
	s_branch .LBB70_2228
.LBB70_2220:
	s_mov_b64 s[0:1], -1
                                        ; implicit-def: $vgpr9
	s_branch .LBB70_2225
.LBB70_2221:
	s_mov_b64 s[0:1], -1
                                        ; implicit-def: $vgpr9
.LBB70_2222:
	s_andn2_b64 vcc, exec, s[0:1]
	s_cbranch_vccnz .LBB70_2224
; %bb.2223:
	global_load_dword v9, v[0:1], off
	s_waitcnt vmcnt(0)
	v_cvt_i32_f32_e32 v9, v9
.LBB70_2224:
	s_mov_b64 s[0:1], 0
.LBB70_2225:
	s_andn2_b64 vcc, exec, s[0:1]
	s_cbranch_vccnz .LBB70_2227
; %bb.2226:
	global_load_dword v9, v[0:1], off
	s_waitcnt vmcnt(0)
	v_cvt_f32_f16_e32 v9, v9
	v_cvt_i32_f32_e32 v9, v9
.LBB70_2227:
	s_mov_b64 s[0:1], 0
.LBB70_2228:
	s_andn2_b64 vcc, exec, s[0:1]
	s_cbranch_vccnz .LBB70_2239
; %bb.2229:
	s_cmp_lt_i32 s4, 6
	s_cbranch_scc1 .LBB70_2232
; %bb.2230:
	s_cmp_gt_i32 s4, 6
	s_cbranch_scc0 .LBB70_2233
; %bb.2231:
	global_load_dwordx2 v[11:12], v[0:1], off
	s_mov_b64 s[0:1], 0
	s_waitcnt vmcnt(0)
	v_cvt_i32_f64_e32 v9, v[11:12]
	s_branch .LBB70_2234
.LBB70_2232:
	s_mov_b64 s[0:1], -1
                                        ; implicit-def: $vgpr9
	s_branch .LBB70_2237
.LBB70_2233:
	s_mov_b64 s[0:1], -1
                                        ; implicit-def: $vgpr9
.LBB70_2234:
	s_andn2_b64 vcc, exec, s[0:1]
	s_cbranch_vccnz .LBB70_2236
; %bb.2235:
	global_load_dword v9, v[0:1], off
	s_waitcnt vmcnt(0)
	v_cvt_i32_f32_e32 v9, v9
.LBB70_2236:
	s_mov_b64 s[0:1], 0
.LBB70_2237:
	s_andn2_b64 vcc, exec, s[0:1]
	s_cbranch_vccnz .LBB70_2239
; %bb.2238:
	global_load_ushort v9, v[0:1], off
	s_waitcnt vmcnt(0)
	v_cvt_f32_f16_e32 v9, v9
	v_cvt_i32_f32_e32 v9, v9
.LBB70_2239:
	s_mov_b64 s[0:1], 0
.LBB70_2240:
	s_andn2_b64 vcc, exec, s[0:1]
	s_cbranch_vccnz .LBB70_2260
; %bb.2241:
	s_cmp_lt_i32 s4, 2
	s_cbranch_scc1 .LBB70_2245
; %bb.2242:
	s_cmp_lt_i32 s4, 3
	s_cbranch_scc1 .LBB70_2246
; %bb.2243:
	s_cmp_gt_i32 s4, 3
	s_cbranch_scc0 .LBB70_2247
; %bb.2244:
	global_load_dword v9, v[0:1], off
	s_mov_b64 s[0:1], 0
	s_branch .LBB70_2248
.LBB70_2245:
	s_mov_b64 s[0:1], -1
                                        ; implicit-def: $vgpr9
	s_branch .LBB70_2254
.LBB70_2246:
	s_mov_b64 s[0:1], -1
                                        ; implicit-def: $vgpr9
	s_branch .LBB70_2251
.LBB70_2247:
	s_mov_b64 s[0:1], -1
                                        ; implicit-def: $vgpr9
.LBB70_2248:
	s_andn2_b64 vcc, exec, s[0:1]
	s_cbranch_vccnz .LBB70_2250
; %bb.2249:
	global_load_dword v9, v[0:1], off
.LBB70_2250:
	s_mov_b64 s[0:1], 0
.LBB70_2251:
	s_andn2_b64 vcc, exec, s[0:1]
	s_cbranch_vccnz .LBB70_2253
; %bb.2252:
	global_load_sshort v9, v[0:1], off
.LBB70_2253:
	s_mov_b64 s[0:1], 0
.LBB70_2254:
	s_andn2_b64 vcc, exec, s[0:1]
	s_cbranch_vccnz .LBB70_2260
; %bb.2255:
	s_cmp_gt_i32 s4, 0
	s_cbranch_scc0 .LBB70_2257
; %bb.2256:
	global_load_sbyte v9, v[0:1], off
	s_mov_b64 s[0:1], 0
	s_branch .LBB70_2258
.LBB70_2257:
	s_mov_b64 s[0:1], -1
                                        ; implicit-def: $vgpr9
.LBB70_2258:
	s_andn2_b64 vcc, exec, s[0:1]
	s_cbranch_vccnz .LBB70_2260
; %bb.2259:
	global_load_ubyte v9, v[0:1], off
.LBB70_2260:
	s_mov_b64 s[22:23], -1
.LBB70_2261:
	s_andn2_b64 vcc, exec, s[22:23]
	s_cbranch_vccnz .LBB70_2947
; %bb.2262:
	v_add_u32_e32 v0, s13, v8
	v_ashrrev_i32_e32 v1, 31, v0
	v_mov_b32_e32 v8, s11
	v_add_co_u32_e32 v0, vcc, s10, v0
	s_cmp_lt_i32 s26, 11
	v_addc_co_u32_e32 v1, vcc, v8, v1, vcc
	s_cbranch_scc1 .LBB70_2269
; %bb.2263:
	s_and_b32 s13, 0xffff, s26
	s_cmp_gt_i32 s13, 25
	s_mov_b64 s[4:5], 0
	s_cbranch_scc0 .LBB70_2270
; %bb.2264:
	s_cmp_gt_i32 s13, 28
	s_cbranch_scc0 .LBB70_2271
; %bb.2265:
	s_cmp_gt_i32 s13, 43
	;; [unrolled: 3-line block ×3, first 2 shown]
	s_cbranch_scc0 .LBB70_2274
; %bb.2267:
	s_cmp_eq_u32 s13, 46
	s_mov_b64 s[22:23], 0
	s_cbranch_scc0 .LBB70_2275
; %bb.2268:
	global_load_dword v8, v[0:1], off
	s_mov_b64 s[0:1], 0
	s_mov_b64 s[10:11], -1
	s_waitcnt vmcnt(0)
	v_lshlrev_b32_e32 v8, 16, v8
	v_cvt_i32_f32_e32 v8, v8
	s_branch .LBB70_2276
.LBB70_2269:
	s_mov_b64 s[0:1], -1
	s_mov_b64 s[10:11], 0
                                        ; implicit-def: $vgpr8
	s_branch .LBB70_2338
.LBB70_2270:
	s_mov_b64 s[22:23], -1
	s_mov_b64 s[10:11], 0
	s_mov_b64 s[0:1], 0
                                        ; implicit-def: $vgpr8
	s_branch .LBB70_2303
.LBB70_2271:
	s_mov_b64 s[22:23], -1
	s_mov_b64 s[10:11], 0
	s_mov_b64 s[0:1], 0
                                        ; implicit-def: $vgpr8
	s_branch .LBB70_2286
.LBB70_2272:
	s_mov_b64 s[22:23], -1
	s_mov_b64 s[10:11], 0
	s_mov_b64 s[0:1], 0
                                        ; implicit-def: $vgpr8
	s_branch .LBB70_2281
.LBB70_2273:
	s_trap 2
	s_or_b64 s[20:21], s[20:21], exec
	s_cbranch_execz .LBB70_2210
	s_branch .LBB70_2211
.LBB70_2274:
	s_mov_b64 s[22:23], -1
	s_mov_b64 s[10:11], 0
	s_mov_b64 s[0:1], 0
                                        ; implicit-def: $vgpr8
	s_branch .LBB70_2276
.LBB70_2275:
	s_mov_b64 s[0:1], -1
                                        ; implicit-def: $vgpr8
	s_mov_b64 s[10:11], 0
.LBB70_2276:
	s_and_b64 vcc, exec, s[22:23]
	s_cbranch_vccz .LBB70_2280
; %bb.2277:
	s_cmp_eq_u32 s13, 44
	s_cbranch_scc0 .LBB70_2279
; %bb.2278:
	global_load_ubyte v8, v[0:1], off
	s_mov_b64 s[0:1], 0
	s_mov_b64 s[10:11], -1
	s_waitcnt vmcnt(0)
	v_lshlrev_b32_e32 v11, 23, v8
	v_cvt_i32_f32_e32 v11, v11
	v_cmp_ne_u32_e32 vcc, 0, v8
	v_cndmask_b32_e32 v8, 0, v11, vcc
	s_branch .LBB70_2280
.LBB70_2279:
	s_mov_b64 s[0:1], -1
                                        ; implicit-def: $vgpr8
.LBB70_2280:
	s_mov_b64 s[22:23], 0
.LBB70_2281:
	s_and_b64 vcc, exec, s[22:23]
	s_cbranch_vccz .LBB70_2285
; %bb.2282:
	s_cmp_eq_u32 s13, 29
	s_cbranch_scc0 .LBB70_2284
; %bb.2283:
	global_load_dword v8, v[0:1], off
	s_mov_b64 s[0:1], 0
	s_mov_b64 s[10:11], -1
	s_branch .LBB70_2285
.LBB70_2284:
	s_mov_b64 s[0:1], -1
                                        ; implicit-def: $vgpr8
.LBB70_2285:
	s_mov_b64 s[22:23], 0
.LBB70_2286:
	s_and_b64 vcc, exec, s[22:23]
	s_cbranch_vccz .LBB70_2302
; %bb.2287:
	s_cmp_lt_i32 s13, 27
	s_cbranch_scc1 .LBB70_2290
; %bb.2288:
	s_cmp_gt_i32 s13, 27
	s_cbranch_scc0 .LBB70_2291
; %bb.2289:
	global_load_dword v8, v[0:1], off
	s_mov_b64 s[10:11], 0
	s_branch .LBB70_2292
.LBB70_2290:
	s_mov_b64 s[10:11], -1
                                        ; implicit-def: $vgpr8
	s_branch .LBB70_2295
.LBB70_2291:
	s_mov_b64 s[10:11], -1
                                        ; implicit-def: $vgpr8
.LBB70_2292:
	s_andn2_b64 vcc, exec, s[10:11]
	s_cbranch_vccnz .LBB70_2294
; %bb.2293:
	global_load_ushort v8, v[0:1], off
.LBB70_2294:
	s_mov_b64 s[10:11], 0
.LBB70_2295:
	s_andn2_b64 vcc, exec, s[10:11]
	s_cbranch_vccnz .LBB70_2301
; %bb.2296:
	global_load_ubyte v11, v[0:1], off
	s_movk_i32 s10, 0x7f
	s_mov_b64 s[22:23], 0
	s_waitcnt vmcnt(0)
	v_cmp_lt_i16_e32 vcc, s10, v11
	s_and_saveexec_b64 s[10:11], vcc
	s_xor_b64 s[10:11], exec, s[10:11]
	s_cbranch_execz .LBB70_2313
; %bb.2297:
	s_movk_i32 s22, 0x80
	v_cmp_ne_u16_e32 vcc, s22, v11
	s_and_b64 s[22:23], vcc, exec
	s_andn2_saveexec_b64 s[10:11], s[10:11]
	s_cbranch_execnz .LBB70_2314
.LBB70_2298:
	s_or_b64 exec, exec, s[10:11]
	v_mov_b32_e32 v8, 0
	s_and_saveexec_b64 s[10:11], s[22:23]
	s_cbranch_execz .LBB70_2300
.LBB70_2299:
	v_lshlrev_b32_e32 v8, 24, v11
	v_and_b32_e32 v11, 0xffff, v11
	v_and_b32_e32 v12, 7, v11
	v_ffbh_u32_e32 v14, v12
	v_min_u32_e32 v14, 32, v14
	v_subrev_u32_e32 v15, 28, v14
	v_bfe_u32 v13, v11, 3, 4
	v_lshlrev_b32_e32 v11, v15, v11
	v_sub_u32_e32 v14, 29, v14
	v_and_b32_e32 v11, 7, v11
	v_cmp_eq_u32_e32 vcc, 0, v13
	v_cndmask_b32_e32 v13, v13, v14, vcc
	v_cndmask_b32_e32 v11, v12, v11, vcc
	v_mov_b32_e32 v12, 0x3b800000
	v_lshlrev_b32_e32 v11, 20, v11
	v_and_b32_e32 v8, 0x80000000, v8
	v_lshl_add_u32 v12, v13, 23, v12
	v_or3_b32 v8, v8, v12, v11
	v_cvt_i32_f32_e32 v8, v8
.LBB70_2300:
	s_or_b64 exec, exec, s[10:11]
.LBB70_2301:
	s_mov_b64 s[10:11], -1
.LBB70_2302:
	s_mov_b64 s[22:23], 0
.LBB70_2303:
	s_and_b64 vcc, exec, s[22:23]
	s_cbranch_vccz .LBB70_2334
; %bb.2304:
	s_cmp_gt_i32 s13, 22
	s_cbranch_scc0 .LBB70_2312
; %bb.2305:
	s_cmp_lt_i32 s13, 24
	s_cbranch_scc1 .LBB70_2315
; %bb.2306:
	s_cmp_gt_i32 s13, 24
	s_cbranch_scc0 .LBB70_2316
; %bb.2307:
	global_load_ubyte v11, v[0:1], off
	s_movk_i32 s4, 0x7f
	s_mov_b64 s[10:11], 0
	s_waitcnt vmcnt(0)
	v_cmp_lt_i16_e32 vcc, s4, v11
	s_and_saveexec_b64 s[4:5], vcc
	s_xor_b64 s[4:5], exec, s[4:5]
	s_cbranch_execz .LBB70_2328
; %bb.2308:
	s_movk_i32 s10, 0x80
	v_cmp_ne_u16_e32 vcc, s10, v11
	s_and_b64 s[10:11], vcc, exec
	s_andn2_saveexec_b64 s[4:5], s[4:5]
	s_cbranch_execnz .LBB70_2329
.LBB70_2309:
	s_or_b64 exec, exec, s[4:5]
	v_mov_b32_e32 v8, 0
	s_and_saveexec_b64 s[4:5], s[10:11]
	s_cbranch_execz .LBB70_2311
.LBB70_2310:
	v_lshlrev_b32_e32 v8, 24, v11
	v_and_b32_e32 v11, 0xffff, v11
	v_and_b32_e32 v12, 3, v11
	v_ffbh_u32_e32 v14, v12
	v_min_u32_e32 v14, 32, v14
	v_subrev_u32_e32 v15, 29, v14
	v_bfe_u32 v13, v11, 2, 5
	v_lshlrev_b32_e32 v11, v15, v11
	v_sub_u32_e32 v14, 30, v14
	v_and_b32_e32 v11, 3, v11
	v_cmp_eq_u32_e32 vcc, 0, v13
	v_cndmask_b32_e32 v13, v13, v14, vcc
	v_cndmask_b32_e32 v11, v12, v11, vcc
	v_mov_b32_e32 v12, 0x37800000
	v_lshlrev_b32_e32 v11, 21, v11
	v_and_b32_e32 v8, 0x80000000, v8
	v_lshl_add_u32 v12, v13, 23, v12
	v_or3_b32 v8, v8, v12, v11
	v_cvt_i32_f32_e32 v8, v8
.LBB70_2311:
	s_or_b64 exec, exec, s[4:5]
	s_mov_b64 s[4:5], 0
	s_branch .LBB70_2317
.LBB70_2312:
	s_mov_b64 s[4:5], -1
                                        ; implicit-def: $vgpr8
	s_branch .LBB70_2323
.LBB70_2313:
	s_andn2_saveexec_b64 s[10:11], s[10:11]
	s_cbranch_execz .LBB70_2298
.LBB70_2314:
	v_cmp_ne_u16_e32 vcc, 0, v11
	s_andn2_b64 s[22:23], s[22:23], exec
	s_and_b64 s[24:25], vcc, exec
	s_or_b64 s[22:23], s[22:23], s[24:25]
	s_or_b64 exec, exec, s[10:11]
	v_mov_b32_e32 v8, 0
	s_and_saveexec_b64 s[10:11], s[22:23]
	s_cbranch_execnz .LBB70_2299
	s_branch .LBB70_2300
.LBB70_2315:
	s_mov_b64 s[4:5], -1
                                        ; implicit-def: $vgpr8
	s_branch .LBB70_2320
.LBB70_2316:
	s_mov_b64 s[4:5], -1
                                        ; implicit-def: $vgpr8
.LBB70_2317:
	s_and_b64 vcc, exec, s[4:5]
	s_cbranch_vccz .LBB70_2319
; %bb.2318:
	global_load_ubyte v8, v[0:1], off
	s_mov_b32 s4, 0x7f800000
	s_waitcnt vmcnt(0)
	v_lshlrev_b32_e32 v8, 24, v8
	v_and_b32_e32 v11, 0x7f000000, v8
	v_ffbh_u32_e32 v12, v11
	v_min_u32_e32 v12, 32, v12
	v_sub_u32_e64 v12, v12, 4 clamp
	v_lshlrev_b32_e32 v14, v12, v11
	v_lshlrev_b32_e32 v12, 23, v12
	v_lshrrev_b32_e32 v14, 4, v14
	v_add_u32_e32 v13, 0x1000000, v11
	v_sub_u32_e32 v12, v14, v12
	v_ashrrev_i32_e32 v13, 8, v13
	v_add_u32_e32 v12, 0x3c000000, v12
	v_and_or_b32 v12, v13, s4, v12
	v_cmp_ne_u32_e32 vcc, 0, v11
	v_cndmask_b32_e32 v11, 0, v12, vcc
	s_brev_b32 s4, 1
	v_and_or_b32 v8, v8, s4, v11
	v_cvt_i32_f32_e32 v8, v8
.LBB70_2319:
	s_mov_b64 s[4:5], 0
.LBB70_2320:
	s_andn2_b64 vcc, exec, s[4:5]
	s_cbranch_vccnz .LBB70_2322
; %bb.2321:
	global_load_ubyte v8, v[0:1], off
	s_movk_i32 s4, 0x7f00
	s_brev_b32 s5, 16
	s_waitcnt vmcnt(0)
	v_lshlrev_b16_e32 v11, 8, v8
	v_lshlrev_b32_e32 v8, 25, v8
	v_lshrrev_b32_e32 v12, 4, v8
	v_and_or_b32 v13, v11, s4, 0.5
	v_or_b32_e32 v12, 0x70000000, v12
	v_add_f32_e32 v13, -0.5, v13
	v_mul_f32_e32 v12, 0x7800000, v12
	v_cmp_gt_u32_e32 vcc, s5, v8
	v_bfe_i32 v11, v11, 0, 16
	v_cndmask_b32_e32 v8, v12, v13, vcc
	s_brev_b32 s4, 1
	v_and_or_b32 v8, v11, s4, v8
	v_cvt_i32_f32_e32 v8, v8
.LBB70_2322:
	s_mov_b64 s[4:5], 0
	s_mov_b64 s[10:11], -1
.LBB70_2323:
	s_andn2_b64 vcc, exec, s[4:5]
	s_mov_b64 s[4:5], 0
	s_cbranch_vccnz .LBB70_2334
; %bb.2324:
	s_cmp_gt_i32 s13, 14
	s_cbranch_scc0 .LBB70_2327
; %bb.2325:
	s_cmp_eq_u32 s13, 15
	s_cbranch_scc0 .LBB70_2330
; %bb.2326:
	global_load_ushort v8, v[0:1], off
	s_mov_b64 s[0:1], 0
	s_mov_b64 s[10:11], -1
	s_waitcnt vmcnt(0)
	v_lshlrev_b32_e32 v8, 16, v8
	v_cvt_i32_f32_e32 v8, v8
	s_branch .LBB70_2331
.LBB70_2327:
	s_mov_b64 s[22:23], -1
                                        ; implicit-def: $vgpr8
	s_branch .LBB70_2332
.LBB70_2328:
	s_andn2_saveexec_b64 s[4:5], s[4:5]
	s_cbranch_execz .LBB70_2309
.LBB70_2329:
	v_cmp_ne_u16_e32 vcc, 0, v11
	s_andn2_b64 s[10:11], s[10:11], exec
	s_and_b64 s[22:23], vcc, exec
	s_or_b64 s[10:11], s[10:11], s[22:23]
	s_or_b64 exec, exec, s[4:5]
	v_mov_b32_e32 v8, 0
	s_and_saveexec_b64 s[4:5], s[10:11]
	s_cbranch_execnz .LBB70_2310
	s_branch .LBB70_2311
.LBB70_2330:
	s_mov_b64 s[0:1], -1
                                        ; implicit-def: $vgpr8
.LBB70_2331:
	s_mov_b64 s[22:23], 0
.LBB70_2332:
	s_and_b64 vcc, exec, s[22:23]
	s_cbranch_vccz .LBB70_2334
; %bb.2333:
	s_cmp_lg_u32 s13, 11
	s_mov_b64 s[4:5], -1
	s_cselect_b64 s[0:1], -1, 0
.LBB70_2334:
	s_and_b64 vcc, exec, s[0:1]
	s_cbranch_vccnz .LBB70_2399
; %bb.2335:
	s_andn2_b64 vcc, exec, s[4:5]
	s_cbranch_vccnz .LBB70_2337
.LBB70_2336:
	global_load_ubyte v8, v[0:1], off
	s_mov_b64 s[10:11], -1
	s_waitcnt vmcnt(0)
	v_cmp_ne_u16_e32 vcc, 0, v8
	v_cndmask_b32_e64 v8, 0, 1, vcc
.LBB70_2337:
	s_mov_b64 s[0:1], 0
.LBB70_2338:
	s_and_b64 vcc, exec, s[0:1]
	s_cbranch_vccz .LBB70_2387
; %bb.2339:
	s_and_b32 s4, 0xffff, s26
	s_cmp_lt_i32 s4, 5
	s_cbranch_scc1 .LBB70_2344
; %bb.2340:
	s_cmp_lt_i32 s4, 8
	s_cbranch_scc1 .LBB70_2345
; %bb.2341:
	;; [unrolled: 3-line block ×3, first 2 shown]
	s_cmp_gt_i32 s4, 9
	s_cbranch_scc0 .LBB70_2347
; %bb.2343:
	global_load_dwordx2 v[11:12], v[0:1], off
	s_mov_b64 s[0:1], 0
	s_waitcnt vmcnt(0)
	v_cvt_i32_f64_e32 v8, v[11:12]
	s_branch .LBB70_2348
.LBB70_2344:
	s_mov_b64 s[0:1], -1
                                        ; implicit-def: $vgpr8
	s_branch .LBB70_2366
.LBB70_2345:
	s_mov_b64 s[0:1], -1
                                        ; implicit-def: $vgpr8
	s_branch .LBB70_2354
.LBB70_2346:
	s_mov_b64 s[0:1], -1
                                        ; implicit-def: $vgpr8
	s_branch .LBB70_2351
.LBB70_2347:
	s_mov_b64 s[0:1], -1
                                        ; implicit-def: $vgpr8
.LBB70_2348:
	s_andn2_b64 vcc, exec, s[0:1]
	s_cbranch_vccnz .LBB70_2350
; %bb.2349:
	global_load_dword v8, v[0:1], off
	s_waitcnt vmcnt(0)
	v_cvt_i32_f32_e32 v8, v8
.LBB70_2350:
	s_mov_b64 s[0:1], 0
.LBB70_2351:
	s_andn2_b64 vcc, exec, s[0:1]
	s_cbranch_vccnz .LBB70_2353
; %bb.2352:
	global_load_dword v8, v[0:1], off
	s_waitcnt vmcnt(0)
	v_cvt_f32_f16_e32 v8, v8
	v_cvt_i32_f32_e32 v8, v8
.LBB70_2353:
	s_mov_b64 s[0:1], 0
.LBB70_2354:
	s_andn2_b64 vcc, exec, s[0:1]
	s_cbranch_vccnz .LBB70_2365
; %bb.2355:
	s_cmp_lt_i32 s4, 6
	s_cbranch_scc1 .LBB70_2358
; %bb.2356:
	s_cmp_gt_i32 s4, 6
	s_cbranch_scc0 .LBB70_2359
; %bb.2357:
	global_load_dwordx2 v[11:12], v[0:1], off
	s_mov_b64 s[0:1], 0
	s_waitcnt vmcnt(0)
	v_cvt_i32_f64_e32 v8, v[11:12]
	s_branch .LBB70_2360
.LBB70_2358:
	s_mov_b64 s[0:1], -1
                                        ; implicit-def: $vgpr8
	s_branch .LBB70_2363
.LBB70_2359:
	s_mov_b64 s[0:1], -1
                                        ; implicit-def: $vgpr8
.LBB70_2360:
	s_andn2_b64 vcc, exec, s[0:1]
	s_cbranch_vccnz .LBB70_2362
; %bb.2361:
	global_load_dword v8, v[0:1], off
	s_waitcnt vmcnt(0)
	v_cvt_i32_f32_e32 v8, v8
.LBB70_2362:
	s_mov_b64 s[0:1], 0
.LBB70_2363:
	s_andn2_b64 vcc, exec, s[0:1]
	s_cbranch_vccnz .LBB70_2365
; %bb.2364:
	global_load_ushort v8, v[0:1], off
	s_waitcnt vmcnt(0)
	v_cvt_f32_f16_e32 v8, v8
	v_cvt_i32_f32_e32 v8, v8
.LBB70_2365:
	s_mov_b64 s[0:1], 0
.LBB70_2366:
	s_andn2_b64 vcc, exec, s[0:1]
	s_cbranch_vccnz .LBB70_2386
; %bb.2367:
	s_cmp_lt_i32 s4, 2
	s_cbranch_scc1 .LBB70_2371
; %bb.2368:
	s_cmp_lt_i32 s4, 3
	s_cbranch_scc1 .LBB70_2372
; %bb.2369:
	s_cmp_gt_i32 s4, 3
	s_cbranch_scc0 .LBB70_2373
; %bb.2370:
	global_load_dword v8, v[0:1], off
	s_mov_b64 s[0:1], 0
	s_branch .LBB70_2374
.LBB70_2371:
	s_mov_b64 s[0:1], -1
                                        ; implicit-def: $vgpr8
	s_branch .LBB70_2380
.LBB70_2372:
	s_mov_b64 s[0:1], -1
                                        ; implicit-def: $vgpr8
	s_branch .LBB70_2377
.LBB70_2373:
	s_mov_b64 s[0:1], -1
                                        ; implicit-def: $vgpr8
.LBB70_2374:
	s_andn2_b64 vcc, exec, s[0:1]
	s_cbranch_vccnz .LBB70_2376
; %bb.2375:
	global_load_dword v8, v[0:1], off
.LBB70_2376:
	s_mov_b64 s[0:1], 0
.LBB70_2377:
	s_andn2_b64 vcc, exec, s[0:1]
	s_cbranch_vccnz .LBB70_2379
; %bb.2378:
	global_load_sshort v8, v[0:1], off
.LBB70_2379:
	s_mov_b64 s[0:1], 0
.LBB70_2380:
	s_andn2_b64 vcc, exec, s[0:1]
	s_cbranch_vccnz .LBB70_2386
; %bb.2381:
	s_cmp_gt_i32 s4, 0
	s_cbranch_scc0 .LBB70_2383
; %bb.2382:
	global_load_sbyte v8, v[0:1], off
	s_mov_b64 s[0:1], 0
	s_branch .LBB70_2384
.LBB70_2383:
	s_mov_b64 s[0:1], -1
                                        ; implicit-def: $vgpr8
.LBB70_2384:
	s_andn2_b64 vcc, exec, s[0:1]
	s_cbranch_vccnz .LBB70_2386
; %bb.2385:
	global_load_ubyte v8, v[0:1], off
.LBB70_2386:
	s_mov_b64 s[10:11], -1
.LBB70_2387:
	s_andn2_b64 vcc, exec, s[10:11]
	s_cbranch_vccnz .LBB70_2947
; %bb.2388:
	v_add_u32_e32 v0, s14, v10
	v_ashrrev_i32_e32 v1, 31, v0
	v_mov_b32_e32 v10, s17
	v_add_co_u32_e32 v0, vcc, s16, v0
	s_cmp_lt_i32 s27, 11
	v_addc_co_u32_e32 v1, vcc, v10, v1, vcc
	s_cbranch_scc1 .LBB70_2395
; %bb.2389:
	s_and_b32 s13, 0xffff, s27
	s_cmp_gt_i32 s13, 25
	s_mov_b64 s[4:5], 0
	s_cbranch_scc0 .LBB70_2396
; %bb.2390:
	s_cmp_gt_i32 s13, 28
	s_cbranch_scc0 .LBB70_2397
; %bb.2391:
	s_cmp_gt_i32 s13, 43
	;; [unrolled: 3-line block ×3, first 2 shown]
	s_cbranch_scc0 .LBB70_2400
; %bb.2393:
	s_cmp_eq_u32 s13, 46
	s_mov_b64 s[16:17], 0
	s_cbranch_scc0 .LBB70_2401
; %bb.2394:
	global_load_dword v10, v[0:1], off
	s_mov_b64 s[0:1], 0
	s_mov_b64 s[10:11], -1
	s_waitcnt vmcnt(0)
	v_lshlrev_b32_e32 v10, 16, v10
	v_cvt_i32_f32_e32 v10, v10
	s_branch .LBB70_2402
.LBB70_2395:
	s_mov_b64 s[0:1], -1
	s_mov_b64 s[10:11], 0
                                        ; implicit-def: $vgpr10
	s_branch .LBB70_2464
.LBB70_2396:
	s_mov_b64 s[16:17], -1
	s_mov_b64 s[10:11], 0
	s_mov_b64 s[0:1], 0
                                        ; implicit-def: $vgpr10
	s_branch .LBB70_2429
.LBB70_2397:
	s_mov_b64 s[16:17], -1
	s_mov_b64 s[10:11], 0
	s_mov_b64 s[0:1], 0
                                        ; implicit-def: $vgpr10
	s_branch .LBB70_2412
.LBB70_2398:
	s_mov_b64 s[16:17], -1
	s_mov_b64 s[10:11], 0
	s_mov_b64 s[0:1], 0
                                        ; implicit-def: $vgpr10
	s_branch .LBB70_2407
.LBB70_2399:
	s_trap 2
	s_or_b64 s[20:21], s[20:21], exec
	s_cbranch_execz .LBB70_2336
	s_branch .LBB70_2337
.LBB70_2400:
	s_mov_b64 s[16:17], -1
	s_mov_b64 s[10:11], 0
	s_mov_b64 s[0:1], 0
                                        ; implicit-def: $vgpr10
	s_branch .LBB70_2402
.LBB70_2401:
	s_mov_b64 s[0:1], -1
                                        ; implicit-def: $vgpr10
	s_mov_b64 s[10:11], 0
.LBB70_2402:
	s_and_b64 vcc, exec, s[16:17]
	s_cbranch_vccz .LBB70_2406
; %bb.2403:
	s_cmp_eq_u32 s13, 44
	s_cbranch_scc0 .LBB70_2405
; %bb.2404:
	global_load_ubyte v10, v[0:1], off
	s_mov_b64 s[0:1], 0
	s_mov_b64 s[10:11], -1
	s_waitcnt vmcnt(0)
	v_lshlrev_b32_e32 v11, 23, v10
	v_cvt_i32_f32_e32 v11, v11
	v_cmp_ne_u32_e32 vcc, 0, v10
	v_cndmask_b32_e32 v10, 0, v11, vcc
	s_branch .LBB70_2406
.LBB70_2405:
	s_mov_b64 s[0:1], -1
                                        ; implicit-def: $vgpr10
.LBB70_2406:
	s_mov_b64 s[16:17], 0
.LBB70_2407:
	s_and_b64 vcc, exec, s[16:17]
	s_cbranch_vccz .LBB70_2411
; %bb.2408:
	s_cmp_eq_u32 s13, 29
	s_cbranch_scc0 .LBB70_2410
; %bb.2409:
	global_load_dword v10, v[0:1], off
	s_mov_b64 s[0:1], 0
	s_mov_b64 s[10:11], -1
	s_branch .LBB70_2411
.LBB70_2410:
	s_mov_b64 s[0:1], -1
                                        ; implicit-def: $vgpr10
.LBB70_2411:
	s_mov_b64 s[16:17], 0
.LBB70_2412:
	s_and_b64 vcc, exec, s[16:17]
	s_cbranch_vccz .LBB70_2428
; %bb.2413:
	s_cmp_lt_i32 s13, 27
	s_cbranch_scc1 .LBB70_2416
; %bb.2414:
	s_cmp_gt_i32 s13, 27
	s_cbranch_scc0 .LBB70_2417
; %bb.2415:
	global_load_dword v10, v[0:1], off
	s_mov_b64 s[10:11], 0
	s_branch .LBB70_2418
.LBB70_2416:
	s_mov_b64 s[10:11], -1
                                        ; implicit-def: $vgpr10
	s_branch .LBB70_2421
.LBB70_2417:
	s_mov_b64 s[10:11], -1
                                        ; implicit-def: $vgpr10
.LBB70_2418:
	s_andn2_b64 vcc, exec, s[10:11]
	s_cbranch_vccnz .LBB70_2420
; %bb.2419:
	global_load_ushort v10, v[0:1], off
.LBB70_2420:
	s_mov_b64 s[10:11], 0
.LBB70_2421:
	s_andn2_b64 vcc, exec, s[10:11]
	s_cbranch_vccnz .LBB70_2427
; %bb.2422:
	global_load_ubyte v11, v[0:1], off
	s_movk_i32 s10, 0x7f
	s_mov_b64 s[16:17], 0
	s_waitcnt vmcnt(0)
	v_cmp_lt_i16_e32 vcc, s10, v11
	s_and_saveexec_b64 s[10:11], vcc
	s_xor_b64 s[10:11], exec, s[10:11]
	s_cbranch_execz .LBB70_2439
; %bb.2423:
	s_movk_i32 s14, 0x80
	v_cmp_ne_u16_e32 vcc, s14, v11
	s_and_b64 s[16:17], vcc, exec
	s_andn2_saveexec_b64 s[10:11], s[10:11]
	s_cbranch_execnz .LBB70_2440
.LBB70_2424:
	s_or_b64 exec, exec, s[10:11]
	v_mov_b32_e32 v10, 0
	s_and_saveexec_b64 s[10:11], s[16:17]
	s_cbranch_execz .LBB70_2426
.LBB70_2425:
	v_lshlrev_b32_e32 v10, 24, v11
	v_and_b32_e32 v11, 0xffff, v11
	v_and_b32_e32 v12, 7, v11
	v_ffbh_u32_e32 v14, v12
	v_min_u32_e32 v14, 32, v14
	v_subrev_u32_e32 v15, 28, v14
	v_bfe_u32 v13, v11, 3, 4
	v_lshlrev_b32_e32 v11, v15, v11
	v_sub_u32_e32 v14, 29, v14
	v_and_b32_e32 v11, 7, v11
	v_cmp_eq_u32_e32 vcc, 0, v13
	v_cndmask_b32_e32 v13, v13, v14, vcc
	v_cndmask_b32_e32 v11, v12, v11, vcc
	v_mov_b32_e32 v12, 0x3b800000
	v_lshlrev_b32_e32 v11, 20, v11
	v_and_b32_e32 v10, 0x80000000, v10
	v_lshl_add_u32 v12, v13, 23, v12
	v_or3_b32 v10, v10, v12, v11
	v_cvt_i32_f32_e32 v10, v10
.LBB70_2426:
	s_or_b64 exec, exec, s[10:11]
.LBB70_2427:
	s_mov_b64 s[10:11], -1
.LBB70_2428:
	s_mov_b64 s[16:17], 0
.LBB70_2429:
	s_and_b64 vcc, exec, s[16:17]
	s_cbranch_vccz .LBB70_2460
; %bb.2430:
	s_cmp_gt_i32 s13, 22
	s_cbranch_scc0 .LBB70_2438
; %bb.2431:
	s_cmp_lt_i32 s13, 24
	s_cbranch_scc1 .LBB70_2441
; %bb.2432:
	s_cmp_gt_i32 s13, 24
	s_cbranch_scc0 .LBB70_2442
; %bb.2433:
	global_load_ubyte v11, v[0:1], off
	s_movk_i32 s4, 0x7f
	s_mov_b64 s[10:11], 0
	s_waitcnt vmcnt(0)
	v_cmp_lt_i16_e32 vcc, s4, v11
	s_and_saveexec_b64 s[4:5], vcc
	s_xor_b64 s[4:5], exec, s[4:5]
	s_cbranch_execz .LBB70_2454
; %bb.2434:
	s_movk_i32 s10, 0x80
	v_cmp_ne_u16_e32 vcc, s10, v11
	s_and_b64 s[10:11], vcc, exec
	s_andn2_saveexec_b64 s[4:5], s[4:5]
	s_cbranch_execnz .LBB70_2455
.LBB70_2435:
	s_or_b64 exec, exec, s[4:5]
	v_mov_b32_e32 v10, 0
	s_and_saveexec_b64 s[4:5], s[10:11]
	s_cbranch_execz .LBB70_2437
.LBB70_2436:
	v_lshlrev_b32_e32 v10, 24, v11
	v_and_b32_e32 v11, 0xffff, v11
	v_and_b32_e32 v12, 3, v11
	v_ffbh_u32_e32 v14, v12
	v_min_u32_e32 v14, 32, v14
	v_subrev_u32_e32 v15, 29, v14
	v_bfe_u32 v13, v11, 2, 5
	v_lshlrev_b32_e32 v11, v15, v11
	v_sub_u32_e32 v14, 30, v14
	v_and_b32_e32 v11, 3, v11
	v_cmp_eq_u32_e32 vcc, 0, v13
	v_cndmask_b32_e32 v13, v13, v14, vcc
	v_cndmask_b32_e32 v11, v12, v11, vcc
	v_mov_b32_e32 v12, 0x37800000
	v_lshlrev_b32_e32 v11, 21, v11
	v_and_b32_e32 v10, 0x80000000, v10
	v_lshl_add_u32 v12, v13, 23, v12
	v_or3_b32 v10, v10, v12, v11
	v_cvt_i32_f32_e32 v10, v10
.LBB70_2437:
	s_or_b64 exec, exec, s[4:5]
	s_mov_b64 s[4:5], 0
	s_branch .LBB70_2443
.LBB70_2438:
	s_mov_b64 s[4:5], -1
                                        ; implicit-def: $vgpr10
	s_branch .LBB70_2449
.LBB70_2439:
	s_andn2_saveexec_b64 s[10:11], s[10:11]
	s_cbranch_execz .LBB70_2424
.LBB70_2440:
	v_cmp_ne_u16_e32 vcc, 0, v11
	s_andn2_b64 s[16:17], s[16:17], exec
	s_and_b64 s[22:23], vcc, exec
	s_or_b64 s[16:17], s[16:17], s[22:23]
	s_or_b64 exec, exec, s[10:11]
	v_mov_b32_e32 v10, 0
	s_and_saveexec_b64 s[10:11], s[16:17]
	s_cbranch_execnz .LBB70_2425
	s_branch .LBB70_2426
.LBB70_2441:
	s_mov_b64 s[4:5], -1
                                        ; implicit-def: $vgpr10
	s_branch .LBB70_2446
.LBB70_2442:
	s_mov_b64 s[4:5], -1
                                        ; implicit-def: $vgpr10
.LBB70_2443:
	s_and_b64 vcc, exec, s[4:5]
	s_cbranch_vccz .LBB70_2445
; %bb.2444:
	global_load_ubyte v10, v[0:1], off
	s_mov_b32 s4, 0x7f800000
	s_waitcnt vmcnt(0)
	v_lshlrev_b32_e32 v10, 24, v10
	v_and_b32_e32 v11, 0x7f000000, v10
	v_ffbh_u32_e32 v12, v11
	v_min_u32_e32 v12, 32, v12
	v_sub_u32_e64 v12, v12, 4 clamp
	v_lshlrev_b32_e32 v14, v12, v11
	v_lshlrev_b32_e32 v12, 23, v12
	v_lshrrev_b32_e32 v14, 4, v14
	v_add_u32_e32 v13, 0x1000000, v11
	v_sub_u32_e32 v12, v14, v12
	v_ashrrev_i32_e32 v13, 8, v13
	v_add_u32_e32 v12, 0x3c000000, v12
	v_and_or_b32 v12, v13, s4, v12
	v_cmp_ne_u32_e32 vcc, 0, v11
	v_cndmask_b32_e32 v11, 0, v12, vcc
	s_brev_b32 s4, 1
	v_and_or_b32 v10, v10, s4, v11
	v_cvt_i32_f32_e32 v10, v10
.LBB70_2445:
	s_mov_b64 s[4:5], 0
.LBB70_2446:
	s_andn2_b64 vcc, exec, s[4:5]
	s_cbranch_vccnz .LBB70_2448
; %bb.2447:
	global_load_ubyte v10, v[0:1], off
	s_movk_i32 s4, 0x7f00
	s_brev_b32 s5, 16
	s_waitcnt vmcnt(0)
	v_lshlrev_b16_e32 v11, 8, v10
	v_lshlrev_b32_e32 v10, 25, v10
	v_lshrrev_b32_e32 v12, 4, v10
	v_and_or_b32 v13, v11, s4, 0.5
	v_or_b32_e32 v12, 0x70000000, v12
	v_add_f32_e32 v13, -0.5, v13
	v_mul_f32_e32 v12, 0x7800000, v12
	v_cmp_gt_u32_e32 vcc, s5, v10
	v_bfe_i32 v11, v11, 0, 16
	v_cndmask_b32_e32 v10, v12, v13, vcc
	s_brev_b32 s4, 1
	v_and_or_b32 v10, v11, s4, v10
	v_cvt_i32_f32_e32 v10, v10
.LBB70_2448:
	s_mov_b64 s[4:5], 0
	s_mov_b64 s[10:11], -1
.LBB70_2449:
	s_andn2_b64 vcc, exec, s[4:5]
	s_mov_b64 s[4:5], 0
	s_cbranch_vccnz .LBB70_2460
; %bb.2450:
	s_cmp_gt_i32 s13, 14
	s_cbranch_scc0 .LBB70_2453
; %bb.2451:
	s_cmp_eq_u32 s13, 15
	s_cbranch_scc0 .LBB70_2456
; %bb.2452:
	global_load_ushort v10, v[0:1], off
	s_mov_b64 s[0:1], 0
	s_mov_b64 s[10:11], -1
	s_waitcnt vmcnt(0)
	v_lshlrev_b32_e32 v10, 16, v10
	v_cvt_i32_f32_e32 v10, v10
	s_branch .LBB70_2457
.LBB70_2453:
	s_mov_b64 s[16:17], -1
                                        ; implicit-def: $vgpr10
	s_branch .LBB70_2458
.LBB70_2454:
	s_andn2_saveexec_b64 s[4:5], s[4:5]
	s_cbranch_execz .LBB70_2435
.LBB70_2455:
	v_cmp_ne_u16_e32 vcc, 0, v11
	s_andn2_b64 s[10:11], s[10:11], exec
	s_and_b64 s[16:17], vcc, exec
	s_or_b64 s[10:11], s[10:11], s[16:17]
	s_or_b64 exec, exec, s[4:5]
	v_mov_b32_e32 v10, 0
	s_and_saveexec_b64 s[4:5], s[10:11]
	s_cbranch_execnz .LBB70_2436
	s_branch .LBB70_2437
.LBB70_2456:
	s_mov_b64 s[0:1], -1
                                        ; implicit-def: $vgpr10
.LBB70_2457:
	s_mov_b64 s[16:17], 0
.LBB70_2458:
	s_and_b64 vcc, exec, s[16:17]
	s_cbranch_vccz .LBB70_2460
; %bb.2459:
	s_cmp_lg_u32 s13, 11
	s_mov_b64 s[4:5], -1
	s_cselect_b64 s[0:1], -1, 0
.LBB70_2460:
	s_and_b64 vcc, exec, s[0:1]
	s_cbranch_vccnz .LBB70_2993
; %bb.2461:
	s_andn2_b64 vcc, exec, s[4:5]
	s_cbranch_vccnz .LBB70_2463
.LBB70_2462:
	global_load_ubyte v10, v[0:1], off
	s_mov_b64 s[10:11], -1
	s_waitcnt vmcnt(0)
	v_cmp_ne_u16_e32 vcc, 0, v10
	v_cndmask_b32_e64 v10, 0, 1, vcc
.LBB70_2463:
	s_mov_b64 s[0:1], 0
.LBB70_2464:
	s_and_b64 vcc, exec, s[0:1]
	s_cbranch_vccz .LBB70_2513
; %bb.2465:
	s_and_b32 s4, 0xffff, s27
	s_cmp_lt_i32 s4, 5
	s_cbranch_scc1 .LBB70_2470
; %bb.2466:
	s_cmp_lt_i32 s4, 8
	s_cbranch_scc1 .LBB70_2471
; %bb.2467:
	;; [unrolled: 3-line block ×3, first 2 shown]
	s_cmp_gt_i32 s4, 9
	s_cbranch_scc0 .LBB70_2473
; %bb.2469:
	global_load_dwordx2 v[10:11], v[0:1], off
	s_mov_b64 s[0:1], 0
	s_waitcnt vmcnt(0)
	v_cvt_i32_f64_e32 v10, v[10:11]
	s_branch .LBB70_2474
.LBB70_2470:
	s_mov_b64 s[0:1], -1
                                        ; implicit-def: $vgpr10
	s_branch .LBB70_2492
.LBB70_2471:
	s_mov_b64 s[0:1], -1
                                        ; implicit-def: $vgpr10
	s_branch .LBB70_2480
.LBB70_2472:
	s_mov_b64 s[0:1], -1
                                        ; implicit-def: $vgpr10
	s_branch .LBB70_2477
.LBB70_2473:
	s_mov_b64 s[0:1], -1
                                        ; implicit-def: $vgpr10
.LBB70_2474:
	s_andn2_b64 vcc, exec, s[0:1]
	s_cbranch_vccnz .LBB70_2476
; %bb.2475:
	global_load_dword v10, v[0:1], off
	s_waitcnt vmcnt(0)
	v_cvt_i32_f32_e32 v10, v10
.LBB70_2476:
	s_mov_b64 s[0:1], 0
.LBB70_2477:
	s_andn2_b64 vcc, exec, s[0:1]
	s_cbranch_vccnz .LBB70_2479
; %bb.2478:
	global_load_dword v10, v[0:1], off
	s_waitcnt vmcnt(0)
	v_cvt_f32_f16_e32 v10, v10
	v_cvt_i32_f32_e32 v10, v10
.LBB70_2479:
	s_mov_b64 s[0:1], 0
.LBB70_2480:
	s_andn2_b64 vcc, exec, s[0:1]
	s_cbranch_vccnz .LBB70_2491
; %bb.2481:
	s_cmp_lt_i32 s4, 6
	s_cbranch_scc1 .LBB70_2484
; %bb.2482:
	s_cmp_gt_i32 s4, 6
	s_cbranch_scc0 .LBB70_2485
; %bb.2483:
	global_load_dwordx2 v[10:11], v[0:1], off
	s_mov_b64 s[0:1], 0
	s_waitcnt vmcnt(0)
	v_cvt_i32_f64_e32 v10, v[10:11]
	s_branch .LBB70_2486
.LBB70_2484:
	s_mov_b64 s[0:1], -1
                                        ; implicit-def: $vgpr10
	s_branch .LBB70_2489
.LBB70_2485:
	s_mov_b64 s[0:1], -1
                                        ; implicit-def: $vgpr10
.LBB70_2486:
	s_andn2_b64 vcc, exec, s[0:1]
	s_cbranch_vccnz .LBB70_2488
; %bb.2487:
	global_load_dword v10, v[0:1], off
	s_waitcnt vmcnt(0)
	v_cvt_i32_f32_e32 v10, v10
.LBB70_2488:
	s_mov_b64 s[0:1], 0
.LBB70_2489:
	s_andn2_b64 vcc, exec, s[0:1]
	s_cbranch_vccnz .LBB70_2491
; %bb.2490:
	global_load_ushort v10, v[0:1], off
	s_waitcnt vmcnt(0)
	v_cvt_f32_f16_e32 v10, v10
	v_cvt_i32_f32_e32 v10, v10
.LBB70_2491:
	s_mov_b64 s[0:1], 0
.LBB70_2492:
	s_andn2_b64 vcc, exec, s[0:1]
	s_cbranch_vccnz .LBB70_2512
; %bb.2493:
	s_cmp_lt_i32 s4, 2
	s_cbranch_scc1 .LBB70_2497
; %bb.2494:
	s_cmp_lt_i32 s4, 3
	s_cbranch_scc1 .LBB70_2498
; %bb.2495:
	s_cmp_gt_i32 s4, 3
	s_cbranch_scc0 .LBB70_2499
; %bb.2496:
	global_load_dword v10, v[0:1], off
	s_mov_b64 s[0:1], 0
	s_branch .LBB70_2500
.LBB70_2497:
	s_mov_b64 s[0:1], -1
                                        ; implicit-def: $vgpr10
	s_branch .LBB70_2506
.LBB70_2498:
	s_mov_b64 s[0:1], -1
                                        ; implicit-def: $vgpr10
	s_branch .LBB70_2503
.LBB70_2499:
	s_mov_b64 s[0:1], -1
                                        ; implicit-def: $vgpr10
.LBB70_2500:
	s_andn2_b64 vcc, exec, s[0:1]
	s_cbranch_vccnz .LBB70_2502
; %bb.2501:
	global_load_dword v10, v[0:1], off
.LBB70_2502:
	s_mov_b64 s[0:1], 0
.LBB70_2503:
	s_andn2_b64 vcc, exec, s[0:1]
	s_cbranch_vccnz .LBB70_2505
; %bb.2504:
	global_load_sshort v10, v[0:1], off
.LBB70_2505:
	s_mov_b64 s[0:1], 0
.LBB70_2506:
	s_andn2_b64 vcc, exec, s[0:1]
	s_cbranch_vccnz .LBB70_2512
; %bb.2507:
	s_cmp_gt_i32 s4, 0
	s_cbranch_scc0 .LBB70_2509
; %bb.2508:
	global_load_sbyte v10, v[0:1], off
	s_mov_b64 s[0:1], 0
	s_branch .LBB70_2510
.LBB70_2509:
	s_mov_b64 s[0:1], -1
                                        ; implicit-def: $vgpr10
.LBB70_2510:
	s_andn2_b64 vcc, exec, s[0:1]
	s_cbranch_vccnz .LBB70_2512
; %bb.2511:
	global_load_ubyte v10, v[0:1], off
.LBB70_2512:
	s_mov_b64 s[10:11], -1
.LBB70_2513:
	s_andn2_b64 vcc, exec, s[10:11]
	s_cbranch_vccnz .LBB70_2947
; %bb.2514:
	v_mul_lo_u32 v4, s12, v4
	v_mov_b32_e32 v0, s2
	s_waitcnt vmcnt(0)
	v_cmp_lt_i32_e32 vcc, s15, v2
	v_cndmask_b32_e32 v0, v0, v3, vcc
	v_ashrrev_i32_e32 v1, 31, v4
	v_mov_b32_e32 v3, s9
	s_and_b32 s24, s3, 0xff
	v_add_co_u32_e32 v2, vcc, s8, v4
	s_cmp_lt_i32 s24, 11
	v_addc_co_u32_e32 v3, vcc, v3, v1, vcc
	s_cbranch_scc1 .LBB70_2592
; %bb.2515:
	s_and_b32 s3, 0xffff, s24
	s_mov_b64 s[16:17], -1
	s_mov_b64 s[4:5], 0
	s_cmp_gt_i32 s3, 25
	s_mov_b64 s[10:11], 0
	s_mov_b64 s[0:1], 0
	s_cbranch_scc0 .LBB70_2548
; %bb.2516:
	s_cmp_gt_i32 s3, 28
	s_cbranch_scc0 .LBB70_2531
; %bb.2517:
	s_cmp_gt_i32 s3, 43
	;; [unrolled: 3-line block ×3, first 2 shown]
	s_cbranch_scc0 .LBB70_2521
; %bb.2519:
	s_mov_b64 s[0:1], -1
	s_mov_b64 s[16:17], 0
	s_cmp_eq_u32 s3, 46
	s_cbranch_scc0 .LBB70_2521
; %bb.2520:
	v_cvt_f32_i32_e32 v1, v0
	s_movk_i32 s10, 0x7fff
	s_mov_b64 s[0:1], 0
	v_bfe_u32 v11, v1, 16, 1
	v_add3_u32 v1, v1, v11, s10
	v_lshrrev_b32_e32 v1, 16, v1
	global_store_dword v[2:3], v1, off
	s_mov_b64 s[10:11], -1
.LBB70_2521:
	s_and_b64 vcc, exec, s[16:17]
	s_cbranch_vccz .LBB70_2526
; %bb.2522:
	s_cmp_eq_u32 s3, 44
	s_mov_b64 s[0:1], -1
	s_cbranch_scc0 .LBB70_2526
; %bb.2523:
	v_cvt_f32_i32_e32 v1, v0
	s_movk_i32 s0, 0xff
	v_mov_b32_e32 v12, 0xff
	v_bfe_u32 v11, v1, 23, 8
	v_cmp_ne_u32_e32 vcc, s0, v11
	s_and_saveexec_b64 s[10:11], vcc
; %bb.2524:
	s_mov_b32 s0, 0x3fffff
	v_lshrrev_b32_e32 v12, 23, v1
	v_and_b32_e32 v13, 0x400000, v1
	v_and_or_b32 v1, v1, s0, v11
	v_cmp_ne_u32_e32 vcc, 0, v13
	v_cmp_ne_u32_e64 s[0:1], 0, v1
	s_and_b64 s[0:1], vcc, s[0:1]
	v_cndmask_b32_e64 v1, 0, 1, s[0:1]
	v_add_u32_e32 v12, v12, v1
; %bb.2525:
	s_or_b64 exec, exec, s[10:11]
	s_mov_b64 s[0:1], 0
	s_mov_b64 s[10:11], -1
	global_store_byte v[2:3], v12, off
.LBB70_2526:
	s_mov_b64 s[16:17], 0
.LBB70_2527:
	s_and_b64 vcc, exec, s[16:17]
	s_cbranch_vccz .LBB70_2530
; %bb.2528:
	s_cmp_eq_u32 s3, 29
	s_mov_b64 s[0:1], -1
	s_cbranch_scc0 .LBB70_2530
; %bb.2529:
	v_ashrrev_i32_e32 v1, 31, v0
	global_store_dwordx2 v[2:3], v[0:1], off
	s_mov_b64 s[0:1], 0
	s_mov_b64 s[10:11], -1
.LBB70_2530:
	s_mov_b64 s[16:17], 0
.LBB70_2531:
	s_and_b64 vcc, exec, s[16:17]
	s_cbranch_vccz .LBB70_2547
; %bb.2532:
	s_cmp_lt_i32 s3, 27
	s_mov_b64 s[10:11], -1
	s_cbranch_scc1 .LBB70_2538
; %bb.2533:
	s_cmp_gt_i32 s3, 27
	s_cbranch_scc0 .LBB70_2535
; %bb.2534:
	s_mov_b64 s[10:11], 0
	global_store_dword v[2:3], v0, off
.LBB70_2535:
	s_andn2_b64 vcc, exec, s[10:11]
	s_cbranch_vccnz .LBB70_2537
; %bb.2536:
	global_store_short v[2:3], v0, off
.LBB70_2537:
	s_mov_b64 s[10:11], 0
.LBB70_2538:
	s_andn2_b64 vcc, exec, s[10:11]
	s_cbranch_vccnz .LBB70_2546
; %bb.2539:
	v_cvt_f32_i32_e32 v1, v0
	s_mov_b32 s10, 0x43800000
	v_mov_b32_e32 v12, 0x80
	v_and_b32_e32 v11, 0x7fffffff, v1
	v_cmp_gt_u32_e32 vcc, s10, v11
	s_and_saveexec_b64 s[10:11], vcc
	s_cbranch_execz .LBB70_2545
; %bb.2540:
	s_mov_b32 s13, 0x3bffffff
	v_cmp_lt_u32_e32 vcc, s13, v11
	s_mov_b64 s[16:17], 0
                                        ; implicit-def: $vgpr11
	s_and_saveexec_b64 s[22:23], vcc
	s_xor_b64 s[22:23], exec, s[22:23]
	s_cbranch_execz .LBB70_2994
; %bb.2541:
	v_bfe_u32 v11, v1, 20, 1
	s_mov_b32 s13, 0x487ffff
	v_add3_u32 v11, v1, v11, s13
	s_mov_b64 s[16:17], exec
	v_lshrrev_b32_e32 v11, 20, v11
	s_andn2_saveexec_b64 s[22:23], s[22:23]
	s_cbranch_execnz .LBB70_2995
.LBB70_2542:
	s_or_b64 exec, exec, s[22:23]
	v_mov_b32_e32 v12, 0
	s_and_saveexec_b64 s[22:23], s[16:17]
.LBB70_2543:
	v_lshrrev_b32_e32 v1, 24, v1
	s_movk_i32 s13, 0x80
	v_and_or_b32 v12, v1, s13, v11
.LBB70_2544:
	s_or_b64 exec, exec, s[22:23]
.LBB70_2545:
	s_or_b64 exec, exec, s[10:11]
	global_store_byte v[2:3], v12, off
.LBB70_2546:
	s_mov_b64 s[10:11], -1
.LBB70_2547:
	s_mov_b64 s[16:17], 0
.LBB70_2548:
	s_and_b64 vcc, exec, s[16:17]
	s_cbranch_vccz .LBB70_2588
; %bb.2549:
	s_cmp_gt_i32 s3, 22
	s_mov_b64 s[4:5], -1
	s_cbranch_scc0 .LBB70_2581
; %bb.2550:
	s_cmp_lt_i32 s3, 24
	s_cbranch_scc1 .LBB70_2570
; %bb.2551:
	s_cmp_gt_i32 s3, 24
	s_cbranch_scc0 .LBB70_2559
; %bb.2552:
	v_cvt_f32_i32_e32 v1, v0
	s_mov_b32 s4, 0x47800000
	v_mov_b32_e32 v12, 0x80
	v_and_b32_e32 v11, 0x7fffffff, v1
	v_cmp_gt_u32_e32 vcc, s4, v11
	s_and_saveexec_b64 s[4:5], vcc
	s_cbranch_execz .LBB70_2558
; %bb.2553:
	s_mov_b32 s10, 0x37ffffff
	v_cmp_lt_u32_e32 vcc, s10, v11
	s_mov_b64 s[10:11], 0
                                        ; implicit-def: $vgpr11
	s_and_saveexec_b64 s[16:17], vcc
	s_xor_b64 s[16:17], exec, s[16:17]
	s_cbranch_execz .LBB70_2997
; %bb.2554:
	v_bfe_u32 v11, v1, 21, 1
	s_mov_b32 s13, 0x88fffff
	v_add3_u32 v11, v1, v11, s13
	s_mov_b64 s[10:11], exec
	v_lshrrev_b32_e32 v11, 21, v11
	s_andn2_saveexec_b64 s[16:17], s[16:17]
	s_cbranch_execnz .LBB70_2998
.LBB70_2555:
	s_or_b64 exec, exec, s[16:17]
	v_mov_b32_e32 v12, 0
	s_and_saveexec_b64 s[16:17], s[10:11]
.LBB70_2556:
	v_lshrrev_b32_e32 v1, 24, v1
	s_movk_i32 s10, 0x80
	v_and_or_b32 v12, v1, s10, v11
.LBB70_2557:
	s_or_b64 exec, exec, s[16:17]
.LBB70_2558:
	s_or_b64 exec, exec, s[4:5]
	s_mov_b64 s[4:5], 0
	global_store_byte v[2:3], v12, off
.LBB70_2559:
	s_and_b64 vcc, exec, s[4:5]
	s_cbranch_vccz .LBB70_2569
; %bb.2560:
	v_cvt_f32_i32_e32 v1, v0
	s_mov_b32 s4, 0x43f00000
                                        ; implicit-def: $vgpr11
	v_and_b32_e32 v12, 0x7fffffff, v1
	v_cmp_gt_u32_e32 vcc, s4, v12
	s_and_saveexec_b64 s[4:5], vcc
	s_xor_b64 s[4:5], exec, s[4:5]
	s_cbranch_execz .LBB70_2566
; %bb.2561:
	s_mov_b32 s10, 0x3c7fffff
	v_cmp_lt_u32_e32 vcc, s10, v12
                                        ; implicit-def: $vgpr11
	s_and_saveexec_b64 s[10:11], vcc
	s_xor_b64 s[10:11], exec, s[10:11]
; %bb.2562:
	v_bfe_u32 v11, v1, 20, 1
	s_mov_b32 s13, 0x407ffff
	v_add3_u32 v11, v1, v11, s13
	v_lshrrev_b32_e32 v12, 20, v11
	v_and_b32_e32 v11, 0xff00000, v11
	s_mov_b32 s13, 0x7f00000
	v_mov_b32_e32 v13, 0x7e
	v_cmp_ne_u32_e32 vcc, s13, v11
	v_cndmask_b32_e32 v11, v13, v12, vcc
; %bb.2563:
	s_andn2_saveexec_b64 s[10:11], s[10:11]
; %bb.2564:
	s_mov_b32 s13, 0x46800000
	v_add_f32_e64 v11, |v1|, s13
; %bb.2565:
	s_or_b64 exec, exec, s[10:11]
                                        ; implicit-def: $vgpr12
.LBB70_2566:
	s_andn2_saveexec_b64 s[4:5], s[4:5]
; %bb.2567:
	s_mov_b32 s10, 0x7f800000
	v_mov_b32_e32 v11, 0x7e
	v_mov_b32_e32 v13, 0x7f
	v_cmp_lt_u32_e32 vcc, s10, v12
	v_cndmask_b32_e32 v11, v11, v13, vcc
; %bb.2568:
	s_or_b64 exec, exec, s[4:5]
	v_lshrrev_b32_e32 v1, 24, v1
	s_movk_i32 s4, 0x80
	v_and_or_b32 v1, v1, s4, v11
	global_store_byte v[2:3], v1, off
.LBB70_2569:
	s_mov_b64 s[4:5], 0
.LBB70_2570:
	s_andn2_b64 vcc, exec, s[4:5]
	s_cbranch_vccnz .LBB70_2580
; %bb.2571:
	v_cvt_f32_i32_e32 v1, v0
	s_mov_b32 s4, 0x47800000
                                        ; implicit-def: $vgpr11
	v_and_b32_e32 v12, 0x7fffffff, v1
	v_cmp_gt_u32_e32 vcc, s4, v12
	s_and_saveexec_b64 s[4:5], vcc
	s_xor_b64 s[4:5], exec, s[4:5]
	s_cbranch_execz .LBB70_2577
; %bb.2572:
	s_mov_b32 s10, 0x387fffff
	v_cmp_lt_u32_e32 vcc, s10, v12
                                        ; implicit-def: $vgpr11
	s_and_saveexec_b64 s[10:11], vcc
	s_xor_b64 s[10:11], exec, s[10:11]
; %bb.2573:
	v_bfe_u32 v11, v1, 21, 1
	s_mov_b32 s13, 0x80fffff
	v_add3_u32 v11, v1, v11, s13
	v_lshrrev_b32_e32 v11, 21, v11
; %bb.2574:
	s_andn2_saveexec_b64 s[10:11], s[10:11]
; %bb.2575:
	s_mov_b32 s13, 0x43000000
	v_add_f32_e64 v11, |v1|, s13
; %bb.2576:
	s_or_b64 exec, exec, s[10:11]
                                        ; implicit-def: $vgpr12
.LBB70_2577:
	s_andn2_saveexec_b64 s[4:5], s[4:5]
; %bb.2578:
	s_mov_b32 s10, 0x7f800000
	v_mov_b32_e32 v11, 0x7c
	v_mov_b32_e32 v13, 0x7f
	v_cmp_lt_u32_e32 vcc, s10, v12
	v_cndmask_b32_e32 v11, v11, v13, vcc
; %bb.2579:
	s_or_b64 exec, exec, s[4:5]
	v_lshrrev_b32_e32 v1, 24, v1
	s_movk_i32 s4, 0x80
	v_and_or_b32 v1, v1, s4, v11
	global_store_byte v[2:3], v1, off
.LBB70_2580:
	s_mov_b64 s[4:5], 0
	s_mov_b64 s[10:11], -1
.LBB70_2581:
	s_andn2_b64 vcc, exec, s[4:5]
	s_mov_b64 s[4:5], 0
	s_cbranch_vccnz .LBB70_2588
; %bb.2582:
	s_cmp_gt_i32 s3, 14
	s_mov_b64 s[16:17], -1
	s_cbranch_scc0 .LBB70_2586
; %bb.2583:
	s_cmp_eq_u32 s3, 15
	s_mov_b64 s[0:1], -1
	s_cbranch_scc0 .LBB70_2585
; %bb.2584:
	v_cvt_f32_i32_e32 v1, v0
	s_movk_i32 s4, 0x7fff
	s_mov_b64 s[0:1], 0
	s_mov_b64 s[10:11], -1
	v_bfe_u32 v11, v1, 16, 1
	v_add3_u32 v1, v1, v11, s4
	global_store_short_d16_hi v[2:3], v1, off
.LBB70_2585:
	s_mov_b64 s[16:17], 0
.LBB70_2586:
	s_mov_b64 s[4:5], 0
	s_and_b64 vcc, exec, s[16:17]
	s_cbranch_vccz .LBB70_2588
; %bb.2587:
	s_cmp_lg_u32 s3, 11
	s_mov_b64 s[4:5], -1
	s_cselect_b64 s[0:1], -1, 0
.LBB70_2588:
	s_and_b64 vcc, exec, s[0:1]
	s_cbranch_vccnz .LBB70_2996
; %bb.2589:
	s_andn2_b64 vcc, exec, s[4:5]
	s_cbranch_vccnz .LBB70_2591
.LBB70_2590:
	v_cmp_ne_u32_e32 vcc, 0, v0
	v_cndmask_b32_e64 v1, 0, 1, vcc
	s_mov_b64 s[10:11], -1
	global_store_byte v[2:3], v1, off
.LBB70_2591:
	s_mov_b64 s[0:1], 0
	s_branch .LBB70_2593
.LBB70_2592:
	s_mov_b64 s[0:1], -1
	s_mov_b64 s[10:11], 0
.LBB70_2593:
	s_and_b64 vcc, exec, s[0:1]
	s_cbranch_vccz .LBB70_2632
; %bb.2594:
	s_and_b32 s3, 0xffff, s24
	s_cmp_lt_i32 s3, 5
	s_mov_b64 s[0:1], -1
	s_cbranch_scc1 .LBB70_2615
; %bb.2595:
	s_cmp_lt_i32 s3, 8
	s_cbranch_scc1 .LBB70_2605
; %bb.2596:
	s_cmp_lt_i32 s3, 9
	s_cbranch_scc1 .LBB70_2602
; %bb.2597:
	s_cmp_gt_i32 s3, 9
	s_cbranch_scc0 .LBB70_2599
; %bb.2598:
	v_cvt_f64_i32_e32 v[11:12], v0
	v_mov_b32_e32 v13, 0
	v_mov_b32_e32 v14, v13
	s_mov_b64 s[0:1], 0
	global_store_dwordx4 v[2:3], v[11:14], off
.LBB70_2599:
	s_andn2_b64 vcc, exec, s[0:1]
	s_cbranch_vccnz .LBB70_2601
; %bb.2600:
	v_cvt_f32_i32_e32 v11, v0
	v_mov_b32_e32 v12, 0
	global_store_dwordx2 v[2:3], v[11:12], off
.LBB70_2601:
	s_mov_b64 s[0:1], 0
.LBB70_2602:
	s_andn2_b64 vcc, exec, s[0:1]
	s_cbranch_vccnz .LBB70_2604
; %bb.2603:
	v_cvt_f32_i32_e32 v1, v0
	v_cvt_f16_f32_e32 v1, v1
	global_store_dword v[2:3], v1, off
.LBB70_2604:
	s_mov_b64 s[0:1], 0
.LBB70_2605:
	s_andn2_b64 vcc, exec, s[0:1]
	s_cbranch_vccnz .LBB70_2614
; %bb.2606:
	s_cmp_lt_i32 s3, 6
	s_mov_b64 s[0:1], -1
	s_cbranch_scc1 .LBB70_2612
; %bb.2607:
	s_cmp_gt_i32 s3, 6
	s_cbranch_scc0 .LBB70_2609
; %bb.2608:
	v_cvt_f64_i32_e32 v[11:12], v0
	s_mov_b64 s[0:1], 0
	global_store_dwordx2 v[2:3], v[11:12], off
.LBB70_2609:
	s_andn2_b64 vcc, exec, s[0:1]
	s_cbranch_vccnz .LBB70_2611
; %bb.2610:
	v_cvt_f32_i32_e32 v1, v0
	global_store_dword v[2:3], v1, off
.LBB70_2611:
	s_mov_b64 s[0:1], 0
.LBB70_2612:
	s_andn2_b64 vcc, exec, s[0:1]
	s_cbranch_vccnz .LBB70_2614
; %bb.2613:
	v_cvt_f32_i32_e32 v1, v0
	v_cvt_f16_f32_e32 v1, v1
	global_store_short v[2:3], v1, off
.LBB70_2614:
	s_mov_b64 s[0:1], 0
.LBB70_2615:
	s_andn2_b64 vcc, exec, s[0:1]
	s_cbranch_vccnz .LBB70_2631
; %bb.2616:
	s_cmp_lt_i32 s3, 2
	s_mov_b64 s[0:1], -1
	s_cbranch_scc1 .LBB70_2626
; %bb.2617:
	s_cmp_lt_i32 s3, 3
	s_cbranch_scc1 .LBB70_2623
; %bb.2618:
	s_cmp_gt_i32 s3, 3
	s_cbranch_scc0 .LBB70_2620
; %bb.2619:
	v_ashrrev_i32_e32 v1, 31, v0
	global_store_dwordx2 v[2:3], v[0:1], off
	s_mov_b64 s[0:1], 0
.LBB70_2620:
	s_andn2_b64 vcc, exec, s[0:1]
	s_cbranch_vccnz .LBB70_2622
; %bb.2621:
	global_store_dword v[2:3], v0, off
.LBB70_2622:
	s_mov_b64 s[0:1], 0
.LBB70_2623:
	s_andn2_b64 vcc, exec, s[0:1]
	s_cbranch_vccnz .LBB70_2625
; %bb.2624:
	global_store_short v[2:3], v0, off
.LBB70_2625:
	s_mov_b64 s[0:1], 0
.LBB70_2626:
	s_andn2_b64 vcc, exec, s[0:1]
	s_cbranch_vccnz .LBB70_2631
; %bb.2627:
	s_cmp_gt_i32 s3, 0
	s_mov_b64 s[0:1], -1
	s_cbranch_scc0 .LBB70_2629
; %bb.2628:
	global_store_byte v[2:3], v0, off
	s_mov_b64 s[0:1], 0
.LBB70_2629:
	s_andn2_b64 vcc, exec, s[0:1]
	s_cbranch_vccnz .LBB70_2631
; %bb.2630:
	global_store_byte v[2:3], v0, off
.LBB70_2631:
	s_mov_b64 s[10:11], -1
.LBB70_2632:
	s_andn2_b64 vcc, exec, s[10:11]
	s_cbranch_vccnz .LBB70_2947
; %bb.2633:
	s_lshl_b32 s3, s12, 7
	v_mov_b32_e32 v0, s2
	v_cmp_lt_i32_e32 vcc, s15, v5
	v_add_u32_e32 v4, s3, v4
	v_cndmask_b32_e32 v0, v0, v7, vcc
	v_ashrrev_i32_e32 v1, 31, v4
	v_mov_b32_e32 v3, s9
	v_add_co_u32_e32 v2, vcc, s8, v4
	s_cmp_lt_i32 s24, 11
	v_addc_co_u32_e32 v3, vcc, v3, v1, vcc
	s_cbranch_scc1 .LBB70_2711
; %bb.2634:
	s_and_b32 s14, 0xffff, s24
	s_mov_b64 s[12:13], -1
	s_mov_b64 s[4:5], 0
	s_cmp_gt_i32 s14, 25
	s_mov_b64 s[10:11], 0
	s_mov_b64 s[0:1], 0
	s_cbranch_scc0 .LBB70_2667
; %bb.2635:
	s_cmp_gt_i32 s14, 28
	s_cbranch_scc0 .LBB70_2650
; %bb.2636:
	s_cmp_gt_i32 s14, 43
	;; [unrolled: 3-line block ×3, first 2 shown]
	s_cbranch_scc0 .LBB70_2640
; %bb.2638:
	s_mov_b64 s[0:1], -1
	s_mov_b64 s[12:13], 0
	s_cmp_eq_u32 s14, 46
	s_cbranch_scc0 .LBB70_2640
; %bb.2639:
	v_cvt_f32_i32_e32 v1, v0
	s_movk_i32 s10, 0x7fff
	s_mov_b64 s[0:1], 0
	v_bfe_u32 v5, v1, 16, 1
	v_add3_u32 v1, v1, v5, s10
	v_lshrrev_b32_e32 v1, 16, v1
	global_store_dword v[2:3], v1, off
	s_mov_b64 s[10:11], -1
.LBB70_2640:
	s_and_b64 vcc, exec, s[12:13]
	s_cbranch_vccz .LBB70_2645
; %bb.2641:
	s_cmp_eq_u32 s14, 44
	s_mov_b64 s[0:1], -1
	s_cbranch_scc0 .LBB70_2645
; %bb.2642:
	v_cvt_f32_i32_e32 v1, v0
	s_movk_i32 s0, 0xff
	v_mov_b32_e32 v7, 0xff
	v_bfe_u32 v5, v1, 23, 8
	v_cmp_ne_u32_e32 vcc, s0, v5
	s_and_saveexec_b64 s[10:11], vcc
; %bb.2643:
	s_mov_b32 s0, 0x3fffff
	v_lshrrev_b32_e32 v7, 23, v1
	v_and_b32_e32 v11, 0x400000, v1
	v_and_or_b32 v1, v1, s0, v5
	v_cmp_ne_u32_e32 vcc, 0, v11
	v_cmp_ne_u32_e64 s[0:1], 0, v1
	s_and_b64 s[0:1], vcc, s[0:1]
	v_cndmask_b32_e64 v1, 0, 1, s[0:1]
	v_add_u32_e32 v7, v7, v1
; %bb.2644:
	s_or_b64 exec, exec, s[10:11]
	s_mov_b64 s[0:1], 0
	s_mov_b64 s[10:11], -1
	global_store_byte v[2:3], v7, off
.LBB70_2645:
	s_mov_b64 s[12:13], 0
.LBB70_2646:
	s_and_b64 vcc, exec, s[12:13]
	s_cbranch_vccz .LBB70_2649
; %bb.2647:
	s_cmp_eq_u32 s14, 29
	s_mov_b64 s[0:1], -1
	s_cbranch_scc0 .LBB70_2649
; %bb.2648:
	v_ashrrev_i32_e32 v1, 31, v0
	global_store_dwordx2 v[2:3], v[0:1], off
	s_mov_b64 s[0:1], 0
	s_mov_b64 s[10:11], -1
.LBB70_2649:
	s_mov_b64 s[12:13], 0
.LBB70_2650:
	s_and_b64 vcc, exec, s[12:13]
	s_cbranch_vccz .LBB70_2666
; %bb.2651:
	s_cmp_lt_i32 s14, 27
	s_mov_b64 s[10:11], -1
	s_cbranch_scc1 .LBB70_2657
; %bb.2652:
	s_cmp_gt_i32 s14, 27
	s_cbranch_scc0 .LBB70_2654
; %bb.2653:
	s_mov_b64 s[10:11], 0
	global_store_dword v[2:3], v0, off
.LBB70_2654:
	s_andn2_b64 vcc, exec, s[10:11]
	s_cbranch_vccnz .LBB70_2656
; %bb.2655:
	global_store_short v[2:3], v0, off
.LBB70_2656:
	s_mov_b64 s[10:11], 0
.LBB70_2657:
	s_andn2_b64 vcc, exec, s[10:11]
	s_cbranch_vccnz .LBB70_2665
; %bb.2658:
	v_cvt_f32_i32_e32 v1, v0
	s_mov_b32 s10, 0x43800000
	v_mov_b32_e32 v7, 0x80
	v_and_b32_e32 v5, 0x7fffffff, v1
	v_cmp_gt_u32_e32 vcc, s10, v5
	s_and_saveexec_b64 s[10:11], vcc
	s_cbranch_execz .LBB70_2664
; %bb.2659:
	s_mov_b32 s12, 0x3bffffff
	v_cmp_lt_u32_e32 vcc, s12, v5
	s_mov_b64 s[12:13], 0
                                        ; implicit-def: $vgpr5
	s_and_saveexec_b64 s[16:17], vcc
	s_xor_b64 s[16:17], exec, s[16:17]
	s_cbranch_execz .LBB70_2999
; %bb.2660:
	v_bfe_u32 v5, v1, 20, 1
	s_mov_b32 s22, 0x487ffff
	v_add3_u32 v5, v1, v5, s22
	s_mov_b64 s[12:13], exec
	v_lshrrev_b32_e32 v5, 20, v5
	s_andn2_saveexec_b64 s[16:17], s[16:17]
	s_cbranch_execnz .LBB70_3000
.LBB70_2661:
	s_or_b64 exec, exec, s[16:17]
	v_mov_b32_e32 v7, 0
	s_and_saveexec_b64 s[16:17], s[12:13]
.LBB70_2662:
	v_lshrrev_b32_e32 v1, 24, v1
	s_movk_i32 s12, 0x80
	v_and_or_b32 v7, v1, s12, v5
.LBB70_2663:
	s_or_b64 exec, exec, s[16:17]
.LBB70_2664:
	s_or_b64 exec, exec, s[10:11]
	global_store_byte v[2:3], v7, off
.LBB70_2665:
	s_mov_b64 s[10:11], -1
.LBB70_2666:
	s_mov_b64 s[12:13], 0
.LBB70_2667:
	s_and_b64 vcc, exec, s[12:13]
	s_cbranch_vccz .LBB70_2707
; %bb.2668:
	s_cmp_gt_i32 s14, 22
	s_mov_b64 s[4:5], -1
	s_cbranch_scc0 .LBB70_2700
; %bb.2669:
	s_cmp_lt_i32 s14, 24
	s_cbranch_scc1 .LBB70_2689
; %bb.2670:
	s_cmp_gt_i32 s14, 24
	s_cbranch_scc0 .LBB70_2678
; %bb.2671:
	v_cvt_f32_i32_e32 v1, v0
	s_mov_b32 s4, 0x47800000
	v_mov_b32_e32 v7, 0x80
	v_and_b32_e32 v5, 0x7fffffff, v1
	v_cmp_gt_u32_e32 vcc, s4, v5
	s_and_saveexec_b64 s[4:5], vcc
	s_cbranch_execz .LBB70_2677
; %bb.2672:
	s_mov_b32 s10, 0x37ffffff
	v_cmp_lt_u32_e32 vcc, s10, v5
	s_mov_b64 s[10:11], 0
                                        ; implicit-def: $vgpr5
	s_and_saveexec_b64 s[12:13], vcc
	s_xor_b64 s[12:13], exec, s[12:13]
	s_cbranch_execz .LBB70_3002
; %bb.2673:
	v_bfe_u32 v5, v1, 21, 1
	s_mov_b32 s16, 0x88fffff
	v_add3_u32 v5, v1, v5, s16
	s_mov_b64 s[10:11], exec
	v_lshrrev_b32_e32 v5, 21, v5
	s_andn2_saveexec_b64 s[12:13], s[12:13]
	s_cbranch_execnz .LBB70_3003
.LBB70_2674:
	s_or_b64 exec, exec, s[12:13]
	v_mov_b32_e32 v7, 0
	s_and_saveexec_b64 s[12:13], s[10:11]
.LBB70_2675:
	v_lshrrev_b32_e32 v1, 24, v1
	s_movk_i32 s10, 0x80
	v_and_or_b32 v7, v1, s10, v5
.LBB70_2676:
	s_or_b64 exec, exec, s[12:13]
.LBB70_2677:
	s_or_b64 exec, exec, s[4:5]
	s_mov_b64 s[4:5], 0
	global_store_byte v[2:3], v7, off
.LBB70_2678:
	s_and_b64 vcc, exec, s[4:5]
	s_cbranch_vccz .LBB70_2688
; %bb.2679:
	v_cvt_f32_i32_e32 v1, v0
	s_mov_b32 s4, 0x43f00000
                                        ; implicit-def: $vgpr5
	v_and_b32_e32 v7, 0x7fffffff, v1
	v_cmp_gt_u32_e32 vcc, s4, v7
	s_and_saveexec_b64 s[4:5], vcc
	s_xor_b64 s[4:5], exec, s[4:5]
	s_cbranch_execz .LBB70_2685
; %bb.2680:
	s_mov_b32 s10, 0x3c7fffff
	v_cmp_lt_u32_e32 vcc, s10, v7
                                        ; implicit-def: $vgpr5
	s_and_saveexec_b64 s[10:11], vcc
	s_xor_b64 s[10:11], exec, s[10:11]
; %bb.2681:
	v_bfe_u32 v5, v1, 20, 1
	s_mov_b32 s12, 0x407ffff
	v_add3_u32 v5, v1, v5, s12
	v_lshrrev_b32_e32 v7, 20, v5
	v_and_b32_e32 v5, 0xff00000, v5
	s_mov_b32 s12, 0x7f00000
	v_mov_b32_e32 v11, 0x7e
	v_cmp_ne_u32_e32 vcc, s12, v5
	v_cndmask_b32_e32 v5, v11, v7, vcc
; %bb.2682:
	s_andn2_saveexec_b64 s[10:11], s[10:11]
; %bb.2683:
	s_mov_b32 s12, 0x46800000
	v_add_f32_e64 v5, |v1|, s12
; %bb.2684:
	s_or_b64 exec, exec, s[10:11]
                                        ; implicit-def: $vgpr7
.LBB70_2685:
	s_andn2_saveexec_b64 s[4:5], s[4:5]
; %bb.2686:
	s_mov_b32 s10, 0x7f800000
	v_mov_b32_e32 v5, 0x7e
	v_mov_b32_e32 v11, 0x7f
	v_cmp_lt_u32_e32 vcc, s10, v7
	v_cndmask_b32_e32 v5, v5, v11, vcc
; %bb.2687:
	s_or_b64 exec, exec, s[4:5]
	v_lshrrev_b32_e32 v1, 24, v1
	s_movk_i32 s4, 0x80
	v_and_or_b32 v1, v1, s4, v5
	global_store_byte v[2:3], v1, off
.LBB70_2688:
	s_mov_b64 s[4:5], 0
.LBB70_2689:
	s_andn2_b64 vcc, exec, s[4:5]
	s_cbranch_vccnz .LBB70_2699
; %bb.2690:
	v_cvt_f32_i32_e32 v1, v0
	s_mov_b32 s4, 0x47800000
                                        ; implicit-def: $vgpr5
	v_and_b32_e32 v7, 0x7fffffff, v1
	v_cmp_gt_u32_e32 vcc, s4, v7
	s_and_saveexec_b64 s[4:5], vcc
	s_xor_b64 s[4:5], exec, s[4:5]
	s_cbranch_execz .LBB70_2696
; %bb.2691:
	s_mov_b32 s10, 0x387fffff
	v_cmp_lt_u32_e32 vcc, s10, v7
                                        ; implicit-def: $vgpr5
	s_and_saveexec_b64 s[10:11], vcc
	s_xor_b64 s[10:11], exec, s[10:11]
; %bb.2692:
	v_bfe_u32 v5, v1, 21, 1
	s_mov_b32 s12, 0x80fffff
	v_add3_u32 v5, v1, v5, s12
	v_lshrrev_b32_e32 v5, 21, v5
; %bb.2693:
	s_andn2_saveexec_b64 s[10:11], s[10:11]
; %bb.2694:
	s_mov_b32 s12, 0x43000000
	v_add_f32_e64 v5, |v1|, s12
; %bb.2695:
	s_or_b64 exec, exec, s[10:11]
                                        ; implicit-def: $vgpr7
.LBB70_2696:
	s_andn2_saveexec_b64 s[4:5], s[4:5]
; %bb.2697:
	s_mov_b32 s10, 0x7f800000
	v_mov_b32_e32 v5, 0x7c
	v_mov_b32_e32 v11, 0x7f
	v_cmp_lt_u32_e32 vcc, s10, v7
	v_cndmask_b32_e32 v5, v5, v11, vcc
; %bb.2698:
	s_or_b64 exec, exec, s[4:5]
	v_lshrrev_b32_e32 v1, 24, v1
	s_movk_i32 s4, 0x80
	v_and_or_b32 v1, v1, s4, v5
	global_store_byte v[2:3], v1, off
.LBB70_2699:
	s_mov_b64 s[4:5], 0
	s_mov_b64 s[10:11], -1
.LBB70_2700:
	s_andn2_b64 vcc, exec, s[4:5]
	s_mov_b64 s[4:5], 0
	s_cbranch_vccnz .LBB70_2707
; %bb.2701:
	s_cmp_gt_i32 s14, 14
	s_mov_b64 s[12:13], -1
	s_cbranch_scc0 .LBB70_2705
; %bb.2702:
	s_cmp_eq_u32 s14, 15
	s_mov_b64 s[0:1], -1
	s_cbranch_scc0 .LBB70_2704
; %bb.2703:
	v_cvt_f32_i32_e32 v1, v0
	s_movk_i32 s4, 0x7fff
	s_mov_b64 s[0:1], 0
	s_mov_b64 s[10:11], -1
	v_bfe_u32 v5, v1, 16, 1
	v_add3_u32 v1, v1, v5, s4
	global_store_short_d16_hi v[2:3], v1, off
.LBB70_2704:
	s_mov_b64 s[12:13], 0
.LBB70_2705:
	s_mov_b64 s[4:5], 0
	s_and_b64 vcc, exec, s[12:13]
	s_cbranch_vccz .LBB70_2707
; %bb.2706:
	s_cmp_lg_u32 s14, 11
	s_mov_b64 s[4:5], -1
	s_cselect_b64 s[0:1], -1, 0
.LBB70_2707:
	s_and_b64 vcc, exec, s[0:1]
	s_cbranch_vccnz .LBB70_3001
; %bb.2708:
	s_andn2_b64 vcc, exec, s[4:5]
	s_cbranch_vccnz .LBB70_2710
.LBB70_2709:
	v_cmp_ne_u32_e32 vcc, 0, v0
	v_cndmask_b32_e64 v1, 0, 1, vcc
	s_mov_b64 s[10:11], -1
	global_store_byte v[2:3], v1, off
.LBB70_2710:
	s_mov_b64 s[0:1], 0
	s_branch .LBB70_2712
.LBB70_2711:
	s_mov_b64 s[0:1], -1
	s_mov_b64 s[10:11], 0
.LBB70_2712:
	s_and_b64 vcc, exec, s[0:1]
	s_cbranch_vccz .LBB70_2751
; %bb.2713:
	s_and_b32 s4, 0xffff, s24
	s_cmp_lt_i32 s4, 5
	s_mov_b64 s[0:1], -1
	s_cbranch_scc1 .LBB70_2734
; %bb.2714:
	s_cmp_lt_i32 s4, 8
	s_cbranch_scc1 .LBB70_2724
; %bb.2715:
	s_cmp_lt_i32 s4, 9
	s_cbranch_scc1 .LBB70_2721
; %bb.2716:
	s_cmp_gt_i32 s4, 9
	s_cbranch_scc0 .LBB70_2718
; %bb.2717:
	v_cvt_f64_i32_e32 v[11:12], v0
	v_mov_b32_e32 v13, 0
	v_mov_b32_e32 v14, v13
	s_mov_b64 s[0:1], 0
	global_store_dwordx4 v[2:3], v[11:14], off
.LBB70_2718:
	s_andn2_b64 vcc, exec, s[0:1]
	s_cbranch_vccnz .LBB70_2720
; %bb.2719:
	v_cvt_f32_i32_e32 v11, v0
	v_mov_b32_e32 v12, 0
	global_store_dwordx2 v[2:3], v[11:12], off
.LBB70_2720:
	s_mov_b64 s[0:1], 0
.LBB70_2721:
	s_andn2_b64 vcc, exec, s[0:1]
	s_cbranch_vccnz .LBB70_2723
; %bb.2722:
	v_cvt_f32_i32_e32 v1, v0
	v_cvt_f16_f32_e32 v1, v1
	global_store_dword v[2:3], v1, off
.LBB70_2723:
	s_mov_b64 s[0:1], 0
.LBB70_2724:
	s_andn2_b64 vcc, exec, s[0:1]
	s_cbranch_vccnz .LBB70_2733
; %bb.2725:
	s_cmp_lt_i32 s4, 6
	s_mov_b64 s[0:1], -1
	s_cbranch_scc1 .LBB70_2731
; %bb.2726:
	s_cmp_gt_i32 s4, 6
	s_cbranch_scc0 .LBB70_2728
; %bb.2727:
	v_cvt_f64_i32_e32 v[11:12], v0
	s_mov_b64 s[0:1], 0
	global_store_dwordx2 v[2:3], v[11:12], off
.LBB70_2728:
	s_andn2_b64 vcc, exec, s[0:1]
	s_cbranch_vccnz .LBB70_2730
; %bb.2729:
	v_cvt_f32_i32_e32 v1, v0
	global_store_dword v[2:3], v1, off
.LBB70_2730:
	s_mov_b64 s[0:1], 0
.LBB70_2731:
	s_andn2_b64 vcc, exec, s[0:1]
	s_cbranch_vccnz .LBB70_2733
; %bb.2732:
	v_cvt_f32_i32_e32 v1, v0
	v_cvt_f16_f32_e32 v1, v1
	global_store_short v[2:3], v1, off
.LBB70_2733:
	s_mov_b64 s[0:1], 0
.LBB70_2734:
	s_andn2_b64 vcc, exec, s[0:1]
	s_cbranch_vccnz .LBB70_2750
; %bb.2735:
	s_cmp_lt_i32 s4, 2
	s_mov_b64 s[0:1], -1
	s_cbranch_scc1 .LBB70_2745
; %bb.2736:
	s_cmp_lt_i32 s4, 3
	s_cbranch_scc1 .LBB70_2742
; %bb.2737:
	s_cmp_gt_i32 s4, 3
	s_cbranch_scc0 .LBB70_2739
; %bb.2738:
	v_ashrrev_i32_e32 v1, 31, v0
	global_store_dwordx2 v[2:3], v[0:1], off
	s_mov_b64 s[0:1], 0
.LBB70_2739:
	s_andn2_b64 vcc, exec, s[0:1]
	s_cbranch_vccnz .LBB70_2741
; %bb.2740:
	global_store_dword v[2:3], v0, off
.LBB70_2741:
	s_mov_b64 s[0:1], 0
.LBB70_2742:
	s_andn2_b64 vcc, exec, s[0:1]
	s_cbranch_vccnz .LBB70_2744
; %bb.2743:
	global_store_short v[2:3], v0, off
.LBB70_2744:
	s_mov_b64 s[0:1], 0
.LBB70_2745:
	s_andn2_b64 vcc, exec, s[0:1]
	s_cbranch_vccnz .LBB70_2750
; %bb.2746:
	s_cmp_gt_i32 s4, 0
	s_mov_b64 s[0:1], -1
	s_cbranch_scc0 .LBB70_2748
; %bb.2747:
	global_store_byte v[2:3], v0, off
	s_mov_b64 s[0:1], 0
.LBB70_2748:
	s_andn2_b64 vcc, exec, s[0:1]
	s_cbranch_vccnz .LBB70_2750
; %bb.2749:
	global_store_byte v[2:3], v0, off
.LBB70_2750:
	s_mov_b64 s[10:11], -1
.LBB70_2751:
	s_andn2_b64 vcc, exec, s[10:11]
	s_cbranch_vccnz .LBB70_2947
; %bb.2752:
	v_mov_b32_e32 v0, s2
	v_cmp_lt_i32_e32 vcc, s15, v6
	v_add_u32_e32 v4, s3, v4
	v_cndmask_b32_e32 v0, v0, v9, vcc
	v_ashrrev_i32_e32 v1, 31, v4
	v_mov_b32_e32 v3, s9
	v_add_co_u32_e32 v2, vcc, s8, v4
	s_cmp_lt_i32 s24, 11
	v_addc_co_u32_e32 v3, vcc, v3, v1, vcc
	s_cbranch_scc1 .LBB70_2830
; %bb.2753:
	s_and_b32 s14, 0xffff, s24
	s_mov_b64 s[12:13], -1
	s_mov_b64 s[4:5], 0
	s_cmp_gt_i32 s14, 25
	s_mov_b64 s[10:11], 0
	s_mov_b64 s[0:1], 0
	s_cbranch_scc0 .LBB70_2786
; %bb.2754:
	s_cmp_gt_i32 s14, 28
	s_cbranch_scc0 .LBB70_2769
; %bb.2755:
	s_cmp_gt_i32 s14, 43
	s_cbranch_scc0 .LBB70_2765
; %bb.2756:
	s_cmp_gt_i32 s14, 45
	s_cbranch_scc0 .LBB70_2759
; %bb.2757:
	s_mov_b64 s[0:1], -1
	s_mov_b64 s[12:13], 0
	s_cmp_eq_u32 s14, 46
	s_cbranch_scc0 .LBB70_2759
; %bb.2758:
	v_cvt_f32_i32_e32 v1, v0
	s_movk_i32 s10, 0x7fff
	s_mov_b64 s[0:1], 0
	v_bfe_u32 v5, v1, 16, 1
	v_add3_u32 v1, v1, v5, s10
	v_lshrrev_b32_e32 v1, 16, v1
	global_store_dword v[2:3], v1, off
	s_mov_b64 s[10:11], -1
.LBB70_2759:
	s_and_b64 vcc, exec, s[12:13]
	s_cbranch_vccz .LBB70_2764
; %bb.2760:
	s_cmp_eq_u32 s14, 44
	s_mov_b64 s[0:1], -1
	s_cbranch_scc0 .LBB70_2764
; %bb.2761:
	v_cvt_f32_i32_e32 v1, v0
	s_movk_i32 s0, 0xff
	v_mov_b32_e32 v6, 0xff
	v_bfe_u32 v5, v1, 23, 8
	v_cmp_ne_u32_e32 vcc, s0, v5
	s_and_saveexec_b64 s[10:11], vcc
; %bb.2762:
	s_mov_b32 s0, 0x3fffff
	v_lshrrev_b32_e32 v6, 23, v1
	v_and_b32_e32 v7, 0x400000, v1
	v_and_or_b32 v1, v1, s0, v5
	v_cmp_ne_u32_e32 vcc, 0, v7
	v_cmp_ne_u32_e64 s[0:1], 0, v1
	s_and_b64 s[0:1], vcc, s[0:1]
	v_cndmask_b32_e64 v1, 0, 1, s[0:1]
	v_add_u32_e32 v6, v6, v1
; %bb.2763:
	s_or_b64 exec, exec, s[10:11]
	s_mov_b64 s[0:1], 0
	s_mov_b64 s[10:11], -1
	global_store_byte v[2:3], v6, off
.LBB70_2764:
	s_mov_b64 s[12:13], 0
.LBB70_2765:
	s_and_b64 vcc, exec, s[12:13]
	s_cbranch_vccz .LBB70_2768
; %bb.2766:
	s_cmp_eq_u32 s14, 29
	s_mov_b64 s[0:1], -1
	s_cbranch_scc0 .LBB70_2768
; %bb.2767:
	v_ashrrev_i32_e32 v1, 31, v0
	global_store_dwordx2 v[2:3], v[0:1], off
	s_mov_b64 s[0:1], 0
	s_mov_b64 s[10:11], -1
.LBB70_2768:
	s_mov_b64 s[12:13], 0
.LBB70_2769:
	s_and_b64 vcc, exec, s[12:13]
	s_cbranch_vccz .LBB70_2785
; %bb.2770:
	s_cmp_lt_i32 s14, 27
	s_mov_b64 s[10:11], -1
	s_cbranch_scc1 .LBB70_2776
; %bb.2771:
	s_cmp_gt_i32 s14, 27
	s_cbranch_scc0 .LBB70_2773
; %bb.2772:
	s_mov_b64 s[10:11], 0
	global_store_dword v[2:3], v0, off
.LBB70_2773:
	s_andn2_b64 vcc, exec, s[10:11]
	s_cbranch_vccnz .LBB70_2775
; %bb.2774:
	global_store_short v[2:3], v0, off
.LBB70_2775:
	s_mov_b64 s[10:11], 0
.LBB70_2776:
	s_andn2_b64 vcc, exec, s[10:11]
	s_cbranch_vccnz .LBB70_2784
; %bb.2777:
	v_cvt_f32_i32_e32 v1, v0
	s_mov_b32 s10, 0x43800000
	v_mov_b32_e32 v6, 0x80
	v_and_b32_e32 v5, 0x7fffffff, v1
	v_cmp_gt_u32_e32 vcc, s10, v5
	s_and_saveexec_b64 s[10:11], vcc
	s_cbranch_execz .LBB70_2783
; %bb.2778:
	s_mov_b32 s12, 0x3bffffff
	v_cmp_lt_u32_e32 vcc, s12, v5
	s_mov_b64 s[12:13], 0
                                        ; implicit-def: $vgpr5
	s_and_saveexec_b64 s[16:17], vcc
	s_xor_b64 s[16:17], exec, s[16:17]
	s_cbranch_execz .LBB70_3004
; %bb.2779:
	v_bfe_u32 v5, v1, 20, 1
	s_mov_b32 s22, 0x487ffff
	v_add3_u32 v5, v1, v5, s22
	s_mov_b64 s[12:13], exec
	v_lshrrev_b32_e32 v5, 20, v5
	s_andn2_saveexec_b64 s[16:17], s[16:17]
	s_cbranch_execnz .LBB70_3005
.LBB70_2780:
	s_or_b64 exec, exec, s[16:17]
	v_mov_b32_e32 v6, 0
	s_and_saveexec_b64 s[16:17], s[12:13]
.LBB70_2781:
	v_lshrrev_b32_e32 v1, 24, v1
	s_movk_i32 s12, 0x80
	v_and_or_b32 v6, v1, s12, v5
.LBB70_2782:
	s_or_b64 exec, exec, s[16:17]
.LBB70_2783:
	s_or_b64 exec, exec, s[10:11]
	global_store_byte v[2:3], v6, off
.LBB70_2784:
	s_mov_b64 s[10:11], -1
.LBB70_2785:
	s_mov_b64 s[12:13], 0
.LBB70_2786:
	s_and_b64 vcc, exec, s[12:13]
	s_cbranch_vccz .LBB70_2826
; %bb.2787:
	s_cmp_gt_i32 s14, 22
	s_mov_b64 s[4:5], -1
	s_cbranch_scc0 .LBB70_2819
; %bb.2788:
	s_cmp_lt_i32 s14, 24
	s_cbranch_scc1 .LBB70_2808
; %bb.2789:
	s_cmp_gt_i32 s14, 24
	s_cbranch_scc0 .LBB70_2797
; %bb.2790:
	v_cvt_f32_i32_e32 v1, v0
	s_mov_b32 s4, 0x47800000
	v_mov_b32_e32 v6, 0x80
	v_and_b32_e32 v5, 0x7fffffff, v1
	v_cmp_gt_u32_e32 vcc, s4, v5
	s_and_saveexec_b64 s[4:5], vcc
	s_cbranch_execz .LBB70_2796
; %bb.2791:
	s_mov_b32 s10, 0x37ffffff
	v_cmp_lt_u32_e32 vcc, s10, v5
	s_mov_b64 s[10:11], 0
                                        ; implicit-def: $vgpr5
	s_and_saveexec_b64 s[12:13], vcc
	s_xor_b64 s[12:13], exec, s[12:13]
	s_cbranch_execz .LBB70_3007
; %bb.2792:
	v_bfe_u32 v5, v1, 21, 1
	s_mov_b32 s16, 0x88fffff
	v_add3_u32 v5, v1, v5, s16
	s_mov_b64 s[10:11], exec
	v_lshrrev_b32_e32 v5, 21, v5
	s_andn2_saveexec_b64 s[12:13], s[12:13]
	s_cbranch_execnz .LBB70_3008
.LBB70_2793:
	s_or_b64 exec, exec, s[12:13]
	v_mov_b32_e32 v6, 0
	s_and_saveexec_b64 s[12:13], s[10:11]
.LBB70_2794:
	v_lshrrev_b32_e32 v1, 24, v1
	s_movk_i32 s10, 0x80
	v_and_or_b32 v6, v1, s10, v5
.LBB70_2795:
	s_or_b64 exec, exec, s[12:13]
.LBB70_2796:
	s_or_b64 exec, exec, s[4:5]
	s_mov_b64 s[4:5], 0
	global_store_byte v[2:3], v6, off
.LBB70_2797:
	s_and_b64 vcc, exec, s[4:5]
	s_cbranch_vccz .LBB70_2807
; %bb.2798:
	v_cvt_f32_i32_e32 v1, v0
	s_mov_b32 s4, 0x43f00000
                                        ; implicit-def: $vgpr5
	v_and_b32_e32 v6, 0x7fffffff, v1
	v_cmp_gt_u32_e32 vcc, s4, v6
	s_and_saveexec_b64 s[4:5], vcc
	s_xor_b64 s[4:5], exec, s[4:5]
	s_cbranch_execz .LBB70_2804
; %bb.2799:
	s_mov_b32 s10, 0x3c7fffff
	v_cmp_lt_u32_e32 vcc, s10, v6
                                        ; implicit-def: $vgpr5
	s_and_saveexec_b64 s[10:11], vcc
	s_xor_b64 s[10:11], exec, s[10:11]
; %bb.2800:
	v_bfe_u32 v5, v1, 20, 1
	s_mov_b32 s12, 0x407ffff
	v_add3_u32 v5, v1, v5, s12
	v_lshrrev_b32_e32 v6, 20, v5
	v_and_b32_e32 v5, 0xff00000, v5
	s_mov_b32 s12, 0x7f00000
	v_mov_b32_e32 v7, 0x7e
	v_cmp_ne_u32_e32 vcc, s12, v5
	v_cndmask_b32_e32 v5, v7, v6, vcc
; %bb.2801:
	s_andn2_saveexec_b64 s[10:11], s[10:11]
; %bb.2802:
	s_mov_b32 s12, 0x46800000
	v_add_f32_e64 v5, |v1|, s12
; %bb.2803:
	s_or_b64 exec, exec, s[10:11]
                                        ; implicit-def: $vgpr6
.LBB70_2804:
	s_andn2_saveexec_b64 s[4:5], s[4:5]
; %bb.2805:
	s_mov_b32 s10, 0x7f800000
	v_mov_b32_e32 v5, 0x7e
	v_mov_b32_e32 v7, 0x7f
	v_cmp_lt_u32_e32 vcc, s10, v6
	v_cndmask_b32_e32 v5, v5, v7, vcc
; %bb.2806:
	s_or_b64 exec, exec, s[4:5]
	v_lshrrev_b32_e32 v1, 24, v1
	s_movk_i32 s4, 0x80
	v_and_or_b32 v1, v1, s4, v5
	global_store_byte v[2:3], v1, off
.LBB70_2807:
	s_mov_b64 s[4:5], 0
.LBB70_2808:
	s_andn2_b64 vcc, exec, s[4:5]
	s_cbranch_vccnz .LBB70_2818
; %bb.2809:
	v_cvt_f32_i32_e32 v1, v0
	s_mov_b32 s4, 0x47800000
                                        ; implicit-def: $vgpr5
	v_and_b32_e32 v6, 0x7fffffff, v1
	v_cmp_gt_u32_e32 vcc, s4, v6
	s_and_saveexec_b64 s[4:5], vcc
	s_xor_b64 s[4:5], exec, s[4:5]
	s_cbranch_execz .LBB70_2815
; %bb.2810:
	s_mov_b32 s10, 0x387fffff
	v_cmp_lt_u32_e32 vcc, s10, v6
                                        ; implicit-def: $vgpr5
	s_and_saveexec_b64 s[10:11], vcc
	s_xor_b64 s[10:11], exec, s[10:11]
; %bb.2811:
	v_bfe_u32 v5, v1, 21, 1
	s_mov_b32 s12, 0x80fffff
	v_add3_u32 v5, v1, v5, s12
	v_lshrrev_b32_e32 v5, 21, v5
; %bb.2812:
	s_andn2_saveexec_b64 s[10:11], s[10:11]
; %bb.2813:
	s_mov_b32 s12, 0x43000000
	v_add_f32_e64 v5, |v1|, s12
; %bb.2814:
	s_or_b64 exec, exec, s[10:11]
                                        ; implicit-def: $vgpr6
.LBB70_2815:
	s_andn2_saveexec_b64 s[4:5], s[4:5]
; %bb.2816:
	s_mov_b32 s10, 0x7f800000
	v_mov_b32_e32 v5, 0x7c
	v_mov_b32_e32 v7, 0x7f
	v_cmp_lt_u32_e32 vcc, s10, v6
	v_cndmask_b32_e32 v5, v5, v7, vcc
; %bb.2817:
	s_or_b64 exec, exec, s[4:5]
	v_lshrrev_b32_e32 v1, 24, v1
	s_movk_i32 s4, 0x80
	v_and_or_b32 v1, v1, s4, v5
	global_store_byte v[2:3], v1, off
.LBB70_2818:
	s_mov_b64 s[4:5], 0
	s_mov_b64 s[10:11], -1
.LBB70_2819:
	s_andn2_b64 vcc, exec, s[4:5]
	s_mov_b64 s[4:5], 0
	s_cbranch_vccnz .LBB70_2826
; %bb.2820:
	s_cmp_gt_i32 s14, 14
	s_mov_b64 s[12:13], -1
	s_cbranch_scc0 .LBB70_2824
; %bb.2821:
	s_cmp_eq_u32 s14, 15
	s_mov_b64 s[0:1], -1
	s_cbranch_scc0 .LBB70_2823
; %bb.2822:
	v_cvt_f32_i32_e32 v1, v0
	s_movk_i32 s4, 0x7fff
	s_mov_b64 s[0:1], 0
	s_mov_b64 s[10:11], -1
	v_bfe_u32 v5, v1, 16, 1
	v_add3_u32 v1, v1, v5, s4
	global_store_short_d16_hi v[2:3], v1, off
.LBB70_2823:
	s_mov_b64 s[12:13], 0
.LBB70_2824:
	s_mov_b64 s[4:5], 0
	s_and_b64 vcc, exec, s[12:13]
	s_cbranch_vccz .LBB70_2826
; %bb.2825:
	s_cmp_lg_u32 s14, 11
	s_mov_b64 s[4:5], -1
	s_cselect_b64 s[0:1], -1, 0
.LBB70_2826:
	s_and_b64 vcc, exec, s[0:1]
	s_cbranch_vccnz .LBB70_3006
; %bb.2827:
	s_andn2_b64 vcc, exec, s[4:5]
	s_cbranch_vccnz .LBB70_2829
.LBB70_2828:
	v_cmp_ne_u32_e32 vcc, 0, v0
	v_cndmask_b32_e64 v1, 0, 1, vcc
	s_mov_b64 s[10:11], -1
	global_store_byte v[2:3], v1, off
.LBB70_2829:
	s_mov_b64 s[0:1], 0
	s_branch .LBB70_2831
.LBB70_2830:
	s_mov_b64 s[0:1], -1
	s_mov_b64 s[10:11], 0
.LBB70_2831:
	s_and_b64 vcc, exec, s[0:1]
	s_cbranch_vccz .LBB70_2870
; %bb.2832:
	s_and_b32 s4, 0xffff, s24
	s_cmp_lt_i32 s4, 5
	s_mov_b64 s[0:1], -1
	s_cbranch_scc1 .LBB70_2853
; %bb.2833:
	s_cmp_lt_i32 s4, 8
	s_cbranch_scc1 .LBB70_2843
; %bb.2834:
	s_cmp_lt_i32 s4, 9
	s_cbranch_scc1 .LBB70_2840
; %bb.2835:
	s_cmp_gt_i32 s4, 9
	s_cbranch_scc0 .LBB70_2837
; %bb.2836:
	v_cvt_f64_i32_e32 v[11:12], v0
	v_mov_b32_e32 v13, 0
	v_mov_b32_e32 v14, v13
	s_mov_b64 s[0:1], 0
	global_store_dwordx4 v[2:3], v[11:14], off
.LBB70_2837:
	s_andn2_b64 vcc, exec, s[0:1]
	s_cbranch_vccnz .LBB70_2839
; %bb.2838:
	v_cvt_f32_i32_e32 v5, v0
	v_mov_b32_e32 v6, 0
	global_store_dwordx2 v[2:3], v[5:6], off
.LBB70_2839:
	s_mov_b64 s[0:1], 0
.LBB70_2840:
	s_andn2_b64 vcc, exec, s[0:1]
	s_cbranch_vccnz .LBB70_2842
; %bb.2841:
	v_cvt_f32_i32_e32 v1, v0
	v_cvt_f16_f32_e32 v1, v1
	global_store_dword v[2:3], v1, off
.LBB70_2842:
	s_mov_b64 s[0:1], 0
.LBB70_2843:
	s_andn2_b64 vcc, exec, s[0:1]
	s_cbranch_vccnz .LBB70_2852
; %bb.2844:
	s_cmp_lt_i32 s4, 6
	s_mov_b64 s[0:1], -1
	s_cbranch_scc1 .LBB70_2850
; %bb.2845:
	s_cmp_gt_i32 s4, 6
	s_cbranch_scc0 .LBB70_2847
; %bb.2846:
	v_cvt_f64_i32_e32 v[5:6], v0
	s_mov_b64 s[0:1], 0
	global_store_dwordx2 v[2:3], v[5:6], off
.LBB70_2847:
	s_andn2_b64 vcc, exec, s[0:1]
	s_cbranch_vccnz .LBB70_2849
; %bb.2848:
	v_cvt_f32_i32_e32 v1, v0
	global_store_dword v[2:3], v1, off
.LBB70_2849:
	s_mov_b64 s[0:1], 0
.LBB70_2850:
	s_andn2_b64 vcc, exec, s[0:1]
	s_cbranch_vccnz .LBB70_2852
; %bb.2851:
	v_cvt_f32_i32_e32 v1, v0
	v_cvt_f16_f32_e32 v1, v1
	global_store_short v[2:3], v1, off
.LBB70_2852:
	s_mov_b64 s[0:1], 0
.LBB70_2853:
	s_andn2_b64 vcc, exec, s[0:1]
	s_cbranch_vccnz .LBB70_2869
; %bb.2854:
	s_cmp_lt_i32 s4, 2
	s_mov_b64 s[0:1], -1
	s_cbranch_scc1 .LBB70_2864
; %bb.2855:
	s_cmp_lt_i32 s4, 3
	s_cbranch_scc1 .LBB70_2861
; %bb.2856:
	s_cmp_gt_i32 s4, 3
	s_cbranch_scc0 .LBB70_2858
; %bb.2857:
	v_ashrrev_i32_e32 v1, 31, v0
	global_store_dwordx2 v[2:3], v[0:1], off
	s_mov_b64 s[0:1], 0
.LBB70_2858:
	s_andn2_b64 vcc, exec, s[0:1]
	s_cbranch_vccnz .LBB70_2860
; %bb.2859:
	global_store_dword v[2:3], v0, off
.LBB70_2860:
	s_mov_b64 s[0:1], 0
.LBB70_2861:
	s_andn2_b64 vcc, exec, s[0:1]
	s_cbranch_vccnz .LBB70_2863
; %bb.2862:
	global_store_short v[2:3], v0, off
.LBB70_2863:
	s_mov_b64 s[0:1], 0
.LBB70_2864:
	s_andn2_b64 vcc, exec, s[0:1]
	s_cbranch_vccnz .LBB70_2869
; %bb.2865:
	s_cmp_gt_i32 s4, 0
	s_mov_b64 s[0:1], -1
	s_cbranch_scc0 .LBB70_2867
; %bb.2866:
	global_store_byte v[2:3], v0, off
	s_mov_b64 s[0:1], 0
.LBB70_2867:
	s_andn2_b64 vcc, exec, s[0:1]
	s_cbranch_vccnz .LBB70_2869
; %bb.2868:
	global_store_byte v[2:3], v0, off
.LBB70_2869:
	s_mov_b64 s[10:11], -1
.LBB70_2870:
	s_andn2_b64 vcc, exec, s[10:11]
	s_cbranch_vccnz .LBB70_2947
; %bb.2871:
	v_mov_b32_e32 v0, s2
	v_cmp_lt_i32_e32 vcc, s15, v8
	v_cndmask_b32_e32 v2, v0, v10, vcc
	v_add_u32_e32 v0, s3, v4
	v_ashrrev_i32_e32 v1, 31, v0
	v_mov_b32_e32 v3, s9
	v_add_co_u32_e32 v0, vcc, s8, v0
	s_cmp_lt_i32 s24, 11
	v_addc_co_u32_e32 v1, vcc, v3, v1, vcc
	s_cbranch_scc1 .LBB70_2992
; %bb.2872:
	s_and_b32 s12, 0xffff, s24
	s_mov_b64 s[4:5], -1
	s_mov_b64 s[2:3], 0
	s_cmp_gt_i32 s12, 25
	s_mov_b64 s[0:1], 0
	s_cbranch_scc0 .LBB70_2905
; %bb.2873:
	s_cmp_gt_i32 s12, 28
	s_cbranch_scc0 .LBB70_2889
; %bb.2874:
	s_cmp_gt_i32 s12, 43
	;; [unrolled: 3-line block ×3, first 2 shown]
	s_cbranch_scc0 .LBB70_2879
; %bb.2876:
	s_cmp_eq_u32 s12, 46
	s_mov_b64 s[0:1], -1
	s_cbranch_scc0 .LBB70_2878
; %bb.2877:
	v_cvt_f32_i32_e32 v3, v2
	s_movk_i32 s0, 0x7fff
	v_bfe_u32 v4, v3, 16, 1
	v_add3_u32 v3, v3, v4, s0
	v_lshrrev_b32_e32 v3, 16, v3
	global_store_dword v[0:1], v3, off
	s_mov_b64 s[0:1], 0
.LBB70_2878:
	s_mov_b64 s[4:5], 0
.LBB70_2879:
	s_and_b64 vcc, exec, s[4:5]
	s_cbranch_vccz .LBB70_2884
; %bb.2880:
	s_cmp_eq_u32 s12, 44
	s_mov_b64 s[0:1], -1
	s_cbranch_scc0 .LBB70_2884
; %bb.2881:
	v_cvt_f32_i32_e32 v3, v2
	s_movk_i32 s0, 0xff
	v_mov_b32_e32 v5, 0xff
	v_bfe_u32 v4, v3, 23, 8
	v_cmp_ne_u32_e32 vcc, s0, v4
	s_and_saveexec_b64 s[4:5], vcc
; %bb.2882:
	s_mov_b32 s0, 0x3fffff
	v_lshrrev_b32_e32 v5, 23, v3
	v_and_b32_e32 v6, 0x400000, v3
	v_and_or_b32 v3, v3, s0, v4
	v_cmp_ne_u32_e32 vcc, 0, v6
	v_cmp_ne_u32_e64 s[0:1], 0, v3
	s_and_b64 s[0:1], vcc, s[0:1]
	v_cndmask_b32_e64 v3, 0, 1, s[0:1]
	v_add_u32_e32 v5, v5, v3
; %bb.2883:
	s_or_b64 exec, exec, s[4:5]
	s_mov_b64 s[0:1], 0
	global_store_byte v[0:1], v5, off
.LBB70_2884:
	s_mov_b64 s[4:5], 0
.LBB70_2885:
	s_and_b64 vcc, exec, s[4:5]
	s_cbranch_vccz .LBB70_2888
; %bb.2886:
	s_cmp_eq_u32 s12, 29
	s_mov_b64 s[0:1], -1
	s_cbranch_scc0 .LBB70_2888
; %bb.2887:
	v_ashrrev_i32_e32 v3, 31, v2
	global_store_dwordx2 v[0:1], v[2:3], off
	s_mov_b64 s[0:1], 0
.LBB70_2888:
	s_mov_b64 s[4:5], 0
.LBB70_2889:
	s_and_b64 vcc, exec, s[4:5]
	s_cbranch_vccz .LBB70_2904
; %bb.2890:
	s_cmp_lt_i32 s12, 27
	s_mov_b64 s[4:5], -1
	s_cbranch_scc1 .LBB70_2896
; %bb.2891:
	s_cmp_gt_i32 s12, 27
	s_cbranch_scc0 .LBB70_2893
; %bb.2892:
	global_store_dword v[0:1], v2, off
	s_mov_b64 s[4:5], 0
.LBB70_2893:
	s_andn2_b64 vcc, exec, s[4:5]
	s_cbranch_vccnz .LBB70_2895
; %bb.2894:
	global_store_short v[0:1], v2, off
.LBB70_2895:
	s_mov_b64 s[4:5], 0
.LBB70_2896:
	s_andn2_b64 vcc, exec, s[4:5]
	s_cbranch_vccnz .LBB70_2904
; %bb.2897:
	v_cvt_f32_i32_e32 v3, v2
	s_mov_b32 s4, 0x43800000
	v_mov_b32_e32 v5, 0x80
	v_and_b32_e32 v4, 0x7fffffff, v3
	v_cmp_gt_u32_e32 vcc, s4, v4
	s_and_saveexec_b64 s[4:5], vcc
	s_cbranch_execz .LBB70_2903
; %bb.2898:
	s_mov_b32 s8, 0x3bffffff
	v_cmp_lt_u32_e32 vcc, s8, v4
	s_mov_b64 s[8:9], 0
                                        ; implicit-def: $vgpr4
	s_and_saveexec_b64 s[10:11], vcc
	s_xor_b64 s[10:11], exec, s[10:11]
	s_cbranch_execz .LBB70_3009
; %bb.2899:
	v_bfe_u32 v4, v3, 20, 1
	s_mov_b32 s13, 0x487ffff
	v_add3_u32 v4, v3, v4, s13
	s_mov_b64 s[8:9], exec
	v_lshrrev_b32_e32 v4, 20, v4
	s_andn2_saveexec_b64 s[10:11], s[10:11]
	s_cbranch_execnz .LBB70_3010
.LBB70_2900:
	s_or_b64 exec, exec, s[10:11]
	v_mov_b32_e32 v5, 0
	s_and_saveexec_b64 s[10:11], s[8:9]
.LBB70_2901:
	v_lshrrev_b32_e32 v3, 24, v3
	s_movk_i32 s8, 0x80
	v_and_or_b32 v5, v3, s8, v4
.LBB70_2902:
	s_or_b64 exec, exec, s[10:11]
.LBB70_2903:
	s_or_b64 exec, exec, s[4:5]
	global_store_byte v[0:1], v5, off
.LBB70_2904:
	s_mov_b64 s[4:5], 0
.LBB70_2905:
	s_and_b64 vcc, exec, s[4:5]
	s_cbranch_vccz .LBB70_2945
; %bb.2906:
	s_cmp_gt_i32 s12, 22
	s_mov_b64 s[2:3], -1
	s_cbranch_scc0 .LBB70_2938
; %bb.2907:
	s_cmp_lt_i32 s12, 24
	s_cbranch_scc1 .LBB70_2927
; %bb.2908:
	s_cmp_gt_i32 s12, 24
	s_cbranch_scc0 .LBB70_2916
; %bb.2909:
	v_cvt_f32_i32_e32 v3, v2
	s_mov_b32 s2, 0x47800000
	v_mov_b32_e32 v5, 0x80
	v_and_b32_e32 v4, 0x7fffffff, v3
	v_cmp_gt_u32_e32 vcc, s2, v4
	s_and_saveexec_b64 s[2:3], vcc
	s_cbranch_execz .LBB70_2915
; %bb.2910:
	s_mov_b32 s4, 0x37ffffff
	v_cmp_lt_u32_e32 vcc, s4, v4
	s_mov_b64 s[4:5], 0
                                        ; implicit-def: $vgpr4
	s_and_saveexec_b64 s[8:9], vcc
	s_xor_b64 s[8:9], exec, s[8:9]
	s_cbranch_execz .LBB70_3012
; %bb.2911:
	v_bfe_u32 v4, v3, 21, 1
	s_mov_b32 s10, 0x88fffff
	v_add3_u32 v4, v3, v4, s10
	s_mov_b64 s[4:5], exec
	v_lshrrev_b32_e32 v4, 21, v4
	s_andn2_saveexec_b64 s[8:9], s[8:9]
	s_cbranch_execnz .LBB70_3013
.LBB70_2912:
	s_or_b64 exec, exec, s[8:9]
	v_mov_b32_e32 v5, 0
	s_and_saveexec_b64 s[8:9], s[4:5]
.LBB70_2913:
	v_lshrrev_b32_e32 v3, 24, v3
	s_movk_i32 s4, 0x80
	v_and_or_b32 v5, v3, s4, v4
.LBB70_2914:
	s_or_b64 exec, exec, s[8:9]
.LBB70_2915:
	s_or_b64 exec, exec, s[2:3]
	s_mov_b64 s[2:3], 0
	global_store_byte v[0:1], v5, off
.LBB70_2916:
	s_and_b64 vcc, exec, s[2:3]
	s_cbranch_vccz .LBB70_2926
; %bb.2917:
	v_cvt_f32_i32_e32 v3, v2
	s_mov_b32 s2, 0x43f00000
                                        ; implicit-def: $vgpr4
	v_and_b32_e32 v5, 0x7fffffff, v3
	v_cmp_gt_u32_e32 vcc, s2, v5
	s_and_saveexec_b64 s[2:3], vcc
	s_xor_b64 s[2:3], exec, s[2:3]
	s_cbranch_execz .LBB70_2923
; %bb.2918:
	s_mov_b32 s4, 0x3c7fffff
	v_cmp_lt_u32_e32 vcc, s4, v5
                                        ; implicit-def: $vgpr4
	s_and_saveexec_b64 s[4:5], vcc
	s_xor_b64 s[4:5], exec, s[4:5]
; %bb.2919:
	v_bfe_u32 v4, v3, 20, 1
	s_mov_b32 s8, 0x407ffff
	v_add3_u32 v4, v3, v4, s8
	v_lshrrev_b32_e32 v5, 20, v4
	v_and_b32_e32 v4, 0xff00000, v4
	s_mov_b32 s8, 0x7f00000
	v_mov_b32_e32 v6, 0x7e
	v_cmp_ne_u32_e32 vcc, s8, v4
	v_cndmask_b32_e32 v4, v6, v5, vcc
; %bb.2920:
	s_andn2_saveexec_b64 s[4:5], s[4:5]
; %bb.2921:
	s_mov_b32 s8, 0x46800000
	v_add_f32_e64 v4, |v3|, s8
; %bb.2922:
	s_or_b64 exec, exec, s[4:5]
                                        ; implicit-def: $vgpr5
.LBB70_2923:
	s_andn2_saveexec_b64 s[2:3], s[2:3]
; %bb.2924:
	s_mov_b32 s4, 0x7f800000
	v_mov_b32_e32 v4, 0x7e
	v_mov_b32_e32 v6, 0x7f
	v_cmp_lt_u32_e32 vcc, s4, v5
	v_cndmask_b32_e32 v4, v4, v6, vcc
; %bb.2925:
	s_or_b64 exec, exec, s[2:3]
	v_lshrrev_b32_e32 v3, 24, v3
	s_movk_i32 s2, 0x80
	v_and_or_b32 v3, v3, s2, v4
	global_store_byte v[0:1], v3, off
.LBB70_2926:
	s_mov_b64 s[2:3], 0
.LBB70_2927:
	s_andn2_b64 vcc, exec, s[2:3]
	s_cbranch_vccnz .LBB70_2937
; %bb.2928:
	v_cvt_f32_i32_e32 v3, v2
	s_mov_b32 s2, 0x47800000
                                        ; implicit-def: $vgpr4
	v_and_b32_e32 v5, 0x7fffffff, v3
	v_cmp_gt_u32_e32 vcc, s2, v5
	s_and_saveexec_b64 s[2:3], vcc
	s_xor_b64 s[2:3], exec, s[2:3]
	s_cbranch_execz .LBB70_2934
; %bb.2929:
	s_mov_b32 s4, 0x387fffff
	v_cmp_lt_u32_e32 vcc, s4, v5
                                        ; implicit-def: $vgpr4
	s_and_saveexec_b64 s[4:5], vcc
	s_xor_b64 s[4:5], exec, s[4:5]
; %bb.2930:
	v_bfe_u32 v4, v3, 21, 1
	s_mov_b32 s8, 0x80fffff
	v_add3_u32 v4, v3, v4, s8
	v_lshrrev_b32_e32 v4, 21, v4
; %bb.2931:
	s_andn2_saveexec_b64 s[4:5], s[4:5]
; %bb.2932:
	s_mov_b32 s8, 0x43000000
	v_add_f32_e64 v4, |v3|, s8
; %bb.2933:
	s_or_b64 exec, exec, s[4:5]
                                        ; implicit-def: $vgpr5
.LBB70_2934:
	s_andn2_saveexec_b64 s[2:3], s[2:3]
; %bb.2935:
	s_mov_b32 s4, 0x7f800000
	v_mov_b32_e32 v4, 0x7c
	v_mov_b32_e32 v6, 0x7f
	v_cmp_lt_u32_e32 vcc, s4, v5
	v_cndmask_b32_e32 v4, v4, v6, vcc
; %bb.2936:
	s_or_b64 exec, exec, s[2:3]
	v_lshrrev_b32_e32 v3, 24, v3
	s_movk_i32 s2, 0x80
	v_and_or_b32 v3, v3, s2, v4
	global_store_byte v[0:1], v3, off
.LBB70_2937:
	s_mov_b64 s[2:3], 0
.LBB70_2938:
	s_andn2_b64 vcc, exec, s[2:3]
	s_mov_b64 s[2:3], 0
	s_cbranch_vccnz .LBB70_2945
; %bb.2939:
	s_cmp_gt_i32 s12, 14
	s_mov_b64 s[4:5], -1
	s_cbranch_scc0 .LBB70_2943
; %bb.2940:
	s_cmp_eq_u32 s12, 15
	s_mov_b64 s[0:1], -1
	s_cbranch_scc0 .LBB70_2942
; %bb.2941:
	v_cvt_f32_i32_e32 v3, v2
	s_movk_i32 s0, 0x7fff
	v_bfe_u32 v4, v3, 16, 1
	v_add3_u32 v3, v3, v4, s0
	global_store_short_d16_hi v[0:1], v3, off
	s_mov_b64 s[0:1], 0
.LBB70_2942:
	s_mov_b64 s[4:5], 0
.LBB70_2943:
	s_and_b64 vcc, exec, s[4:5]
	s_cbranch_vccz .LBB70_2945
; %bb.2944:
	s_cmp_lg_u32 s12, 11
	s_mov_b64 s[2:3], -1
	s_cselect_b64 s[0:1], -1, 0
.LBB70_2945:
	s_and_b64 vcc, exec, s[0:1]
	s_cbranch_vccnz .LBB70_3011
.LBB70_2946:
	s_mov_b64 s[0:1], 0
	s_branch .LBB70_2948
.LBB70_2947:
	s_mov_b64 s[0:1], 0
	s_mov_b64 s[2:3], 0
                                        ; implicit-def: $sgpr24
                                        ; implicit-def: $vgpr0_vgpr1
                                        ; implicit-def: $vgpr2
.LBB70_2948:
	s_and_b64 s[4:5], s[2:3], exec
	s_andn2_b64 s[2:3], s[18:19], exec
	s_and_b64 s[8:9], s[20:21], exec
	s_and_b64 s[0:1], s[0:1], exec
	s_or_b64 s[18:19], s[2:3], s[8:9]
.LBB70_2949:
	s_or_b64 exec, exec, s[6:7]
	s_and_saveexec_b64 s[2:3], s[18:19]
	s_cbranch_execz .LBB70_2952
; %bb.2950:
	; divergent unreachable
	s_or_b64 exec, exec, s[2:3]
	s_and_saveexec_b64 s[2:3], s[4:5]
	s_xor_b64 s[2:3], exec, s[2:3]
	s_cbranch_execnz .LBB70_2953
.LBB70_2951:
	s_or_b64 exec, exec, s[2:3]
	s_and_saveexec_b64 s[2:3], s[0:1]
	s_cbranch_execnz .LBB70_2954
	s_branch .LBB70_2991
.LBB70_2952:
	s_or_b64 exec, exec, s[2:3]
	s_and_saveexec_b64 s[2:3], s[4:5]
	s_xor_b64 s[2:3], exec, s[2:3]
	s_cbranch_execz .LBB70_2951
.LBB70_2953:
	s_waitcnt vmcnt(0)
	v_cmp_ne_u32_e32 vcc, 0, v2
	v_cndmask_b32_e64 v3, 0, 1, vcc
	global_store_byte v[0:1], v3, off
	s_or_b64 exec, exec, s[2:3]
	s_and_saveexec_b64 s[2:3], s[0:1]
	s_cbranch_execz .LBB70_2991
.LBB70_2954:
	s_sext_i32_i16 s2, s24
	s_cmp_lt_i32 s2, 5
	s_mov_b64 s[0:1], -1
	s_cbranch_scc1 .LBB70_2975
; %bb.2955:
	s_cmp_lt_i32 s2, 8
	s_cbranch_scc1 .LBB70_2965
; %bb.2956:
	s_cmp_lt_i32 s2, 9
	s_cbranch_scc1 .LBB70_2962
; %bb.2957:
	s_cmp_gt_i32 s2, 9
	s_cbranch_scc0 .LBB70_2959
; %bb.2958:
	s_waitcnt vmcnt(0)
	v_cvt_f64_i32_e32 v[3:4], v2
	v_mov_b32_e32 v5, 0
	v_mov_b32_e32 v6, v5
	s_mov_b64 s[0:1], 0
	global_store_dwordx4 v[0:1], v[3:6], off
.LBB70_2959:
	s_andn2_b64 vcc, exec, s[0:1]
	s_cbranch_vccnz .LBB70_2961
; %bb.2960:
	s_waitcnt vmcnt(0)
	v_cvt_f32_i32_e32 v3, v2
	v_mov_b32_e32 v4, 0
	global_store_dwordx2 v[0:1], v[3:4], off
.LBB70_2961:
	s_mov_b64 s[0:1], 0
.LBB70_2962:
	s_andn2_b64 vcc, exec, s[0:1]
	s_cbranch_vccnz .LBB70_2964
; %bb.2963:
	s_waitcnt vmcnt(0)
	v_cvt_f32_i32_e32 v3, v2
	v_cvt_f16_f32_e32 v3, v3
	global_store_dword v[0:1], v3, off
.LBB70_2964:
	s_mov_b64 s[0:1], 0
.LBB70_2965:
	s_andn2_b64 vcc, exec, s[0:1]
	s_cbranch_vccnz .LBB70_2974
; %bb.2966:
	s_sext_i32_i16 s2, s24
	s_cmp_lt_i32 s2, 6
	s_mov_b64 s[0:1], -1
	s_cbranch_scc1 .LBB70_2972
; %bb.2967:
	s_cmp_gt_i32 s2, 6
	s_cbranch_scc0 .LBB70_2969
; %bb.2968:
	s_waitcnt vmcnt(0)
	v_cvt_f64_i32_e32 v[3:4], v2
	s_mov_b64 s[0:1], 0
	global_store_dwordx2 v[0:1], v[3:4], off
.LBB70_2969:
	s_andn2_b64 vcc, exec, s[0:1]
	s_cbranch_vccnz .LBB70_2971
; %bb.2970:
	s_waitcnt vmcnt(0)
	v_cvt_f32_i32_e32 v3, v2
	global_store_dword v[0:1], v3, off
.LBB70_2971:
	s_mov_b64 s[0:1], 0
.LBB70_2972:
	s_andn2_b64 vcc, exec, s[0:1]
	s_cbranch_vccnz .LBB70_2974
; %bb.2973:
	s_waitcnt vmcnt(0)
	v_cvt_f32_i32_e32 v3, v2
	v_cvt_f16_f32_e32 v3, v3
	global_store_short v[0:1], v3, off
.LBB70_2974:
	s_mov_b64 s[0:1], 0
.LBB70_2975:
	s_andn2_b64 vcc, exec, s[0:1]
	s_cbranch_vccnz .LBB70_2991
; %bb.2976:
	s_sext_i32_i16 s2, s24
	s_cmp_lt_i32 s2, 2
	s_mov_b64 s[0:1], -1
	s_cbranch_scc1 .LBB70_2986
; %bb.2977:
	s_cmp_lt_i32 s2, 3
	s_cbranch_scc1 .LBB70_2983
; %bb.2978:
	s_cmp_gt_i32 s2, 3
	s_cbranch_scc0 .LBB70_2980
; %bb.2979:
	s_waitcnt vmcnt(0)
	v_ashrrev_i32_e32 v3, 31, v2
	global_store_dwordx2 v[0:1], v[2:3], off
	s_mov_b64 s[0:1], 0
.LBB70_2980:
	s_andn2_b64 vcc, exec, s[0:1]
	s_cbranch_vccnz .LBB70_2982
; %bb.2981:
	s_waitcnt vmcnt(0)
	global_store_dword v[0:1], v2, off
.LBB70_2982:
	s_mov_b64 s[0:1], 0
.LBB70_2983:
	s_andn2_b64 vcc, exec, s[0:1]
	s_cbranch_vccnz .LBB70_2985
; %bb.2984:
	s_waitcnt vmcnt(0)
	global_store_short v[0:1], v2, off
.LBB70_2985:
	s_mov_b64 s[0:1], 0
.LBB70_2986:
	s_andn2_b64 vcc, exec, s[0:1]
	s_cbranch_vccnz .LBB70_2991
; %bb.2987:
	s_sext_i32_i16 s0, s24
	s_cmp_gt_i32 s0, 0
	s_mov_b64 s[0:1], -1
	s_cbranch_scc0 .LBB70_2989
; %bb.2988:
	s_waitcnt vmcnt(0)
	global_store_byte v[0:1], v2, off
	s_mov_b64 s[0:1], 0
.LBB70_2989:
	s_andn2_b64 vcc, exec, s[0:1]
	s_cbranch_vccnz .LBB70_2991
; %bb.2990:
	s_waitcnt vmcnt(0)
	global_store_byte v[0:1], v2, off
	s_endpgm
.LBB70_2991:
	s_endpgm
.LBB70_2992:
	s_mov_b64 s[2:3], 0
	s_mov_b64 s[0:1], -1
	s_branch .LBB70_2948
.LBB70_2993:
	s_trap 2
	s_or_b64 s[20:21], s[20:21], exec
	s_cbranch_execz .LBB70_2462
	s_branch .LBB70_2463
.LBB70_2994:
	s_andn2_saveexec_b64 s[22:23], s[22:23]
	s_cbranch_execz .LBB70_2542
.LBB70_2995:
	s_mov_b32 s13, 0x46000000
	v_add_f32_e64 v11, |v1|, s13
	v_and_b32_e32 v11, 0xff, v11
	v_cmp_ne_u32_e32 vcc, 0, v11
	s_andn2_b64 s[16:17], s[16:17], exec
	s_and_b64 s[26:27], vcc, exec
	s_or_b64 s[16:17], s[16:17], s[26:27]
	s_or_b64 exec, exec, s[22:23]
	v_mov_b32_e32 v12, 0
	s_and_saveexec_b64 s[22:23], s[16:17]
	s_cbranch_execnz .LBB70_2543
	s_branch .LBB70_2544
.LBB70_2996:
	s_trap 2
	s_or_b64 s[20:21], s[20:21], exec
	s_cbranch_execz .LBB70_2590
	s_branch .LBB70_2591
.LBB70_2997:
	s_andn2_saveexec_b64 s[16:17], s[16:17]
	s_cbranch_execz .LBB70_2555
.LBB70_2998:
	s_mov_b32 s13, 0x42800000
	v_add_f32_e64 v11, |v1|, s13
	v_and_b32_e32 v11, 0xff, v11
	v_cmp_ne_u32_e32 vcc, 0, v11
	s_andn2_b64 s[10:11], s[10:11], exec
	s_and_b64 s[22:23], vcc, exec
	s_or_b64 s[10:11], s[10:11], s[22:23]
	s_or_b64 exec, exec, s[16:17]
	v_mov_b32_e32 v12, 0
	s_and_saveexec_b64 s[16:17], s[10:11]
	s_cbranch_execnz .LBB70_2556
	s_branch .LBB70_2557
.LBB70_2999:
	s_andn2_saveexec_b64 s[16:17], s[16:17]
	s_cbranch_execz .LBB70_2661
.LBB70_3000:
	s_mov_b32 s22, 0x46000000
	v_add_f32_e64 v5, |v1|, s22
	v_and_b32_e32 v5, 0xff, v5
	v_cmp_ne_u32_e32 vcc, 0, v5
	s_andn2_b64 s[12:13], s[12:13], exec
	s_and_b64 s[22:23], vcc, exec
	s_or_b64 s[12:13], s[12:13], s[22:23]
	s_or_b64 exec, exec, s[16:17]
	v_mov_b32_e32 v7, 0
	s_and_saveexec_b64 s[16:17], s[12:13]
	s_cbranch_execnz .LBB70_2662
	s_branch .LBB70_2663
.LBB70_3001:
	s_trap 2
	s_or_b64 s[20:21], s[20:21], exec
	s_cbranch_execz .LBB70_2709
	s_branch .LBB70_2710
.LBB70_3002:
	s_andn2_saveexec_b64 s[12:13], s[12:13]
	s_cbranch_execz .LBB70_2674
.LBB70_3003:
	s_mov_b32 s16, 0x42800000
	v_add_f32_e64 v5, |v1|, s16
	v_and_b32_e32 v5, 0xff, v5
	v_cmp_ne_u32_e32 vcc, 0, v5
	s_andn2_b64 s[10:11], s[10:11], exec
	s_and_b64 s[16:17], vcc, exec
	s_or_b64 s[10:11], s[10:11], s[16:17]
	s_or_b64 exec, exec, s[12:13]
	v_mov_b32_e32 v7, 0
	s_and_saveexec_b64 s[12:13], s[10:11]
	s_cbranch_execnz .LBB70_2675
	s_branch .LBB70_2676
.LBB70_3004:
	s_andn2_saveexec_b64 s[16:17], s[16:17]
	s_cbranch_execz .LBB70_2780
.LBB70_3005:
	s_mov_b32 s22, 0x46000000
	v_add_f32_e64 v5, |v1|, s22
	v_and_b32_e32 v5, 0xff, v5
	v_cmp_ne_u32_e32 vcc, 0, v5
	s_andn2_b64 s[12:13], s[12:13], exec
	s_and_b64 s[22:23], vcc, exec
	s_or_b64 s[12:13], s[12:13], s[22:23]
	s_or_b64 exec, exec, s[16:17]
	v_mov_b32_e32 v6, 0
	s_and_saveexec_b64 s[16:17], s[12:13]
	s_cbranch_execnz .LBB70_2781
	s_branch .LBB70_2782
.LBB70_3006:
	s_trap 2
	s_or_b64 s[20:21], s[20:21], exec
	s_cbranch_execz .LBB70_2828
	s_branch .LBB70_2829
.LBB70_3007:
	s_andn2_saveexec_b64 s[12:13], s[12:13]
	s_cbranch_execz .LBB70_2793
.LBB70_3008:
	s_mov_b32 s16, 0x42800000
	v_add_f32_e64 v5, |v1|, s16
	v_and_b32_e32 v5, 0xff, v5
	v_cmp_ne_u32_e32 vcc, 0, v5
	s_andn2_b64 s[10:11], s[10:11], exec
	s_and_b64 s[16:17], vcc, exec
	s_or_b64 s[10:11], s[10:11], s[16:17]
	s_or_b64 exec, exec, s[12:13]
	v_mov_b32_e32 v6, 0
	s_and_saveexec_b64 s[12:13], s[10:11]
	s_cbranch_execnz .LBB70_2794
	s_branch .LBB70_2795
.LBB70_3009:
	s_andn2_saveexec_b64 s[10:11], s[10:11]
	s_cbranch_execz .LBB70_2900
.LBB70_3010:
	s_mov_b32 s13, 0x46000000
	v_add_f32_e64 v4, |v3|, s13
	v_and_b32_e32 v4, 0xff, v4
	v_cmp_ne_u32_e32 vcc, 0, v4
	s_andn2_b64 s[8:9], s[8:9], exec
	s_and_b64 s[14:15], vcc, exec
	s_or_b64 s[8:9], s[8:9], s[14:15]
	s_or_b64 exec, exec, s[10:11]
	v_mov_b32_e32 v5, 0
	s_and_saveexec_b64 s[10:11], s[8:9]
	s_cbranch_execnz .LBB70_2901
	s_branch .LBB70_2902
.LBB70_3011:
	s_mov_b64 s[2:3], 0
	s_or_b64 s[20:21], s[20:21], exec
	s_trap 2
	s_branch .LBB70_2946
.LBB70_3012:
	s_andn2_saveexec_b64 s[8:9], s[8:9]
	s_cbranch_execz .LBB70_2912
.LBB70_3013:
	s_mov_b32 s10, 0x42800000
	v_add_f32_e64 v4, |v3|, s10
	v_and_b32_e32 v4, 0xff, v4
	v_cmp_ne_u32_e32 vcc, 0, v4
	s_andn2_b64 s[4:5], s[4:5], exec
	s_and_b64 s[10:11], vcc, exec
	s_or_b64 s[4:5], s[4:5], s[10:11]
	s_or_b64 exec, exec, s[8:9]
	v_mov_b32_e32 v5, 0
	s_and_saveexec_b64 s[8:9], s[4:5]
	s_cbranch_execnz .LBB70_2913
	s_branch .LBB70_2914
	.section	.rodata,"a",@progbits
	.p2align	6, 0x0
	.amdhsa_kernel _ZN2at6native32elementwise_kernel_manual_unrollILi128ELi4EZNS0_15gpu_kernel_implINS0_13BinaryFunctorIiiiZNS0_12_GLOBAL__N_121threshold_kernel_implIiEEvRNS_18TensorIteratorBaseET_S8_EUliiE_EEEEvS7_RKS8_EUlibE_EEviT1_
		.amdhsa_group_segment_fixed_size 0
		.amdhsa_private_segment_fixed_size 0
		.amdhsa_kernarg_size 56
		.amdhsa_user_sgpr_count 6
		.amdhsa_user_sgpr_private_segment_buffer 1
		.amdhsa_user_sgpr_dispatch_ptr 0
		.amdhsa_user_sgpr_queue_ptr 0
		.amdhsa_user_sgpr_kernarg_segment_ptr 1
		.amdhsa_user_sgpr_dispatch_id 0
		.amdhsa_user_sgpr_flat_scratch_init 0
		.amdhsa_user_sgpr_private_segment_size 0
		.amdhsa_uses_dynamic_stack 0
		.amdhsa_system_sgpr_private_segment_wavefront_offset 0
		.amdhsa_system_sgpr_workgroup_id_x 1
		.amdhsa_system_sgpr_workgroup_id_y 0
		.amdhsa_system_sgpr_workgroup_id_z 0
		.amdhsa_system_sgpr_workgroup_info 0
		.amdhsa_system_vgpr_workitem_id 0
		.amdhsa_next_free_vgpr 16
		.amdhsa_next_free_sgpr 58
		.amdhsa_reserve_vcc 1
		.amdhsa_reserve_flat_scratch 0
		.amdhsa_float_round_mode_32 0
		.amdhsa_float_round_mode_16_64 0
		.amdhsa_float_denorm_mode_32 3
		.amdhsa_float_denorm_mode_16_64 3
		.amdhsa_dx10_clamp 1
		.amdhsa_ieee_mode 1
		.amdhsa_fp16_overflow 0
		.amdhsa_exception_fp_ieee_invalid_op 0
		.amdhsa_exception_fp_denorm_src 0
		.amdhsa_exception_fp_ieee_div_zero 0
		.amdhsa_exception_fp_ieee_overflow 0
		.amdhsa_exception_fp_ieee_underflow 0
		.amdhsa_exception_fp_ieee_inexact 0
		.amdhsa_exception_int_div_zero 0
	.end_amdhsa_kernel
	.section	.text._ZN2at6native32elementwise_kernel_manual_unrollILi128ELi4EZNS0_15gpu_kernel_implINS0_13BinaryFunctorIiiiZNS0_12_GLOBAL__N_121threshold_kernel_implIiEEvRNS_18TensorIteratorBaseET_S8_EUliiE_EEEEvS7_RKS8_EUlibE_EEviT1_,"axG",@progbits,_ZN2at6native32elementwise_kernel_manual_unrollILi128ELi4EZNS0_15gpu_kernel_implINS0_13BinaryFunctorIiiiZNS0_12_GLOBAL__N_121threshold_kernel_implIiEEvRNS_18TensorIteratorBaseET_S8_EUliiE_EEEEvS7_RKS8_EUlibE_EEviT1_,comdat
.Lfunc_end70:
	.size	_ZN2at6native32elementwise_kernel_manual_unrollILi128ELi4EZNS0_15gpu_kernel_implINS0_13BinaryFunctorIiiiZNS0_12_GLOBAL__N_121threshold_kernel_implIiEEvRNS_18TensorIteratorBaseET_S8_EUliiE_EEEEvS7_RKS8_EUlibE_EEviT1_, .Lfunc_end70-_ZN2at6native32elementwise_kernel_manual_unrollILi128ELi4EZNS0_15gpu_kernel_implINS0_13BinaryFunctorIiiiZNS0_12_GLOBAL__N_121threshold_kernel_implIiEEvRNS_18TensorIteratorBaseET_S8_EUliiE_EEEEvS7_RKS8_EUlibE_EEviT1_
                                        ; -- End function
	.set _ZN2at6native32elementwise_kernel_manual_unrollILi128ELi4EZNS0_15gpu_kernel_implINS0_13BinaryFunctorIiiiZNS0_12_GLOBAL__N_121threshold_kernel_implIiEEvRNS_18TensorIteratorBaseET_S8_EUliiE_EEEEvS7_RKS8_EUlibE_EEviT1_.num_vgpr, 16
	.set _ZN2at6native32elementwise_kernel_manual_unrollILi128ELi4EZNS0_15gpu_kernel_implINS0_13BinaryFunctorIiiiZNS0_12_GLOBAL__N_121threshold_kernel_implIiEEvRNS_18TensorIteratorBaseET_S8_EUliiE_EEEEvS7_RKS8_EUlibE_EEviT1_.num_agpr, 0
	.set _ZN2at6native32elementwise_kernel_manual_unrollILi128ELi4EZNS0_15gpu_kernel_implINS0_13BinaryFunctorIiiiZNS0_12_GLOBAL__N_121threshold_kernel_implIiEEvRNS_18TensorIteratorBaseET_S8_EUliiE_EEEEvS7_RKS8_EUlibE_EEviT1_.numbered_sgpr, 58
	.set _ZN2at6native32elementwise_kernel_manual_unrollILi128ELi4EZNS0_15gpu_kernel_implINS0_13BinaryFunctorIiiiZNS0_12_GLOBAL__N_121threshold_kernel_implIiEEvRNS_18TensorIteratorBaseET_S8_EUliiE_EEEEvS7_RKS8_EUlibE_EEviT1_.num_named_barrier, 0
	.set _ZN2at6native32elementwise_kernel_manual_unrollILi128ELi4EZNS0_15gpu_kernel_implINS0_13BinaryFunctorIiiiZNS0_12_GLOBAL__N_121threshold_kernel_implIiEEvRNS_18TensorIteratorBaseET_S8_EUliiE_EEEEvS7_RKS8_EUlibE_EEviT1_.private_seg_size, 0
	.set _ZN2at6native32elementwise_kernel_manual_unrollILi128ELi4EZNS0_15gpu_kernel_implINS0_13BinaryFunctorIiiiZNS0_12_GLOBAL__N_121threshold_kernel_implIiEEvRNS_18TensorIteratorBaseET_S8_EUliiE_EEEEvS7_RKS8_EUlibE_EEviT1_.uses_vcc, 1
	.set _ZN2at6native32elementwise_kernel_manual_unrollILi128ELi4EZNS0_15gpu_kernel_implINS0_13BinaryFunctorIiiiZNS0_12_GLOBAL__N_121threshold_kernel_implIiEEvRNS_18TensorIteratorBaseET_S8_EUliiE_EEEEvS7_RKS8_EUlibE_EEviT1_.uses_flat_scratch, 0
	.set _ZN2at6native32elementwise_kernel_manual_unrollILi128ELi4EZNS0_15gpu_kernel_implINS0_13BinaryFunctorIiiiZNS0_12_GLOBAL__N_121threshold_kernel_implIiEEvRNS_18TensorIteratorBaseET_S8_EUliiE_EEEEvS7_RKS8_EUlibE_EEviT1_.has_dyn_sized_stack, 0
	.set _ZN2at6native32elementwise_kernel_manual_unrollILi128ELi4EZNS0_15gpu_kernel_implINS0_13BinaryFunctorIiiiZNS0_12_GLOBAL__N_121threshold_kernel_implIiEEvRNS_18TensorIteratorBaseET_S8_EUliiE_EEEEvS7_RKS8_EUlibE_EEviT1_.has_recursion, 0
	.set _ZN2at6native32elementwise_kernel_manual_unrollILi128ELi4EZNS0_15gpu_kernel_implINS0_13BinaryFunctorIiiiZNS0_12_GLOBAL__N_121threshold_kernel_implIiEEvRNS_18TensorIteratorBaseET_S8_EUliiE_EEEEvS7_RKS8_EUlibE_EEviT1_.has_indirect_call, 0
	.section	.AMDGPU.csdata,"",@progbits
; Kernel info:
; codeLenInByte = 43584
; TotalNumSgprs: 62
; NumVgprs: 16
; ScratchSize: 0
; MemoryBound: 1
; FloatMode: 240
; IeeeMode: 1
; LDSByteSize: 0 bytes/workgroup (compile time only)
; SGPRBlocks: 7
; VGPRBlocks: 3
; NumSGPRsForWavesPerEU: 62
; NumVGPRsForWavesPerEU: 16
; Occupancy: 10
; WaveLimiterHint : 0
; COMPUTE_PGM_RSRC2:SCRATCH_EN: 0
; COMPUTE_PGM_RSRC2:USER_SGPR: 6
; COMPUTE_PGM_RSRC2:TRAP_HANDLER: 0
; COMPUTE_PGM_RSRC2:TGID_X_EN: 1
; COMPUTE_PGM_RSRC2:TGID_Y_EN: 0
; COMPUTE_PGM_RSRC2:TGID_Z_EN: 0
; COMPUTE_PGM_RSRC2:TIDIG_COMP_CNT: 0
	.section	.text._ZN2at6native32elementwise_kernel_manual_unrollILi128ELi4EZNS0_15gpu_kernel_implINS0_13BinaryFunctorIiiiZNS0_12_GLOBAL__N_121threshold_kernel_implIiEEvRNS_18TensorIteratorBaseET_S8_EUliiE_EEEEvS7_RKS8_EUlibE0_EEviT1_,"axG",@progbits,_ZN2at6native32elementwise_kernel_manual_unrollILi128ELi4EZNS0_15gpu_kernel_implINS0_13BinaryFunctorIiiiZNS0_12_GLOBAL__N_121threshold_kernel_implIiEEvRNS_18TensorIteratorBaseET_S8_EUliiE_EEEEvS7_RKS8_EUlibE0_EEviT1_,comdat
	.globl	_ZN2at6native32elementwise_kernel_manual_unrollILi128ELi4EZNS0_15gpu_kernel_implINS0_13BinaryFunctorIiiiZNS0_12_GLOBAL__N_121threshold_kernel_implIiEEvRNS_18TensorIteratorBaseET_S8_EUliiE_EEEEvS7_RKS8_EUlibE0_EEviT1_ ; -- Begin function _ZN2at6native32elementwise_kernel_manual_unrollILi128ELi4EZNS0_15gpu_kernel_implINS0_13BinaryFunctorIiiiZNS0_12_GLOBAL__N_121threshold_kernel_implIiEEvRNS_18TensorIteratorBaseET_S8_EUliiE_EEEEvS7_RKS8_EUlibE0_EEviT1_
	.p2align	8
	.type	_ZN2at6native32elementwise_kernel_manual_unrollILi128ELi4EZNS0_15gpu_kernel_implINS0_13BinaryFunctorIiiiZNS0_12_GLOBAL__N_121threshold_kernel_implIiEEvRNS_18TensorIteratorBaseET_S8_EUliiE_EEEEvS7_RKS8_EUlibE0_EEviT1_,@function
_ZN2at6native32elementwise_kernel_manual_unrollILi128ELi4EZNS0_15gpu_kernel_implINS0_13BinaryFunctorIiiiZNS0_12_GLOBAL__N_121threshold_kernel_implIiEEvRNS_18TensorIteratorBaseET_S8_EUliiE_EEEEvS7_RKS8_EUlibE0_EEviT1_: ; @_ZN2at6native32elementwise_kernel_manual_unrollILi128ELi4EZNS0_15gpu_kernel_implINS0_13BinaryFunctorIiiiZNS0_12_GLOBAL__N_121threshold_kernel_implIiEEvRNS_18TensorIteratorBaseET_S8_EUliiE_EEEEvS7_RKS8_EUlibE0_EEviT1_
; %bb.0:
	s_load_dword s68, s[4:5], 0x0
	s_load_dword s33, s[4:5], 0x8
	s_add_u32 s2, s4, 8
	s_addc_u32 s3, s5, 0
	v_lshl_or_b32 v8, s6, 9, v0
	v_or_b32_e32 v23, 0x180, v8
	s_waitcnt lgkmcnt(0)
	s_add_i32 s70, s33, -1
	s_cmp_gt_u32 s70, 1
	v_cmp_le_i32_e32 vcc, s68, v23
	s_cselect_b64 s[24:25], -1, 0
	s_mov_b64 s[6:7], 0
	s_mov_b64 s[12:13], 0
	s_and_saveexec_b64 s[0:1], vcc
	s_xor_b64 s[26:27], exec, s[0:1]
	s_cbranch_execz .LBB71_1557
; %bb.1:
	s_load_dwordx8 s[8:15], s[2:3], 0x188
	s_cmp_lg_u32 s33, 0
	s_load_dwordx4 s[16:19], s[2:3], 0x4
	s_load_dwordx2 s[28:29], s[2:3], 0x14
	s_load_dword s71, s[2:3], 0x1a8
	s_load_dwordx4 s[20:23], s[2:3], 0xc4
	s_load_dwordx2 s[30:31], s[2:3], 0xd4
	s_cselect_b64 s[36:37], -1, 0
	s_min_u32 s74, s70, 15
	s_cmp_gt_u32 s33, 1
	s_cselect_b64 s[34:35], -1, 0
	s_waitcnt lgkmcnt(0)
	s_lshr_b32 s73, s71, 8
	s_lshr_b32 s72, s71, 16
	v_cmp_gt_i32_e32 vcc, s68, v8
	s_mov_b64 s[0:1], -1
	s_mov_b64 s[48:49], 0
	s_mov_b64 s[42:43], 0
	;; [unrolled: 1-line block ×4, first 2 shown]
	s_and_saveexec_b64 s[44:45], vcc
	s_cbranch_execz .LBB71_386
; %bb.2:
	s_andn2_b64 vcc, exec, s[24:25]
	s_cbranch_vccnz .LBB71_8
; %bb.3:
	s_andn2_b64 vcc, exec, s[36:37]
	s_cbranch_vccnz .LBB71_9
; %bb.4:
	s_add_i32 s0, s74, 1
	s_and_b32 s38, s0, 30
	s_add_u32 s0, s2, 0xffffffe8
	s_addc_u32 s1, s3, -1
	v_mov_b32_e32 v2, 0
	v_mov_b32_e32 v4, 0
	;; [unrolled: 1-line block ×4, first 2 shown]
.LBB71_5:                               ; =>This Inner Loop Header: Depth=1
	s_load_dwordx4 s[40:43], s[0:1], 0x1c
	s_load_dwordx2 s[46:47], s[0:1], 0x2c
	s_load_dwordx2 s[50:51], s[0:1], 0xec
	s_load_dwordx4 s[52:55], s[0:1], 0xdc
	s_add_u32 s0, s0, 24
	s_waitcnt lgkmcnt(0)
	v_mul_hi_u32 v3, s41, v1
	s_addc_u32 s1, s1, 0
	s_add_i32 s38, s38, -2
	s_cmp_lg_u32 s38, 0
	v_add_u32_e32 v3, v1, v3
	v_lshrrev_b32_e32 v3, s42, v3
	v_mul_lo_u32 v5, v3, s40
	v_mul_hi_u32 v6, s46, v3
	v_sub_u32_e32 v5, v1, v5
	v_add_u32_e32 v1, v3, v6
	v_lshrrev_b32_e32 v1, s47, v1
	v_mul_lo_u32 v9, v1, s43
	v_mul_lo_u32 v6, v5, s52
	;; [unrolled: 1-line block ×4, first 2 shown]
	v_sub_u32_e32 v3, v3, v9
	v_mul_lo_u32 v9, v3, s55
	v_mul_lo_u32 v10, v3, s50
	;; [unrolled: 1-line block ×3, first 2 shown]
	v_add3_u32 v0, v6, v0, v9
	v_add3_u32 v4, v7, v4, v10
	;; [unrolled: 1-line block ×3, first 2 shown]
	s_cbranch_scc1 .LBB71_5
; %bb.6:
	s_bitcmp1_b32 s74, 0
	s_cselect_b64 s[38:39], -1, 0
	s_and_b64 vcc, exec, s[38:39]
	s_cbranch_vccnz .LBB71_10
; %bb.7:
	s_load_dwordx2 s[38:39], s[0:1], 0x1c
	s_load_dword s42, s[0:1], 0x24
	s_load_dwordx2 s[40:41], s[0:1], 0xdc
	s_waitcnt lgkmcnt(0)
	v_mul_hi_u32 v3, s39, v1
	v_add_u32_e32 v3, v1, v3
	v_lshrrev_b32_e32 v3, s42, v3
	v_mul_lo_u32 v3, v3, s38
	s_load_dword s38, s[0:1], 0xe4
	v_sub_u32_e32 v3, v1, v3
	v_mad_u64_u32 v[0:1], s[0:1], v3, s40, v[0:1]
	v_mad_u64_u32 v[4:5], s[0:1], v3, s41, v[4:5]
	s_waitcnt lgkmcnt(0)
	v_mad_u64_u32 v[2:3], s[0:1], v3, s38, v[2:3]
	s_cbranch_execz .LBB71_11
	s_branch .LBB71_13
.LBB71_8:
                                        ; implicit-def: $vgpr0
                                        ; implicit-def: $vgpr4
                                        ; implicit-def: $vgpr2
	s_andn2_b64 vcc, exec, s[0:1]
	s_cbranch_vccz .LBB71_11
	s_branch .LBB71_13
.LBB71_9:
	v_mov_b32_e32 v0, 0
	v_mov_b32_e32 v4, 0
	;; [unrolled: 1-line block ×3, first 2 shown]
.LBB71_10:
	s_cbranch_execnz .LBB71_13
.LBB71_11:
	v_mul_hi_u32 v0, s17, v8
	s_andn2_b64 vcc, exec, s[34:35]
	v_add_u32_e32 v0, v8, v0
	v_lshrrev_b32_e32 v1, s18, v0
	v_mul_lo_u32 v0, v1, s16
	v_sub_u32_e32 v2, v8, v0
	v_mul_lo_u32 v0, v2, s20
	v_mul_lo_u32 v4, v2, s21
	;; [unrolled: 1-line block ×3, first 2 shown]
	s_cbranch_vccnz .LBB71_13
; %bb.12:
	v_mul_hi_u32 v3, s28, v1
	v_add_u32_e32 v3, v1, v3
	v_lshrrev_b32_e32 v3, s29, v3
	v_mul_lo_u32 v3, v3, s19
	v_sub_u32_e32 v3, v1, v3
	v_mad_u64_u32 v[0:1], s[0:1], v3, s23, v[0:1]
	v_mad_u64_u32 v[4:5], s[0:1], v3, s30, v[4:5]
	;; [unrolled: 1-line block ×3, first 2 shown]
.LBB71_13:
	v_mov_b32_e32 v1, s11
	s_and_b32 s40, s73, 0xff
	v_add_co_u32_e32 v3, vcc, s10, v4
	s_cmp_lt_i32 s40, 11
	v_addc_co_u32_e32 v4, vcc, 0, v1, vcc
	s_cbranch_scc1 .LBB71_20
; %bb.14:
	s_and_b32 s41, 0xffff, s40
	s_cmp_gt_i32 s41, 25
	s_cbranch_scc0 .LBB71_29
; %bb.15:
	s_cmp_gt_i32 s41, 28
	s_cbranch_scc0 .LBB71_39
; %bb.16:
	;; [unrolled: 3-line block ×4, first 2 shown]
	s_cmp_eq_u32 s41, 46
	s_mov_b64 s[38:39], 0
	s_cbranch_scc0 .LBB71_48
; %bb.19:
	global_load_dword v1, v[3:4], off
	s_mov_b64 s[0:1], -1
	s_mov_b64 s[42:43], 0
	s_waitcnt vmcnt(0)
	v_lshlrev_b32_e32 v1, 16, v1
	v_cvt_i32_f32_e32 v5, v1
	s_branch .LBB71_50
.LBB71_20:
	s_mov_b64 s[42:43], 0
                                        ; implicit-def: $vgpr5
	s_mov_b64 s[0:1], 0
	s_cbranch_execnz .LBB71_112
.LBB71_21:
	s_andn2_b64 vcc, exec, s[0:1]
	s_cbranch_vccnz .LBB71_159
.LBB71_22:
	v_mov_b32_e32 v3, s13
	s_and_b32 s46, s72, 0xff
	v_add_co_u32_e32 v1, vcc, s12, v2
	s_cmp_lt_i32 s46, 11
	v_addc_co_u32_e32 v2, vcc, 0, v3, vcc
	s_cbranch_scc1 .LBB71_30
; %bb.23:
	s_and_b32 s47, 0xffff, s46
	s_cmp_gt_i32 s47, 25
	s_cbranch_scc0 .LBB71_40
; %bb.24:
	s_cmp_gt_i32 s47, 28
	s_cbranch_scc0 .LBB71_43
; %bb.25:
	;; [unrolled: 3-line block ×4, first 2 shown]
	s_cmp_eq_u32 s47, 46
	s_mov_b64 s[38:39], 0
	s_cbranch_scc0 .LBB71_160
; %bb.28:
	global_load_dword v3, v[1:2], off
	s_mov_b64 s[0:1], -1
	s_mov_b64 s[40:41], 0
	s_waitcnt vmcnt(0)
	v_lshlrev_b32_e32 v3, 16, v3
	v_cvt_i32_f32_e32 v3, v3
	s_branch .LBB71_162
.LBB71_29:
	s_mov_b64 s[42:43], 0
	s_mov_b64 s[0:1], 0
                                        ; implicit-def: $vgpr5
	s_cbranch_execnz .LBB71_79
	s_branch .LBB71_111
.LBB71_30:
	s_mov_b64 s[40:41], 0
                                        ; implicit-def: $vgpr3
	s_mov_b64 s[0:1], 0
	s_cbranch_execnz .LBB71_335
.LBB71_31:
	s_andn2_b64 vcc, exec, s[0:1]
	s_cbranch_vccnz .LBB71_383
.LBB71_32:
	v_mov_b32_e32 v1, s15
	s_waitcnt vmcnt(0)
	v_cmp_lt_i32_e32 vcc, s14, v5
	v_cndmask_b32_e32 v1, v1, v3, vcc
	v_mov_b32_e32 v2, s9
	s_and_b32 s52, s71, 0xff
	v_add_co_u32_e32 v3, vcc, s8, v0
	s_cmp_lt_i32 s52, 11
	v_addc_co_u32_e32 v4, vcc, 0, v2, vcc
	s_cbranch_scc1 .LBB71_41
; %bb.33:
	s_and_b32 s53, 0xffff, s52
	s_cmp_gt_i32 s53, 25
	s_cbranch_scc0 .LBB71_44
; %bb.34:
	s_cmp_gt_i32 s53, 28
	s_cbranch_scc0 .LBB71_47
; %bb.35:
	;; [unrolled: 3-line block ×4, first 2 shown]
	s_mov_b64 s[46:47], 0
	s_mov_b64 s[0:1], -1
	s_cmp_eq_u32 s53, 46
	s_mov_b64 s[38:39], 0
	s_cbranch_scc0 .LBB71_166
; %bb.38:
	v_cvt_f32_i32_e32 v0, v1
	s_movk_i32 s0, 0x7fff
	s_mov_b64 s[38:39], -1
	v_bfe_u32 v2, v0, 16, 1
	v_add3_u32 v0, v0, v2, s0
	v_lshrrev_b32_e32 v0, 16, v0
	global_store_dword v[3:4], v0, off
	s_mov_b64 s[0:1], 0
	s_branch .LBB71_166
.LBB71_39:
	s_mov_b64 s[38:39], -1
	s_mov_b64 s[42:43], 0
	s_mov_b64 s[0:1], 0
                                        ; implicit-def: $vgpr5
	s_branch .LBB71_62
.LBB71_40:
	s_mov_b64 s[38:39], -1
	s_mov_b64 s[40:41], 0
	s_mov_b64 s[0:1], 0
                                        ; implicit-def: $vgpr3
	s_branch .LBB71_301
.LBB71_41:
	s_mov_b64 s[46:47], -1
	s_mov_b64 s[0:1], 0
	s_mov_b64 s[38:39], 0
	s_branch .LBB71_235
.LBB71_42:
	s_mov_b64 s[38:39], -1
	s_mov_b64 s[42:43], 0
	s_mov_b64 s[0:1], 0
                                        ; implicit-def: $vgpr5
	s_branch .LBB71_57
.LBB71_43:
	s_mov_b64 s[38:39], -1
	s_mov_b64 s[40:41], 0
	s_mov_b64 s[0:1], 0
                                        ; implicit-def: $vgpr3
	s_branch .LBB71_284
.LBB71_44:
	s_mov_b64 s[46:47], -1
	s_mov_b64 s[0:1], 0
	s_mov_b64 s[38:39], 0
	s_branch .LBB71_193
.LBB71_45:
	s_mov_b64 s[38:39], -1
	s_mov_b64 s[42:43], 0
	s_branch .LBB71_49
.LBB71_46:
	s_mov_b64 s[38:39], -1
	s_mov_b64 s[40:41], 0
	s_mov_b64 s[0:1], 0
                                        ; implicit-def: $vgpr3
	s_branch .LBB71_279
.LBB71_47:
	s_mov_b64 s[46:47], -1
	s_mov_b64 s[0:1], 0
	s_mov_b64 s[38:39], 0
	s_branch .LBB71_176
.LBB71_48:
	s_mov_b64 s[42:43], -1
.LBB71_49:
	s_mov_b64 s[0:1], 0
                                        ; implicit-def: $vgpr5
.LBB71_50:
	s_and_b64 vcc, exec, s[38:39]
	s_cbranch_vccz .LBB71_56
; %bb.51:
	s_cmp_eq_u32 s41, 44
	s_cbranch_scc0 .LBB71_55
; %bb.52:
	global_load_ubyte v1, v[3:4], off
	s_mov_b64 s[0:1], -1
	s_mov_b64 s[42:43], 0
	s_waitcnt vmcnt(0)
	v_lshlrev_b32_e32 v5, 23, v1
	v_cvt_i32_f32_e32 v5, v5
	v_cmp_ne_u32_e32 vcc, 0, v1
	v_cndmask_b32_e32 v5, 0, v5, vcc
	s_branch .LBB71_56
.LBB71_53:
	s_mov_b64 s[38:39], -1
	s_mov_b64 s[40:41], 0
	s_branch .LBB71_161
.LBB71_54:
	s_mov_b64 s[46:47], -1
	s_mov_b64 s[0:1], 0
	s_mov_b64 s[38:39], 0
	s_branch .LBB71_172
.LBB71_55:
	s_mov_b64 s[42:43], -1
                                        ; implicit-def: $vgpr5
.LBB71_56:
	s_mov_b64 s[38:39], 0
.LBB71_57:
	s_and_b64 vcc, exec, s[38:39]
	s_cbranch_vccz .LBB71_61
; %bb.58:
	s_cmp_eq_u32 s41, 29
	s_cbranch_scc0 .LBB71_60
; %bb.59:
	global_load_dword v5, v[3:4], off
	s_mov_b64 s[0:1], -1
	s_mov_b64 s[42:43], 0
	s_branch .LBB71_61
.LBB71_60:
	s_mov_b64 s[42:43], -1
                                        ; implicit-def: $vgpr5
.LBB71_61:
	s_mov_b64 s[38:39], 0
.LBB71_62:
	s_and_b64 vcc, exec, s[38:39]
	s_cbranch_vccz .LBB71_78
; %bb.63:
	s_cmp_lt_i32 s41, 27
	s_cbranch_scc1 .LBB71_66
; %bb.64:
	s_cmp_gt_i32 s41, 27
	s_cbranch_scc0 .LBB71_67
; %bb.65:
	global_load_dword v5, v[3:4], off
	s_mov_b64 s[0:1], 0
	s_branch .LBB71_68
.LBB71_66:
	s_mov_b64 s[0:1], -1
                                        ; implicit-def: $vgpr5
	s_branch .LBB71_71
.LBB71_67:
	s_mov_b64 s[0:1], -1
                                        ; implicit-def: $vgpr5
.LBB71_68:
	s_andn2_b64 vcc, exec, s[0:1]
	s_cbranch_vccnz .LBB71_70
; %bb.69:
	global_load_ushort v5, v[3:4], off
.LBB71_70:
	s_mov_b64 s[0:1], 0
.LBB71_71:
	s_andn2_b64 vcc, exec, s[0:1]
	s_cbranch_vccnz .LBB71_77
; %bb.72:
	global_load_ubyte v1, v[3:4], off
	s_movk_i32 s0, 0x7f
	s_mov_b64 s[38:39], 0
	s_waitcnt vmcnt(0)
	v_cmp_lt_i16_e32 vcc, s0, v1
	s_and_saveexec_b64 s[0:1], vcc
	s_xor_b64 s[0:1], exec, s[0:1]
	s_cbranch_execz .LBB71_88
; %bb.73:
	s_movk_i32 s38, 0x80
	v_cmp_ne_u16_e32 vcc, s38, v1
	s_and_b64 s[38:39], vcc, exec
	s_andn2_saveexec_b64 s[0:1], s[0:1]
	s_cbranch_execnz .LBB71_89
.LBB71_74:
	s_or_b64 exec, exec, s[0:1]
	v_mov_b32_e32 v5, 0
	s_and_saveexec_b64 s[0:1], s[38:39]
	s_cbranch_execz .LBB71_76
.LBB71_75:
	v_lshlrev_b32_e32 v5, 24, v1
	v_and_b32_e32 v1, 0xffff, v1
	v_and_b32_e32 v6, 7, v1
	v_ffbh_u32_e32 v9, v6
	v_min_u32_e32 v9, 32, v9
	v_subrev_u32_e32 v10, 28, v9
	v_bfe_u32 v7, v1, 3, 4
	v_lshlrev_b32_e32 v1, v10, v1
	v_sub_u32_e32 v9, 29, v9
	v_and_b32_e32 v1, 7, v1
	v_cmp_eq_u32_e32 vcc, 0, v7
	v_cndmask_b32_e32 v7, v7, v9, vcc
	v_cndmask_b32_e32 v1, v6, v1, vcc
	v_mov_b32_e32 v6, 0x3b800000
	v_lshlrev_b32_e32 v1, 20, v1
	v_and_b32_e32 v5, 0x80000000, v5
	v_lshl_add_u32 v6, v7, 23, v6
	v_or3_b32 v1, v5, v6, v1
	v_cvt_i32_f32_e32 v5, v1
.LBB71_76:
	s_or_b64 exec, exec, s[0:1]
.LBB71_77:
	s_mov_b64 s[0:1], -1
.LBB71_78:
	s_branch .LBB71_111
.LBB71_79:
	s_cmp_gt_i32 s41, 22
	s_cbranch_scc0 .LBB71_87
; %bb.80:
	s_cmp_lt_i32 s41, 24
	s_cbranch_scc1 .LBB71_90
; %bb.81:
	s_cmp_gt_i32 s41, 24
	s_cbranch_scc0 .LBB71_91
; %bb.82:
	global_load_ubyte v1, v[3:4], off
	s_movk_i32 s0, 0x7f
	s_mov_b64 s[38:39], 0
	s_waitcnt vmcnt(0)
	v_cmp_lt_i16_e32 vcc, s0, v1
	s_and_saveexec_b64 s[0:1], vcc
	s_xor_b64 s[0:1], exec, s[0:1]
	s_cbranch_execz .LBB71_103
; %bb.83:
	s_movk_i32 s38, 0x80
	v_cmp_ne_u16_e32 vcc, s38, v1
	s_and_b64 s[38:39], vcc, exec
	s_andn2_saveexec_b64 s[0:1], s[0:1]
	s_cbranch_execnz .LBB71_104
.LBB71_84:
	s_or_b64 exec, exec, s[0:1]
	v_mov_b32_e32 v5, 0
	s_and_saveexec_b64 s[0:1], s[38:39]
	s_cbranch_execz .LBB71_86
.LBB71_85:
	v_lshlrev_b32_e32 v5, 24, v1
	v_and_b32_e32 v1, 0xffff, v1
	v_and_b32_e32 v6, 3, v1
	v_ffbh_u32_e32 v9, v6
	v_min_u32_e32 v9, 32, v9
	v_subrev_u32_e32 v10, 29, v9
	v_bfe_u32 v7, v1, 2, 5
	v_lshlrev_b32_e32 v1, v10, v1
	v_sub_u32_e32 v9, 30, v9
	v_and_b32_e32 v1, 3, v1
	v_cmp_eq_u32_e32 vcc, 0, v7
	v_cndmask_b32_e32 v7, v7, v9, vcc
	v_cndmask_b32_e32 v1, v6, v1, vcc
	v_mov_b32_e32 v6, 0x37800000
	v_lshlrev_b32_e32 v1, 21, v1
	v_and_b32_e32 v5, 0x80000000, v5
	v_lshl_add_u32 v6, v7, 23, v6
	v_or3_b32 v1, v5, v6, v1
	v_cvt_i32_f32_e32 v5, v1
.LBB71_86:
	s_or_b64 exec, exec, s[0:1]
	s_mov_b64 s[0:1], 0
	s_branch .LBB71_92
.LBB71_87:
	s_mov_b64 s[38:39], -1
                                        ; implicit-def: $vgpr5
	s_branch .LBB71_98
.LBB71_88:
	s_andn2_saveexec_b64 s[0:1], s[0:1]
	s_cbranch_execz .LBB71_74
.LBB71_89:
	v_cmp_ne_u16_e32 vcc, 0, v1
	s_andn2_b64 s[38:39], s[38:39], exec
	s_and_b64 s[46:47], vcc, exec
	s_or_b64 s[38:39], s[38:39], s[46:47]
	s_or_b64 exec, exec, s[0:1]
	v_mov_b32_e32 v5, 0
	s_and_saveexec_b64 s[0:1], s[38:39]
	s_cbranch_execnz .LBB71_75
	s_branch .LBB71_76
.LBB71_90:
	s_mov_b64 s[0:1], -1
                                        ; implicit-def: $vgpr5
	s_branch .LBB71_95
.LBB71_91:
	s_mov_b64 s[0:1], -1
                                        ; implicit-def: $vgpr5
.LBB71_92:
	s_and_b64 vcc, exec, s[0:1]
	s_cbranch_vccz .LBB71_94
; %bb.93:
	global_load_ubyte v1, v[3:4], off
	s_mov_b32 s0, 0x7f800000
	s_waitcnt vmcnt(0)
	v_lshlrev_b32_e32 v1, 24, v1
	v_and_b32_e32 v5, 0x7f000000, v1
	v_ffbh_u32_e32 v6, v5
	v_min_u32_e32 v6, 32, v6
	v_sub_u32_e64 v6, v6, 4 clamp
	v_lshlrev_b32_e32 v9, v6, v5
	v_lshlrev_b32_e32 v6, 23, v6
	v_lshrrev_b32_e32 v9, 4, v9
	v_add_u32_e32 v7, 0x1000000, v5
	v_sub_u32_e32 v6, v9, v6
	v_ashrrev_i32_e32 v7, 8, v7
	v_add_u32_e32 v6, 0x3c000000, v6
	v_and_or_b32 v6, v7, s0, v6
	v_cmp_ne_u32_e32 vcc, 0, v5
	v_cndmask_b32_e32 v5, 0, v6, vcc
	s_brev_b32 s0, 1
	v_and_or_b32 v1, v1, s0, v5
	v_cvt_i32_f32_e32 v5, v1
.LBB71_94:
	s_mov_b64 s[0:1], 0
.LBB71_95:
	s_andn2_b64 vcc, exec, s[0:1]
	s_cbranch_vccnz .LBB71_97
; %bb.96:
	global_load_ubyte v1, v[3:4], off
	s_movk_i32 s0, 0x7f00
	s_brev_b32 s1, 16
	s_waitcnt vmcnt(0)
	v_lshlrev_b16_e32 v5, 8, v1
	v_lshlrev_b32_e32 v1, 25, v1
	v_lshrrev_b32_e32 v6, 4, v1
	v_and_or_b32 v7, v5, s0, 0.5
	v_or_b32_e32 v6, 0x70000000, v6
	v_add_f32_e32 v7, -0.5, v7
	v_mul_f32_e32 v6, 0x7800000, v6
	v_cmp_gt_u32_e32 vcc, s1, v1
	v_bfe_i32 v5, v5, 0, 16
	v_cndmask_b32_e32 v1, v6, v7, vcc
	s_brev_b32 s0, 1
	v_and_or_b32 v1, v5, s0, v1
	v_cvt_i32_f32_e32 v5, v1
.LBB71_97:
	s_mov_b64 s[38:39], 0
	s_mov_b64 s[0:1], -1
.LBB71_98:
	s_andn2_b64 vcc, exec, s[38:39]
	s_cbranch_vccnz .LBB71_111
; %bb.99:
	s_cmp_gt_i32 s41, 14
	s_cbranch_scc0 .LBB71_102
; %bb.100:
	s_cmp_eq_u32 s41, 15
	s_cbranch_scc0 .LBB71_105
; %bb.101:
	global_load_ushort v1, v[3:4], off
	s_mov_b64 s[0:1], -1
	s_mov_b64 s[42:43], 0
	s_waitcnt vmcnt(0)
	v_lshlrev_b32_e32 v1, 16, v1
	v_cvt_i32_f32_e32 v5, v1
	s_branch .LBB71_106
.LBB71_102:
	s_mov_b64 s[38:39], -1
                                        ; implicit-def: $vgpr5
	s_branch .LBB71_107
.LBB71_103:
	s_andn2_saveexec_b64 s[0:1], s[0:1]
	s_cbranch_execz .LBB71_84
.LBB71_104:
	v_cmp_ne_u16_e32 vcc, 0, v1
	s_andn2_b64 s[38:39], s[38:39], exec
	s_and_b64 s[46:47], vcc, exec
	s_or_b64 s[38:39], s[38:39], s[46:47]
	s_or_b64 exec, exec, s[0:1]
	v_mov_b32_e32 v5, 0
	s_and_saveexec_b64 s[0:1], s[38:39]
	s_cbranch_execnz .LBB71_85
	s_branch .LBB71_86
.LBB71_105:
	s_mov_b64 s[42:43], -1
                                        ; implicit-def: $vgpr5
.LBB71_106:
	s_mov_b64 s[38:39], 0
.LBB71_107:
	s_and_b64 vcc, exec, s[38:39]
	s_cbranch_vccz .LBB71_111
; %bb.108:
	s_cmp_eq_u32 s41, 11
	s_cbranch_scc0 .LBB71_110
; %bb.109:
	global_load_ubyte v1, v[3:4], off
	s_mov_b64 s[0:1], -1
	s_mov_b64 s[42:43], 0
	s_waitcnt vmcnt(0)
	v_cmp_ne_u16_e32 vcc, 0, v1
	v_cndmask_b32_e64 v5, 0, 1, vcc
	s_branch .LBB71_111
.LBB71_110:
	s_mov_b64 s[42:43], -1
                                        ; implicit-def: $vgpr5
.LBB71_111:
	s_branch .LBB71_21
.LBB71_112:
	s_and_b32 s38, 0xffff, s40
	s_cmp_lt_i32 s38, 5
	s_cbranch_scc1 .LBB71_117
; %bb.113:
	s_cmp_lt_i32 s38, 8
	s_cbranch_scc1 .LBB71_118
; %bb.114:
	;; [unrolled: 3-line block ×3, first 2 shown]
	s_cmp_gt_i32 s38, 9
	s_cbranch_scc0 .LBB71_120
; %bb.116:
	global_load_dwordx2 v[5:6], v[3:4], off
	s_mov_b64 s[0:1], 0
	s_waitcnt vmcnt(0)
	v_cvt_i32_f64_e32 v5, v[5:6]
	s_branch .LBB71_121
.LBB71_117:
                                        ; implicit-def: $vgpr5
	s_branch .LBB71_139
.LBB71_118:
	s_mov_b64 s[0:1], -1
                                        ; implicit-def: $vgpr5
	s_branch .LBB71_127
.LBB71_119:
	s_mov_b64 s[0:1], -1
                                        ; implicit-def: $vgpr5
	s_branch .LBB71_124
.LBB71_120:
	s_mov_b64 s[0:1], -1
                                        ; implicit-def: $vgpr5
.LBB71_121:
	s_andn2_b64 vcc, exec, s[0:1]
	s_cbranch_vccnz .LBB71_123
; %bb.122:
	global_load_dword v1, v[3:4], off
	s_waitcnt vmcnt(0)
	v_cvt_i32_f32_e32 v5, v1
.LBB71_123:
	s_mov_b64 s[0:1], 0
.LBB71_124:
	s_andn2_b64 vcc, exec, s[0:1]
	s_cbranch_vccnz .LBB71_126
; %bb.125:
	global_load_dword v1, v[3:4], off
	s_waitcnt vmcnt(0)
	v_cvt_f32_f16_e32 v1, v1
	v_cvt_i32_f32_e32 v5, v1
.LBB71_126:
	s_mov_b64 s[0:1], 0
.LBB71_127:
	s_andn2_b64 vcc, exec, s[0:1]
	s_cbranch_vccnz .LBB71_138
; %bb.128:
	s_cmp_lt_i32 s38, 6
	s_cbranch_scc1 .LBB71_131
; %bb.129:
	s_cmp_gt_i32 s38, 6
	s_cbranch_scc0 .LBB71_132
; %bb.130:
	global_load_dwordx2 v[5:6], v[3:4], off
	s_mov_b64 s[0:1], 0
	s_waitcnt vmcnt(0)
	v_cvt_i32_f64_e32 v5, v[5:6]
	s_branch .LBB71_133
.LBB71_131:
	s_mov_b64 s[0:1], -1
                                        ; implicit-def: $vgpr5
	s_branch .LBB71_136
.LBB71_132:
	s_mov_b64 s[0:1], -1
                                        ; implicit-def: $vgpr5
.LBB71_133:
	s_andn2_b64 vcc, exec, s[0:1]
	s_cbranch_vccnz .LBB71_135
; %bb.134:
	global_load_dword v1, v[3:4], off
	s_waitcnt vmcnt(0)
	v_cvt_i32_f32_e32 v5, v1
.LBB71_135:
	s_mov_b64 s[0:1], 0
.LBB71_136:
	s_andn2_b64 vcc, exec, s[0:1]
	s_cbranch_vccnz .LBB71_138
; %bb.137:
	global_load_ushort v1, v[3:4], off
	s_waitcnt vmcnt(0)
	v_cvt_f32_f16_e32 v1, v1
	v_cvt_i32_f32_e32 v5, v1
.LBB71_138:
	s_cbranch_execnz .LBB71_158
.LBB71_139:
	s_cmp_lt_i32 s38, 2
	s_cbranch_scc1 .LBB71_143
; %bb.140:
	s_cmp_lt_i32 s38, 3
	s_cbranch_scc1 .LBB71_144
; %bb.141:
	s_cmp_gt_i32 s38, 3
	s_cbranch_scc0 .LBB71_145
; %bb.142:
	global_load_dword v5, v[3:4], off
	s_mov_b64 s[0:1], 0
	s_branch .LBB71_146
.LBB71_143:
	s_mov_b64 s[0:1], -1
                                        ; implicit-def: $vgpr5
	s_branch .LBB71_152
.LBB71_144:
	s_mov_b64 s[0:1], -1
                                        ; implicit-def: $vgpr5
	s_branch .LBB71_149
.LBB71_145:
	s_mov_b64 s[0:1], -1
                                        ; implicit-def: $vgpr5
.LBB71_146:
	s_andn2_b64 vcc, exec, s[0:1]
	s_cbranch_vccnz .LBB71_148
; %bb.147:
	global_load_dword v5, v[3:4], off
.LBB71_148:
	s_mov_b64 s[0:1], 0
.LBB71_149:
	s_andn2_b64 vcc, exec, s[0:1]
	s_cbranch_vccnz .LBB71_151
; %bb.150:
	global_load_sshort v5, v[3:4], off
.LBB71_151:
	s_mov_b64 s[0:1], 0
.LBB71_152:
	s_andn2_b64 vcc, exec, s[0:1]
	s_cbranch_vccnz .LBB71_158
; %bb.153:
	s_cmp_gt_i32 s38, 0
	s_cbranch_scc0 .LBB71_155
; %bb.154:
	global_load_sbyte v5, v[3:4], off
	s_mov_b64 s[0:1], 0
	s_branch .LBB71_156
.LBB71_155:
	s_mov_b64 s[0:1], -1
                                        ; implicit-def: $vgpr5
.LBB71_156:
	s_andn2_b64 vcc, exec, s[0:1]
	s_cbranch_vccnz .LBB71_158
; %bb.157:
	global_load_ubyte v5, v[3:4], off
.LBB71_158:
	s_branch .LBB71_22
.LBB71_159:
	s_mov_b64 s[0:1], 0
	s_mov_b64 s[40:41], 0
	s_branch .LBB71_384
.LBB71_160:
	s_mov_b64 s[40:41], -1
.LBB71_161:
	s_mov_b64 s[0:1], 0
                                        ; implicit-def: $vgpr3
.LBB71_162:
	s_and_b64 vcc, exec, s[38:39]
	s_cbranch_vccz .LBB71_278
; %bb.163:
	s_cmp_eq_u32 s47, 44
	s_cbranch_scc0 .LBB71_277
; %bb.164:
	global_load_ubyte v3, v[1:2], off
	s_mov_b64 s[0:1], -1
	s_mov_b64 s[40:41], 0
	s_waitcnt vmcnt(0)
	v_lshlrev_b32_e32 v4, 23, v3
	v_cvt_i32_f32_e32 v4, v4
	v_cmp_ne_u32_e32 vcc, 0, v3
	v_cndmask_b32_e32 v3, 0, v4, vcc
	s_branch .LBB71_278
.LBB71_165:
	s_mov_b64 s[46:47], -1
	s_mov_b64 s[0:1], 0
	s_mov_b64 s[38:39], 0
.LBB71_166:
	s_and_b64 vcc, exec, s[46:47]
	s_cbranch_vccz .LBB71_171
; %bb.167:
	s_cmp_eq_u32 s53, 44
	s_mov_b64 s[0:1], -1
	s_cbranch_scc0 .LBB71_171
; %bb.168:
	v_cvt_f32_i32_e32 v0, v1
	s_movk_i32 s0, 0xff
	v_mov_b32_e32 v5, 0xff
	v_bfe_u32 v2, v0, 23, 8
	v_cmp_ne_u32_e32 vcc, s0, v2
	s_and_saveexec_b64 s[38:39], vcc
; %bb.169:
	s_mov_b32 s0, 0x3fffff
	v_lshrrev_b32_e32 v5, 23, v0
	v_and_b32_e32 v6, 0x400000, v0
	v_and_or_b32 v0, v0, s0, v2
	v_cmp_ne_u32_e32 vcc, 0, v6
	v_cmp_ne_u32_e64 s[0:1], 0, v0
	s_and_b64 s[0:1], vcc, s[0:1]
	v_cndmask_b32_e64 v0, 0, 1, s[0:1]
	v_add_u32_e32 v5, v5, v0
; %bb.170:
	s_or_b64 exec, exec, s[38:39]
	s_mov_b64 s[38:39], -1
	s_mov_b64 s[0:1], 0
	global_store_byte v[3:4], v5, off
.LBB71_171:
	s_mov_b64 s[46:47], 0
.LBB71_172:
	s_and_b64 vcc, exec, s[46:47]
	s_cbranch_vccz .LBB71_175
; %bb.173:
	s_cmp_eq_u32 s53, 29
	s_mov_b64 s[0:1], -1
	s_cbranch_scc0 .LBB71_175
; %bb.174:
	v_ashrrev_i32_e32 v2, 31, v1
	global_store_dwordx2 v[3:4], v[1:2], off
	s_mov_b64 s[38:39], -1
	s_mov_b64 s[0:1], 0
.LBB71_175:
	s_mov_b64 s[46:47], 0
.LBB71_176:
	s_and_b64 vcc, exec, s[46:47]
	s_cbranch_vccz .LBB71_192
; %bb.177:
	s_cmp_lt_i32 s53, 27
	s_mov_b64 s[38:39], -1
	s_cbranch_scc1 .LBB71_183
; %bb.178:
	s_cmp_gt_i32 s53, 27
	s_cbranch_scc0 .LBB71_180
; %bb.179:
	s_mov_b64 s[38:39], 0
	global_store_dword v[3:4], v1, off
.LBB71_180:
	s_andn2_b64 vcc, exec, s[38:39]
	s_cbranch_vccnz .LBB71_182
; %bb.181:
	global_store_short v[3:4], v1, off
.LBB71_182:
	s_mov_b64 s[38:39], 0
.LBB71_183:
	s_andn2_b64 vcc, exec, s[38:39]
	s_cbranch_vccnz .LBB71_191
; %bb.184:
	v_cvt_f32_i32_e32 v0, v1
	s_mov_b32 s38, 0x43800000
	v_mov_b32_e32 v5, 0x80
	v_and_b32_e32 v2, 0x7fffffff, v0
	v_cmp_gt_u32_e32 vcc, s38, v2
	s_and_saveexec_b64 s[38:39], vcc
	s_cbranch_execz .LBB71_190
; %bb.185:
	s_mov_b32 s46, 0x3bffffff
	v_cmp_lt_u32_e32 vcc, s46, v2
	s_mov_b64 s[46:47], 0
                                        ; implicit-def: $vgpr2
	s_and_saveexec_b64 s[50:51], vcc
	s_xor_b64 s[50:51], exec, s[50:51]
	s_cbranch_execz .LBB71_426
; %bb.186:
	v_bfe_u32 v2, v0, 20, 1
	s_mov_b32 s54, 0x487ffff
	v_add3_u32 v2, v0, v2, s54
	s_mov_b64 s[46:47], exec
	v_lshrrev_b32_e32 v2, 20, v2
	s_andn2_saveexec_b64 s[50:51], s[50:51]
	s_cbranch_execnz .LBB71_427
.LBB71_187:
	s_or_b64 exec, exec, s[50:51]
	v_mov_b32_e32 v5, 0
	s_and_saveexec_b64 s[50:51], s[46:47]
.LBB71_188:
	v_lshrrev_b32_e32 v0, 24, v0
	s_movk_i32 s46, 0x80
	v_and_or_b32 v5, v0, s46, v2
.LBB71_189:
	s_or_b64 exec, exec, s[50:51]
.LBB71_190:
	s_or_b64 exec, exec, s[38:39]
	global_store_byte v[3:4], v5, off
.LBB71_191:
	s_mov_b64 s[38:39], -1
.LBB71_192:
	s_mov_b64 s[46:47], 0
.LBB71_193:
	s_and_b64 vcc, exec, s[46:47]
	s_cbranch_vccz .LBB71_234
; %bb.194:
	s_cmp_gt_i32 s53, 22
	s_mov_b64 s[46:47], -1
	s_cbranch_scc0 .LBB71_226
; %bb.195:
	s_cmp_lt_i32 s53, 24
	s_mov_b64 s[38:39], -1
	s_cbranch_scc1 .LBB71_215
; %bb.196:
	s_cmp_gt_i32 s53, 24
	s_cbranch_scc0 .LBB71_204
; %bb.197:
	v_cvt_f32_i32_e32 v0, v1
	s_mov_b32 s38, 0x47800000
	v_mov_b32_e32 v5, 0x80
	v_and_b32_e32 v2, 0x7fffffff, v0
	v_cmp_gt_u32_e32 vcc, s38, v2
	s_and_saveexec_b64 s[38:39], vcc
	s_cbranch_execz .LBB71_203
; %bb.198:
	s_mov_b32 s46, 0x37ffffff
	v_cmp_lt_u32_e32 vcc, s46, v2
	s_mov_b64 s[46:47], 0
                                        ; implicit-def: $vgpr2
	s_and_saveexec_b64 s[50:51], vcc
	s_xor_b64 s[50:51], exec, s[50:51]
	s_cbranch_execz .LBB71_541
; %bb.199:
	v_bfe_u32 v2, v0, 21, 1
	s_mov_b32 s54, 0x88fffff
	v_add3_u32 v2, v0, v2, s54
	s_mov_b64 s[46:47], exec
	v_lshrrev_b32_e32 v2, 21, v2
	s_andn2_saveexec_b64 s[50:51], s[50:51]
	s_cbranch_execnz .LBB71_542
.LBB71_200:
	s_or_b64 exec, exec, s[50:51]
	v_mov_b32_e32 v5, 0
	s_and_saveexec_b64 s[50:51], s[46:47]
.LBB71_201:
	v_lshrrev_b32_e32 v0, 24, v0
	s_movk_i32 s46, 0x80
	v_and_or_b32 v5, v0, s46, v2
.LBB71_202:
	s_or_b64 exec, exec, s[50:51]
.LBB71_203:
	s_or_b64 exec, exec, s[38:39]
	s_mov_b64 s[38:39], 0
	global_store_byte v[3:4], v5, off
.LBB71_204:
	s_and_b64 vcc, exec, s[38:39]
	s_cbranch_vccz .LBB71_214
; %bb.205:
	v_cvt_f32_i32_e32 v0, v1
	s_mov_b32 s38, 0x43f00000
                                        ; implicit-def: $vgpr2
	v_and_b32_e32 v5, 0x7fffffff, v0
	v_cmp_gt_u32_e32 vcc, s38, v5
	s_and_saveexec_b64 s[38:39], vcc
	s_xor_b64 s[38:39], exec, s[38:39]
	s_cbranch_execz .LBB71_211
; %bb.206:
	s_mov_b32 s46, 0x3c7fffff
	v_cmp_lt_u32_e32 vcc, s46, v5
                                        ; implicit-def: $vgpr2
	s_and_saveexec_b64 s[46:47], vcc
	s_xor_b64 s[46:47], exec, s[46:47]
; %bb.207:
	v_bfe_u32 v2, v0, 20, 1
	s_mov_b32 s50, 0x407ffff
	v_add3_u32 v2, v0, v2, s50
	v_lshrrev_b32_e32 v5, 20, v2
	v_and_b32_e32 v2, 0xff00000, v2
	s_mov_b32 s50, 0x7f00000
	v_mov_b32_e32 v6, 0x7e
	v_cmp_ne_u32_e32 vcc, s50, v2
	v_cndmask_b32_e32 v2, v6, v5, vcc
; %bb.208:
	s_andn2_saveexec_b64 s[46:47], s[46:47]
; %bb.209:
	s_mov_b32 s50, 0x46800000
	v_add_f32_e64 v2, |v0|, s50
; %bb.210:
	s_or_b64 exec, exec, s[46:47]
                                        ; implicit-def: $vgpr5
.LBB71_211:
	s_andn2_saveexec_b64 s[38:39], s[38:39]
; %bb.212:
	s_mov_b32 s46, 0x7f800000
	v_mov_b32_e32 v2, 0x7e
	v_mov_b32_e32 v6, 0x7f
	v_cmp_lt_u32_e32 vcc, s46, v5
	v_cndmask_b32_e32 v2, v2, v6, vcc
; %bb.213:
	s_or_b64 exec, exec, s[38:39]
	v_lshrrev_b32_e32 v0, 24, v0
	s_movk_i32 s38, 0x80
	v_and_or_b32 v0, v0, s38, v2
	global_store_byte v[3:4], v0, off
.LBB71_214:
	s_mov_b64 s[38:39], 0
.LBB71_215:
	s_andn2_b64 vcc, exec, s[38:39]
	s_cbranch_vccnz .LBB71_225
; %bb.216:
	v_cvt_f32_i32_e32 v0, v1
	s_mov_b32 s38, 0x47800000
                                        ; implicit-def: $vgpr2
	v_and_b32_e32 v5, 0x7fffffff, v0
	v_cmp_gt_u32_e32 vcc, s38, v5
	s_and_saveexec_b64 s[38:39], vcc
	s_xor_b64 s[38:39], exec, s[38:39]
	s_cbranch_execz .LBB71_222
; %bb.217:
	s_mov_b32 s46, 0x387fffff
	v_cmp_lt_u32_e32 vcc, s46, v5
                                        ; implicit-def: $vgpr2
	s_and_saveexec_b64 s[46:47], vcc
	s_xor_b64 s[46:47], exec, s[46:47]
; %bb.218:
	v_bfe_u32 v2, v0, 21, 1
	s_mov_b32 s50, 0x80fffff
	v_add3_u32 v2, v0, v2, s50
	v_lshrrev_b32_e32 v2, 21, v2
; %bb.219:
	s_andn2_saveexec_b64 s[46:47], s[46:47]
; %bb.220:
	s_mov_b32 s50, 0x43000000
	v_add_f32_e64 v2, |v0|, s50
; %bb.221:
	s_or_b64 exec, exec, s[46:47]
                                        ; implicit-def: $vgpr5
.LBB71_222:
	s_andn2_saveexec_b64 s[38:39], s[38:39]
; %bb.223:
	s_mov_b32 s46, 0x7f800000
	v_mov_b32_e32 v2, 0x7c
	v_mov_b32_e32 v6, 0x7f
	v_cmp_lt_u32_e32 vcc, s46, v5
	v_cndmask_b32_e32 v2, v2, v6, vcc
; %bb.224:
	s_or_b64 exec, exec, s[38:39]
	v_lshrrev_b32_e32 v0, 24, v0
	s_movk_i32 s38, 0x80
	v_and_or_b32 v0, v0, s38, v2
	global_store_byte v[3:4], v0, off
.LBB71_225:
	s_mov_b64 s[46:47], 0
	s_mov_b64 s[38:39], -1
.LBB71_226:
	s_andn2_b64 vcc, exec, s[46:47]
	s_cbranch_vccnz .LBB71_234
; %bb.227:
	s_cmp_gt_i32 s53, 14
	s_mov_b64 s[46:47], -1
	s_cbranch_scc0 .LBB71_231
; %bb.228:
	s_cmp_eq_u32 s53, 15
	s_mov_b64 s[0:1], -1
	s_cbranch_scc0 .LBB71_230
; %bb.229:
	v_cvt_f32_i32_e32 v0, v1
	s_movk_i32 s0, 0x7fff
	s_mov_b64 s[38:39], -1
	v_bfe_u32 v2, v0, 16, 1
	v_add3_u32 v0, v0, v2, s0
	global_store_short_d16_hi v[3:4], v0, off
	s_mov_b64 s[0:1], 0
.LBB71_230:
	s_mov_b64 s[46:47], 0
.LBB71_231:
	s_and_b64 vcc, exec, s[46:47]
	s_cbranch_vccz .LBB71_234
; %bb.232:
	s_cmp_eq_u32 s53, 11
	s_mov_b64 s[0:1], -1
	s_cbranch_scc0 .LBB71_234
; %bb.233:
	v_cmp_ne_u32_e32 vcc, 0, v1
	v_cndmask_b32_e64 v0, 0, 1, vcc
	s_mov_b64 s[38:39], -1
	s_mov_b64 s[0:1], 0
	global_store_byte v[3:4], v0, off
.LBB71_234:
	s_mov_b64 s[46:47], 0
.LBB71_235:
	s_and_b64 vcc, exec, s[46:47]
	s_cbranch_vccz .LBB71_274
; %bb.236:
	s_and_b32 s46, 0xffff, s52
	s_cmp_lt_i32 s46, 5
	s_mov_b64 s[38:39], -1
	s_cbranch_scc1 .LBB71_257
; %bb.237:
	s_cmp_lt_i32 s46, 8
	s_cbranch_scc1 .LBB71_247
; %bb.238:
	s_cmp_lt_i32 s46, 9
	s_cbranch_scc1 .LBB71_244
; %bb.239:
	s_cmp_gt_i32 s46, 9
	s_cbranch_scc0 .LBB71_241
; %bb.240:
	v_cvt_f64_i32_e32 v[9:10], v1
	v_mov_b32_e32 v11, 0
	v_mov_b32_e32 v12, v11
	s_mov_b64 s[38:39], 0
	global_store_dwordx4 v[3:4], v[9:12], off
.LBB71_241:
	s_andn2_b64 vcc, exec, s[38:39]
	s_cbranch_vccnz .LBB71_243
; %bb.242:
	v_cvt_f32_i32_e32 v5, v1
	v_mov_b32_e32 v6, 0
	global_store_dwordx2 v[3:4], v[5:6], off
.LBB71_243:
	s_mov_b64 s[38:39], 0
.LBB71_244:
	s_andn2_b64 vcc, exec, s[38:39]
	s_cbranch_vccnz .LBB71_246
; %bb.245:
	v_cvt_f32_i32_e32 v0, v1
	v_cvt_f16_f32_e32 v0, v0
	global_store_dword v[3:4], v0, off
.LBB71_246:
	s_mov_b64 s[38:39], 0
.LBB71_247:
	s_andn2_b64 vcc, exec, s[38:39]
	s_cbranch_vccnz .LBB71_256
; %bb.248:
	s_cmp_lt_i32 s46, 6
	s_mov_b64 s[38:39], -1
	s_cbranch_scc1 .LBB71_254
; %bb.249:
	s_cmp_gt_i32 s46, 6
	s_cbranch_scc0 .LBB71_251
; %bb.250:
	v_cvt_f64_i32_e32 v[5:6], v1
	s_mov_b64 s[38:39], 0
	global_store_dwordx2 v[3:4], v[5:6], off
.LBB71_251:
	s_andn2_b64 vcc, exec, s[38:39]
	s_cbranch_vccnz .LBB71_253
; %bb.252:
	v_cvt_f32_i32_e32 v0, v1
	global_store_dword v[3:4], v0, off
.LBB71_253:
	s_mov_b64 s[38:39], 0
.LBB71_254:
	s_andn2_b64 vcc, exec, s[38:39]
	s_cbranch_vccnz .LBB71_256
; %bb.255:
	v_cvt_f32_i32_e32 v0, v1
	v_cvt_f16_f32_e32 v0, v0
	global_store_short v[3:4], v0, off
.LBB71_256:
	s_mov_b64 s[38:39], 0
.LBB71_257:
	s_andn2_b64 vcc, exec, s[38:39]
	s_cbranch_vccnz .LBB71_273
; %bb.258:
	s_cmp_lt_i32 s46, 2
	s_mov_b64 s[38:39], -1
	s_cbranch_scc1 .LBB71_268
; %bb.259:
	s_cmp_lt_i32 s46, 3
	s_cbranch_scc1 .LBB71_265
; %bb.260:
	s_cmp_gt_i32 s46, 3
	s_cbranch_scc0 .LBB71_262
; %bb.261:
	v_ashrrev_i32_e32 v2, 31, v1
	global_store_dwordx2 v[3:4], v[1:2], off
	s_mov_b64 s[38:39], 0
.LBB71_262:
	s_andn2_b64 vcc, exec, s[38:39]
	s_cbranch_vccnz .LBB71_264
; %bb.263:
	global_store_dword v[3:4], v1, off
.LBB71_264:
	s_mov_b64 s[38:39], 0
.LBB71_265:
	s_andn2_b64 vcc, exec, s[38:39]
	s_cbranch_vccnz .LBB71_267
; %bb.266:
	global_store_short v[3:4], v1, off
.LBB71_267:
	s_mov_b64 s[38:39], 0
.LBB71_268:
	s_andn2_b64 vcc, exec, s[38:39]
	s_cbranch_vccnz .LBB71_273
; %bb.269:
	s_cmp_gt_i32 s46, 0
	s_mov_b64 s[38:39], -1
	s_cbranch_scc0 .LBB71_271
; %bb.270:
	global_store_byte v[3:4], v1, off
	s_mov_b64 s[38:39], 0
.LBB71_271:
	s_andn2_b64 vcc, exec, s[38:39]
	s_cbranch_vccnz .LBB71_273
; %bb.272:
	global_store_byte v[3:4], v1, off
.LBB71_273:
	s_mov_b64 s[38:39], -1
.LBB71_274:
	s_andn2_b64 vcc, exec, s[38:39]
	s_cbranch_vccnz .LBB71_276
; %bb.275:
	v_add_u32_e32 v8, 0x80, v8
	s_mov_b64 s[46:47], -1
	s_branch .LBB71_385
.LBB71_276:
	s_mov_b64 s[46:47], 0
                                        ; implicit-def: $vgpr8
	s_branch .LBB71_385
.LBB71_277:
	s_mov_b64 s[40:41], -1
                                        ; implicit-def: $vgpr3
.LBB71_278:
	s_mov_b64 s[38:39], 0
.LBB71_279:
	s_and_b64 vcc, exec, s[38:39]
	s_cbranch_vccz .LBB71_283
; %bb.280:
	s_cmp_eq_u32 s47, 29
	s_cbranch_scc0 .LBB71_282
; %bb.281:
	global_load_dword v3, v[1:2], off
	s_mov_b64 s[0:1], -1
	s_mov_b64 s[40:41], 0
	s_branch .LBB71_283
.LBB71_282:
	s_mov_b64 s[40:41], -1
                                        ; implicit-def: $vgpr3
.LBB71_283:
	s_mov_b64 s[38:39], 0
.LBB71_284:
	s_and_b64 vcc, exec, s[38:39]
	s_cbranch_vccz .LBB71_300
; %bb.285:
	s_cmp_lt_i32 s47, 27
	s_cbranch_scc1 .LBB71_288
; %bb.286:
	s_cmp_gt_i32 s47, 27
	s_cbranch_scc0 .LBB71_289
; %bb.287:
	global_load_dword v3, v[1:2], off
	s_mov_b64 s[0:1], 0
	s_branch .LBB71_290
.LBB71_288:
	s_mov_b64 s[0:1], -1
                                        ; implicit-def: $vgpr3
	s_branch .LBB71_293
.LBB71_289:
	s_mov_b64 s[0:1], -1
                                        ; implicit-def: $vgpr3
.LBB71_290:
	s_andn2_b64 vcc, exec, s[0:1]
	s_cbranch_vccnz .LBB71_292
; %bb.291:
	global_load_ushort v3, v[1:2], off
.LBB71_292:
	s_mov_b64 s[0:1], 0
.LBB71_293:
	s_andn2_b64 vcc, exec, s[0:1]
	s_cbranch_vccnz .LBB71_299
; %bb.294:
	global_load_ubyte v4, v[1:2], off
	s_movk_i32 s0, 0x7f
	s_mov_b64 s[38:39], 0
	s_waitcnt vmcnt(0)
	v_cmp_lt_i16_e32 vcc, s0, v4
	s_and_saveexec_b64 s[0:1], vcc
	s_xor_b64 s[0:1], exec, s[0:1]
	s_cbranch_execz .LBB71_311
; %bb.295:
	s_movk_i32 s38, 0x80
	v_cmp_ne_u16_e32 vcc, s38, v4
	s_and_b64 s[38:39], vcc, exec
	s_andn2_saveexec_b64 s[0:1], s[0:1]
	s_cbranch_execnz .LBB71_312
.LBB71_296:
	s_or_b64 exec, exec, s[0:1]
	v_mov_b32_e32 v3, 0
	s_and_saveexec_b64 s[0:1], s[38:39]
	s_cbranch_execz .LBB71_298
.LBB71_297:
	v_lshlrev_b32_e32 v3, 24, v4
	v_and_b32_e32 v4, 0xffff, v4
	v_and_b32_e32 v6, 7, v4
	v_ffbh_u32_e32 v9, v6
	v_min_u32_e32 v9, 32, v9
	v_subrev_u32_e32 v10, 28, v9
	v_bfe_u32 v7, v4, 3, 4
	v_lshlrev_b32_e32 v4, v10, v4
	v_sub_u32_e32 v9, 29, v9
	v_and_b32_e32 v4, 7, v4
	v_cmp_eq_u32_e32 vcc, 0, v7
	v_cndmask_b32_e32 v7, v7, v9, vcc
	v_cndmask_b32_e32 v4, v6, v4, vcc
	v_mov_b32_e32 v6, 0x3b800000
	v_lshlrev_b32_e32 v4, 20, v4
	v_and_b32_e32 v3, 0x80000000, v3
	v_lshl_add_u32 v6, v7, 23, v6
	v_or3_b32 v3, v3, v6, v4
	v_cvt_i32_f32_e32 v3, v3
.LBB71_298:
	s_or_b64 exec, exec, s[0:1]
.LBB71_299:
	s_mov_b64 s[0:1], -1
.LBB71_300:
	s_mov_b64 s[38:39], 0
.LBB71_301:
	s_and_b64 vcc, exec, s[38:39]
	s_cbranch_vccz .LBB71_334
; %bb.302:
	s_cmp_gt_i32 s47, 22
	s_cbranch_scc0 .LBB71_310
; %bb.303:
	s_cmp_lt_i32 s47, 24
	s_cbranch_scc1 .LBB71_313
; %bb.304:
	s_cmp_gt_i32 s47, 24
	s_cbranch_scc0 .LBB71_314
; %bb.305:
	global_load_ubyte v4, v[1:2], off
	s_movk_i32 s0, 0x7f
	s_mov_b64 s[38:39], 0
	s_waitcnt vmcnt(0)
	v_cmp_lt_i16_e32 vcc, s0, v4
	s_and_saveexec_b64 s[0:1], vcc
	s_xor_b64 s[0:1], exec, s[0:1]
	s_cbranch_execz .LBB71_326
; %bb.306:
	s_movk_i32 s38, 0x80
	v_cmp_ne_u16_e32 vcc, s38, v4
	s_and_b64 s[38:39], vcc, exec
	s_andn2_saveexec_b64 s[0:1], s[0:1]
	s_cbranch_execnz .LBB71_327
.LBB71_307:
	s_or_b64 exec, exec, s[0:1]
	v_mov_b32_e32 v3, 0
	s_and_saveexec_b64 s[0:1], s[38:39]
	s_cbranch_execz .LBB71_309
.LBB71_308:
	v_lshlrev_b32_e32 v3, 24, v4
	v_and_b32_e32 v4, 0xffff, v4
	v_and_b32_e32 v6, 3, v4
	v_ffbh_u32_e32 v9, v6
	v_min_u32_e32 v9, 32, v9
	v_subrev_u32_e32 v10, 29, v9
	v_bfe_u32 v7, v4, 2, 5
	v_lshlrev_b32_e32 v4, v10, v4
	v_sub_u32_e32 v9, 30, v9
	v_and_b32_e32 v4, 3, v4
	v_cmp_eq_u32_e32 vcc, 0, v7
	v_cndmask_b32_e32 v7, v7, v9, vcc
	v_cndmask_b32_e32 v4, v6, v4, vcc
	v_mov_b32_e32 v6, 0x37800000
	v_lshlrev_b32_e32 v4, 21, v4
	v_and_b32_e32 v3, 0x80000000, v3
	v_lshl_add_u32 v6, v7, 23, v6
	v_or3_b32 v3, v3, v6, v4
	v_cvt_i32_f32_e32 v3, v3
.LBB71_309:
	s_or_b64 exec, exec, s[0:1]
	s_mov_b64 s[0:1], 0
	s_branch .LBB71_315
.LBB71_310:
	s_mov_b64 s[38:39], -1
                                        ; implicit-def: $vgpr3
	s_branch .LBB71_321
.LBB71_311:
	s_andn2_saveexec_b64 s[0:1], s[0:1]
	s_cbranch_execz .LBB71_296
.LBB71_312:
	v_cmp_ne_u16_e32 vcc, 0, v4
	s_andn2_b64 s[38:39], s[38:39], exec
	s_and_b64 s[50:51], vcc, exec
	s_or_b64 s[38:39], s[38:39], s[50:51]
	s_or_b64 exec, exec, s[0:1]
	v_mov_b32_e32 v3, 0
	s_and_saveexec_b64 s[0:1], s[38:39]
	s_cbranch_execnz .LBB71_297
	s_branch .LBB71_298
.LBB71_313:
	s_mov_b64 s[0:1], -1
                                        ; implicit-def: $vgpr3
	s_branch .LBB71_318
.LBB71_314:
	s_mov_b64 s[0:1], -1
                                        ; implicit-def: $vgpr3
.LBB71_315:
	s_and_b64 vcc, exec, s[0:1]
	s_cbranch_vccz .LBB71_317
; %bb.316:
	global_load_ubyte v3, v[1:2], off
	s_mov_b32 s0, 0x7f800000
	s_waitcnt vmcnt(0)
	v_lshlrev_b32_e32 v3, 24, v3
	v_and_b32_e32 v4, 0x7f000000, v3
	v_ffbh_u32_e32 v6, v4
	v_min_u32_e32 v6, 32, v6
	v_sub_u32_e64 v6, v6, 4 clamp
	v_lshlrev_b32_e32 v9, v6, v4
	v_lshlrev_b32_e32 v6, 23, v6
	v_lshrrev_b32_e32 v9, 4, v9
	v_add_u32_e32 v7, 0x1000000, v4
	v_sub_u32_e32 v6, v9, v6
	v_ashrrev_i32_e32 v7, 8, v7
	v_add_u32_e32 v6, 0x3c000000, v6
	v_and_or_b32 v6, v7, s0, v6
	v_cmp_ne_u32_e32 vcc, 0, v4
	v_cndmask_b32_e32 v4, 0, v6, vcc
	s_brev_b32 s0, 1
	v_and_or_b32 v3, v3, s0, v4
	v_cvt_i32_f32_e32 v3, v3
.LBB71_317:
	s_mov_b64 s[0:1], 0
.LBB71_318:
	s_andn2_b64 vcc, exec, s[0:1]
	s_cbranch_vccnz .LBB71_320
; %bb.319:
	global_load_ubyte v3, v[1:2], off
	s_movk_i32 s0, 0x7f00
	s_brev_b32 s1, 16
	s_waitcnt vmcnt(0)
	v_lshlrev_b16_e32 v4, 8, v3
	v_lshlrev_b32_e32 v3, 25, v3
	v_lshrrev_b32_e32 v6, 4, v3
	v_and_or_b32 v7, v4, s0, 0.5
	v_or_b32_e32 v6, 0x70000000, v6
	v_add_f32_e32 v7, -0.5, v7
	v_mul_f32_e32 v6, 0x7800000, v6
	v_cmp_gt_u32_e32 vcc, s1, v3
	v_bfe_i32 v4, v4, 0, 16
	v_cndmask_b32_e32 v3, v6, v7, vcc
	s_brev_b32 s0, 1
	v_and_or_b32 v3, v4, s0, v3
	v_cvt_i32_f32_e32 v3, v3
.LBB71_320:
	s_mov_b64 s[38:39], 0
	s_mov_b64 s[0:1], -1
.LBB71_321:
	s_andn2_b64 vcc, exec, s[38:39]
	s_cbranch_vccnz .LBB71_334
; %bb.322:
	s_cmp_gt_i32 s47, 14
	s_cbranch_scc0 .LBB71_325
; %bb.323:
	s_cmp_eq_u32 s47, 15
	s_cbranch_scc0 .LBB71_328
; %bb.324:
	global_load_ushort v3, v[1:2], off
	s_mov_b64 s[0:1], -1
	s_mov_b64 s[40:41], 0
	s_waitcnt vmcnt(0)
	v_lshlrev_b32_e32 v3, 16, v3
	v_cvt_i32_f32_e32 v3, v3
	s_branch .LBB71_329
.LBB71_325:
	s_mov_b64 s[38:39], -1
                                        ; implicit-def: $vgpr3
	s_branch .LBB71_330
.LBB71_326:
	s_andn2_saveexec_b64 s[0:1], s[0:1]
	s_cbranch_execz .LBB71_307
.LBB71_327:
	v_cmp_ne_u16_e32 vcc, 0, v4
	s_andn2_b64 s[38:39], s[38:39], exec
	s_and_b64 s[50:51], vcc, exec
	s_or_b64 s[38:39], s[38:39], s[50:51]
	s_or_b64 exec, exec, s[0:1]
	v_mov_b32_e32 v3, 0
	s_and_saveexec_b64 s[0:1], s[38:39]
	s_cbranch_execnz .LBB71_308
	s_branch .LBB71_309
.LBB71_328:
	s_mov_b64 s[40:41], -1
                                        ; implicit-def: $vgpr3
.LBB71_329:
	s_mov_b64 s[38:39], 0
.LBB71_330:
	s_and_b64 vcc, exec, s[38:39]
	s_cbranch_vccz .LBB71_334
; %bb.331:
	s_cmp_eq_u32 s47, 11
	s_cbranch_scc0 .LBB71_333
; %bb.332:
	global_load_ubyte v3, v[1:2], off
	s_mov_b64 s[0:1], -1
	s_mov_b64 s[40:41], 0
	s_waitcnt vmcnt(0)
	v_cmp_ne_u16_e32 vcc, 0, v3
	v_cndmask_b32_e64 v3, 0, 1, vcc
	s_branch .LBB71_334
.LBB71_333:
	s_mov_b64 s[40:41], -1
                                        ; implicit-def: $vgpr3
.LBB71_334:
	s_branch .LBB71_31
.LBB71_335:
	s_and_b32 s38, 0xffff, s46
	s_cmp_lt_i32 s38, 5
	s_cbranch_scc1 .LBB71_340
; %bb.336:
	s_cmp_lt_i32 s38, 8
	s_cbranch_scc1 .LBB71_341
; %bb.337:
	;; [unrolled: 3-line block ×3, first 2 shown]
	s_cmp_gt_i32 s38, 9
	s_cbranch_scc0 .LBB71_343
; %bb.339:
	global_load_dwordx2 v[3:4], v[1:2], off
	s_mov_b64 s[0:1], 0
	s_waitcnt vmcnt(0)
	v_cvt_i32_f64_e32 v3, v[3:4]
	s_branch .LBB71_344
.LBB71_340:
	s_mov_b64 s[0:1], -1
                                        ; implicit-def: $vgpr3
	s_branch .LBB71_362
.LBB71_341:
	s_mov_b64 s[0:1], -1
                                        ; implicit-def: $vgpr3
	s_branch .LBB71_350
.LBB71_342:
	s_mov_b64 s[0:1], -1
                                        ; implicit-def: $vgpr3
	s_branch .LBB71_347
.LBB71_343:
	s_mov_b64 s[0:1], -1
                                        ; implicit-def: $vgpr3
.LBB71_344:
	s_andn2_b64 vcc, exec, s[0:1]
	s_cbranch_vccnz .LBB71_346
; %bb.345:
	global_load_dword v3, v[1:2], off
	s_waitcnt vmcnt(0)
	v_cvt_i32_f32_e32 v3, v3
.LBB71_346:
	s_mov_b64 s[0:1], 0
.LBB71_347:
	s_andn2_b64 vcc, exec, s[0:1]
	s_cbranch_vccnz .LBB71_349
; %bb.348:
	global_load_dword v3, v[1:2], off
	s_waitcnt vmcnt(0)
	v_cvt_f32_f16_e32 v3, v3
	v_cvt_i32_f32_e32 v3, v3
.LBB71_349:
	s_mov_b64 s[0:1], 0
.LBB71_350:
	s_andn2_b64 vcc, exec, s[0:1]
	s_cbranch_vccnz .LBB71_361
; %bb.351:
	s_cmp_lt_i32 s38, 6
	s_cbranch_scc1 .LBB71_354
; %bb.352:
	s_cmp_gt_i32 s38, 6
	s_cbranch_scc0 .LBB71_355
; %bb.353:
	global_load_dwordx2 v[3:4], v[1:2], off
	s_mov_b64 s[0:1], 0
	s_waitcnt vmcnt(0)
	v_cvt_i32_f64_e32 v3, v[3:4]
	s_branch .LBB71_356
.LBB71_354:
	s_mov_b64 s[0:1], -1
                                        ; implicit-def: $vgpr3
	s_branch .LBB71_359
.LBB71_355:
	s_mov_b64 s[0:1], -1
                                        ; implicit-def: $vgpr3
.LBB71_356:
	s_andn2_b64 vcc, exec, s[0:1]
	s_cbranch_vccnz .LBB71_358
; %bb.357:
	global_load_dword v3, v[1:2], off
	s_waitcnt vmcnt(0)
	v_cvt_i32_f32_e32 v3, v3
.LBB71_358:
	s_mov_b64 s[0:1], 0
.LBB71_359:
	s_andn2_b64 vcc, exec, s[0:1]
	s_cbranch_vccnz .LBB71_361
; %bb.360:
	global_load_ushort v3, v[1:2], off
	s_waitcnt vmcnt(0)
	v_cvt_f32_f16_e32 v3, v3
	v_cvt_i32_f32_e32 v3, v3
.LBB71_361:
	s_mov_b64 s[0:1], 0
.LBB71_362:
	s_andn2_b64 vcc, exec, s[0:1]
	s_cbranch_vccnz .LBB71_382
; %bb.363:
	s_cmp_lt_i32 s38, 2
	s_cbranch_scc1 .LBB71_367
; %bb.364:
	s_cmp_lt_i32 s38, 3
	s_cbranch_scc1 .LBB71_368
; %bb.365:
	s_cmp_gt_i32 s38, 3
	s_cbranch_scc0 .LBB71_369
; %bb.366:
	global_load_dword v3, v[1:2], off
	s_mov_b64 s[0:1], 0
	s_branch .LBB71_370
.LBB71_367:
	s_mov_b64 s[0:1], -1
                                        ; implicit-def: $vgpr3
	s_branch .LBB71_376
.LBB71_368:
	s_mov_b64 s[0:1], -1
                                        ; implicit-def: $vgpr3
	s_branch .LBB71_373
.LBB71_369:
	s_mov_b64 s[0:1], -1
                                        ; implicit-def: $vgpr3
.LBB71_370:
	s_andn2_b64 vcc, exec, s[0:1]
	s_cbranch_vccnz .LBB71_372
; %bb.371:
	global_load_dword v3, v[1:2], off
.LBB71_372:
	s_mov_b64 s[0:1], 0
.LBB71_373:
	s_andn2_b64 vcc, exec, s[0:1]
	s_cbranch_vccnz .LBB71_375
; %bb.374:
	global_load_sshort v3, v[1:2], off
.LBB71_375:
	s_mov_b64 s[0:1], 0
.LBB71_376:
	s_andn2_b64 vcc, exec, s[0:1]
	s_cbranch_vccnz .LBB71_382
; %bb.377:
	s_cmp_gt_i32 s38, 0
	s_cbranch_scc0 .LBB71_379
; %bb.378:
	global_load_sbyte v3, v[1:2], off
	s_mov_b64 s[0:1], 0
	s_branch .LBB71_380
.LBB71_379:
	s_mov_b64 s[0:1], -1
                                        ; implicit-def: $vgpr3
.LBB71_380:
	s_andn2_b64 vcc, exec, s[0:1]
	s_cbranch_vccnz .LBB71_382
; %bb.381:
	global_load_ubyte v3, v[1:2], off
.LBB71_382:
	s_branch .LBB71_32
.LBB71_383:
	s_mov_b64 s[0:1], 0
.LBB71_384:
                                        ; implicit-def: $vgpr8
	s_mov_b64 s[46:47], 0
.LBB71_385:
	s_and_b64 s[38:39], s[0:1], exec
	s_and_b64 s[40:41], s[40:41], exec
	;; [unrolled: 1-line block ×3, first 2 shown]
	s_orn2_b64 s[0:1], s[46:47], exec
.LBB71_386:
	s_or_b64 exec, exec, s[44:45]
	s_mov_b64 s[52:53], 0
	s_mov_b64 s[50:51], 0
                                        ; implicit-def: $sgpr75
                                        ; implicit-def: $vgpr3_vgpr4
                                        ; implicit-def: $vgpr0
                                        ; implicit-def: $vgpr2
                                        ; implicit-def: $vgpr5
	s_and_saveexec_b64 s[44:45], s[0:1]
	s_cbranch_execz .LBB71_394
; %bb.387:
	v_cmp_gt_i32_e32 vcc, s68, v8
	s_mov_b64 s[0:1], -1
	s_mov_b64 s[46:47], s[42:43]
	s_mov_b64 s[48:49], s[40:41]
	;; [unrolled: 1-line block ×3, first 2 shown]
	s_and_saveexec_b64 s[52:53], vcc
	s_cbranch_execz .LBB71_779
; %bb.388:
	s_andn2_b64 vcc, exec, s[24:25]
	s_cbranch_vccnz .LBB71_397
; %bb.389:
	s_andn2_b64 vcc, exec, s[36:37]
	s_cbranch_vccnz .LBB71_398
; %bb.390:
	s_add_i32 s0, s74, 1
	s_and_b32 s46, s0, 30
	s_add_u32 s0, s2, 0xffffffe8
	s_addc_u32 s1, s3, -1
	v_mov_b32_e32 v2, 0
	v_mov_b32_e32 v4, 0
	;; [unrolled: 1-line block ×4, first 2 shown]
.LBB71_391:                             ; =>This Inner Loop Header: Depth=1
	s_load_dwordx4 s[48:51], s[0:1], 0x1c
	s_load_dwordx2 s[54:55], s[0:1], 0x2c
	s_load_dwordx2 s[60:61], s[0:1], 0xec
	s_load_dwordx4 s[56:59], s[0:1], 0xdc
	s_add_u32 s0, s0, 24
	s_waitcnt vmcnt(0) lgkmcnt(0)
	v_mul_hi_u32 v3, s49, v1
	s_addc_u32 s1, s1, 0
	s_add_i32 s46, s46, -2
	s_cmp_eq_u32 s46, 0
	v_add_u32_e32 v3, v1, v3
	v_lshrrev_b32_e32 v3, s50, v3
	v_mul_lo_u32 v5, v3, s48
	v_mul_hi_u32 v6, s54, v3
	v_sub_u32_e32 v5, v1, v5
	v_add_u32_e32 v1, v3, v6
	v_lshrrev_b32_e32 v1, s55, v1
	v_mul_lo_u32 v9, v1, s51
	v_mul_lo_u32 v6, v5, s56
	;; [unrolled: 1-line block ×4, first 2 shown]
	v_sub_u32_e32 v3, v3, v9
	v_mul_lo_u32 v9, v3, s59
	v_mul_lo_u32 v10, v3, s60
	;; [unrolled: 1-line block ×3, first 2 shown]
	v_add3_u32 v0, v6, v0, v9
	v_add3_u32 v4, v7, v4, v10
	;; [unrolled: 1-line block ×3, first 2 shown]
	s_cbranch_scc0 .LBB71_391
; %bb.392:
	s_bitcmp1_b32 s74, 0
	s_cselect_b64 s[46:47], -1, 0
	s_and_b64 vcc, exec, s[46:47]
	s_cbranch_vccnz .LBB71_399
; %bb.393:
	s_load_dwordx2 s[46:47], s[0:1], 0x1c
	s_load_dword s50, s[0:1], 0x24
	s_load_dwordx2 s[48:49], s[0:1], 0xdc
	s_waitcnt lgkmcnt(0)
	v_mul_hi_u32 v3, s47, v1
	v_add_u32_e32 v3, v1, v3
	v_lshrrev_b32_e32 v3, s50, v3
	v_mul_lo_u32 v3, v3, s46
	s_load_dword s46, s[0:1], 0xe4
	v_sub_u32_e32 v3, v1, v3
	v_mad_u64_u32 v[0:1], s[0:1], v3, s48, v[0:1]
	v_mad_u64_u32 v[4:5], s[0:1], v3, s49, v[4:5]
	s_waitcnt lgkmcnt(0)
	v_mad_u64_u32 v[2:3], s[0:1], v3, s46, v[2:3]
	s_branch .LBB71_399
.LBB71_394:
	s_or_b64 exec, exec, s[44:45]
	s_mov_b64 s[10:11], 0
	s_and_saveexec_b64 s[0:1], s[42:43]
	s_cbranch_execnz .LBB71_1265
.LBB71_395:
	s_or_b64 exec, exec, s[0:1]
	s_and_saveexec_b64 s[0:1], s[48:49]
	s_xor_b64 s[0:1], exec, s[0:1]
	s_cbranch_execz .LBB71_1266
.LBB71_396:
	s_waitcnt vmcnt(0)
	global_load_ubyte v1, v[3:4], off
	s_or_b64 s[50:51], s[50:51], exec
	s_waitcnt vmcnt(0)
	v_cmp_ne_u16_e32 vcc, 0, v1
	v_cndmask_b32_e64 v5, 0, 1, vcc
	s_or_b64 exec, exec, s[0:1]
	s_and_saveexec_b64 s[0:1], s[52:53]
	s_cbranch_execz .LBB71_1312
	s_branch .LBB71_1267
.LBB71_397:
                                        ; implicit-def: $vgpr0
                                        ; implicit-def: $vgpr4
                                        ; implicit-def: $vgpr2
	s_andn2_b64 vcc, exec, s[0:1]
	s_cbranch_vccz .LBB71_400
	s_branch .LBB71_402
.LBB71_398:
	v_mov_b32_e32 v0, 0
	v_mov_b32_e32 v4, 0
	;; [unrolled: 1-line block ×3, first 2 shown]
.LBB71_399:
	s_cbranch_execnz .LBB71_402
.LBB71_400:
	v_mul_hi_u32 v0, s17, v8
	s_andn2_b64 vcc, exec, s[34:35]
	v_add_u32_e32 v0, v8, v0
	v_lshrrev_b32_e32 v1, s18, v0
	v_mul_lo_u32 v0, v1, s16
	v_sub_u32_e32 v2, v8, v0
	v_mul_lo_u32 v0, v2, s20
	v_mul_lo_u32 v4, v2, s21
	;; [unrolled: 1-line block ×3, first 2 shown]
	s_cbranch_vccnz .LBB71_402
; %bb.401:
	s_waitcnt vmcnt(0)
	v_mul_hi_u32 v3, s28, v1
	v_add_u32_e32 v3, v1, v3
	v_lshrrev_b32_e32 v3, s29, v3
	v_mul_lo_u32 v3, v3, s19
	v_sub_u32_e32 v3, v1, v3
	v_mad_u64_u32 v[0:1], s[0:1], v3, s23, v[0:1]
	v_mad_u64_u32 v[4:5], s[0:1], v3, s30, v[4:5]
	;; [unrolled: 1-line block ×3, first 2 shown]
.LBB71_402:
	v_mov_b32_e32 v1, s11
	s_and_b32 s50, s73, 0xff
	s_waitcnt vmcnt(0)
	v_add_co_u32_e32 v3, vcc, s10, v4
	s_cmp_lt_i32 s50, 11
	v_addc_co_u32_e32 v4, vcc, 0, v1, vcc
	s_cbranch_scc1 .LBB71_409
; %bb.403:
	s_and_b32 s51, 0xffff, s50
	s_cmp_gt_i32 s51, 25
	s_cbranch_scc0 .LBB71_418
; %bb.404:
	s_cmp_gt_i32 s51, 28
	s_cbranch_scc0 .LBB71_420
; %bb.405:
	;; [unrolled: 3-line block ×4, first 2 shown]
	s_cmp_eq_u32 s51, 46
	s_mov_b64 s[48:49], 0
	s_cbranch_scc0 .LBB71_428
; %bb.408:
	global_load_dword v1, v[3:4], off
	s_mov_b64 s[0:1], -1
	s_mov_b64 s[46:47], 0
	s_waitcnt vmcnt(0)
	v_lshlrev_b32_e32 v1, 16, v1
	v_cvt_i32_f32_e32 v5, v1
	s_branch .LBB71_429
.LBB71_409:
	s_mov_b64 s[0:1], 0
                                        ; implicit-def: $vgpr5
	s_mov_b64 s[46:47], s[42:43]
	s_cbranch_execnz .LBB71_491
.LBB71_410:
	s_andn2_b64 vcc, exec, s[0:1]
	s_cbranch_vccnz .LBB71_539
.LBB71_411:
	v_mov_b32_e32 v3, s13
	s_and_b32 s54, s72, 0xff
	v_add_co_u32_e32 v1, vcc, s12, v2
	s_cmp_lt_i32 s54, 11
	v_addc_co_u32_e32 v2, vcc, 0, v3, vcc
	s_cbranch_scc1 .LBB71_419
; %bb.412:
	s_and_b32 s55, 0xffff, s54
	s_cmp_gt_i32 s55, 25
	s_cbranch_scc0 .LBB71_421
; %bb.413:
	s_cmp_gt_i32 s55, 28
	s_cbranch_scc0 .LBB71_423
; %bb.414:
	;; [unrolled: 3-line block ×4, first 2 shown]
	s_cmp_eq_u32 s55, 46
	s_mov_b64 s[50:51], 0
	s_cbranch_scc0 .LBB71_543
; %bb.417:
	global_load_dword v3, v[1:2], off
	s_mov_b64 s[0:1], -1
	s_mov_b64 s[48:49], 0
	s_waitcnt vmcnt(0)
	v_lshlrev_b32_e32 v3, 16, v3
	v_cvt_i32_f32_e32 v3, v3
	s_branch .LBB71_544
.LBB71_418:
	s_mov_b64 s[48:49], -1
	s_mov_b64 s[0:1], 0
	s_mov_b64 s[46:47], s[42:43]
                                        ; implicit-def: $vgpr5
	s_branch .LBB71_457
.LBB71_419:
	s_mov_b64 s[50:51], -1
	s_mov_b64 s[0:1], 0
                                        ; implicit-def: $vgpr3
	s_mov_b64 s[48:49], s[40:41]
	s_branch .LBB71_605
.LBB71_420:
	s_mov_b64 s[48:49], -1
	s_mov_b64 s[0:1], 0
	s_mov_b64 s[46:47], s[42:43]
                                        ; implicit-def: $vgpr5
	s_branch .LBB71_440
.LBB71_421:
	s_mov_b64 s[50:51], -1
	s_mov_b64 s[0:1], 0
	s_mov_b64 s[48:49], s[40:41]
                                        ; implicit-def: $vgpr3
	s_branch .LBB71_571
.LBB71_422:
	s_mov_b64 s[48:49], -1
	s_mov_b64 s[0:1], 0
	s_mov_b64 s[46:47], s[42:43]
                                        ; implicit-def: $vgpr5
	s_branch .LBB71_435
.LBB71_423:
	s_mov_b64 s[50:51], -1
	s_mov_b64 s[0:1], 0
	s_mov_b64 s[48:49], s[40:41]
                                        ; implicit-def: $vgpr3
	s_branch .LBB71_554
.LBB71_424:
	s_mov_b64 s[48:49], -1
	s_mov_b64 s[0:1], 0
	s_mov_b64 s[46:47], s[42:43]
                                        ; implicit-def: $vgpr5
	s_branch .LBB71_429
.LBB71_425:
	s_mov_b64 s[50:51], -1
	s_mov_b64 s[0:1], 0
	s_mov_b64 s[48:49], s[40:41]
                                        ; implicit-def: $vgpr3
	s_branch .LBB71_549
.LBB71_426:
	s_andn2_saveexec_b64 s[50:51], s[50:51]
	s_cbranch_execz .LBB71_187
.LBB71_427:
	s_mov_b32 s54, 0x46000000
	v_add_f32_e64 v2, |v0|, s54
	v_and_b32_e32 v2, 0xff, v2
	v_cmp_ne_u32_e32 vcc, 0, v2
	s_andn2_b64 s[46:47], s[46:47], exec
	s_and_b64 s[54:55], vcc, exec
	s_or_b64 s[46:47], s[46:47], s[54:55]
	s_or_b64 exec, exec, s[50:51]
	v_mov_b32_e32 v5, 0
	s_and_saveexec_b64 s[50:51], s[46:47]
	s_cbranch_execnz .LBB71_188
	s_branch .LBB71_189
.LBB71_428:
	s_mov_b64 s[46:47], -1
                                        ; implicit-def: $vgpr5
	s_mov_b64 s[0:1], 0
.LBB71_429:
	s_and_b64 vcc, exec, s[48:49]
	s_cbranch_vccz .LBB71_434
; %bb.430:
	s_cmp_eq_u32 s51, 44
	s_cbranch_scc0 .LBB71_433
; %bb.431:
	global_load_ubyte v1, v[3:4], off
	s_mov_b64 s[0:1], -1
	s_mov_b64 s[46:47], 0
	s_waitcnt vmcnt(0)
	v_lshlrev_b32_e32 v5, 23, v1
	v_cvt_i32_f32_e32 v5, v5
	v_cmp_ne_u32_e32 vcc, 0, v1
	v_cndmask_b32_e32 v5, 0, v5, vcc
	s_branch .LBB71_434
.LBB71_432:
	s_mov_b64 s[50:51], -1
	s_mov_b64 s[0:1], 0
	s_mov_b64 s[48:49], s[40:41]
                                        ; implicit-def: $vgpr3
	s_branch .LBB71_544
.LBB71_433:
	s_mov_b64 s[46:47], -1
                                        ; implicit-def: $vgpr5
.LBB71_434:
	s_mov_b64 s[48:49], 0
.LBB71_435:
	s_and_b64 vcc, exec, s[48:49]
	s_cbranch_vccz .LBB71_439
; %bb.436:
	s_cmp_eq_u32 s51, 29
	s_cbranch_scc0 .LBB71_438
; %bb.437:
	global_load_dword v5, v[3:4], off
	s_mov_b64 s[0:1], -1
	s_mov_b64 s[46:47], 0
	s_branch .LBB71_439
.LBB71_438:
	s_mov_b64 s[46:47], -1
                                        ; implicit-def: $vgpr5
.LBB71_439:
	s_mov_b64 s[48:49], 0
.LBB71_440:
	s_and_b64 vcc, exec, s[48:49]
	s_cbranch_vccz .LBB71_456
; %bb.441:
	s_cmp_lt_i32 s51, 27
	s_cbranch_scc1 .LBB71_444
; %bb.442:
	s_cmp_gt_i32 s51, 27
	s_cbranch_scc0 .LBB71_445
; %bb.443:
	global_load_dword v5, v[3:4], off
	s_mov_b64 s[0:1], 0
	s_branch .LBB71_446
.LBB71_444:
	s_mov_b64 s[0:1], -1
                                        ; implicit-def: $vgpr5
	s_branch .LBB71_449
.LBB71_445:
	s_mov_b64 s[0:1], -1
                                        ; implicit-def: $vgpr5
.LBB71_446:
	s_andn2_b64 vcc, exec, s[0:1]
	s_cbranch_vccnz .LBB71_448
; %bb.447:
	global_load_ushort v5, v[3:4], off
.LBB71_448:
	s_mov_b64 s[0:1], 0
.LBB71_449:
	s_andn2_b64 vcc, exec, s[0:1]
	s_cbranch_vccnz .LBB71_455
; %bb.450:
	global_load_ubyte v1, v[3:4], off
	s_movk_i32 s0, 0x7f
	s_mov_b64 s[48:49], 0
	s_waitcnt vmcnt(0)
	v_cmp_lt_i16_e32 vcc, s0, v1
	s_and_saveexec_b64 s[0:1], vcc
	s_xor_b64 s[0:1], exec, s[0:1]
	s_cbranch_execz .LBB71_467
; %bb.451:
	s_movk_i32 s48, 0x80
	v_cmp_ne_u16_e32 vcc, s48, v1
	s_and_b64 s[48:49], vcc, exec
	s_andn2_saveexec_b64 s[0:1], s[0:1]
	s_cbranch_execnz .LBB71_468
.LBB71_452:
	s_or_b64 exec, exec, s[0:1]
	v_mov_b32_e32 v5, 0
	s_and_saveexec_b64 s[0:1], s[48:49]
	s_cbranch_execz .LBB71_454
.LBB71_453:
	v_lshlrev_b32_e32 v5, 24, v1
	v_and_b32_e32 v1, 0xffff, v1
	v_and_b32_e32 v6, 7, v1
	v_ffbh_u32_e32 v9, v6
	v_min_u32_e32 v9, 32, v9
	v_subrev_u32_e32 v10, 28, v9
	v_bfe_u32 v7, v1, 3, 4
	v_lshlrev_b32_e32 v1, v10, v1
	v_sub_u32_e32 v9, 29, v9
	v_and_b32_e32 v1, 7, v1
	v_cmp_eq_u32_e32 vcc, 0, v7
	v_cndmask_b32_e32 v7, v7, v9, vcc
	v_cndmask_b32_e32 v1, v6, v1, vcc
	v_mov_b32_e32 v6, 0x3b800000
	v_lshlrev_b32_e32 v1, 20, v1
	v_and_b32_e32 v5, 0x80000000, v5
	v_lshl_add_u32 v6, v7, 23, v6
	v_or3_b32 v1, v5, v6, v1
	v_cvt_i32_f32_e32 v5, v1
.LBB71_454:
	s_or_b64 exec, exec, s[0:1]
.LBB71_455:
	s_mov_b64 s[0:1], -1
.LBB71_456:
	s_mov_b64 s[48:49], 0
.LBB71_457:
	s_and_b64 vcc, exec, s[48:49]
	s_cbranch_vccz .LBB71_490
; %bb.458:
	s_cmp_gt_i32 s51, 22
	s_cbranch_scc0 .LBB71_466
; %bb.459:
	s_cmp_lt_i32 s51, 24
	s_cbranch_scc1 .LBB71_469
; %bb.460:
	s_cmp_gt_i32 s51, 24
	s_cbranch_scc0 .LBB71_470
; %bb.461:
	global_load_ubyte v1, v[3:4], off
	s_movk_i32 s0, 0x7f
	s_mov_b64 s[48:49], 0
	s_waitcnt vmcnt(0)
	v_cmp_lt_i16_e32 vcc, s0, v1
	s_and_saveexec_b64 s[0:1], vcc
	s_xor_b64 s[0:1], exec, s[0:1]
	s_cbranch_execz .LBB71_482
; %bb.462:
	s_movk_i32 s48, 0x80
	v_cmp_ne_u16_e32 vcc, s48, v1
	s_and_b64 s[48:49], vcc, exec
	s_andn2_saveexec_b64 s[0:1], s[0:1]
	s_cbranch_execnz .LBB71_483
.LBB71_463:
	s_or_b64 exec, exec, s[0:1]
	v_mov_b32_e32 v5, 0
	s_and_saveexec_b64 s[0:1], s[48:49]
	s_cbranch_execz .LBB71_465
.LBB71_464:
	v_lshlrev_b32_e32 v5, 24, v1
	v_and_b32_e32 v1, 0xffff, v1
	v_and_b32_e32 v6, 3, v1
	v_ffbh_u32_e32 v9, v6
	v_min_u32_e32 v9, 32, v9
	v_subrev_u32_e32 v10, 29, v9
	v_bfe_u32 v7, v1, 2, 5
	v_lshlrev_b32_e32 v1, v10, v1
	v_sub_u32_e32 v9, 30, v9
	v_and_b32_e32 v1, 3, v1
	v_cmp_eq_u32_e32 vcc, 0, v7
	v_cndmask_b32_e32 v7, v7, v9, vcc
	v_cndmask_b32_e32 v1, v6, v1, vcc
	v_mov_b32_e32 v6, 0x37800000
	v_lshlrev_b32_e32 v1, 21, v1
	v_and_b32_e32 v5, 0x80000000, v5
	v_lshl_add_u32 v6, v7, 23, v6
	v_or3_b32 v1, v5, v6, v1
	v_cvt_i32_f32_e32 v5, v1
.LBB71_465:
	s_or_b64 exec, exec, s[0:1]
	s_mov_b64 s[0:1], 0
	s_branch .LBB71_471
.LBB71_466:
	s_mov_b64 s[48:49], -1
                                        ; implicit-def: $vgpr5
	s_branch .LBB71_477
.LBB71_467:
	s_andn2_saveexec_b64 s[0:1], s[0:1]
	s_cbranch_execz .LBB71_452
.LBB71_468:
	v_cmp_ne_u16_e32 vcc, 0, v1
	s_andn2_b64 s[48:49], s[48:49], exec
	s_and_b64 s[54:55], vcc, exec
	s_or_b64 s[48:49], s[48:49], s[54:55]
	s_or_b64 exec, exec, s[0:1]
	v_mov_b32_e32 v5, 0
	s_and_saveexec_b64 s[0:1], s[48:49]
	s_cbranch_execnz .LBB71_453
	s_branch .LBB71_454
.LBB71_469:
	s_mov_b64 s[0:1], -1
                                        ; implicit-def: $vgpr5
	s_branch .LBB71_474
.LBB71_470:
	s_mov_b64 s[0:1], -1
                                        ; implicit-def: $vgpr5
.LBB71_471:
	s_and_b64 vcc, exec, s[0:1]
	s_cbranch_vccz .LBB71_473
; %bb.472:
	global_load_ubyte v1, v[3:4], off
	s_mov_b32 s0, 0x7f800000
	s_waitcnt vmcnt(0)
	v_lshlrev_b32_e32 v1, 24, v1
	v_and_b32_e32 v5, 0x7f000000, v1
	v_ffbh_u32_e32 v6, v5
	v_min_u32_e32 v6, 32, v6
	v_sub_u32_e64 v6, v6, 4 clamp
	v_lshlrev_b32_e32 v9, v6, v5
	v_lshlrev_b32_e32 v6, 23, v6
	v_lshrrev_b32_e32 v9, 4, v9
	v_add_u32_e32 v7, 0x1000000, v5
	v_sub_u32_e32 v6, v9, v6
	v_ashrrev_i32_e32 v7, 8, v7
	v_add_u32_e32 v6, 0x3c000000, v6
	v_and_or_b32 v6, v7, s0, v6
	v_cmp_ne_u32_e32 vcc, 0, v5
	v_cndmask_b32_e32 v5, 0, v6, vcc
	s_brev_b32 s0, 1
	v_and_or_b32 v1, v1, s0, v5
	v_cvt_i32_f32_e32 v5, v1
.LBB71_473:
	s_mov_b64 s[0:1], 0
.LBB71_474:
	s_andn2_b64 vcc, exec, s[0:1]
	s_cbranch_vccnz .LBB71_476
; %bb.475:
	global_load_ubyte v1, v[3:4], off
	s_movk_i32 s0, 0x7f00
	s_brev_b32 s1, 16
	s_waitcnt vmcnt(0)
	v_lshlrev_b16_e32 v5, 8, v1
	v_lshlrev_b32_e32 v1, 25, v1
	v_lshrrev_b32_e32 v6, 4, v1
	v_and_or_b32 v7, v5, s0, 0.5
	v_or_b32_e32 v6, 0x70000000, v6
	v_add_f32_e32 v7, -0.5, v7
	v_mul_f32_e32 v6, 0x7800000, v6
	v_cmp_gt_u32_e32 vcc, s1, v1
	v_bfe_i32 v5, v5, 0, 16
	v_cndmask_b32_e32 v1, v6, v7, vcc
	s_brev_b32 s0, 1
	v_and_or_b32 v1, v5, s0, v1
	v_cvt_i32_f32_e32 v5, v1
.LBB71_476:
	s_mov_b64 s[48:49], 0
	s_mov_b64 s[0:1], -1
.LBB71_477:
	s_andn2_b64 vcc, exec, s[48:49]
	s_cbranch_vccnz .LBB71_490
; %bb.478:
	s_cmp_gt_i32 s51, 14
	s_cbranch_scc0 .LBB71_481
; %bb.479:
	s_cmp_eq_u32 s51, 15
	s_cbranch_scc0 .LBB71_484
; %bb.480:
	global_load_ushort v1, v[3:4], off
	s_mov_b64 s[0:1], -1
	s_mov_b64 s[46:47], 0
	s_waitcnt vmcnt(0)
	v_lshlrev_b32_e32 v1, 16, v1
	v_cvt_i32_f32_e32 v5, v1
	s_branch .LBB71_485
.LBB71_481:
	s_mov_b64 s[48:49], -1
                                        ; implicit-def: $vgpr5
	s_branch .LBB71_486
.LBB71_482:
	s_andn2_saveexec_b64 s[0:1], s[0:1]
	s_cbranch_execz .LBB71_463
.LBB71_483:
	v_cmp_ne_u16_e32 vcc, 0, v1
	s_andn2_b64 s[48:49], s[48:49], exec
	s_and_b64 s[54:55], vcc, exec
	s_or_b64 s[48:49], s[48:49], s[54:55]
	s_or_b64 exec, exec, s[0:1]
	v_mov_b32_e32 v5, 0
	s_and_saveexec_b64 s[0:1], s[48:49]
	s_cbranch_execnz .LBB71_464
	s_branch .LBB71_465
.LBB71_484:
	s_mov_b64 s[46:47], -1
                                        ; implicit-def: $vgpr5
.LBB71_485:
	s_mov_b64 s[48:49], 0
.LBB71_486:
	s_and_b64 vcc, exec, s[48:49]
	s_cbranch_vccz .LBB71_490
; %bb.487:
	s_cmp_eq_u32 s51, 11
	s_cbranch_scc0 .LBB71_489
; %bb.488:
	global_load_ubyte v1, v[3:4], off
	s_mov_b64 s[0:1], -1
	s_mov_b64 s[46:47], 0
	s_waitcnt vmcnt(0)
	v_cmp_ne_u16_e32 vcc, 0, v1
	v_cndmask_b32_e64 v5, 0, 1, vcc
	s_branch .LBB71_490
.LBB71_489:
	s_mov_b64 s[46:47], -1
                                        ; implicit-def: $vgpr5
.LBB71_490:
	s_branch .LBB71_410
.LBB71_491:
	s_and_b32 s48, 0xffff, s50
	s_cmp_lt_i32 s48, 5
	s_cbranch_scc1 .LBB71_496
; %bb.492:
	s_cmp_lt_i32 s48, 8
	s_cbranch_scc1 .LBB71_497
; %bb.493:
	;; [unrolled: 3-line block ×3, first 2 shown]
	s_cmp_gt_i32 s48, 9
	s_cbranch_scc0 .LBB71_499
; %bb.495:
	global_load_dwordx2 v[5:6], v[3:4], off
	s_mov_b64 s[0:1], 0
	s_waitcnt vmcnt(0)
	v_cvt_i32_f64_e32 v5, v[5:6]
	s_branch .LBB71_500
.LBB71_496:
	s_mov_b64 s[0:1], -1
                                        ; implicit-def: $vgpr5
	s_branch .LBB71_518
.LBB71_497:
	s_mov_b64 s[0:1], -1
                                        ; implicit-def: $vgpr5
	s_branch .LBB71_506
.LBB71_498:
	s_mov_b64 s[0:1], -1
                                        ; implicit-def: $vgpr5
	s_branch .LBB71_503
.LBB71_499:
	s_mov_b64 s[0:1], -1
                                        ; implicit-def: $vgpr5
.LBB71_500:
	s_andn2_b64 vcc, exec, s[0:1]
	s_cbranch_vccnz .LBB71_502
; %bb.501:
	global_load_dword v1, v[3:4], off
	s_waitcnt vmcnt(0)
	v_cvt_i32_f32_e32 v5, v1
.LBB71_502:
	s_mov_b64 s[0:1], 0
.LBB71_503:
	s_andn2_b64 vcc, exec, s[0:1]
	s_cbranch_vccnz .LBB71_505
; %bb.504:
	global_load_dword v1, v[3:4], off
	s_waitcnt vmcnt(0)
	v_cvt_f32_f16_e32 v1, v1
	v_cvt_i32_f32_e32 v5, v1
.LBB71_505:
	s_mov_b64 s[0:1], 0
.LBB71_506:
	s_andn2_b64 vcc, exec, s[0:1]
	s_cbranch_vccnz .LBB71_517
; %bb.507:
	s_cmp_lt_i32 s48, 6
	s_cbranch_scc1 .LBB71_510
; %bb.508:
	s_cmp_gt_i32 s48, 6
	s_cbranch_scc0 .LBB71_511
; %bb.509:
	global_load_dwordx2 v[5:6], v[3:4], off
	s_mov_b64 s[0:1], 0
	s_waitcnt vmcnt(0)
	v_cvt_i32_f64_e32 v5, v[5:6]
	s_branch .LBB71_512
.LBB71_510:
	s_mov_b64 s[0:1], -1
                                        ; implicit-def: $vgpr5
	s_branch .LBB71_515
.LBB71_511:
	s_mov_b64 s[0:1], -1
                                        ; implicit-def: $vgpr5
.LBB71_512:
	s_andn2_b64 vcc, exec, s[0:1]
	s_cbranch_vccnz .LBB71_514
; %bb.513:
	global_load_dword v1, v[3:4], off
	s_waitcnt vmcnt(0)
	v_cvt_i32_f32_e32 v5, v1
.LBB71_514:
	s_mov_b64 s[0:1], 0
.LBB71_515:
	s_andn2_b64 vcc, exec, s[0:1]
	s_cbranch_vccnz .LBB71_517
; %bb.516:
	global_load_ushort v1, v[3:4], off
	s_waitcnt vmcnt(0)
	v_cvt_f32_f16_e32 v1, v1
	v_cvt_i32_f32_e32 v5, v1
.LBB71_517:
	s_mov_b64 s[0:1], 0
.LBB71_518:
	s_andn2_b64 vcc, exec, s[0:1]
	s_cbranch_vccnz .LBB71_538
; %bb.519:
	s_cmp_lt_i32 s48, 2
	s_cbranch_scc1 .LBB71_523
; %bb.520:
	s_cmp_lt_i32 s48, 3
	s_cbranch_scc1 .LBB71_524
; %bb.521:
	s_cmp_gt_i32 s48, 3
	s_cbranch_scc0 .LBB71_525
; %bb.522:
	global_load_dword v5, v[3:4], off
	s_mov_b64 s[0:1], 0
	s_branch .LBB71_526
.LBB71_523:
	s_mov_b64 s[0:1], -1
                                        ; implicit-def: $vgpr5
	s_branch .LBB71_532
.LBB71_524:
	s_mov_b64 s[0:1], -1
                                        ; implicit-def: $vgpr5
	s_branch .LBB71_529
.LBB71_525:
	s_mov_b64 s[0:1], -1
                                        ; implicit-def: $vgpr5
.LBB71_526:
	s_andn2_b64 vcc, exec, s[0:1]
	s_cbranch_vccnz .LBB71_528
; %bb.527:
	global_load_dword v5, v[3:4], off
.LBB71_528:
	s_mov_b64 s[0:1], 0
.LBB71_529:
	s_andn2_b64 vcc, exec, s[0:1]
	s_cbranch_vccnz .LBB71_531
; %bb.530:
	global_load_sshort v5, v[3:4], off
.LBB71_531:
	s_mov_b64 s[0:1], 0
.LBB71_532:
	s_andn2_b64 vcc, exec, s[0:1]
	s_cbranch_vccnz .LBB71_538
; %bb.533:
	s_cmp_gt_i32 s48, 0
	s_cbranch_scc0 .LBB71_535
; %bb.534:
	global_load_sbyte v5, v[3:4], off
	s_mov_b64 s[0:1], 0
	s_branch .LBB71_536
.LBB71_535:
	s_mov_b64 s[0:1], -1
                                        ; implicit-def: $vgpr5
.LBB71_536:
	s_andn2_b64 vcc, exec, s[0:1]
	s_cbranch_vccnz .LBB71_538
; %bb.537:
	global_load_ubyte v5, v[3:4], off
.LBB71_538:
	s_branch .LBB71_411
.LBB71_539:
	s_mov_b64 s[54:55], 0
	s_mov_b64 s[0:1], s[38:39]
	;; [unrolled: 1-line block ×3, first 2 shown]
.LBB71_540:
                                        ; implicit-def: $vgpr8
	s_branch .LBB71_778
.LBB71_541:
	s_andn2_saveexec_b64 s[50:51], s[50:51]
	s_cbranch_execz .LBB71_200
.LBB71_542:
	s_mov_b32 s54, 0x42800000
	v_add_f32_e64 v2, |v0|, s54
	v_and_b32_e32 v2, 0xff, v2
	v_cmp_ne_u32_e32 vcc, 0, v2
	s_andn2_b64 s[46:47], s[46:47], exec
	s_and_b64 s[54:55], vcc, exec
	s_or_b64 s[46:47], s[46:47], s[54:55]
	s_or_b64 exec, exec, s[50:51]
	v_mov_b32_e32 v5, 0
	s_and_saveexec_b64 s[50:51], s[46:47]
	s_cbranch_execnz .LBB71_201
	s_branch .LBB71_202
.LBB71_543:
	s_mov_b64 s[48:49], -1
                                        ; implicit-def: $vgpr3
	s_mov_b64 s[0:1], 0
.LBB71_544:
	s_and_b64 vcc, exec, s[50:51]
	s_cbranch_vccz .LBB71_548
; %bb.545:
	s_cmp_eq_u32 s55, 44
	s_cbranch_scc0 .LBB71_547
; %bb.546:
	global_load_ubyte v3, v[1:2], off
	s_mov_b64 s[0:1], -1
	s_mov_b64 s[48:49], 0
	s_waitcnt vmcnt(0)
	v_lshlrev_b32_e32 v4, 23, v3
	v_cvt_i32_f32_e32 v4, v4
	v_cmp_ne_u32_e32 vcc, 0, v3
	v_cndmask_b32_e32 v3, 0, v4, vcc
	s_branch .LBB71_548
.LBB71_547:
	s_mov_b64 s[48:49], -1
                                        ; implicit-def: $vgpr3
.LBB71_548:
	s_mov_b64 s[50:51], 0
.LBB71_549:
	s_and_b64 vcc, exec, s[50:51]
	s_cbranch_vccz .LBB71_553
; %bb.550:
	s_cmp_eq_u32 s55, 29
	s_cbranch_scc0 .LBB71_552
; %bb.551:
	global_load_dword v3, v[1:2], off
	s_mov_b64 s[0:1], -1
	s_mov_b64 s[48:49], 0
	s_branch .LBB71_553
.LBB71_552:
	s_mov_b64 s[48:49], -1
                                        ; implicit-def: $vgpr3
.LBB71_553:
	s_mov_b64 s[50:51], 0
.LBB71_554:
	s_and_b64 vcc, exec, s[50:51]
	s_cbranch_vccz .LBB71_570
; %bb.555:
	s_cmp_lt_i32 s55, 27
	s_cbranch_scc1 .LBB71_558
; %bb.556:
	s_cmp_gt_i32 s55, 27
	s_cbranch_scc0 .LBB71_559
; %bb.557:
	global_load_dword v3, v[1:2], off
	s_mov_b64 s[0:1], 0
	s_branch .LBB71_560
.LBB71_558:
	s_mov_b64 s[0:1], -1
                                        ; implicit-def: $vgpr3
	s_branch .LBB71_563
.LBB71_559:
	s_mov_b64 s[0:1], -1
                                        ; implicit-def: $vgpr3
.LBB71_560:
	s_andn2_b64 vcc, exec, s[0:1]
	s_cbranch_vccnz .LBB71_562
; %bb.561:
	global_load_ushort v3, v[1:2], off
.LBB71_562:
	s_mov_b64 s[0:1], 0
.LBB71_563:
	s_andn2_b64 vcc, exec, s[0:1]
	s_cbranch_vccnz .LBB71_569
; %bb.564:
	global_load_ubyte v4, v[1:2], off
	s_movk_i32 s0, 0x7f
	s_mov_b64 s[50:51], 0
	s_waitcnt vmcnt(0)
	v_cmp_lt_i16_e32 vcc, s0, v4
	s_and_saveexec_b64 s[0:1], vcc
	s_xor_b64 s[0:1], exec, s[0:1]
	s_cbranch_execz .LBB71_581
; %bb.565:
	s_movk_i32 s50, 0x80
	v_cmp_ne_u16_e32 vcc, s50, v4
	s_and_b64 s[50:51], vcc, exec
	s_andn2_saveexec_b64 s[0:1], s[0:1]
	s_cbranch_execnz .LBB71_582
.LBB71_566:
	s_or_b64 exec, exec, s[0:1]
	v_mov_b32_e32 v3, 0
	s_and_saveexec_b64 s[0:1], s[50:51]
	s_cbranch_execz .LBB71_568
.LBB71_567:
	v_lshlrev_b32_e32 v3, 24, v4
	v_and_b32_e32 v4, 0xffff, v4
	v_and_b32_e32 v6, 7, v4
	v_ffbh_u32_e32 v9, v6
	v_min_u32_e32 v9, 32, v9
	v_subrev_u32_e32 v10, 28, v9
	v_bfe_u32 v7, v4, 3, 4
	v_lshlrev_b32_e32 v4, v10, v4
	v_sub_u32_e32 v9, 29, v9
	v_and_b32_e32 v4, 7, v4
	v_cmp_eq_u32_e32 vcc, 0, v7
	v_cndmask_b32_e32 v7, v7, v9, vcc
	v_cndmask_b32_e32 v4, v6, v4, vcc
	v_mov_b32_e32 v6, 0x3b800000
	v_lshlrev_b32_e32 v4, 20, v4
	v_and_b32_e32 v3, 0x80000000, v3
	v_lshl_add_u32 v6, v7, 23, v6
	v_or3_b32 v3, v3, v6, v4
	v_cvt_i32_f32_e32 v3, v3
.LBB71_568:
	s_or_b64 exec, exec, s[0:1]
.LBB71_569:
	s_mov_b64 s[0:1], -1
.LBB71_570:
	s_mov_b64 s[50:51], 0
.LBB71_571:
	s_and_b64 vcc, exec, s[50:51]
	s_cbranch_vccz .LBB71_604
; %bb.572:
	s_cmp_gt_i32 s55, 22
	s_cbranch_scc0 .LBB71_580
; %bb.573:
	s_cmp_lt_i32 s55, 24
	s_cbranch_scc1 .LBB71_583
; %bb.574:
	s_cmp_gt_i32 s55, 24
	s_cbranch_scc0 .LBB71_584
; %bb.575:
	global_load_ubyte v4, v[1:2], off
	s_movk_i32 s0, 0x7f
	s_mov_b64 s[50:51], 0
	s_waitcnt vmcnt(0)
	v_cmp_lt_i16_e32 vcc, s0, v4
	s_and_saveexec_b64 s[0:1], vcc
	s_xor_b64 s[0:1], exec, s[0:1]
	s_cbranch_execz .LBB71_596
; %bb.576:
	s_movk_i32 s50, 0x80
	v_cmp_ne_u16_e32 vcc, s50, v4
	s_and_b64 s[50:51], vcc, exec
	s_andn2_saveexec_b64 s[0:1], s[0:1]
	s_cbranch_execnz .LBB71_597
.LBB71_577:
	s_or_b64 exec, exec, s[0:1]
	v_mov_b32_e32 v3, 0
	s_and_saveexec_b64 s[0:1], s[50:51]
	s_cbranch_execz .LBB71_579
.LBB71_578:
	v_lshlrev_b32_e32 v3, 24, v4
	v_and_b32_e32 v4, 0xffff, v4
	v_and_b32_e32 v6, 3, v4
	v_ffbh_u32_e32 v9, v6
	v_min_u32_e32 v9, 32, v9
	v_subrev_u32_e32 v10, 29, v9
	v_bfe_u32 v7, v4, 2, 5
	v_lshlrev_b32_e32 v4, v10, v4
	v_sub_u32_e32 v9, 30, v9
	v_and_b32_e32 v4, 3, v4
	v_cmp_eq_u32_e32 vcc, 0, v7
	v_cndmask_b32_e32 v7, v7, v9, vcc
	v_cndmask_b32_e32 v4, v6, v4, vcc
	v_mov_b32_e32 v6, 0x37800000
	v_lshlrev_b32_e32 v4, 21, v4
	v_and_b32_e32 v3, 0x80000000, v3
	v_lshl_add_u32 v6, v7, 23, v6
	v_or3_b32 v3, v3, v6, v4
	v_cvt_i32_f32_e32 v3, v3
.LBB71_579:
	s_or_b64 exec, exec, s[0:1]
	s_mov_b64 s[0:1], 0
	s_branch .LBB71_585
.LBB71_580:
	s_mov_b64 s[50:51], -1
                                        ; implicit-def: $vgpr3
	s_branch .LBB71_591
.LBB71_581:
	s_andn2_saveexec_b64 s[0:1], s[0:1]
	s_cbranch_execz .LBB71_566
.LBB71_582:
	v_cmp_ne_u16_e32 vcc, 0, v4
	s_andn2_b64 s[50:51], s[50:51], exec
	s_and_b64 s[56:57], vcc, exec
	s_or_b64 s[50:51], s[50:51], s[56:57]
	s_or_b64 exec, exec, s[0:1]
	v_mov_b32_e32 v3, 0
	s_and_saveexec_b64 s[0:1], s[50:51]
	s_cbranch_execnz .LBB71_567
	s_branch .LBB71_568
.LBB71_583:
	s_mov_b64 s[0:1], -1
                                        ; implicit-def: $vgpr3
	s_branch .LBB71_588
.LBB71_584:
	s_mov_b64 s[0:1], -1
                                        ; implicit-def: $vgpr3
.LBB71_585:
	s_and_b64 vcc, exec, s[0:1]
	s_cbranch_vccz .LBB71_587
; %bb.586:
	global_load_ubyte v3, v[1:2], off
	s_mov_b32 s0, 0x7f800000
	s_waitcnt vmcnt(0)
	v_lshlrev_b32_e32 v3, 24, v3
	v_and_b32_e32 v4, 0x7f000000, v3
	v_ffbh_u32_e32 v6, v4
	v_min_u32_e32 v6, 32, v6
	v_sub_u32_e64 v6, v6, 4 clamp
	v_lshlrev_b32_e32 v9, v6, v4
	v_lshlrev_b32_e32 v6, 23, v6
	v_lshrrev_b32_e32 v9, 4, v9
	v_add_u32_e32 v7, 0x1000000, v4
	v_sub_u32_e32 v6, v9, v6
	v_ashrrev_i32_e32 v7, 8, v7
	v_add_u32_e32 v6, 0x3c000000, v6
	v_and_or_b32 v6, v7, s0, v6
	v_cmp_ne_u32_e32 vcc, 0, v4
	v_cndmask_b32_e32 v4, 0, v6, vcc
	s_brev_b32 s0, 1
	v_and_or_b32 v3, v3, s0, v4
	v_cvt_i32_f32_e32 v3, v3
.LBB71_587:
	s_mov_b64 s[0:1], 0
.LBB71_588:
	s_andn2_b64 vcc, exec, s[0:1]
	s_cbranch_vccnz .LBB71_590
; %bb.589:
	global_load_ubyte v3, v[1:2], off
	s_movk_i32 s0, 0x7f00
	s_brev_b32 s1, 16
	s_waitcnt vmcnt(0)
	v_lshlrev_b16_e32 v4, 8, v3
	v_lshlrev_b32_e32 v3, 25, v3
	v_lshrrev_b32_e32 v6, 4, v3
	v_and_or_b32 v7, v4, s0, 0.5
	v_or_b32_e32 v6, 0x70000000, v6
	v_add_f32_e32 v7, -0.5, v7
	v_mul_f32_e32 v6, 0x7800000, v6
	v_cmp_gt_u32_e32 vcc, s1, v3
	v_bfe_i32 v4, v4, 0, 16
	v_cndmask_b32_e32 v3, v6, v7, vcc
	s_brev_b32 s0, 1
	v_and_or_b32 v3, v4, s0, v3
	v_cvt_i32_f32_e32 v3, v3
.LBB71_590:
	s_mov_b64 s[50:51], 0
	s_mov_b64 s[0:1], -1
.LBB71_591:
	s_andn2_b64 vcc, exec, s[50:51]
	s_cbranch_vccnz .LBB71_604
; %bb.592:
	s_cmp_gt_i32 s55, 14
	s_cbranch_scc0 .LBB71_595
; %bb.593:
	s_cmp_eq_u32 s55, 15
	s_cbranch_scc0 .LBB71_598
; %bb.594:
	global_load_ushort v3, v[1:2], off
	s_mov_b64 s[0:1], -1
	s_mov_b64 s[48:49], 0
	s_waitcnt vmcnt(0)
	v_lshlrev_b32_e32 v3, 16, v3
	v_cvt_i32_f32_e32 v3, v3
	s_branch .LBB71_599
.LBB71_595:
	s_mov_b64 s[50:51], -1
                                        ; implicit-def: $vgpr3
	s_branch .LBB71_600
.LBB71_596:
	s_andn2_saveexec_b64 s[0:1], s[0:1]
	s_cbranch_execz .LBB71_577
.LBB71_597:
	v_cmp_ne_u16_e32 vcc, 0, v4
	s_andn2_b64 s[50:51], s[50:51], exec
	s_and_b64 s[56:57], vcc, exec
	s_or_b64 s[50:51], s[50:51], s[56:57]
	s_or_b64 exec, exec, s[0:1]
	v_mov_b32_e32 v3, 0
	s_and_saveexec_b64 s[0:1], s[50:51]
	s_cbranch_execnz .LBB71_578
	s_branch .LBB71_579
.LBB71_598:
	s_mov_b64 s[48:49], -1
                                        ; implicit-def: $vgpr3
.LBB71_599:
	s_mov_b64 s[50:51], 0
.LBB71_600:
	s_and_b64 vcc, exec, s[50:51]
	s_cbranch_vccz .LBB71_604
; %bb.601:
	s_cmp_eq_u32 s55, 11
	s_cbranch_scc0 .LBB71_603
; %bb.602:
	global_load_ubyte v3, v[1:2], off
	s_mov_b64 s[0:1], -1
	s_mov_b64 s[48:49], 0
	s_waitcnt vmcnt(0)
	v_cmp_ne_u16_e32 vcc, 0, v3
	v_cndmask_b32_e64 v3, 0, 1, vcc
	s_branch .LBB71_604
.LBB71_603:
	s_mov_b64 s[48:49], -1
                                        ; implicit-def: $vgpr3
.LBB71_604:
	s_mov_b64 s[50:51], 0
.LBB71_605:
	s_and_b64 vcc, exec, s[50:51]
	s_cbranch_vccz .LBB71_654
; %bb.606:
	s_and_b32 s50, 0xffff, s54
	s_cmp_lt_i32 s50, 5
	s_cbranch_scc1 .LBB71_611
; %bb.607:
	s_cmp_lt_i32 s50, 8
	s_cbranch_scc1 .LBB71_612
; %bb.608:
	;; [unrolled: 3-line block ×3, first 2 shown]
	s_cmp_gt_i32 s50, 9
	s_cbranch_scc0 .LBB71_614
; %bb.610:
	global_load_dwordx2 v[3:4], v[1:2], off
	s_mov_b64 s[0:1], 0
	s_waitcnt vmcnt(0)
	v_cvt_i32_f64_e32 v3, v[3:4]
	s_branch .LBB71_615
.LBB71_611:
	s_mov_b64 s[0:1], -1
                                        ; implicit-def: $vgpr3
	s_branch .LBB71_633
.LBB71_612:
	s_mov_b64 s[0:1], -1
                                        ; implicit-def: $vgpr3
	s_branch .LBB71_621
.LBB71_613:
	s_mov_b64 s[0:1], -1
                                        ; implicit-def: $vgpr3
	s_branch .LBB71_618
.LBB71_614:
	s_mov_b64 s[0:1], -1
                                        ; implicit-def: $vgpr3
.LBB71_615:
	s_andn2_b64 vcc, exec, s[0:1]
	s_cbranch_vccnz .LBB71_617
; %bb.616:
	global_load_dword v3, v[1:2], off
	s_waitcnt vmcnt(0)
	v_cvt_i32_f32_e32 v3, v3
.LBB71_617:
	s_mov_b64 s[0:1], 0
.LBB71_618:
	s_andn2_b64 vcc, exec, s[0:1]
	s_cbranch_vccnz .LBB71_620
; %bb.619:
	global_load_dword v3, v[1:2], off
	s_waitcnt vmcnt(0)
	v_cvt_f32_f16_e32 v3, v3
	v_cvt_i32_f32_e32 v3, v3
.LBB71_620:
	s_mov_b64 s[0:1], 0
.LBB71_621:
	s_andn2_b64 vcc, exec, s[0:1]
	s_cbranch_vccnz .LBB71_632
; %bb.622:
	s_cmp_lt_i32 s50, 6
	s_cbranch_scc1 .LBB71_625
; %bb.623:
	s_cmp_gt_i32 s50, 6
	s_cbranch_scc0 .LBB71_626
; %bb.624:
	global_load_dwordx2 v[3:4], v[1:2], off
	s_mov_b64 s[0:1], 0
	s_waitcnt vmcnt(0)
	v_cvt_i32_f64_e32 v3, v[3:4]
	s_branch .LBB71_627
.LBB71_625:
	s_mov_b64 s[0:1], -1
                                        ; implicit-def: $vgpr3
	s_branch .LBB71_630
.LBB71_626:
	s_mov_b64 s[0:1], -1
                                        ; implicit-def: $vgpr3
.LBB71_627:
	s_andn2_b64 vcc, exec, s[0:1]
	s_cbranch_vccnz .LBB71_629
; %bb.628:
	global_load_dword v3, v[1:2], off
	s_waitcnt vmcnt(0)
	v_cvt_i32_f32_e32 v3, v3
.LBB71_629:
	s_mov_b64 s[0:1], 0
.LBB71_630:
	s_andn2_b64 vcc, exec, s[0:1]
	s_cbranch_vccnz .LBB71_632
; %bb.631:
	global_load_ushort v3, v[1:2], off
	s_waitcnt vmcnt(0)
	v_cvt_f32_f16_e32 v3, v3
	v_cvt_i32_f32_e32 v3, v3
.LBB71_632:
	s_mov_b64 s[0:1], 0
.LBB71_633:
	s_andn2_b64 vcc, exec, s[0:1]
	s_cbranch_vccnz .LBB71_653
; %bb.634:
	s_cmp_lt_i32 s50, 2
	s_cbranch_scc1 .LBB71_638
; %bb.635:
	s_cmp_lt_i32 s50, 3
	s_cbranch_scc1 .LBB71_639
; %bb.636:
	s_cmp_gt_i32 s50, 3
	s_cbranch_scc0 .LBB71_640
; %bb.637:
	global_load_dword v3, v[1:2], off
	s_mov_b64 s[0:1], 0
	s_branch .LBB71_641
.LBB71_638:
	s_mov_b64 s[0:1], -1
                                        ; implicit-def: $vgpr3
	s_branch .LBB71_647
.LBB71_639:
	s_mov_b64 s[0:1], -1
                                        ; implicit-def: $vgpr3
	s_branch .LBB71_644
.LBB71_640:
	s_mov_b64 s[0:1], -1
                                        ; implicit-def: $vgpr3
.LBB71_641:
	s_andn2_b64 vcc, exec, s[0:1]
	s_cbranch_vccnz .LBB71_643
; %bb.642:
	global_load_dword v3, v[1:2], off
.LBB71_643:
	s_mov_b64 s[0:1], 0
.LBB71_644:
	s_andn2_b64 vcc, exec, s[0:1]
	s_cbranch_vccnz .LBB71_646
; %bb.645:
	global_load_sshort v3, v[1:2], off
.LBB71_646:
	s_mov_b64 s[0:1], 0
.LBB71_647:
	s_andn2_b64 vcc, exec, s[0:1]
	s_cbranch_vccnz .LBB71_653
; %bb.648:
	s_cmp_gt_i32 s50, 0
	s_cbranch_scc0 .LBB71_650
; %bb.649:
	global_load_sbyte v3, v[1:2], off
	s_mov_b64 s[0:1], 0
	s_branch .LBB71_651
.LBB71_650:
	s_mov_b64 s[0:1], -1
                                        ; implicit-def: $vgpr3
.LBB71_651:
	s_andn2_b64 vcc, exec, s[0:1]
	s_cbranch_vccnz .LBB71_653
; %bb.652:
	global_load_ubyte v3, v[1:2], off
.LBB71_653:
	s_mov_b64 s[0:1], -1
.LBB71_654:
	s_andn2_b64 vcc, exec, s[0:1]
	s_cbranch_vccnz .LBB71_662
; %bb.655:
	v_mov_b32_e32 v1, s15
	s_waitcnt vmcnt(0)
	v_cmp_lt_i32_e32 vcc, s14, v5
	v_cndmask_b32_e32 v1, v1, v3, vcc
	v_mov_b32_e32 v2, s9
	s_and_b32 s58, s71, 0xff
	v_add_co_u32_e32 v3, vcc, s8, v0
	s_cmp_lt_i32 s58, 11
	v_addc_co_u32_e32 v4, vcc, 0, v2, vcc
	s_cbranch_scc1 .LBB71_663
; %bb.656:
	s_and_b32 s59, 0xffff, s58
	s_cmp_gt_i32 s59, 25
	s_cbranch_scc0 .LBB71_664
; %bb.657:
	s_cmp_gt_i32 s59, 28
	s_cbranch_scc0 .LBB71_665
; %bb.658:
	;; [unrolled: 3-line block ×4, first 2 shown]
	s_mov_b64 s[54:55], 0
	s_mov_b64 s[0:1], -1
	s_cmp_eq_u32 s59, 46
	s_mov_b64 s[50:51], 0
	s_cbranch_scc0 .LBB71_668
; %bb.661:
	v_cvt_f32_i32_e32 v0, v1
	s_movk_i32 s0, 0x7fff
	s_mov_b64 s[50:51], -1
	v_bfe_u32 v2, v0, 16, 1
	v_add3_u32 v0, v0, v2, s0
	v_lshrrev_b32_e32 v0, 16, v0
	global_store_dword v[3:4], v0, off
	s_mov_b64 s[0:1], 0
	s_branch .LBB71_668
.LBB71_662:
	s_mov_b64 s[54:55], 0
                                        ; implicit-def: $vgpr8
	s_mov_b64 s[0:1], s[38:39]
	s_branch .LBB71_778
.LBB71_663:
	s_mov_b64 s[54:55], -1
	s_mov_b64 s[50:51], 0
	s_mov_b64 s[0:1], s[38:39]
	s_branch .LBB71_737
.LBB71_664:
	s_mov_b64 s[54:55], -1
	s_mov_b64 s[50:51], 0
	s_mov_b64 s[0:1], s[38:39]
	s_branch .LBB71_695
.LBB71_665:
	s_mov_b64 s[54:55], -1
	s_mov_b64 s[50:51], 0
	s_mov_b64 s[0:1], s[38:39]
	s_branch .LBB71_678
.LBB71_666:
	s_mov_b64 s[54:55], -1
	s_mov_b64 s[50:51], 0
	s_mov_b64 s[0:1], s[38:39]
	s_branch .LBB71_674
.LBB71_667:
	s_mov_b64 s[54:55], -1
	s_mov_b64 s[50:51], 0
	s_mov_b64 s[0:1], s[38:39]
.LBB71_668:
	s_and_b64 vcc, exec, s[54:55]
	s_cbranch_vccz .LBB71_673
; %bb.669:
	s_cmp_eq_u32 s59, 44
	s_mov_b64 s[0:1], -1
	s_cbranch_scc0 .LBB71_673
; %bb.670:
	v_cvt_f32_i32_e32 v0, v1
	s_movk_i32 s0, 0xff
	v_mov_b32_e32 v5, 0xff
	v_bfe_u32 v2, v0, 23, 8
	v_cmp_ne_u32_e32 vcc, s0, v2
	s_and_saveexec_b64 s[50:51], vcc
; %bb.671:
	s_mov_b32 s0, 0x3fffff
	v_lshrrev_b32_e32 v5, 23, v0
	v_and_b32_e32 v6, 0x400000, v0
	v_and_or_b32 v0, v0, s0, v2
	v_cmp_ne_u32_e32 vcc, 0, v6
	v_cmp_ne_u32_e64 s[0:1], 0, v0
	s_and_b64 s[0:1], vcc, s[0:1]
	v_cndmask_b32_e64 v0, 0, 1, s[0:1]
	v_add_u32_e32 v5, v5, v0
; %bb.672:
	s_or_b64 exec, exec, s[50:51]
	s_mov_b64 s[50:51], -1
	s_mov_b64 s[0:1], 0
	global_store_byte v[3:4], v5, off
.LBB71_673:
	s_mov_b64 s[54:55], 0
.LBB71_674:
	s_and_b64 vcc, exec, s[54:55]
	s_cbranch_vccz .LBB71_677
; %bb.675:
	s_cmp_eq_u32 s59, 29
	s_mov_b64 s[0:1], -1
	s_cbranch_scc0 .LBB71_677
; %bb.676:
	v_ashrrev_i32_e32 v2, 31, v1
	global_store_dwordx2 v[3:4], v[1:2], off
	s_mov_b64 s[50:51], -1
	s_mov_b64 s[0:1], 0
.LBB71_677:
	s_mov_b64 s[54:55], 0
.LBB71_678:
	s_and_b64 vcc, exec, s[54:55]
	s_cbranch_vccz .LBB71_694
; %bb.679:
	s_cmp_lt_i32 s59, 27
	s_mov_b64 s[50:51], -1
	s_cbranch_scc1 .LBB71_685
; %bb.680:
	s_cmp_gt_i32 s59, 27
	s_cbranch_scc0 .LBB71_682
; %bb.681:
	s_mov_b64 s[50:51], 0
	global_store_dword v[3:4], v1, off
.LBB71_682:
	s_andn2_b64 vcc, exec, s[50:51]
	s_cbranch_vccnz .LBB71_684
; %bb.683:
	global_store_short v[3:4], v1, off
.LBB71_684:
	s_mov_b64 s[50:51], 0
.LBB71_685:
	s_andn2_b64 vcc, exec, s[50:51]
	s_cbranch_vccnz .LBB71_693
; %bb.686:
	v_cvt_f32_i32_e32 v0, v1
	s_mov_b32 s50, 0x43800000
	v_mov_b32_e32 v5, 0x80
	v_and_b32_e32 v2, 0x7fffffff, v0
	v_cmp_gt_u32_e32 vcc, s50, v2
	s_and_saveexec_b64 s[50:51], vcc
	s_cbranch_execz .LBB71_692
; %bb.687:
	s_mov_b32 s54, 0x3bffffff
	v_cmp_lt_u32_e32 vcc, s54, v2
	s_mov_b64 s[54:55], 0
                                        ; implicit-def: $vgpr2
	s_and_saveexec_b64 s[56:57], vcc
	s_xor_b64 s[56:57], exec, s[56:57]
	s_cbranch_execz .LBB71_806
; %bb.688:
	v_bfe_u32 v2, v0, 20, 1
	s_mov_b32 s60, 0x487ffff
	v_add3_u32 v2, v0, v2, s60
	s_mov_b64 s[54:55], exec
	v_lshrrev_b32_e32 v2, 20, v2
	s_andn2_saveexec_b64 s[56:57], s[56:57]
	s_cbranch_execnz .LBB71_807
.LBB71_689:
	s_or_b64 exec, exec, s[56:57]
	v_mov_b32_e32 v5, 0
	s_and_saveexec_b64 s[56:57], s[54:55]
.LBB71_690:
	v_lshrrev_b32_e32 v0, 24, v0
	s_movk_i32 s54, 0x80
	v_and_or_b32 v5, v0, s54, v2
.LBB71_691:
	s_or_b64 exec, exec, s[56:57]
.LBB71_692:
	s_or_b64 exec, exec, s[50:51]
	global_store_byte v[3:4], v5, off
.LBB71_693:
	s_mov_b64 s[50:51], -1
.LBB71_694:
	s_mov_b64 s[54:55], 0
.LBB71_695:
	s_and_b64 vcc, exec, s[54:55]
	s_cbranch_vccz .LBB71_736
; %bb.696:
	s_cmp_gt_i32 s59, 22
	s_mov_b64 s[54:55], -1
	s_cbranch_scc0 .LBB71_728
; %bb.697:
	s_cmp_lt_i32 s59, 24
	s_mov_b64 s[50:51], -1
	s_cbranch_scc1 .LBB71_717
; %bb.698:
	s_cmp_gt_i32 s59, 24
	s_cbranch_scc0 .LBB71_706
; %bb.699:
	v_cvt_f32_i32_e32 v0, v1
	s_mov_b32 s50, 0x47800000
	v_mov_b32_e32 v5, 0x80
	v_and_b32_e32 v2, 0x7fffffff, v0
	v_cmp_gt_u32_e32 vcc, s50, v2
	s_and_saveexec_b64 s[50:51], vcc
	s_cbranch_execz .LBB71_705
; %bb.700:
	s_mov_b32 s54, 0x37ffffff
	v_cmp_lt_u32_e32 vcc, s54, v2
	s_mov_b64 s[54:55], 0
                                        ; implicit-def: $vgpr2
	s_and_saveexec_b64 s[56:57], vcc
	s_xor_b64 s[56:57], exec, s[56:57]
	s_cbranch_execz .LBB71_934
; %bb.701:
	v_bfe_u32 v2, v0, 21, 1
	s_mov_b32 s60, 0x88fffff
	v_add3_u32 v2, v0, v2, s60
	s_mov_b64 s[54:55], exec
	v_lshrrev_b32_e32 v2, 21, v2
	s_andn2_saveexec_b64 s[56:57], s[56:57]
	s_cbranch_execnz .LBB71_935
.LBB71_702:
	s_or_b64 exec, exec, s[56:57]
	v_mov_b32_e32 v5, 0
	s_and_saveexec_b64 s[56:57], s[54:55]
.LBB71_703:
	v_lshrrev_b32_e32 v0, 24, v0
	s_movk_i32 s54, 0x80
	v_and_or_b32 v5, v0, s54, v2
.LBB71_704:
	s_or_b64 exec, exec, s[56:57]
.LBB71_705:
	s_or_b64 exec, exec, s[50:51]
	s_mov_b64 s[50:51], 0
	global_store_byte v[3:4], v5, off
.LBB71_706:
	s_and_b64 vcc, exec, s[50:51]
	s_cbranch_vccz .LBB71_716
; %bb.707:
	v_cvt_f32_i32_e32 v0, v1
	s_mov_b32 s50, 0x43f00000
                                        ; implicit-def: $vgpr2
	v_and_b32_e32 v5, 0x7fffffff, v0
	v_cmp_gt_u32_e32 vcc, s50, v5
	s_and_saveexec_b64 s[50:51], vcc
	s_xor_b64 s[50:51], exec, s[50:51]
	s_cbranch_execz .LBB71_713
; %bb.708:
	s_mov_b32 s54, 0x3c7fffff
	v_cmp_lt_u32_e32 vcc, s54, v5
                                        ; implicit-def: $vgpr2
	s_and_saveexec_b64 s[54:55], vcc
	s_xor_b64 s[54:55], exec, s[54:55]
; %bb.709:
	v_bfe_u32 v2, v0, 20, 1
	s_mov_b32 s56, 0x407ffff
	v_add3_u32 v2, v0, v2, s56
	v_lshrrev_b32_e32 v5, 20, v2
	v_and_b32_e32 v2, 0xff00000, v2
	s_mov_b32 s56, 0x7f00000
	v_mov_b32_e32 v6, 0x7e
	v_cmp_ne_u32_e32 vcc, s56, v2
	v_cndmask_b32_e32 v2, v6, v5, vcc
; %bb.710:
	s_andn2_saveexec_b64 s[54:55], s[54:55]
; %bb.711:
	s_mov_b32 s56, 0x46800000
	v_add_f32_e64 v2, |v0|, s56
; %bb.712:
	s_or_b64 exec, exec, s[54:55]
                                        ; implicit-def: $vgpr5
.LBB71_713:
	s_andn2_saveexec_b64 s[50:51], s[50:51]
; %bb.714:
	s_mov_b32 s54, 0x7f800000
	v_mov_b32_e32 v2, 0x7e
	v_mov_b32_e32 v6, 0x7f
	v_cmp_lt_u32_e32 vcc, s54, v5
	v_cndmask_b32_e32 v2, v2, v6, vcc
; %bb.715:
	s_or_b64 exec, exec, s[50:51]
	v_lshrrev_b32_e32 v0, 24, v0
	s_movk_i32 s50, 0x80
	v_and_or_b32 v0, v0, s50, v2
	global_store_byte v[3:4], v0, off
.LBB71_716:
	s_mov_b64 s[50:51], 0
.LBB71_717:
	s_andn2_b64 vcc, exec, s[50:51]
	s_cbranch_vccnz .LBB71_727
; %bb.718:
	v_cvt_f32_i32_e32 v0, v1
	s_mov_b32 s50, 0x47800000
                                        ; implicit-def: $vgpr2
	v_and_b32_e32 v5, 0x7fffffff, v0
	v_cmp_gt_u32_e32 vcc, s50, v5
	s_and_saveexec_b64 s[50:51], vcc
	s_xor_b64 s[50:51], exec, s[50:51]
	s_cbranch_execz .LBB71_724
; %bb.719:
	s_mov_b32 s54, 0x387fffff
	v_cmp_lt_u32_e32 vcc, s54, v5
                                        ; implicit-def: $vgpr2
	s_and_saveexec_b64 s[54:55], vcc
	s_xor_b64 s[54:55], exec, s[54:55]
; %bb.720:
	v_bfe_u32 v2, v0, 21, 1
	s_mov_b32 s56, 0x80fffff
	v_add3_u32 v2, v0, v2, s56
	v_lshrrev_b32_e32 v2, 21, v2
; %bb.721:
	s_andn2_saveexec_b64 s[54:55], s[54:55]
; %bb.722:
	s_mov_b32 s56, 0x43000000
	v_add_f32_e64 v2, |v0|, s56
; %bb.723:
	s_or_b64 exec, exec, s[54:55]
                                        ; implicit-def: $vgpr5
.LBB71_724:
	s_andn2_saveexec_b64 s[50:51], s[50:51]
; %bb.725:
	s_mov_b32 s54, 0x7f800000
	v_mov_b32_e32 v2, 0x7c
	v_mov_b32_e32 v6, 0x7f
	v_cmp_lt_u32_e32 vcc, s54, v5
	v_cndmask_b32_e32 v2, v2, v6, vcc
; %bb.726:
	s_or_b64 exec, exec, s[50:51]
	v_lshrrev_b32_e32 v0, 24, v0
	s_movk_i32 s50, 0x80
	v_and_or_b32 v0, v0, s50, v2
	global_store_byte v[3:4], v0, off
.LBB71_727:
	s_mov_b64 s[54:55], 0
	s_mov_b64 s[50:51], -1
.LBB71_728:
	s_andn2_b64 vcc, exec, s[54:55]
	s_cbranch_vccnz .LBB71_736
; %bb.729:
	s_cmp_gt_i32 s59, 14
	s_mov_b64 s[54:55], -1
	s_cbranch_scc0 .LBB71_733
; %bb.730:
	s_cmp_eq_u32 s59, 15
	s_mov_b64 s[0:1], -1
	s_cbranch_scc0 .LBB71_732
; %bb.731:
	v_cvt_f32_i32_e32 v0, v1
	s_movk_i32 s0, 0x7fff
	s_mov_b64 s[50:51], -1
	v_bfe_u32 v2, v0, 16, 1
	v_add3_u32 v0, v0, v2, s0
	global_store_short_d16_hi v[3:4], v0, off
	s_mov_b64 s[0:1], 0
.LBB71_732:
	s_mov_b64 s[54:55], 0
.LBB71_733:
	s_and_b64 vcc, exec, s[54:55]
	s_cbranch_vccz .LBB71_736
; %bb.734:
	s_cmp_eq_u32 s59, 11
	s_mov_b64 s[0:1], -1
	s_cbranch_scc0 .LBB71_736
; %bb.735:
	v_cmp_ne_u32_e32 vcc, 0, v1
	v_cndmask_b32_e64 v0, 0, 1, vcc
	s_mov_b64 s[50:51], -1
	s_mov_b64 s[0:1], 0
	global_store_byte v[3:4], v0, off
.LBB71_736:
	s_mov_b64 s[54:55], 0
.LBB71_737:
	s_and_b64 vcc, exec, s[54:55]
	s_cbranch_vccz .LBB71_776
; %bb.738:
	s_and_b32 s54, 0xffff, s58
	s_cmp_lt_i32 s54, 5
	s_mov_b64 s[50:51], -1
	s_cbranch_scc1 .LBB71_759
; %bb.739:
	s_cmp_lt_i32 s54, 8
	s_cbranch_scc1 .LBB71_749
; %bb.740:
	s_cmp_lt_i32 s54, 9
	s_cbranch_scc1 .LBB71_746
; %bb.741:
	s_cmp_gt_i32 s54, 9
	s_cbranch_scc0 .LBB71_743
; %bb.742:
	v_cvt_f64_i32_e32 v[9:10], v1
	v_mov_b32_e32 v11, 0
	v_mov_b32_e32 v12, v11
	s_mov_b64 s[50:51], 0
	global_store_dwordx4 v[3:4], v[9:12], off
.LBB71_743:
	s_andn2_b64 vcc, exec, s[50:51]
	s_cbranch_vccnz .LBB71_745
; %bb.744:
	v_cvt_f32_i32_e32 v5, v1
	v_mov_b32_e32 v6, 0
	global_store_dwordx2 v[3:4], v[5:6], off
.LBB71_745:
	s_mov_b64 s[50:51], 0
.LBB71_746:
	s_andn2_b64 vcc, exec, s[50:51]
	s_cbranch_vccnz .LBB71_748
; %bb.747:
	v_cvt_f32_i32_e32 v0, v1
	v_cvt_f16_f32_e32 v0, v0
	global_store_dword v[3:4], v0, off
.LBB71_748:
	s_mov_b64 s[50:51], 0
.LBB71_749:
	s_andn2_b64 vcc, exec, s[50:51]
	s_cbranch_vccnz .LBB71_758
; %bb.750:
	s_cmp_lt_i32 s54, 6
	s_mov_b64 s[50:51], -1
	s_cbranch_scc1 .LBB71_756
; %bb.751:
	s_cmp_gt_i32 s54, 6
	s_cbranch_scc0 .LBB71_753
; %bb.752:
	v_cvt_f64_i32_e32 v[5:6], v1
	s_mov_b64 s[50:51], 0
	global_store_dwordx2 v[3:4], v[5:6], off
.LBB71_753:
	s_andn2_b64 vcc, exec, s[50:51]
	s_cbranch_vccnz .LBB71_755
; %bb.754:
	v_cvt_f32_i32_e32 v0, v1
	global_store_dword v[3:4], v0, off
.LBB71_755:
	s_mov_b64 s[50:51], 0
.LBB71_756:
	s_andn2_b64 vcc, exec, s[50:51]
	s_cbranch_vccnz .LBB71_758
; %bb.757:
	v_cvt_f32_i32_e32 v0, v1
	v_cvt_f16_f32_e32 v0, v0
	global_store_short v[3:4], v0, off
.LBB71_758:
	s_mov_b64 s[50:51], 0
.LBB71_759:
	s_andn2_b64 vcc, exec, s[50:51]
	s_cbranch_vccnz .LBB71_775
; %bb.760:
	s_cmp_lt_i32 s54, 2
	s_mov_b64 s[50:51], -1
	s_cbranch_scc1 .LBB71_770
; %bb.761:
	s_cmp_lt_i32 s54, 3
	s_cbranch_scc1 .LBB71_767
; %bb.762:
	s_cmp_gt_i32 s54, 3
	s_cbranch_scc0 .LBB71_764
; %bb.763:
	v_ashrrev_i32_e32 v2, 31, v1
	s_mov_b64 s[50:51], 0
	global_store_dwordx2 v[3:4], v[1:2], off
.LBB71_764:
	s_andn2_b64 vcc, exec, s[50:51]
	s_cbranch_vccnz .LBB71_766
; %bb.765:
	global_store_dword v[3:4], v1, off
.LBB71_766:
	s_mov_b64 s[50:51], 0
.LBB71_767:
	s_andn2_b64 vcc, exec, s[50:51]
	s_cbranch_vccnz .LBB71_769
; %bb.768:
	global_store_short v[3:4], v1, off
.LBB71_769:
	s_mov_b64 s[50:51], 0
.LBB71_770:
	s_andn2_b64 vcc, exec, s[50:51]
	s_cbranch_vccnz .LBB71_775
; %bb.771:
	s_cmp_gt_i32 s54, 0
	s_mov_b64 s[50:51], -1
	s_cbranch_scc0 .LBB71_773
; %bb.772:
	s_mov_b64 s[50:51], 0
	global_store_byte v[3:4], v1, off
.LBB71_773:
	s_andn2_b64 vcc, exec, s[50:51]
	s_cbranch_vccnz .LBB71_775
; %bb.774:
	global_store_byte v[3:4], v1, off
.LBB71_775:
	s_mov_b64 s[50:51], -1
.LBB71_776:
	s_andn2_b64 vcc, exec, s[50:51]
	s_cbranch_vccnz .LBB71_788
; %bb.777:
	v_add_u32_e32 v8, 0x80, v8
	s_mov_b64 s[54:55], -1
.LBB71_778:
	s_andn2_b64 s[50:51], s[38:39], exec
	s_and_b64 s[0:1], s[0:1], exec
	s_or_b64 s[50:51], s[50:51], s[0:1]
	s_andn2_b64 s[0:1], s[40:41], exec
	s_and_b64 s[48:49], s[48:49], exec
	s_or_b64 s[48:49], s[0:1], s[48:49]
	;; [unrolled: 3-line block ×3, first 2 shown]
	s_orn2_b64 s[0:1], s[54:55], exec
.LBB71_779:
	s_or_b64 exec, exec, s[52:53]
	s_mov_b64 s[54:55], 0
	s_mov_b64 s[56:57], 0
	;; [unrolled: 1-line block ×3, first 2 shown]
                                        ; implicit-def: $sgpr75
                                        ; implicit-def: $vgpr3_vgpr4
                                        ; implicit-def: $vgpr0
                                        ; implicit-def: $vgpr2
                                        ; implicit-def: $vgpr5
	s_and_saveexec_b64 s[52:53], s[0:1]
	s_cbranch_execz .LBB71_1264
; %bb.780:
	v_cmp_gt_i32_e32 vcc, s68, v8
	s_mov_b64 s[66:67], -1
	s_mov_b64 s[0:1], s[46:47]
	s_mov_b64 s[58:59], s[48:49]
	;; [unrolled: 1-line block ×3, first 2 shown]
	s_and_saveexec_b64 s[54:55], vcc
	s_cbranch_execz .LBB71_1172
; %bb.781:
	s_andn2_b64 vcc, exec, s[24:25]
	s_cbranch_vccnz .LBB71_787
; %bb.782:
	s_andn2_b64 vcc, exec, s[36:37]
	s_cbranch_vccnz .LBB71_789
; %bb.783:
	s_add_i32 s0, s74, 1
	s_and_b32 s56, s0, 30
	s_add_u32 s0, s2, 0xffffffe8
	s_addc_u32 s1, s3, -1
	v_mov_b32_e32 v2, 0
	v_mov_b32_e32 v4, 0
	;; [unrolled: 1-line block ×4, first 2 shown]
.LBB71_784:                             ; =>This Inner Loop Header: Depth=1
	s_load_dwordx4 s[60:63], s[0:1], 0x1c
	s_load_dwordx2 s[58:59], s[0:1], 0x2c
	s_load_dwordx2 s[76:77], s[0:1], 0xec
	s_load_dwordx4 s[64:67], s[0:1], 0xdc
	s_add_u32 s0, s0, 24
	s_waitcnt vmcnt(0) lgkmcnt(0)
	v_mul_hi_u32 v3, s61, v1
	s_addc_u32 s1, s1, 0
	s_add_i32 s56, s56, -2
	s_cmp_eq_u32 s56, 0
	v_add_u32_e32 v3, v1, v3
	v_lshrrev_b32_e32 v3, s62, v3
	v_mul_lo_u32 v5, v3, s60
	v_mul_hi_u32 v6, s58, v3
	v_sub_u32_e32 v5, v1, v5
	v_add_u32_e32 v1, v3, v6
	v_lshrrev_b32_e32 v1, s59, v1
	v_mul_lo_u32 v9, v1, s63
	v_mul_lo_u32 v6, v5, s64
	;; [unrolled: 1-line block ×4, first 2 shown]
	v_sub_u32_e32 v3, v3, v9
	v_mul_lo_u32 v9, v3, s67
	v_mul_lo_u32 v10, v3, s76
	;; [unrolled: 1-line block ×3, first 2 shown]
	v_add3_u32 v0, v6, v0, v9
	v_add3_u32 v4, v7, v4, v10
	;; [unrolled: 1-line block ×3, first 2 shown]
	s_cbranch_scc0 .LBB71_784
; %bb.785:
	s_bitcmp1_b32 s74, 0
	s_cselect_b64 s[56:57], -1, 0
	s_and_b64 vcc, exec, s[56:57]
	s_cbranch_vccnz .LBB71_790
; %bb.786:
	s_load_dwordx2 s[56:57], s[0:1], 0x1c
	s_load_dword s60, s[0:1], 0x24
	s_load_dwordx2 s[58:59], s[0:1], 0xdc
	s_waitcnt lgkmcnt(0)
	v_mul_hi_u32 v3, s57, v1
	v_add_u32_e32 v3, v1, v3
	v_lshrrev_b32_e32 v3, s60, v3
	v_mul_lo_u32 v3, v3, s56
	s_load_dword s56, s[0:1], 0xe4
	v_sub_u32_e32 v3, v1, v3
	v_mad_u64_u32 v[0:1], s[0:1], v3, s58, v[0:1]
	v_mad_u64_u32 v[4:5], s[0:1], v3, s59, v[4:5]
	s_waitcnt lgkmcnt(0)
	v_mad_u64_u32 v[2:3], s[0:1], v3, s56, v[2:3]
	s_branch .LBB71_790
.LBB71_787:
	s_mov_b64 s[0:1], -1
                                        ; implicit-def: $vgpr0
                                        ; implicit-def: $vgpr4
                                        ; implicit-def: $vgpr2
	s_branch .LBB71_791
.LBB71_788:
	s_mov_b64 s[54:55], 0
	s_branch .LBB71_540
.LBB71_789:
	v_mov_b32_e32 v0, 0
	v_mov_b32_e32 v4, 0
	;; [unrolled: 1-line block ×3, first 2 shown]
.LBB71_790:
	s_mov_b64 s[0:1], 0
.LBB71_791:
	s_andn2_b64 vcc, exec, s[0:1]
	s_cbranch_vccnz .LBB71_794
; %bb.792:
	v_mul_hi_u32 v0, s17, v8
	s_andn2_b64 vcc, exec, s[34:35]
	v_add_u32_e32 v0, v8, v0
	v_lshrrev_b32_e32 v1, s18, v0
	v_mul_lo_u32 v0, v1, s16
	v_sub_u32_e32 v2, v8, v0
	v_mul_lo_u32 v0, v2, s20
	v_mul_lo_u32 v4, v2, s21
	;; [unrolled: 1-line block ×3, first 2 shown]
	s_cbranch_vccnz .LBB71_794
; %bb.793:
	s_waitcnt vmcnt(0)
	v_mul_hi_u32 v3, s28, v1
	v_add_u32_e32 v3, v1, v3
	v_lshrrev_b32_e32 v3, s29, v3
	v_mul_lo_u32 v3, v3, s19
	v_sub_u32_e32 v3, v1, v3
	v_mad_u64_u32 v[0:1], s[0:1], v3, s23, v[0:1]
	v_mad_u64_u32 v[4:5], s[0:1], v3, s30, v[4:5]
	;; [unrolled: 1-line block ×3, first 2 shown]
.LBB71_794:
	v_mov_b32_e32 v1, s11
	s_and_b32 s60, s73, 0xff
	s_waitcnt vmcnt(0)
	v_add_co_u32_e32 v3, vcc, s10, v4
	s_cmp_lt_i32 s60, 11
	v_addc_co_u32_e32 v4, vcc, 0, v1, vcc
	s_cbranch_scc1 .LBB71_801
; %bb.795:
	s_and_b32 s61, 0xffff, s60
	s_cmp_gt_i32 s61, 25
	s_cbranch_scc0 .LBB71_802
; %bb.796:
	s_cmp_gt_i32 s61, 28
	s_cbranch_scc0 .LBB71_803
; %bb.797:
	;; [unrolled: 3-line block ×4, first 2 shown]
	s_cmp_eq_u32 s61, 46
	s_mov_b64 s[58:59], 0
	s_cbranch_scc0 .LBB71_808
; %bb.800:
	global_load_dword v1, v[3:4], off
	s_mov_b64 s[0:1], -1
	s_mov_b64 s[56:57], 0
	s_waitcnt vmcnt(0)
	v_lshlrev_b32_e32 v1, 16, v1
	v_cvt_i32_f32_e32 v5, v1
	s_branch .LBB71_809
.LBB71_801:
	s_mov_b64 s[58:59], -1
	s_mov_b64 s[0:1], 0
                                        ; implicit-def: $vgpr5
	s_mov_b64 s[56:57], s[46:47]
	s_branch .LBB71_870
.LBB71_802:
	s_mov_b64 s[58:59], -1
	s_mov_b64 s[0:1], 0
	s_mov_b64 s[56:57], s[46:47]
                                        ; implicit-def: $vgpr5
	s_branch .LBB71_836
.LBB71_803:
	s_mov_b64 s[58:59], -1
	s_mov_b64 s[0:1], 0
	s_mov_b64 s[56:57], s[46:47]
                                        ; implicit-def: $vgpr5
	s_branch .LBB71_819
.LBB71_804:
	s_mov_b64 s[58:59], -1
	s_mov_b64 s[0:1], 0
	s_mov_b64 s[56:57], s[46:47]
                                        ; implicit-def: $vgpr5
	s_branch .LBB71_814
.LBB71_805:
	s_mov_b64 s[58:59], -1
	s_mov_b64 s[0:1], 0
	s_mov_b64 s[56:57], s[46:47]
                                        ; implicit-def: $vgpr5
	s_branch .LBB71_809
.LBB71_806:
	s_andn2_saveexec_b64 s[56:57], s[56:57]
	s_cbranch_execz .LBB71_689
.LBB71_807:
	s_mov_b32 s60, 0x46000000
	v_add_f32_e64 v2, |v0|, s60
	v_and_b32_e32 v2, 0xff, v2
	v_cmp_ne_u32_e32 vcc, 0, v2
	s_andn2_b64 s[54:55], s[54:55], exec
	s_and_b64 s[60:61], vcc, exec
	s_or_b64 s[54:55], s[54:55], s[60:61]
	s_or_b64 exec, exec, s[56:57]
	v_mov_b32_e32 v5, 0
	s_and_saveexec_b64 s[56:57], s[54:55]
	s_cbranch_execnz .LBB71_690
	s_branch .LBB71_691
.LBB71_808:
	s_mov_b64 s[56:57], -1
                                        ; implicit-def: $vgpr5
	s_mov_b64 s[0:1], 0
.LBB71_809:
	s_and_b64 vcc, exec, s[58:59]
	s_cbranch_vccz .LBB71_813
; %bb.810:
	s_cmp_eq_u32 s61, 44
	s_cbranch_scc0 .LBB71_812
; %bb.811:
	global_load_ubyte v1, v[3:4], off
	s_mov_b64 s[0:1], -1
	s_mov_b64 s[56:57], 0
	s_waitcnt vmcnt(0)
	v_lshlrev_b32_e32 v5, 23, v1
	v_cvt_i32_f32_e32 v5, v5
	v_cmp_ne_u32_e32 vcc, 0, v1
	v_cndmask_b32_e32 v5, 0, v5, vcc
	s_branch .LBB71_813
.LBB71_812:
	s_mov_b64 s[56:57], -1
                                        ; implicit-def: $vgpr5
.LBB71_813:
	s_mov_b64 s[58:59], 0
.LBB71_814:
	s_and_b64 vcc, exec, s[58:59]
	s_cbranch_vccz .LBB71_818
; %bb.815:
	s_cmp_eq_u32 s61, 29
	s_cbranch_scc0 .LBB71_817
; %bb.816:
	global_load_dword v5, v[3:4], off
	s_mov_b64 s[0:1], -1
	s_mov_b64 s[56:57], 0
	s_branch .LBB71_818
.LBB71_817:
	s_mov_b64 s[56:57], -1
                                        ; implicit-def: $vgpr5
.LBB71_818:
	s_mov_b64 s[58:59], 0
.LBB71_819:
	s_and_b64 vcc, exec, s[58:59]
	s_cbranch_vccz .LBB71_835
; %bb.820:
	s_cmp_lt_i32 s61, 27
	s_cbranch_scc1 .LBB71_823
; %bb.821:
	s_cmp_gt_i32 s61, 27
	s_cbranch_scc0 .LBB71_824
; %bb.822:
	global_load_dword v5, v[3:4], off
	s_mov_b64 s[0:1], 0
	s_branch .LBB71_825
.LBB71_823:
	s_mov_b64 s[0:1], -1
                                        ; implicit-def: $vgpr5
	s_branch .LBB71_828
.LBB71_824:
	s_mov_b64 s[0:1], -1
                                        ; implicit-def: $vgpr5
.LBB71_825:
	s_andn2_b64 vcc, exec, s[0:1]
	s_cbranch_vccnz .LBB71_827
; %bb.826:
	global_load_ushort v5, v[3:4], off
.LBB71_827:
	s_mov_b64 s[0:1], 0
.LBB71_828:
	s_andn2_b64 vcc, exec, s[0:1]
	s_cbranch_vccnz .LBB71_834
; %bb.829:
	global_load_ubyte v1, v[3:4], off
	s_movk_i32 s0, 0x7f
	s_mov_b64 s[58:59], 0
	s_waitcnt vmcnt(0)
	v_cmp_lt_i16_e32 vcc, s0, v1
	s_and_saveexec_b64 s[0:1], vcc
	s_xor_b64 s[0:1], exec, s[0:1]
	s_cbranch_execz .LBB71_846
; %bb.830:
	s_movk_i32 s58, 0x80
	v_cmp_ne_u16_e32 vcc, s58, v1
	s_and_b64 s[58:59], vcc, exec
	s_andn2_saveexec_b64 s[0:1], s[0:1]
	s_cbranch_execnz .LBB71_847
.LBB71_831:
	s_or_b64 exec, exec, s[0:1]
	v_mov_b32_e32 v5, 0
	s_and_saveexec_b64 s[0:1], s[58:59]
	s_cbranch_execz .LBB71_833
.LBB71_832:
	v_lshlrev_b32_e32 v5, 24, v1
	v_and_b32_e32 v1, 0xffff, v1
	v_and_b32_e32 v6, 7, v1
	v_ffbh_u32_e32 v9, v6
	v_min_u32_e32 v9, 32, v9
	v_subrev_u32_e32 v10, 28, v9
	v_bfe_u32 v7, v1, 3, 4
	v_lshlrev_b32_e32 v1, v10, v1
	v_sub_u32_e32 v9, 29, v9
	v_and_b32_e32 v1, 7, v1
	v_cmp_eq_u32_e32 vcc, 0, v7
	v_cndmask_b32_e32 v7, v7, v9, vcc
	v_cndmask_b32_e32 v1, v6, v1, vcc
	v_mov_b32_e32 v6, 0x3b800000
	v_lshlrev_b32_e32 v1, 20, v1
	v_and_b32_e32 v5, 0x80000000, v5
	v_lshl_add_u32 v6, v7, 23, v6
	v_or3_b32 v1, v5, v6, v1
	v_cvt_i32_f32_e32 v5, v1
.LBB71_833:
	s_or_b64 exec, exec, s[0:1]
.LBB71_834:
	s_mov_b64 s[0:1], -1
.LBB71_835:
	s_mov_b64 s[58:59], 0
.LBB71_836:
	s_and_b64 vcc, exec, s[58:59]
	s_cbranch_vccz .LBB71_869
; %bb.837:
	s_cmp_gt_i32 s61, 22
	s_cbranch_scc0 .LBB71_845
; %bb.838:
	s_cmp_lt_i32 s61, 24
	s_cbranch_scc1 .LBB71_848
; %bb.839:
	s_cmp_gt_i32 s61, 24
	s_cbranch_scc0 .LBB71_849
; %bb.840:
	global_load_ubyte v1, v[3:4], off
	s_movk_i32 s0, 0x7f
	s_mov_b64 s[58:59], 0
	s_waitcnt vmcnt(0)
	v_cmp_lt_i16_e32 vcc, s0, v1
	s_and_saveexec_b64 s[0:1], vcc
	s_xor_b64 s[0:1], exec, s[0:1]
	s_cbranch_execz .LBB71_861
; %bb.841:
	s_movk_i32 s58, 0x80
	v_cmp_ne_u16_e32 vcc, s58, v1
	s_and_b64 s[58:59], vcc, exec
	s_andn2_saveexec_b64 s[0:1], s[0:1]
	s_cbranch_execnz .LBB71_862
.LBB71_842:
	s_or_b64 exec, exec, s[0:1]
	v_mov_b32_e32 v5, 0
	s_and_saveexec_b64 s[0:1], s[58:59]
	s_cbranch_execz .LBB71_844
.LBB71_843:
	v_lshlrev_b32_e32 v5, 24, v1
	v_and_b32_e32 v1, 0xffff, v1
	v_and_b32_e32 v6, 3, v1
	v_ffbh_u32_e32 v9, v6
	v_min_u32_e32 v9, 32, v9
	v_subrev_u32_e32 v10, 29, v9
	v_bfe_u32 v7, v1, 2, 5
	v_lshlrev_b32_e32 v1, v10, v1
	v_sub_u32_e32 v9, 30, v9
	v_and_b32_e32 v1, 3, v1
	v_cmp_eq_u32_e32 vcc, 0, v7
	v_cndmask_b32_e32 v7, v7, v9, vcc
	v_cndmask_b32_e32 v1, v6, v1, vcc
	v_mov_b32_e32 v6, 0x37800000
	v_lshlrev_b32_e32 v1, 21, v1
	v_and_b32_e32 v5, 0x80000000, v5
	v_lshl_add_u32 v6, v7, 23, v6
	v_or3_b32 v1, v5, v6, v1
	v_cvt_i32_f32_e32 v5, v1
.LBB71_844:
	s_or_b64 exec, exec, s[0:1]
	s_mov_b64 s[0:1], 0
	s_branch .LBB71_850
.LBB71_845:
	s_mov_b64 s[58:59], -1
                                        ; implicit-def: $vgpr5
	s_branch .LBB71_856
.LBB71_846:
	s_andn2_saveexec_b64 s[0:1], s[0:1]
	s_cbranch_execz .LBB71_831
.LBB71_847:
	v_cmp_ne_u16_e32 vcc, 0, v1
	s_andn2_b64 s[58:59], s[58:59], exec
	s_and_b64 s[62:63], vcc, exec
	s_or_b64 s[58:59], s[58:59], s[62:63]
	s_or_b64 exec, exec, s[0:1]
	v_mov_b32_e32 v5, 0
	s_and_saveexec_b64 s[0:1], s[58:59]
	s_cbranch_execnz .LBB71_832
	s_branch .LBB71_833
.LBB71_848:
	s_mov_b64 s[0:1], -1
                                        ; implicit-def: $vgpr5
	s_branch .LBB71_853
.LBB71_849:
	s_mov_b64 s[0:1], -1
                                        ; implicit-def: $vgpr5
.LBB71_850:
	s_and_b64 vcc, exec, s[0:1]
	s_cbranch_vccz .LBB71_852
; %bb.851:
	global_load_ubyte v1, v[3:4], off
	s_mov_b32 s0, 0x7f800000
	s_waitcnt vmcnt(0)
	v_lshlrev_b32_e32 v1, 24, v1
	v_and_b32_e32 v5, 0x7f000000, v1
	v_ffbh_u32_e32 v6, v5
	v_min_u32_e32 v6, 32, v6
	v_sub_u32_e64 v6, v6, 4 clamp
	v_lshlrev_b32_e32 v9, v6, v5
	v_lshlrev_b32_e32 v6, 23, v6
	v_lshrrev_b32_e32 v9, 4, v9
	v_add_u32_e32 v7, 0x1000000, v5
	v_sub_u32_e32 v6, v9, v6
	v_ashrrev_i32_e32 v7, 8, v7
	v_add_u32_e32 v6, 0x3c000000, v6
	v_and_or_b32 v6, v7, s0, v6
	v_cmp_ne_u32_e32 vcc, 0, v5
	v_cndmask_b32_e32 v5, 0, v6, vcc
	s_brev_b32 s0, 1
	v_and_or_b32 v1, v1, s0, v5
	v_cvt_i32_f32_e32 v5, v1
.LBB71_852:
	s_mov_b64 s[0:1], 0
.LBB71_853:
	s_andn2_b64 vcc, exec, s[0:1]
	s_cbranch_vccnz .LBB71_855
; %bb.854:
	global_load_ubyte v1, v[3:4], off
	s_movk_i32 s0, 0x7f00
	s_brev_b32 s1, 16
	s_waitcnt vmcnt(0)
	v_lshlrev_b16_e32 v5, 8, v1
	v_lshlrev_b32_e32 v1, 25, v1
	v_lshrrev_b32_e32 v6, 4, v1
	v_and_or_b32 v7, v5, s0, 0.5
	v_or_b32_e32 v6, 0x70000000, v6
	v_add_f32_e32 v7, -0.5, v7
	v_mul_f32_e32 v6, 0x7800000, v6
	v_cmp_gt_u32_e32 vcc, s1, v1
	v_bfe_i32 v5, v5, 0, 16
	v_cndmask_b32_e32 v1, v6, v7, vcc
	s_brev_b32 s0, 1
	v_and_or_b32 v1, v5, s0, v1
	v_cvt_i32_f32_e32 v5, v1
.LBB71_855:
	s_mov_b64 s[58:59], 0
	s_mov_b64 s[0:1], -1
.LBB71_856:
	s_andn2_b64 vcc, exec, s[58:59]
	s_cbranch_vccnz .LBB71_869
; %bb.857:
	s_cmp_gt_i32 s61, 14
	s_cbranch_scc0 .LBB71_860
; %bb.858:
	s_cmp_eq_u32 s61, 15
	s_cbranch_scc0 .LBB71_863
; %bb.859:
	global_load_ushort v1, v[3:4], off
	s_mov_b64 s[0:1], -1
	s_mov_b64 s[56:57], 0
	s_waitcnt vmcnt(0)
	v_lshlrev_b32_e32 v1, 16, v1
	v_cvt_i32_f32_e32 v5, v1
	s_branch .LBB71_864
.LBB71_860:
	s_mov_b64 s[58:59], -1
                                        ; implicit-def: $vgpr5
	s_branch .LBB71_865
.LBB71_861:
	s_andn2_saveexec_b64 s[0:1], s[0:1]
	s_cbranch_execz .LBB71_842
.LBB71_862:
	v_cmp_ne_u16_e32 vcc, 0, v1
	s_andn2_b64 s[58:59], s[58:59], exec
	s_and_b64 s[62:63], vcc, exec
	s_or_b64 s[58:59], s[58:59], s[62:63]
	s_or_b64 exec, exec, s[0:1]
	v_mov_b32_e32 v5, 0
	s_and_saveexec_b64 s[0:1], s[58:59]
	s_cbranch_execnz .LBB71_843
	s_branch .LBB71_844
.LBB71_863:
	s_mov_b64 s[56:57], -1
                                        ; implicit-def: $vgpr5
.LBB71_864:
	s_mov_b64 s[58:59], 0
.LBB71_865:
	s_and_b64 vcc, exec, s[58:59]
	s_cbranch_vccz .LBB71_869
; %bb.866:
	s_cmp_eq_u32 s61, 11
	s_cbranch_scc0 .LBB71_868
; %bb.867:
	global_load_ubyte v1, v[3:4], off
	s_mov_b64 s[0:1], -1
	s_mov_b64 s[56:57], 0
	s_waitcnt vmcnt(0)
	v_cmp_ne_u16_e32 vcc, 0, v1
	v_cndmask_b32_e64 v5, 0, 1, vcc
	s_branch .LBB71_869
.LBB71_868:
	s_mov_b64 s[56:57], -1
                                        ; implicit-def: $vgpr5
.LBB71_869:
	s_mov_b64 s[58:59], 0
.LBB71_870:
	s_and_b64 vcc, exec, s[58:59]
	s_cbranch_vccz .LBB71_919
; %bb.871:
	s_and_b32 s58, 0xffff, s60
	s_cmp_lt_i32 s58, 5
	s_cbranch_scc1 .LBB71_876
; %bb.872:
	s_cmp_lt_i32 s58, 8
	s_cbranch_scc1 .LBB71_877
; %bb.873:
	s_cmp_lt_i32 s58, 9
	s_cbranch_scc1 .LBB71_878
; %bb.874:
	s_cmp_gt_i32 s58, 9
	s_cbranch_scc0 .LBB71_879
; %bb.875:
	global_load_dwordx2 v[5:6], v[3:4], off
	s_mov_b64 s[0:1], 0
	s_waitcnt vmcnt(0)
	v_cvt_i32_f64_e32 v5, v[5:6]
	s_branch .LBB71_880
.LBB71_876:
	s_mov_b64 s[0:1], -1
                                        ; implicit-def: $vgpr5
	s_branch .LBB71_898
.LBB71_877:
	s_mov_b64 s[0:1], -1
                                        ; implicit-def: $vgpr5
	s_branch .LBB71_886
.LBB71_878:
	s_mov_b64 s[0:1], -1
                                        ; implicit-def: $vgpr5
	s_branch .LBB71_883
.LBB71_879:
	s_mov_b64 s[0:1], -1
                                        ; implicit-def: $vgpr5
.LBB71_880:
	s_andn2_b64 vcc, exec, s[0:1]
	s_cbranch_vccnz .LBB71_882
; %bb.881:
	global_load_dword v1, v[3:4], off
	s_waitcnt vmcnt(0)
	v_cvt_i32_f32_e32 v5, v1
.LBB71_882:
	s_mov_b64 s[0:1], 0
.LBB71_883:
	s_andn2_b64 vcc, exec, s[0:1]
	s_cbranch_vccnz .LBB71_885
; %bb.884:
	global_load_dword v1, v[3:4], off
	s_waitcnt vmcnt(0)
	v_cvt_f32_f16_e32 v1, v1
	v_cvt_i32_f32_e32 v5, v1
.LBB71_885:
	s_mov_b64 s[0:1], 0
.LBB71_886:
	s_andn2_b64 vcc, exec, s[0:1]
	s_cbranch_vccnz .LBB71_897
; %bb.887:
	s_cmp_lt_i32 s58, 6
	s_cbranch_scc1 .LBB71_890
; %bb.888:
	s_cmp_gt_i32 s58, 6
	s_cbranch_scc0 .LBB71_891
; %bb.889:
	global_load_dwordx2 v[5:6], v[3:4], off
	s_mov_b64 s[0:1], 0
	s_waitcnt vmcnt(0)
	v_cvt_i32_f64_e32 v5, v[5:6]
	s_branch .LBB71_892
.LBB71_890:
	s_mov_b64 s[0:1], -1
                                        ; implicit-def: $vgpr5
	s_branch .LBB71_895
.LBB71_891:
	s_mov_b64 s[0:1], -1
                                        ; implicit-def: $vgpr5
.LBB71_892:
	s_andn2_b64 vcc, exec, s[0:1]
	s_cbranch_vccnz .LBB71_894
; %bb.893:
	global_load_dword v1, v[3:4], off
	s_waitcnt vmcnt(0)
	v_cvt_i32_f32_e32 v5, v1
.LBB71_894:
	s_mov_b64 s[0:1], 0
.LBB71_895:
	s_andn2_b64 vcc, exec, s[0:1]
	s_cbranch_vccnz .LBB71_897
; %bb.896:
	global_load_ushort v1, v[3:4], off
	s_waitcnt vmcnt(0)
	v_cvt_f32_f16_e32 v1, v1
	v_cvt_i32_f32_e32 v5, v1
.LBB71_897:
	s_mov_b64 s[0:1], 0
.LBB71_898:
	s_andn2_b64 vcc, exec, s[0:1]
	s_cbranch_vccnz .LBB71_918
; %bb.899:
	s_cmp_lt_i32 s58, 2
	s_cbranch_scc1 .LBB71_903
; %bb.900:
	s_cmp_lt_i32 s58, 3
	s_cbranch_scc1 .LBB71_904
; %bb.901:
	s_cmp_gt_i32 s58, 3
	s_cbranch_scc0 .LBB71_905
; %bb.902:
	global_load_dword v5, v[3:4], off
	s_mov_b64 s[0:1], 0
	s_branch .LBB71_906
.LBB71_903:
	s_mov_b64 s[0:1], -1
                                        ; implicit-def: $vgpr5
	s_branch .LBB71_912
.LBB71_904:
	s_mov_b64 s[0:1], -1
                                        ; implicit-def: $vgpr5
	s_branch .LBB71_909
.LBB71_905:
	s_mov_b64 s[0:1], -1
                                        ; implicit-def: $vgpr5
.LBB71_906:
	s_andn2_b64 vcc, exec, s[0:1]
	s_cbranch_vccnz .LBB71_908
; %bb.907:
	global_load_dword v5, v[3:4], off
.LBB71_908:
	s_mov_b64 s[0:1], 0
.LBB71_909:
	s_andn2_b64 vcc, exec, s[0:1]
	s_cbranch_vccnz .LBB71_911
; %bb.910:
	global_load_sshort v5, v[3:4], off
.LBB71_911:
	s_mov_b64 s[0:1], 0
.LBB71_912:
	s_andn2_b64 vcc, exec, s[0:1]
	s_cbranch_vccnz .LBB71_918
; %bb.913:
	s_cmp_gt_i32 s58, 0
	s_cbranch_scc0 .LBB71_915
; %bb.914:
	global_load_sbyte v5, v[3:4], off
	s_mov_b64 s[0:1], 0
	s_branch .LBB71_916
.LBB71_915:
	s_mov_b64 s[0:1], -1
                                        ; implicit-def: $vgpr5
.LBB71_916:
	s_andn2_b64 vcc, exec, s[0:1]
	s_cbranch_vccnz .LBB71_918
; %bb.917:
	global_load_ubyte v5, v[3:4], off
.LBB71_918:
	s_mov_b64 s[0:1], -1
.LBB71_919:
	s_andn2_b64 vcc, exec, s[0:1]
	s_cbranch_vccnz .LBB71_927
; %bb.920:
	v_mov_b32_e32 v3, s13
	s_and_b32 s62, s72, 0xff
	v_add_co_u32_e32 v1, vcc, s12, v2
	s_cmp_lt_i32 s62, 11
	v_addc_co_u32_e32 v2, vcc, 0, v3, vcc
	s_cbranch_scc1 .LBB71_929
; %bb.921:
	s_and_b32 s63, 0xffff, s62
	s_cmp_gt_i32 s63, 25
	s_cbranch_scc0 .LBB71_930
; %bb.922:
	s_cmp_gt_i32 s63, 28
	s_cbranch_scc0 .LBB71_931
; %bb.923:
	;; [unrolled: 3-line block ×4, first 2 shown]
	s_cmp_eq_u32 s63, 46
	s_mov_b64 s[60:61], 0
	s_cbranch_scc0 .LBB71_936
; %bb.926:
	global_load_dword v3, v[1:2], off
	s_mov_b64 s[0:1], -1
	s_mov_b64 s[58:59], 0
	s_waitcnt vmcnt(0)
	v_lshlrev_b32_e32 v3, 16, v3
	v_cvt_i32_f32_e32 v3, v3
	s_branch .LBB71_937
.LBB71_927:
	s_mov_b64 s[62:63], 0
	s_mov_b64 s[0:1], s[50:51]
	;; [unrolled: 1-line block ×3, first 2 shown]
.LBB71_928:
                                        ; implicit-def: $vgpr8
	s_branch .LBB71_1171
.LBB71_929:
	s_mov_b64 s[60:61], -1
	s_mov_b64 s[0:1], 0
                                        ; implicit-def: $vgpr3
	s_mov_b64 s[58:59], s[48:49]
	s_branch .LBB71_998
.LBB71_930:
	s_mov_b64 s[60:61], -1
	s_mov_b64 s[0:1], 0
	s_mov_b64 s[58:59], s[48:49]
                                        ; implicit-def: $vgpr3
	s_branch .LBB71_964
.LBB71_931:
	s_mov_b64 s[60:61], -1
	s_mov_b64 s[0:1], 0
	s_mov_b64 s[58:59], s[48:49]
                                        ; implicit-def: $vgpr3
	s_branch .LBB71_947
.LBB71_932:
	s_mov_b64 s[60:61], -1
	s_mov_b64 s[0:1], 0
	s_mov_b64 s[58:59], s[48:49]
                                        ; implicit-def: $vgpr3
	s_branch .LBB71_942
.LBB71_933:
	s_mov_b64 s[60:61], -1
	s_mov_b64 s[0:1], 0
	s_mov_b64 s[58:59], s[48:49]
                                        ; implicit-def: $vgpr3
	s_branch .LBB71_937
.LBB71_934:
	s_andn2_saveexec_b64 s[56:57], s[56:57]
	s_cbranch_execz .LBB71_702
.LBB71_935:
	s_mov_b32 s60, 0x42800000
	v_add_f32_e64 v2, |v0|, s60
	v_and_b32_e32 v2, 0xff, v2
	v_cmp_ne_u32_e32 vcc, 0, v2
	s_andn2_b64 s[54:55], s[54:55], exec
	s_and_b64 s[60:61], vcc, exec
	s_or_b64 s[54:55], s[54:55], s[60:61]
	s_or_b64 exec, exec, s[56:57]
	v_mov_b32_e32 v5, 0
	s_and_saveexec_b64 s[56:57], s[54:55]
	s_cbranch_execnz .LBB71_703
	s_branch .LBB71_704
.LBB71_936:
	s_mov_b64 s[58:59], -1
                                        ; implicit-def: $vgpr3
	s_mov_b64 s[0:1], 0
.LBB71_937:
	s_and_b64 vcc, exec, s[60:61]
	s_cbranch_vccz .LBB71_941
; %bb.938:
	s_cmp_eq_u32 s63, 44
	s_cbranch_scc0 .LBB71_940
; %bb.939:
	global_load_ubyte v3, v[1:2], off
	s_mov_b64 s[0:1], -1
	s_mov_b64 s[58:59], 0
	s_waitcnt vmcnt(0)
	v_lshlrev_b32_e32 v4, 23, v3
	v_cvt_i32_f32_e32 v4, v4
	v_cmp_ne_u32_e32 vcc, 0, v3
	v_cndmask_b32_e32 v3, 0, v4, vcc
	s_branch .LBB71_941
.LBB71_940:
	s_mov_b64 s[58:59], -1
                                        ; implicit-def: $vgpr3
.LBB71_941:
	s_mov_b64 s[60:61], 0
.LBB71_942:
	s_and_b64 vcc, exec, s[60:61]
	s_cbranch_vccz .LBB71_946
; %bb.943:
	s_cmp_eq_u32 s63, 29
	s_cbranch_scc0 .LBB71_945
; %bb.944:
	global_load_dword v3, v[1:2], off
	s_mov_b64 s[0:1], -1
	s_mov_b64 s[58:59], 0
	s_branch .LBB71_946
.LBB71_945:
	s_mov_b64 s[58:59], -1
                                        ; implicit-def: $vgpr3
.LBB71_946:
	s_mov_b64 s[60:61], 0
.LBB71_947:
	s_and_b64 vcc, exec, s[60:61]
	s_cbranch_vccz .LBB71_963
; %bb.948:
	s_cmp_lt_i32 s63, 27
	s_cbranch_scc1 .LBB71_951
; %bb.949:
	s_cmp_gt_i32 s63, 27
	s_cbranch_scc0 .LBB71_952
; %bb.950:
	global_load_dword v3, v[1:2], off
	s_mov_b64 s[0:1], 0
	s_branch .LBB71_953
.LBB71_951:
	s_mov_b64 s[0:1], -1
                                        ; implicit-def: $vgpr3
	s_branch .LBB71_956
.LBB71_952:
	s_mov_b64 s[0:1], -1
                                        ; implicit-def: $vgpr3
.LBB71_953:
	s_andn2_b64 vcc, exec, s[0:1]
	s_cbranch_vccnz .LBB71_955
; %bb.954:
	global_load_ushort v3, v[1:2], off
.LBB71_955:
	s_mov_b64 s[0:1], 0
.LBB71_956:
	s_andn2_b64 vcc, exec, s[0:1]
	s_cbranch_vccnz .LBB71_962
; %bb.957:
	global_load_ubyte v4, v[1:2], off
	s_movk_i32 s0, 0x7f
	s_mov_b64 s[60:61], 0
	s_waitcnt vmcnt(0)
	v_cmp_lt_i16_e32 vcc, s0, v4
	s_and_saveexec_b64 s[0:1], vcc
	s_xor_b64 s[0:1], exec, s[0:1]
	s_cbranch_execz .LBB71_974
; %bb.958:
	s_movk_i32 s60, 0x80
	v_cmp_ne_u16_e32 vcc, s60, v4
	s_and_b64 s[60:61], vcc, exec
	s_andn2_saveexec_b64 s[0:1], s[0:1]
	s_cbranch_execnz .LBB71_975
.LBB71_959:
	s_or_b64 exec, exec, s[0:1]
	v_mov_b32_e32 v3, 0
	s_and_saveexec_b64 s[0:1], s[60:61]
	s_cbranch_execz .LBB71_961
.LBB71_960:
	v_lshlrev_b32_e32 v3, 24, v4
	v_and_b32_e32 v4, 0xffff, v4
	v_and_b32_e32 v6, 7, v4
	v_ffbh_u32_e32 v9, v6
	v_min_u32_e32 v9, 32, v9
	v_subrev_u32_e32 v10, 28, v9
	v_bfe_u32 v7, v4, 3, 4
	v_lshlrev_b32_e32 v4, v10, v4
	v_sub_u32_e32 v9, 29, v9
	v_and_b32_e32 v4, 7, v4
	v_cmp_eq_u32_e32 vcc, 0, v7
	v_cndmask_b32_e32 v7, v7, v9, vcc
	v_cndmask_b32_e32 v4, v6, v4, vcc
	v_mov_b32_e32 v6, 0x3b800000
	v_lshlrev_b32_e32 v4, 20, v4
	v_and_b32_e32 v3, 0x80000000, v3
	v_lshl_add_u32 v6, v7, 23, v6
	v_or3_b32 v3, v3, v6, v4
	v_cvt_i32_f32_e32 v3, v3
.LBB71_961:
	s_or_b64 exec, exec, s[0:1]
.LBB71_962:
	s_mov_b64 s[0:1], -1
.LBB71_963:
	s_mov_b64 s[60:61], 0
.LBB71_964:
	s_and_b64 vcc, exec, s[60:61]
	s_cbranch_vccz .LBB71_997
; %bb.965:
	s_cmp_gt_i32 s63, 22
	s_cbranch_scc0 .LBB71_973
; %bb.966:
	s_cmp_lt_i32 s63, 24
	s_cbranch_scc1 .LBB71_976
; %bb.967:
	s_cmp_gt_i32 s63, 24
	s_cbranch_scc0 .LBB71_977
; %bb.968:
	global_load_ubyte v4, v[1:2], off
	s_movk_i32 s0, 0x7f
	s_mov_b64 s[60:61], 0
	s_waitcnt vmcnt(0)
	v_cmp_lt_i16_e32 vcc, s0, v4
	s_and_saveexec_b64 s[0:1], vcc
	s_xor_b64 s[0:1], exec, s[0:1]
	s_cbranch_execz .LBB71_989
; %bb.969:
	s_movk_i32 s60, 0x80
	v_cmp_ne_u16_e32 vcc, s60, v4
	s_and_b64 s[60:61], vcc, exec
	s_andn2_saveexec_b64 s[0:1], s[0:1]
	s_cbranch_execnz .LBB71_990
.LBB71_970:
	s_or_b64 exec, exec, s[0:1]
	v_mov_b32_e32 v3, 0
	s_and_saveexec_b64 s[0:1], s[60:61]
	s_cbranch_execz .LBB71_972
.LBB71_971:
	v_lshlrev_b32_e32 v3, 24, v4
	v_and_b32_e32 v4, 0xffff, v4
	v_and_b32_e32 v6, 3, v4
	v_ffbh_u32_e32 v9, v6
	v_min_u32_e32 v9, 32, v9
	v_subrev_u32_e32 v10, 29, v9
	v_bfe_u32 v7, v4, 2, 5
	v_lshlrev_b32_e32 v4, v10, v4
	v_sub_u32_e32 v9, 30, v9
	v_and_b32_e32 v4, 3, v4
	v_cmp_eq_u32_e32 vcc, 0, v7
	v_cndmask_b32_e32 v7, v7, v9, vcc
	v_cndmask_b32_e32 v4, v6, v4, vcc
	v_mov_b32_e32 v6, 0x37800000
	v_lshlrev_b32_e32 v4, 21, v4
	v_and_b32_e32 v3, 0x80000000, v3
	v_lshl_add_u32 v6, v7, 23, v6
	v_or3_b32 v3, v3, v6, v4
	v_cvt_i32_f32_e32 v3, v3
.LBB71_972:
	s_or_b64 exec, exec, s[0:1]
	s_mov_b64 s[0:1], 0
	s_branch .LBB71_978
.LBB71_973:
	s_mov_b64 s[60:61], -1
                                        ; implicit-def: $vgpr3
	s_branch .LBB71_984
.LBB71_974:
	s_andn2_saveexec_b64 s[0:1], s[0:1]
	s_cbranch_execz .LBB71_959
.LBB71_975:
	v_cmp_ne_u16_e32 vcc, 0, v4
	s_andn2_b64 s[60:61], s[60:61], exec
	s_and_b64 s[64:65], vcc, exec
	s_or_b64 s[60:61], s[60:61], s[64:65]
	s_or_b64 exec, exec, s[0:1]
	v_mov_b32_e32 v3, 0
	s_and_saveexec_b64 s[0:1], s[60:61]
	s_cbranch_execnz .LBB71_960
	s_branch .LBB71_961
.LBB71_976:
	s_mov_b64 s[0:1], -1
                                        ; implicit-def: $vgpr3
	s_branch .LBB71_981
.LBB71_977:
	s_mov_b64 s[0:1], -1
                                        ; implicit-def: $vgpr3
.LBB71_978:
	s_and_b64 vcc, exec, s[0:1]
	s_cbranch_vccz .LBB71_980
; %bb.979:
	global_load_ubyte v3, v[1:2], off
	s_mov_b32 s0, 0x7f800000
	s_waitcnt vmcnt(0)
	v_lshlrev_b32_e32 v3, 24, v3
	v_and_b32_e32 v4, 0x7f000000, v3
	v_ffbh_u32_e32 v6, v4
	v_min_u32_e32 v6, 32, v6
	v_sub_u32_e64 v6, v6, 4 clamp
	v_lshlrev_b32_e32 v9, v6, v4
	v_lshlrev_b32_e32 v6, 23, v6
	v_lshrrev_b32_e32 v9, 4, v9
	v_add_u32_e32 v7, 0x1000000, v4
	v_sub_u32_e32 v6, v9, v6
	v_ashrrev_i32_e32 v7, 8, v7
	v_add_u32_e32 v6, 0x3c000000, v6
	v_and_or_b32 v6, v7, s0, v6
	v_cmp_ne_u32_e32 vcc, 0, v4
	v_cndmask_b32_e32 v4, 0, v6, vcc
	s_brev_b32 s0, 1
	v_and_or_b32 v3, v3, s0, v4
	v_cvt_i32_f32_e32 v3, v3
.LBB71_980:
	s_mov_b64 s[0:1], 0
.LBB71_981:
	s_andn2_b64 vcc, exec, s[0:1]
	s_cbranch_vccnz .LBB71_983
; %bb.982:
	global_load_ubyte v3, v[1:2], off
	s_movk_i32 s0, 0x7f00
	s_brev_b32 s1, 16
	s_waitcnt vmcnt(0)
	v_lshlrev_b16_e32 v4, 8, v3
	v_lshlrev_b32_e32 v3, 25, v3
	v_lshrrev_b32_e32 v6, 4, v3
	v_and_or_b32 v7, v4, s0, 0.5
	v_or_b32_e32 v6, 0x70000000, v6
	v_add_f32_e32 v7, -0.5, v7
	v_mul_f32_e32 v6, 0x7800000, v6
	v_cmp_gt_u32_e32 vcc, s1, v3
	v_bfe_i32 v4, v4, 0, 16
	v_cndmask_b32_e32 v3, v6, v7, vcc
	s_brev_b32 s0, 1
	v_and_or_b32 v3, v4, s0, v3
	v_cvt_i32_f32_e32 v3, v3
.LBB71_983:
	s_mov_b64 s[60:61], 0
	s_mov_b64 s[0:1], -1
.LBB71_984:
	s_andn2_b64 vcc, exec, s[60:61]
	s_cbranch_vccnz .LBB71_997
; %bb.985:
	s_cmp_gt_i32 s63, 14
	s_cbranch_scc0 .LBB71_988
; %bb.986:
	s_cmp_eq_u32 s63, 15
	s_cbranch_scc0 .LBB71_991
; %bb.987:
	global_load_ushort v3, v[1:2], off
	s_mov_b64 s[0:1], -1
	s_mov_b64 s[58:59], 0
	s_waitcnt vmcnt(0)
	v_lshlrev_b32_e32 v3, 16, v3
	v_cvt_i32_f32_e32 v3, v3
	s_branch .LBB71_992
.LBB71_988:
	s_mov_b64 s[60:61], -1
                                        ; implicit-def: $vgpr3
	s_branch .LBB71_993
.LBB71_989:
	s_andn2_saveexec_b64 s[0:1], s[0:1]
	s_cbranch_execz .LBB71_970
.LBB71_990:
	v_cmp_ne_u16_e32 vcc, 0, v4
	s_andn2_b64 s[60:61], s[60:61], exec
	s_and_b64 s[64:65], vcc, exec
	s_or_b64 s[60:61], s[60:61], s[64:65]
	s_or_b64 exec, exec, s[0:1]
	v_mov_b32_e32 v3, 0
	s_and_saveexec_b64 s[0:1], s[60:61]
	s_cbranch_execnz .LBB71_971
	s_branch .LBB71_972
.LBB71_991:
	s_mov_b64 s[58:59], -1
                                        ; implicit-def: $vgpr3
.LBB71_992:
	s_mov_b64 s[60:61], 0
.LBB71_993:
	s_and_b64 vcc, exec, s[60:61]
	s_cbranch_vccz .LBB71_997
; %bb.994:
	s_cmp_eq_u32 s63, 11
	s_cbranch_scc0 .LBB71_996
; %bb.995:
	global_load_ubyte v3, v[1:2], off
	s_mov_b64 s[0:1], -1
	s_mov_b64 s[58:59], 0
	s_waitcnt vmcnt(0)
	v_cmp_ne_u16_e32 vcc, 0, v3
	v_cndmask_b32_e64 v3, 0, 1, vcc
	s_branch .LBB71_997
.LBB71_996:
	s_mov_b64 s[58:59], -1
                                        ; implicit-def: $vgpr3
.LBB71_997:
	s_mov_b64 s[60:61], 0
.LBB71_998:
	s_and_b64 vcc, exec, s[60:61]
	s_cbranch_vccz .LBB71_1047
; %bb.999:
	s_and_b32 s60, 0xffff, s62
	s_cmp_lt_i32 s60, 5
	s_cbranch_scc1 .LBB71_1004
; %bb.1000:
	s_cmp_lt_i32 s60, 8
	s_cbranch_scc1 .LBB71_1005
; %bb.1001:
	;; [unrolled: 3-line block ×3, first 2 shown]
	s_cmp_gt_i32 s60, 9
	s_cbranch_scc0 .LBB71_1007
; %bb.1003:
	global_load_dwordx2 v[3:4], v[1:2], off
	s_mov_b64 s[0:1], 0
	s_waitcnt vmcnt(0)
	v_cvt_i32_f64_e32 v3, v[3:4]
	s_branch .LBB71_1008
.LBB71_1004:
	s_mov_b64 s[0:1], -1
                                        ; implicit-def: $vgpr3
	s_branch .LBB71_1026
.LBB71_1005:
	s_mov_b64 s[0:1], -1
                                        ; implicit-def: $vgpr3
	s_branch .LBB71_1014
.LBB71_1006:
	s_mov_b64 s[0:1], -1
                                        ; implicit-def: $vgpr3
	s_branch .LBB71_1011
.LBB71_1007:
	s_mov_b64 s[0:1], -1
                                        ; implicit-def: $vgpr3
.LBB71_1008:
	s_andn2_b64 vcc, exec, s[0:1]
	s_cbranch_vccnz .LBB71_1010
; %bb.1009:
	global_load_dword v3, v[1:2], off
	s_waitcnt vmcnt(0)
	v_cvt_i32_f32_e32 v3, v3
.LBB71_1010:
	s_mov_b64 s[0:1], 0
.LBB71_1011:
	s_andn2_b64 vcc, exec, s[0:1]
	s_cbranch_vccnz .LBB71_1013
; %bb.1012:
	global_load_dword v3, v[1:2], off
	s_waitcnt vmcnt(0)
	v_cvt_f32_f16_e32 v3, v3
	v_cvt_i32_f32_e32 v3, v3
.LBB71_1013:
	s_mov_b64 s[0:1], 0
.LBB71_1014:
	s_andn2_b64 vcc, exec, s[0:1]
	s_cbranch_vccnz .LBB71_1025
; %bb.1015:
	s_cmp_lt_i32 s60, 6
	s_cbranch_scc1 .LBB71_1018
; %bb.1016:
	s_cmp_gt_i32 s60, 6
	s_cbranch_scc0 .LBB71_1019
; %bb.1017:
	global_load_dwordx2 v[3:4], v[1:2], off
	s_mov_b64 s[0:1], 0
	s_waitcnt vmcnt(0)
	v_cvt_i32_f64_e32 v3, v[3:4]
	s_branch .LBB71_1020
.LBB71_1018:
	s_mov_b64 s[0:1], -1
                                        ; implicit-def: $vgpr3
	s_branch .LBB71_1023
.LBB71_1019:
	s_mov_b64 s[0:1], -1
                                        ; implicit-def: $vgpr3
.LBB71_1020:
	s_andn2_b64 vcc, exec, s[0:1]
	s_cbranch_vccnz .LBB71_1022
; %bb.1021:
	global_load_dword v3, v[1:2], off
	s_waitcnt vmcnt(0)
	v_cvt_i32_f32_e32 v3, v3
.LBB71_1022:
	s_mov_b64 s[0:1], 0
.LBB71_1023:
	s_andn2_b64 vcc, exec, s[0:1]
	s_cbranch_vccnz .LBB71_1025
; %bb.1024:
	global_load_ushort v3, v[1:2], off
	s_waitcnt vmcnt(0)
	v_cvt_f32_f16_e32 v3, v3
	v_cvt_i32_f32_e32 v3, v3
.LBB71_1025:
	s_mov_b64 s[0:1], 0
.LBB71_1026:
	s_andn2_b64 vcc, exec, s[0:1]
	s_cbranch_vccnz .LBB71_1046
; %bb.1027:
	s_cmp_lt_i32 s60, 2
	s_cbranch_scc1 .LBB71_1031
; %bb.1028:
	s_cmp_lt_i32 s60, 3
	s_cbranch_scc1 .LBB71_1032
; %bb.1029:
	s_cmp_gt_i32 s60, 3
	s_cbranch_scc0 .LBB71_1033
; %bb.1030:
	global_load_dword v3, v[1:2], off
	s_mov_b64 s[0:1], 0
	s_branch .LBB71_1034
.LBB71_1031:
	s_mov_b64 s[0:1], -1
                                        ; implicit-def: $vgpr3
	s_branch .LBB71_1040
.LBB71_1032:
	s_mov_b64 s[0:1], -1
                                        ; implicit-def: $vgpr3
	s_branch .LBB71_1037
.LBB71_1033:
	s_mov_b64 s[0:1], -1
                                        ; implicit-def: $vgpr3
.LBB71_1034:
	s_andn2_b64 vcc, exec, s[0:1]
	s_cbranch_vccnz .LBB71_1036
; %bb.1035:
	global_load_dword v3, v[1:2], off
.LBB71_1036:
	s_mov_b64 s[0:1], 0
.LBB71_1037:
	s_andn2_b64 vcc, exec, s[0:1]
	s_cbranch_vccnz .LBB71_1039
; %bb.1038:
	global_load_sshort v3, v[1:2], off
.LBB71_1039:
	s_mov_b64 s[0:1], 0
.LBB71_1040:
	s_andn2_b64 vcc, exec, s[0:1]
	s_cbranch_vccnz .LBB71_1046
; %bb.1041:
	s_cmp_gt_i32 s60, 0
	s_cbranch_scc0 .LBB71_1043
; %bb.1042:
	global_load_sbyte v3, v[1:2], off
	s_mov_b64 s[0:1], 0
	s_branch .LBB71_1044
.LBB71_1043:
	s_mov_b64 s[0:1], -1
                                        ; implicit-def: $vgpr3
.LBB71_1044:
	s_andn2_b64 vcc, exec, s[0:1]
	s_cbranch_vccnz .LBB71_1046
; %bb.1045:
	global_load_ubyte v3, v[1:2], off
.LBB71_1046:
	s_mov_b64 s[0:1], -1
.LBB71_1047:
	s_andn2_b64 vcc, exec, s[0:1]
	s_cbranch_vccnz .LBB71_1055
; %bb.1048:
	v_mov_b32_e32 v1, s15
	s_waitcnt vmcnt(0)
	v_cmp_lt_i32_e32 vcc, s14, v5
	v_cndmask_b32_e32 v1, v1, v3, vcc
	v_mov_b32_e32 v2, s9
	s_and_b32 s66, s71, 0xff
	v_add_co_u32_e32 v3, vcc, s8, v0
	s_cmp_lt_i32 s66, 11
	v_addc_co_u32_e32 v4, vcc, 0, v2, vcc
	s_cbranch_scc1 .LBB71_1056
; %bb.1049:
	s_and_b32 s67, 0xffff, s66
	s_cmp_gt_i32 s67, 25
	s_cbranch_scc0 .LBB71_1057
; %bb.1050:
	s_cmp_gt_i32 s67, 28
	s_cbranch_scc0 .LBB71_1058
; %bb.1051:
	;; [unrolled: 3-line block ×4, first 2 shown]
	s_mov_b64 s[62:63], 0
	s_mov_b64 s[0:1], -1
	s_cmp_eq_u32 s67, 46
	s_mov_b64 s[60:61], 0
	s_cbranch_scc0 .LBB71_1061
; %bb.1054:
	v_cvt_f32_i32_e32 v0, v1
	s_movk_i32 s0, 0x7fff
	s_mov_b64 s[60:61], -1
	v_bfe_u32 v2, v0, 16, 1
	v_add3_u32 v0, v0, v2, s0
	v_lshrrev_b32_e32 v0, 16, v0
	global_store_dword v[3:4], v0, off
	s_mov_b64 s[0:1], 0
	s_branch .LBB71_1061
.LBB71_1055:
	s_mov_b64 s[62:63], 0
                                        ; implicit-def: $vgpr8
	s_mov_b64 s[0:1], s[50:51]
	s_branch .LBB71_1171
.LBB71_1056:
	s_mov_b64 s[62:63], -1
	s_mov_b64 s[60:61], 0
	s_mov_b64 s[0:1], s[50:51]
	s_branch .LBB71_1130
.LBB71_1057:
	s_mov_b64 s[62:63], -1
	s_mov_b64 s[60:61], 0
	s_mov_b64 s[0:1], s[50:51]
	s_branch .LBB71_1088
.LBB71_1058:
	s_mov_b64 s[62:63], -1
	s_mov_b64 s[60:61], 0
	s_mov_b64 s[0:1], s[50:51]
	s_branch .LBB71_1071
.LBB71_1059:
	s_mov_b64 s[62:63], -1
	s_mov_b64 s[60:61], 0
	s_mov_b64 s[0:1], s[50:51]
	s_branch .LBB71_1067
.LBB71_1060:
	s_mov_b64 s[62:63], -1
	s_mov_b64 s[60:61], 0
	s_mov_b64 s[0:1], s[50:51]
.LBB71_1061:
	s_and_b64 vcc, exec, s[62:63]
	s_cbranch_vccz .LBB71_1066
; %bb.1062:
	s_cmp_eq_u32 s67, 44
	s_mov_b64 s[0:1], -1
	s_cbranch_scc0 .LBB71_1066
; %bb.1063:
	v_cvt_f32_i32_e32 v0, v1
	s_movk_i32 s0, 0xff
	v_mov_b32_e32 v5, 0xff
	v_bfe_u32 v2, v0, 23, 8
	v_cmp_ne_u32_e32 vcc, s0, v2
	s_and_saveexec_b64 s[60:61], vcc
; %bb.1064:
	s_mov_b32 s0, 0x3fffff
	v_lshrrev_b32_e32 v5, 23, v0
	v_and_b32_e32 v6, 0x400000, v0
	v_and_or_b32 v0, v0, s0, v2
	v_cmp_ne_u32_e32 vcc, 0, v6
	v_cmp_ne_u32_e64 s[0:1], 0, v0
	s_and_b64 s[0:1], vcc, s[0:1]
	v_cndmask_b32_e64 v0, 0, 1, s[0:1]
	v_add_u32_e32 v5, v5, v0
; %bb.1065:
	s_or_b64 exec, exec, s[60:61]
	s_mov_b64 s[60:61], -1
	s_mov_b64 s[0:1], 0
	global_store_byte v[3:4], v5, off
.LBB71_1066:
	s_mov_b64 s[62:63], 0
.LBB71_1067:
	s_and_b64 vcc, exec, s[62:63]
	s_cbranch_vccz .LBB71_1070
; %bb.1068:
	s_cmp_eq_u32 s67, 29
	s_mov_b64 s[0:1], -1
	s_cbranch_scc0 .LBB71_1070
; %bb.1069:
	v_ashrrev_i32_e32 v2, 31, v1
	global_store_dwordx2 v[3:4], v[1:2], off
	s_mov_b64 s[60:61], -1
	s_mov_b64 s[0:1], 0
.LBB71_1070:
	s_mov_b64 s[62:63], 0
.LBB71_1071:
	s_and_b64 vcc, exec, s[62:63]
	s_cbranch_vccz .LBB71_1087
; %bb.1072:
	s_cmp_lt_i32 s67, 27
	s_mov_b64 s[60:61], -1
	s_cbranch_scc1 .LBB71_1078
; %bb.1073:
	s_cmp_gt_i32 s67, 27
	s_cbranch_scc0 .LBB71_1075
; %bb.1074:
	s_mov_b64 s[60:61], 0
	global_store_dword v[3:4], v1, off
.LBB71_1075:
	s_andn2_b64 vcc, exec, s[60:61]
	s_cbranch_vccnz .LBB71_1077
; %bb.1076:
	global_store_short v[3:4], v1, off
.LBB71_1077:
	s_mov_b64 s[60:61], 0
.LBB71_1078:
	s_andn2_b64 vcc, exec, s[60:61]
	s_cbranch_vccnz .LBB71_1086
; %bb.1079:
	v_cvt_f32_i32_e32 v0, v1
	s_mov_b32 s60, 0x43800000
	v_mov_b32_e32 v5, 0x80
	v_and_b32_e32 v2, 0x7fffffff, v0
	v_cmp_gt_u32_e32 vcc, s60, v2
	s_and_saveexec_b64 s[60:61], vcc
	s_cbranch_execz .LBB71_1085
; %bb.1080:
	s_mov_b32 s62, 0x3bffffff
	v_cmp_lt_u32_e32 vcc, s62, v2
	s_mov_b64 s[62:63], 0
                                        ; implicit-def: $vgpr2
	s_and_saveexec_b64 s[64:65], vcc
	s_xor_b64 s[64:65], exec, s[64:65]
	s_cbranch_execz .LBB71_1199
; %bb.1081:
	v_bfe_u32 v2, v0, 20, 1
	s_mov_b32 s69, 0x487ffff
	v_add3_u32 v2, v0, v2, s69
	s_mov_b64 s[62:63], exec
	v_lshrrev_b32_e32 v2, 20, v2
	s_andn2_saveexec_b64 s[64:65], s[64:65]
	s_cbranch_execnz .LBB71_1200
.LBB71_1082:
	s_or_b64 exec, exec, s[64:65]
	v_mov_b32_e32 v5, 0
	s_and_saveexec_b64 s[64:65], s[62:63]
.LBB71_1083:
	v_lshrrev_b32_e32 v0, 24, v0
	s_movk_i32 s62, 0x80
	v_and_or_b32 v5, v0, s62, v2
.LBB71_1084:
	s_or_b64 exec, exec, s[64:65]
.LBB71_1085:
	s_or_b64 exec, exec, s[60:61]
	global_store_byte v[3:4], v5, off
.LBB71_1086:
	s_mov_b64 s[60:61], -1
.LBB71_1087:
	s_mov_b64 s[62:63], 0
.LBB71_1088:
	s_and_b64 vcc, exec, s[62:63]
	s_cbranch_vccz .LBB71_1129
; %bb.1089:
	s_cmp_gt_i32 s67, 22
	s_mov_b64 s[62:63], -1
	s_cbranch_scc0 .LBB71_1121
; %bb.1090:
	s_cmp_lt_i32 s67, 24
	s_mov_b64 s[60:61], -1
	s_cbranch_scc1 .LBB71_1110
; %bb.1091:
	s_cmp_gt_i32 s67, 24
	s_cbranch_scc0 .LBB71_1099
; %bb.1092:
	v_cvt_f32_i32_e32 v0, v1
	s_mov_b32 s60, 0x47800000
	v_mov_b32_e32 v5, 0x80
	v_and_b32_e32 v2, 0x7fffffff, v0
	v_cmp_gt_u32_e32 vcc, s60, v2
	s_and_saveexec_b64 s[60:61], vcc
	s_cbranch_execz .LBB71_1098
; %bb.1093:
	s_mov_b32 s62, 0x37ffffff
	v_cmp_lt_u32_e32 vcc, s62, v2
	s_mov_b64 s[62:63], 0
                                        ; implicit-def: $vgpr2
	s_and_saveexec_b64 s[64:65], vcc
	s_xor_b64 s[64:65], exec, s[64:65]
	s_cbranch_execz .LBB71_2236
; %bb.1094:
	v_bfe_u32 v2, v0, 21, 1
	s_mov_b32 s69, 0x88fffff
	v_add3_u32 v2, v0, v2, s69
	s_mov_b64 s[62:63], exec
	v_lshrrev_b32_e32 v2, 21, v2
	s_andn2_saveexec_b64 s[64:65], s[64:65]
	s_cbranch_execnz .LBB71_2237
.LBB71_1095:
	s_or_b64 exec, exec, s[64:65]
	v_mov_b32_e32 v5, 0
	s_and_saveexec_b64 s[64:65], s[62:63]
.LBB71_1096:
	v_lshrrev_b32_e32 v0, 24, v0
	s_movk_i32 s62, 0x80
	v_and_or_b32 v5, v0, s62, v2
.LBB71_1097:
	s_or_b64 exec, exec, s[64:65]
.LBB71_1098:
	s_or_b64 exec, exec, s[60:61]
	s_mov_b64 s[60:61], 0
	global_store_byte v[3:4], v5, off
.LBB71_1099:
	s_and_b64 vcc, exec, s[60:61]
	s_cbranch_vccz .LBB71_1109
; %bb.1100:
	v_cvt_f32_i32_e32 v0, v1
	s_mov_b32 s60, 0x43f00000
                                        ; implicit-def: $vgpr2
	v_and_b32_e32 v5, 0x7fffffff, v0
	v_cmp_gt_u32_e32 vcc, s60, v5
	s_and_saveexec_b64 s[60:61], vcc
	s_xor_b64 s[60:61], exec, s[60:61]
	s_cbranch_execz .LBB71_1106
; %bb.1101:
	s_mov_b32 s62, 0x3c7fffff
	v_cmp_lt_u32_e32 vcc, s62, v5
                                        ; implicit-def: $vgpr2
	s_and_saveexec_b64 s[62:63], vcc
	s_xor_b64 s[62:63], exec, s[62:63]
; %bb.1102:
	v_bfe_u32 v2, v0, 20, 1
	s_mov_b32 s64, 0x407ffff
	v_add3_u32 v2, v0, v2, s64
	v_lshrrev_b32_e32 v5, 20, v2
	v_and_b32_e32 v2, 0xff00000, v2
	s_mov_b32 s64, 0x7f00000
	v_mov_b32_e32 v6, 0x7e
	v_cmp_ne_u32_e32 vcc, s64, v2
	v_cndmask_b32_e32 v2, v6, v5, vcc
; %bb.1103:
	s_andn2_saveexec_b64 s[62:63], s[62:63]
; %bb.1104:
	s_mov_b32 s64, 0x46800000
	v_add_f32_e64 v2, |v0|, s64
; %bb.1105:
	s_or_b64 exec, exec, s[62:63]
                                        ; implicit-def: $vgpr5
.LBB71_1106:
	s_andn2_saveexec_b64 s[60:61], s[60:61]
; %bb.1107:
	s_mov_b32 s62, 0x7f800000
	v_mov_b32_e32 v2, 0x7e
	v_mov_b32_e32 v6, 0x7f
	v_cmp_lt_u32_e32 vcc, s62, v5
	v_cndmask_b32_e32 v2, v2, v6, vcc
; %bb.1108:
	s_or_b64 exec, exec, s[60:61]
	v_lshrrev_b32_e32 v0, 24, v0
	s_movk_i32 s60, 0x80
	v_and_or_b32 v0, v0, s60, v2
	global_store_byte v[3:4], v0, off
.LBB71_1109:
	s_mov_b64 s[60:61], 0
.LBB71_1110:
	s_andn2_b64 vcc, exec, s[60:61]
	s_cbranch_vccnz .LBB71_1120
; %bb.1111:
	v_cvt_f32_i32_e32 v0, v1
	s_mov_b32 s60, 0x47800000
                                        ; implicit-def: $vgpr2
	v_and_b32_e32 v5, 0x7fffffff, v0
	v_cmp_gt_u32_e32 vcc, s60, v5
	s_and_saveexec_b64 s[60:61], vcc
	s_xor_b64 s[60:61], exec, s[60:61]
	s_cbranch_execz .LBB71_1117
; %bb.1112:
	s_mov_b32 s62, 0x387fffff
	v_cmp_lt_u32_e32 vcc, s62, v5
                                        ; implicit-def: $vgpr2
	s_and_saveexec_b64 s[62:63], vcc
	s_xor_b64 s[62:63], exec, s[62:63]
; %bb.1113:
	v_bfe_u32 v2, v0, 21, 1
	s_mov_b32 s64, 0x80fffff
	v_add3_u32 v2, v0, v2, s64
	v_lshrrev_b32_e32 v2, 21, v2
; %bb.1114:
	s_andn2_saveexec_b64 s[62:63], s[62:63]
; %bb.1115:
	s_mov_b32 s64, 0x43000000
	v_add_f32_e64 v2, |v0|, s64
; %bb.1116:
	s_or_b64 exec, exec, s[62:63]
                                        ; implicit-def: $vgpr5
.LBB71_1117:
	s_andn2_saveexec_b64 s[60:61], s[60:61]
; %bb.1118:
	s_mov_b32 s62, 0x7f800000
	v_mov_b32_e32 v2, 0x7c
	v_mov_b32_e32 v6, 0x7f
	v_cmp_lt_u32_e32 vcc, s62, v5
	v_cndmask_b32_e32 v2, v2, v6, vcc
; %bb.1119:
	s_or_b64 exec, exec, s[60:61]
	v_lshrrev_b32_e32 v0, 24, v0
	s_movk_i32 s60, 0x80
	v_and_or_b32 v0, v0, s60, v2
	global_store_byte v[3:4], v0, off
.LBB71_1120:
	s_mov_b64 s[62:63], 0
	s_mov_b64 s[60:61], -1
.LBB71_1121:
	s_andn2_b64 vcc, exec, s[62:63]
	s_cbranch_vccnz .LBB71_1129
; %bb.1122:
	s_cmp_gt_i32 s67, 14
	s_mov_b64 s[62:63], -1
	s_cbranch_scc0 .LBB71_1126
; %bb.1123:
	s_cmp_eq_u32 s67, 15
	s_mov_b64 s[0:1], -1
	s_cbranch_scc0 .LBB71_1125
; %bb.1124:
	v_cvt_f32_i32_e32 v0, v1
	s_movk_i32 s0, 0x7fff
	s_mov_b64 s[60:61], -1
	v_bfe_u32 v2, v0, 16, 1
	v_add3_u32 v0, v0, v2, s0
	global_store_short_d16_hi v[3:4], v0, off
	s_mov_b64 s[0:1], 0
.LBB71_1125:
	s_mov_b64 s[62:63], 0
.LBB71_1126:
	s_and_b64 vcc, exec, s[62:63]
	s_cbranch_vccz .LBB71_1129
; %bb.1127:
	s_cmp_eq_u32 s67, 11
	s_mov_b64 s[0:1], -1
	s_cbranch_scc0 .LBB71_1129
; %bb.1128:
	v_cmp_ne_u32_e32 vcc, 0, v1
	v_cndmask_b32_e64 v0, 0, 1, vcc
	s_mov_b64 s[60:61], -1
	s_mov_b64 s[0:1], 0
	global_store_byte v[3:4], v0, off
.LBB71_1129:
	s_mov_b64 s[62:63], 0
.LBB71_1130:
	s_and_b64 vcc, exec, s[62:63]
	s_cbranch_vccz .LBB71_1169
; %bb.1131:
	s_and_b32 s62, 0xffff, s66
	s_cmp_lt_i32 s62, 5
	s_mov_b64 s[60:61], -1
	s_cbranch_scc1 .LBB71_1152
; %bb.1132:
	s_cmp_lt_i32 s62, 8
	s_cbranch_scc1 .LBB71_1142
; %bb.1133:
	s_cmp_lt_i32 s62, 9
	s_cbranch_scc1 .LBB71_1139
; %bb.1134:
	s_cmp_gt_i32 s62, 9
	s_cbranch_scc0 .LBB71_1136
; %bb.1135:
	v_cvt_f64_i32_e32 v[9:10], v1
	v_mov_b32_e32 v11, 0
	v_mov_b32_e32 v12, v11
	s_mov_b64 s[60:61], 0
	global_store_dwordx4 v[3:4], v[9:12], off
.LBB71_1136:
	s_andn2_b64 vcc, exec, s[60:61]
	s_cbranch_vccnz .LBB71_1138
; %bb.1137:
	v_cvt_f32_i32_e32 v5, v1
	v_mov_b32_e32 v6, 0
	global_store_dwordx2 v[3:4], v[5:6], off
.LBB71_1138:
	s_mov_b64 s[60:61], 0
.LBB71_1139:
	s_andn2_b64 vcc, exec, s[60:61]
	s_cbranch_vccnz .LBB71_1141
; %bb.1140:
	v_cvt_f32_i32_e32 v0, v1
	v_cvt_f16_f32_e32 v0, v0
	global_store_dword v[3:4], v0, off
.LBB71_1141:
	s_mov_b64 s[60:61], 0
.LBB71_1142:
	s_andn2_b64 vcc, exec, s[60:61]
	s_cbranch_vccnz .LBB71_1151
; %bb.1143:
	s_cmp_lt_i32 s62, 6
	s_mov_b64 s[60:61], -1
	s_cbranch_scc1 .LBB71_1149
; %bb.1144:
	s_cmp_gt_i32 s62, 6
	s_cbranch_scc0 .LBB71_1146
; %bb.1145:
	v_cvt_f64_i32_e32 v[5:6], v1
	s_mov_b64 s[60:61], 0
	global_store_dwordx2 v[3:4], v[5:6], off
.LBB71_1146:
	s_andn2_b64 vcc, exec, s[60:61]
	s_cbranch_vccnz .LBB71_1148
; %bb.1147:
	v_cvt_f32_i32_e32 v0, v1
	global_store_dword v[3:4], v0, off
.LBB71_1148:
	s_mov_b64 s[60:61], 0
.LBB71_1149:
	s_andn2_b64 vcc, exec, s[60:61]
	s_cbranch_vccnz .LBB71_1151
; %bb.1150:
	v_cvt_f32_i32_e32 v0, v1
	v_cvt_f16_f32_e32 v0, v0
	global_store_short v[3:4], v0, off
.LBB71_1151:
	s_mov_b64 s[60:61], 0
.LBB71_1152:
	s_andn2_b64 vcc, exec, s[60:61]
	s_cbranch_vccnz .LBB71_1168
; %bb.1153:
	s_cmp_lt_i32 s62, 2
	s_mov_b64 s[60:61], -1
	s_cbranch_scc1 .LBB71_1163
; %bb.1154:
	s_cmp_lt_i32 s62, 3
	s_cbranch_scc1 .LBB71_1160
; %bb.1155:
	s_cmp_gt_i32 s62, 3
	s_cbranch_scc0 .LBB71_1157
; %bb.1156:
	v_ashrrev_i32_e32 v2, 31, v1
	s_mov_b64 s[60:61], 0
	global_store_dwordx2 v[3:4], v[1:2], off
.LBB71_1157:
	s_andn2_b64 vcc, exec, s[60:61]
	s_cbranch_vccnz .LBB71_1159
; %bb.1158:
	global_store_dword v[3:4], v1, off
.LBB71_1159:
	s_mov_b64 s[60:61], 0
.LBB71_1160:
	s_andn2_b64 vcc, exec, s[60:61]
	s_cbranch_vccnz .LBB71_1162
; %bb.1161:
	global_store_short v[3:4], v1, off
.LBB71_1162:
	s_mov_b64 s[60:61], 0
.LBB71_1163:
	s_andn2_b64 vcc, exec, s[60:61]
	s_cbranch_vccnz .LBB71_1168
; %bb.1164:
	s_cmp_gt_i32 s62, 0
	s_mov_b64 s[60:61], -1
	s_cbranch_scc0 .LBB71_1166
; %bb.1165:
	s_mov_b64 s[60:61], 0
	global_store_byte v[3:4], v1, off
.LBB71_1166:
	s_andn2_b64 vcc, exec, s[60:61]
	s_cbranch_vccnz .LBB71_1168
; %bb.1167:
	global_store_byte v[3:4], v1, off
.LBB71_1168:
	s_mov_b64 s[60:61], -1
.LBB71_1169:
	s_andn2_b64 vcc, exec, s[60:61]
	s_cbranch_vccnz .LBB71_1181
; %bb.1170:
	v_add_u32_e32 v8, 0x80, v8
	s_mov_b64 s[62:63], -1
.LBB71_1171:
	s_andn2_b64 s[60:61], s[50:51], exec
	s_and_b64 s[0:1], s[0:1], exec
	s_or_b64 s[60:61], s[60:61], s[0:1]
	s_andn2_b64 s[0:1], s[48:49], exec
	s_and_b64 s[58:59], s[58:59], exec
	s_or_b64 s[58:59], s[0:1], s[58:59]
	;; [unrolled: 3-line block ×3, first 2 shown]
	s_orn2_b64 s[66:67], s[62:63], exec
.LBB71_1172:
	s_or_b64 exec, exec, s[54:55]
	s_mov_b64 s[62:63], 0
	s_mov_b64 s[56:57], 0
	;; [unrolled: 1-line block ×3, first 2 shown]
                                        ; implicit-def: $sgpr75
                                        ; implicit-def: $vgpr3_vgpr4
                                        ; implicit-def: $vgpr0
                                        ; implicit-def: $vgpr2
                                        ; implicit-def: $vgpr5
	s_and_saveexec_b64 s[54:55], s[66:67]
	s_cbranch_execz .LBB71_1263
; %bb.1173:
	v_cmp_gt_i32_e32 vcc, s68, v8
	s_mov_b64 s[66:67], s[0:1]
	s_mov_b64 s[68:69], 0
                                        ; implicit-def: $sgpr75
                                        ; implicit-def: $vgpr3_vgpr4
                                        ; implicit-def: $vgpr0
                                        ; implicit-def: $vgpr2
                                        ; implicit-def: $vgpr5
	s_and_saveexec_b64 s[56:57], vcc
	s_cbranch_execz .LBB71_1262
; %bb.1174:
	s_andn2_b64 vcc, exec, s[24:25]
	s_cbranch_vccnz .LBB71_1180
; %bb.1175:
	s_andn2_b64 vcc, exec, s[36:37]
	s_cbranch_vccnz .LBB71_1182
; %bb.1176:
	s_add_i32 s36, s74, 1
	s_and_b32 s62, s36, 30
	s_add_u32 s36, s2, 0xffffffe8
	s_addc_u32 s37, s3, -1
	v_mov_b32_e32 v2, 0
	v_mov_b32_e32 v4, 0
	;; [unrolled: 1-line block ×4, first 2 shown]
.LBB71_1177:                            ; =>This Inner Loop Header: Depth=1
	s_load_dwordx4 s[64:67], s[36:37], 0x1c
	s_load_dwordx2 s[68:69], s[36:37], 0x2c
	s_load_dwordx2 s[80:81], s[36:37], 0xec
	s_load_dwordx4 s[76:79], s[36:37], 0xdc
	s_add_u32 s36, s36, 24
	s_waitcnt vmcnt(0) lgkmcnt(0)
	v_mul_hi_u32 v3, s65, v1
	s_addc_u32 s37, s37, 0
	s_add_i32 s62, s62, -2
	s_cmp_eq_u32 s62, 0
	v_add_u32_e32 v3, v1, v3
	v_lshrrev_b32_e32 v3, s66, v3
	v_mul_lo_u32 v5, v3, s64
	v_mul_hi_u32 v6, s68, v3
	v_sub_u32_e32 v5, v1, v5
	v_add_u32_e32 v1, v3, v6
	v_lshrrev_b32_e32 v1, s69, v1
	v_mul_lo_u32 v9, v1, s67
	v_mul_lo_u32 v6, v5, s76
	;; [unrolled: 1-line block ×4, first 2 shown]
	v_sub_u32_e32 v3, v3, v9
	v_mul_lo_u32 v9, v3, s79
	v_mul_lo_u32 v10, v3, s80
	;; [unrolled: 1-line block ×3, first 2 shown]
	v_add3_u32 v0, v6, v0, v9
	v_add3_u32 v4, v7, v4, v10
	;; [unrolled: 1-line block ×3, first 2 shown]
	s_cbranch_scc0 .LBB71_1177
; %bb.1178:
	s_bitcmp1_b32 s74, 0
	s_cselect_b64 s[62:63], -1, 0
	s_and_b64 vcc, exec, s[62:63]
	s_cbranch_vccnz .LBB71_1183
; %bb.1179:
	s_load_dwordx2 s[62:63], s[36:37], 0x1c
	s_load_dword s66, s[36:37], 0x24
	s_load_dwordx2 s[64:65], s[36:37], 0xdc
	s_waitcnt lgkmcnt(0)
	v_mul_hi_u32 v3, s63, v1
	v_add_u32_e32 v3, v1, v3
	v_lshrrev_b32_e32 v3, s66, v3
	v_mul_lo_u32 v3, v3, s62
	s_load_dword s62, s[36:37], 0xe4
	v_sub_u32_e32 v3, v1, v3
	v_mad_u64_u32 v[0:1], s[36:37], v3, s64, v[0:1]
	v_mad_u64_u32 v[4:5], s[36:37], v3, s65, v[4:5]
	s_waitcnt lgkmcnt(0)
	v_mad_u64_u32 v[2:3], s[36:37], v3, s62, v[2:3]
	s_branch .LBB71_1183
.LBB71_1180:
	s_mov_b64 s[36:37], -1
                                        ; implicit-def: $vgpr0
                                        ; implicit-def: $vgpr4
                                        ; implicit-def: $vgpr2
	s_branch .LBB71_1184
.LBB71_1181:
	s_mov_b64 s[62:63], 0
	s_branch .LBB71_928
.LBB71_1182:
	v_mov_b32_e32 v0, 0
	v_mov_b32_e32 v4, 0
	;; [unrolled: 1-line block ×3, first 2 shown]
.LBB71_1183:
	s_mov_b64 s[36:37], 0
.LBB71_1184:
	s_andn2_b64 vcc, exec, s[36:37]
	s_cbranch_vccnz .LBB71_1187
; %bb.1185:
	v_mul_hi_u32 v0, s17, v8
	s_andn2_b64 vcc, exec, s[34:35]
	v_add_u32_e32 v0, v8, v0
	v_lshrrev_b32_e32 v1, s18, v0
	v_mul_lo_u32 v0, v1, s16
	v_sub_u32_e32 v2, v8, v0
	v_mul_lo_u32 v0, v2, s20
	v_mul_lo_u32 v4, v2, s21
	;; [unrolled: 1-line block ×3, first 2 shown]
	s_cbranch_vccnz .LBB71_1187
; %bb.1186:
	s_waitcnt vmcnt(0)
	v_mul_hi_u32 v3, s28, v1
	v_add_u32_e32 v3, v1, v3
	v_lshrrev_b32_e32 v3, s29, v3
	v_mul_lo_u32 v3, v3, s19
	v_sub_u32_e32 v3, v1, v3
	v_mad_u64_u32 v[0:1], s[16:17], v3, s23, v[0:1]
	v_mad_u64_u32 v[4:5], s[16:17], v3, s30, v[4:5]
	v_mad_u64_u32 v[2:3], s[16:17], v3, s31, v[2:3]
.LBB71_1187:
	v_mov_b32_e32 v1, s11
	s_and_b32 s75, s73, 0xff
	s_waitcnt vmcnt(0)
	v_add_co_u32_e32 v3, vcc, s10, v4
	s_cmp_lt_i32 s75, 11
	v_addc_co_u32_e32 v4, vcc, 0, v1, vcc
	s_cbranch_scc1 .LBB71_1194
; %bb.1188:
	s_and_b32 s22, 0xffff, s75
	s_cmp_gt_i32 s22, 25
	s_mov_b64 s[16:17], 0
	s_cbranch_scc0 .LBB71_1195
; %bb.1189:
	s_cmp_gt_i32 s22, 28
	s_cbranch_scc0 .LBB71_1196
; %bb.1190:
	s_cmp_gt_i32 s22, 43
	;; [unrolled: 3-line block ×3, first 2 shown]
	s_cbranch_scc0 .LBB71_1198
; %bb.1192:
	s_cmp_eq_u32 s22, 46
	s_mov_b64 s[20:21], 0
	s_cbranch_scc0 .LBB71_1201
; %bb.1193:
	global_load_dword v1, v[3:4], off
	s_mov_b64 s[10:11], 0
	s_mov_b64 s[18:19], -1
	s_waitcnt vmcnt(0)
	v_lshlrev_b32_e32 v1, 16, v1
	v_cvt_i32_f32_e32 v5, v1
	s_branch .LBB71_1202
.LBB71_1194:
	s_mov_b64 s[20:21], -1
	s_mov_b64 s[18:19], 0
	s_mov_b64 s[16:17], 0
	;; [unrolled: 1-line block ×3, first 2 shown]
                                        ; implicit-def: $vgpr5
	s_branch .LBB71_1261
.LBB71_1195:
	s_mov_b64 s[20:21], -1
	s_mov_b64 s[18:19], 0
	s_mov_b64 s[10:11], s[0:1]
                                        ; implicit-def: $vgpr5
	s_branch .LBB71_1229
.LBB71_1196:
	s_mov_b64 s[20:21], -1
	s_mov_b64 s[18:19], 0
	s_mov_b64 s[10:11], s[0:1]
                                        ; implicit-def: $vgpr5
	s_branch .LBB71_1212
.LBB71_1197:
	s_mov_b64 s[20:21], -1
	s_mov_b64 s[18:19], 0
	s_mov_b64 s[10:11], s[0:1]
                                        ; implicit-def: $vgpr5
	s_branch .LBB71_1207
.LBB71_1198:
	s_mov_b64 s[20:21], -1
	s_mov_b64 s[18:19], 0
	s_mov_b64 s[10:11], s[0:1]
                                        ; implicit-def: $vgpr5
	s_branch .LBB71_1202
.LBB71_1199:
	s_andn2_saveexec_b64 s[64:65], s[64:65]
	s_cbranch_execz .LBB71_1082
.LBB71_1200:
	s_mov_b32 s69, 0x46000000
	v_add_f32_e64 v2, |v0|, s69
	v_and_b32_e32 v2, 0xff, v2
	v_cmp_ne_u32_e32 vcc, 0, v2
	s_andn2_b64 s[62:63], s[62:63], exec
	s_and_b64 s[76:77], vcc, exec
	s_or_b64 s[62:63], s[62:63], s[76:77]
	s_or_b64 exec, exec, s[64:65]
	v_mov_b32_e32 v5, 0
	s_and_saveexec_b64 s[64:65], s[62:63]
	s_cbranch_execnz .LBB71_1083
	s_branch .LBB71_1084
.LBB71_1201:
	s_mov_b64 s[10:11], -1
                                        ; implicit-def: $vgpr5
	s_mov_b64 s[18:19], 0
.LBB71_1202:
	s_and_b64 vcc, exec, s[20:21]
	s_cbranch_vccz .LBB71_1206
; %bb.1203:
	s_cmp_eq_u32 s22, 44
	s_cbranch_scc0 .LBB71_1205
; %bb.1204:
	global_load_ubyte v1, v[3:4], off
	s_mov_b64 s[10:11], 0
	s_mov_b64 s[18:19], -1
	s_waitcnt vmcnt(0)
	v_lshlrev_b32_e32 v5, 23, v1
	v_cvt_i32_f32_e32 v5, v5
	v_cmp_ne_u32_e32 vcc, 0, v1
	v_cndmask_b32_e32 v5, 0, v5, vcc
	s_branch .LBB71_1206
.LBB71_1205:
	s_mov_b64 s[10:11], -1
                                        ; implicit-def: $vgpr5
.LBB71_1206:
	s_mov_b64 s[20:21], 0
.LBB71_1207:
	s_and_b64 vcc, exec, s[20:21]
	s_cbranch_vccz .LBB71_1211
; %bb.1208:
	s_cmp_eq_u32 s22, 29
	s_cbranch_scc0 .LBB71_1210
; %bb.1209:
	global_load_dword v5, v[3:4], off
	s_mov_b64 s[10:11], 0
	s_mov_b64 s[18:19], -1
	s_branch .LBB71_1211
.LBB71_1210:
	s_mov_b64 s[10:11], -1
                                        ; implicit-def: $vgpr5
.LBB71_1211:
	s_mov_b64 s[20:21], 0
.LBB71_1212:
	s_and_b64 vcc, exec, s[20:21]
	s_cbranch_vccz .LBB71_1228
; %bb.1213:
	s_cmp_lt_i32 s22, 27
	s_cbranch_scc1 .LBB71_1216
; %bb.1214:
	s_cmp_gt_i32 s22, 27
	s_cbranch_scc0 .LBB71_1217
; %bb.1215:
	global_load_dword v5, v[3:4], off
	s_mov_b64 s[18:19], 0
	s_branch .LBB71_1218
.LBB71_1216:
	s_mov_b64 s[18:19], -1
                                        ; implicit-def: $vgpr5
	s_branch .LBB71_1221
.LBB71_1217:
	s_mov_b64 s[18:19], -1
                                        ; implicit-def: $vgpr5
.LBB71_1218:
	s_andn2_b64 vcc, exec, s[18:19]
	s_cbranch_vccnz .LBB71_1220
; %bb.1219:
	global_load_ushort v5, v[3:4], off
.LBB71_1220:
	s_mov_b64 s[18:19], 0
.LBB71_1221:
	s_andn2_b64 vcc, exec, s[18:19]
	s_cbranch_vccnz .LBB71_1227
; %bb.1222:
	global_load_ubyte v1, v[3:4], off
	s_movk_i32 s18, 0x7f
	s_mov_b64 s[20:21], 0
	s_waitcnt vmcnt(0)
	v_cmp_lt_i16_e32 vcc, s18, v1
	s_and_saveexec_b64 s[18:19], vcc
	s_xor_b64 s[18:19], exec, s[18:19]
	s_cbranch_execz .LBB71_1239
; %bb.1223:
	s_movk_i32 s20, 0x80
	v_cmp_ne_u16_e32 vcc, s20, v1
	s_and_b64 s[20:21], vcc, exec
	s_andn2_saveexec_b64 s[18:19], s[18:19]
	s_cbranch_execnz .LBB71_1240
.LBB71_1224:
	s_or_b64 exec, exec, s[18:19]
	v_mov_b32_e32 v5, 0
	s_and_saveexec_b64 s[18:19], s[20:21]
	s_cbranch_execz .LBB71_1226
.LBB71_1225:
	v_lshlrev_b32_e32 v5, 24, v1
	v_and_b32_e32 v1, 0xffff, v1
	v_and_b32_e32 v6, 7, v1
	v_ffbh_u32_e32 v8, v6
	v_min_u32_e32 v8, 32, v8
	v_subrev_u32_e32 v9, 28, v8
	v_bfe_u32 v7, v1, 3, 4
	v_lshlrev_b32_e32 v1, v9, v1
	v_sub_u32_e32 v8, 29, v8
	v_and_b32_e32 v1, 7, v1
	v_cmp_eq_u32_e32 vcc, 0, v7
	v_cndmask_b32_e32 v7, v7, v8, vcc
	v_cndmask_b32_e32 v1, v6, v1, vcc
	v_mov_b32_e32 v6, 0x3b800000
	v_lshlrev_b32_e32 v1, 20, v1
	v_and_b32_e32 v5, 0x80000000, v5
	v_lshl_add_u32 v6, v7, 23, v6
	v_or3_b32 v1, v5, v6, v1
	v_cvt_i32_f32_e32 v5, v1
.LBB71_1226:
	s_or_b64 exec, exec, s[18:19]
.LBB71_1227:
	s_mov_b64 s[18:19], -1
.LBB71_1228:
	s_mov_b64 s[20:21], 0
.LBB71_1229:
	s_and_b64 vcc, exec, s[20:21]
	s_cbranch_vccz .LBB71_1260
; %bb.1230:
	s_cmp_gt_i32 s22, 22
	s_cbranch_scc0 .LBB71_1238
; %bb.1231:
	s_cmp_lt_i32 s22, 24
	s_cbranch_scc1 .LBB71_1241
; %bb.1232:
	s_cmp_gt_i32 s22, 24
	s_cbranch_scc0 .LBB71_1242
; %bb.1233:
	global_load_ubyte v1, v[3:4], off
	s_movk_i32 s16, 0x7f
	s_mov_b64 s[18:19], 0
	s_waitcnt vmcnt(0)
	v_cmp_lt_i16_e32 vcc, s16, v1
	s_and_saveexec_b64 s[16:17], vcc
	s_xor_b64 s[16:17], exec, s[16:17]
	s_cbranch_execz .LBB71_1254
; %bb.1234:
	s_movk_i32 s18, 0x80
	v_cmp_ne_u16_e32 vcc, s18, v1
	s_and_b64 s[18:19], vcc, exec
	s_andn2_saveexec_b64 s[16:17], s[16:17]
	s_cbranch_execnz .LBB71_1255
.LBB71_1235:
	s_or_b64 exec, exec, s[16:17]
	v_mov_b32_e32 v5, 0
	s_and_saveexec_b64 s[16:17], s[18:19]
	s_cbranch_execz .LBB71_1237
.LBB71_1236:
	v_lshlrev_b32_e32 v5, 24, v1
	v_and_b32_e32 v1, 0xffff, v1
	v_and_b32_e32 v6, 3, v1
	v_ffbh_u32_e32 v8, v6
	v_min_u32_e32 v8, 32, v8
	v_subrev_u32_e32 v9, 29, v8
	v_bfe_u32 v7, v1, 2, 5
	v_lshlrev_b32_e32 v1, v9, v1
	v_sub_u32_e32 v8, 30, v8
	v_and_b32_e32 v1, 3, v1
	v_cmp_eq_u32_e32 vcc, 0, v7
	v_cndmask_b32_e32 v7, v7, v8, vcc
	v_cndmask_b32_e32 v1, v6, v1, vcc
	v_mov_b32_e32 v6, 0x37800000
	v_lshlrev_b32_e32 v1, 21, v1
	v_and_b32_e32 v5, 0x80000000, v5
	v_lshl_add_u32 v6, v7, 23, v6
	v_or3_b32 v1, v5, v6, v1
	v_cvt_i32_f32_e32 v5, v1
.LBB71_1237:
	s_or_b64 exec, exec, s[16:17]
	s_mov_b64 s[16:17], 0
	s_branch .LBB71_1243
.LBB71_1238:
	s_mov_b64 s[16:17], -1
                                        ; implicit-def: $vgpr5
	s_branch .LBB71_1249
.LBB71_1239:
	s_andn2_saveexec_b64 s[18:19], s[18:19]
	s_cbranch_execz .LBB71_1224
.LBB71_1240:
	v_cmp_ne_u16_e32 vcc, 0, v1
	s_andn2_b64 s[20:21], s[20:21], exec
	s_and_b64 s[28:29], vcc, exec
	s_or_b64 s[20:21], s[20:21], s[28:29]
	s_or_b64 exec, exec, s[18:19]
	v_mov_b32_e32 v5, 0
	s_and_saveexec_b64 s[18:19], s[20:21]
	s_cbranch_execnz .LBB71_1225
	s_branch .LBB71_1226
.LBB71_1241:
	s_mov_b64 s[16:17], -1
                                        ; implicit-def: $vgpr5
	s_branch .LBB71_1246
.LBB71_1242:
	s_mov_b64 s[16:17], -1
                                        ; implicit-def: $vgpr5
.LBB71_1243:
	s_and_b64 vcc, exec, s[16:17]
	s_cbranch_vccz .LBB71_1245
; %bb.1244:
	global_load_ubyte v1, v[3:4], off
	s_mov_b32 s16, 0x7f800000
	s_waitcnt vmcnt(0)
	v_lshlrev_b32_e32 v1, 24, v1
	v_and_b32_e32 v5, 0x7f000000, v1
	v_ffbh_u32_e32 v6, v5
	v_min_u32_e32 v6, 32, v6
	v_sub_u32_e64 v6, v6, 4 clamp
	v_lshlrev_b32_e32 v8, v6, v5
	v_lshlrev_b32_e32 v6, 23, v6
	v_lshrrev_b32_e32 v8, 4, v8
	v_add_u32_e32 v7, 0x1000000, v5
	v_sub_u32_e32 v6, v8, v6
	v_ashrrev_i32_e32 v7, 8, v7
	v_add_u32_e32 v6, 0x3c000000, v6
	v_and_or_b32 v6, v7, s16, v6
	v_cmp_ne_u32_e32 vcc, 0, v5
	v_cndmask_b32_e32 v5, 0, v6, vcc
	s_brev_b32 s16, 1
	v_and_or_b32 v1, v1, s16, v5
	v_cvt_i32_f32_e32 v5, v1
.LBB71_1245:
	s_mov_b64 s[16:17], 0
.LBB71_1246:
	s_andn2_b64 vcc, exec, s[16:17]
	s_cbranch_vccnz .LBB71_1248
; %bb.1247:
	global_load_ubyte v1, v[3:4], off
	s_movk_i32 s16, 0x7f00
	s_brev_b32 s17, 16
	s_waitcnt vmcnt(0)
	v_lshlrev_b16_e32 v5, 8, v1
	v_lshlrev_b32_e32 v1, 25, v1
	v_lshrrev_b32_e32 v6, 4, v1
	v_and_or_b32 v7, v5, s16, 0.5
	v_or_b32_e32 v6, 0x70000000, v6
	v_add_f32_e32 v7, -0.5, v7
	v_mul_f32_e32 v6, 0x7800000, v6
	v_cmp_gt_u32_e32 vcc, s17, v1
	v_bfe_i32 v5, v5, 0, 16
	v_cndmask_b32_e32 v1, v6, v7, vcc
	s_brev_b32 s16, 1
	v_and_or_b32 v1, v5, s16, v1
	v_cvt_i32_f32_e32 v5, v1
.LBB71_1248:
	s_mov_b64 s[16:17], 0
	s_mov_b64 s[18:19], -1
.LBB71_1249:
	s_andn2_b64 vcc, exec, s[16:17]
	s_mov_b64 s[16:17], 0
	s_cbranch_vccnz .LBB71_1260
; %bb.1250:
	s_cmp_gt_i32 s22, 14
	s_cbranch_scc0 .LBB71_1253
; %bb.1251:
	s_cmp_eq_u32 s22, 15
	s_cbranch_scc0 .LBB71_1256
; %bb.1252:
	global_load_ushort v1, v[3:4], off
	s_mov_b64 s[10:11], 0
	s_mov_b64 s[18:19], -1
	s_waitcnt vmcnt(0)
	v_lshlrev_b32_e32 v1, 16, v1
	v_cvt_i32_f32_e32 v5, v1
	s_branch .LBB71_1257
.LBB71_1253:
	s_mov_b64 s[20:21], -1
                                        ; implicit-def: $vgpr5
	s_branch .LBB71_1258
.LBB71_1254:
	s_andn2_saveexec_b64 s[16:17], s[16:17]
	s_cbranch_execz .LBB71_1235
.LBB71_1255:
	v_cmp_ne_u16_e32 vcc, 0, v1
	s_andn2_b64 s[18:19], s[18:19], exec
	s_and_b64 s[20:21], vcc, exec
	s_or_b64 s[18:19], s[18:19], s[20:21]
	s_or_b64 exec, exec, s[16:17]
	v_mov_b32_e32 v5, 0
	s_and_saveexec_b64 s[16:17], s[18:19]
	s_cbranch_execnz .LBB71_1236
	s_branch .LBB71_1237
.LBB71_1256:
	s_mov_b64 s[10:11], -1
                                        ; implicit-def: $vgpr5
.LBB71_1257:
	s_mov_b64 s[20:21], 0
.LBB71_1258:
	s_and_b64 vcc, exec, s[20:21]
	s_cbranch_vccz .LBB71_1260
; %bb.1259:
	s_cmp_lg_u32 s22, 11
	s_cselect_b64 s[20:21], -1, 0
	s_andn2_b64 s[10:11], s[10:11], exec
	s_and_b64 s[20:21], s[20:21], exec
	s_mov_b64 s[16:17], -1
	s_or_b64 s[10:11], s[10:11], s[20:21]
.LBB71_1260:
	s_mov_b64 s[20:21], 0
.LBB71_1261:
	s_and_b64 s[62:63], s[16:17], exec
	s_andn2_b64 s[16:17], s[0:1], exec
	s_and_b64 s[10:11], s[10:11], exec
	s_and_b64 s[64:65], s[18:19], exec
	;; [unrolled: 1-line block ×3, first 2 shown]
	s_or_b64 s[66:67], s[16:17], s[10:11]
.LBB71_1262:
	s_or_b64 exec, exec, s[56:57]
	s_andn2_b64 s[0:1], s[0:1], exec
	s_and_b64 s[10:11], s[66:67], exec
	s_and_b64 s[64:65], s[64:65], exec
	;; [unrolled: 1-line block ×4, first 2 shown]
	s_or_b64 s[0:1], s[0:1], s[10:11]
.LBB71_1263:
	s_or_b64 exec, exec, s[54:55]
	s_andn2_b64 s[10:11], s[50:51], exec
	s_and_b64 s[16:17], s[60:61], exec
	s_or_b64 s[50:51], s[10:11], s[16:17]
	s_andn2_b64 s[10:11], s[48:49], exec
	s_and_b64 s[16:17], s[58:59], exec
	s_or_b64 s[48:49], s[10:11], s[16:17]
	s_andn2_b64 s[10:11], s[46:47], exec
	s_and_b64 s[0:1], s[0:1], exec
	s_and_b64 s[58:59], s[64:65], exec
	;; [unrolled: 1-line block ×4, first 2 shown]
	s_or_b64 s[46:47], s[10:11], s[0:1]
.LBB71_1264:
	s_or_b64 exec, exec, s[52:53]
	s_andn2_b64 s[0:1], s[38:39], exec
	s_and_b64 s[10:11], s[50:51], exec
	s_or_b64 s[38:39], s[0:1], s[10:11]
	s_andn2_b64 s[0:1], s[40:41], exec
	s_and_b64 s[10:11], s[48:49], exec
	s_or_b64 s[40:41], s[0:1], s[10:11]
	s_andn2_b64 s[0:1], s[42:43], exec
	s_and_b64 s[10:11], s[46:47], exec
	s_and_b64 s[50:51], s[58:59], exec
	;; [unrolled: 1-line block ×4, first 2 shown]
	s_or_b64 s[42:43], s[0:1], s[10:11]
	s_or_b64 exec, exec, s[44:45]
	s_mov_b64 s[10:11], 0
	s_and_saveexec_b64 s[0:1], s[42:43]
	s_cbranch_execz .LBB71_395
.LBB71_1265:
	s_mov_b64 s[10:11], exec
	s_andn2_b64 s[48:49], s[48:49], exec
	s_trap 2
	s_or_b64 exec, exec, s[0:1]
	s_and_saveexec_b64 s[0:1], s[48:49]
	s_xor_b64 s[0:1], exec, s[0:1]
	s_cbranch_execnz .LBB71_396
.LBB71_1266:
	s_or_b64 exec, exec, s[0:1]
	s_and_saveexec_b64 s[0:1], s[52:53]
	s_cbranch_execz .LBB71_1312
.LBB71_1267:
	s_sext_i32_i16 s16, s75
	s_cmp_lt_i32 s16, 5
	s_cbranch_scc1 .LBB71_1272
; %bb.1268:
	s_cmp_lt_i32 s16, 8
	s_cbranch_scc1 .LBB71_1273
; %bb.1269:
	;; [unrolled: 3-line block ×3, first 2 shown]
	s_cmp_gt_i32 s16, 9
	s_cbranch_scc0 .LBB71_1275
; %bb.1271:
	s_waitcnt vmcnt(0)
	global_load_dwordx2 v[5:6], v[3:4], off
	s_mov_b64 s[16:17], 0
	s_waitcnt vmcnt(0)
	v_cvt_i32_f64_e32 v5, v[5:6]
	s_branch .LBB71_1276
.LBB71_1272:
                                        ; implicit-def: $vgpr5
	s_branch .LBB71_1293
.LBB71_1273:
                                        ; implicit-def: $vgpr5
	s_branch .LBB71_1282
.LBB71_1274:
	s_mov_b64 s[16:17], -1
                                        ; implicit-def: $vgpr5
	s_branch .LBB71_1279
.LBB71_1275:
	s_mov_b64 s[16:17], -1
                                        ; implicit-def: $vgpr5
.LBB71_1276:
	s_andn2_b64 vcc, exec, s[16:17]
	s_cbranch_vccnz .LBB71_1278
; %bb.1277:
	s_waitcnt vmcnt(0)
	global_load_dword v1, v[3:4], off
	s_waitcnt vmcnt(0)
	v_cvt_i32_f32_e32 v5, v1
.LBB71_1278:
	s_mov_b64 s[16:17], 0
.LBB71_1279:
	s_andn2_b64 vcc, exec, s[16:17]
	s_cbranch_vccnz .LBB71_1281
; %bb.1280:
	s_waitcnt vmcnt(0)
	global_load_dword v1, v[3:4], off
	s_waitcnt vmcnt(0)
	v_cvt_f32_f16_e32 v1, v1
	v_cvt_i32_f32_e32 v5, v1
.LBB71_1281:
	s_cbranch_execnz .LBB71_1292
.LBB71_1282:
	s_sext_i32_i16 s16, s75
	s_cmp_lt_i32 s16, 6
	s_cbranch_scc1 .LBB71_1285
; %bb.1283:
	s_cmp_gt_i32 s16, 6
	s_cbranch_scc0 .LBB71_1286
; %bb.1284:
	s_waitcnt vmcnt(0)
	global_load_dwordx2 v[5:6], v[3:4], off
	s_mov_b64 s[16:17], 0
	s_waitcnt vmcnt(0)
	v_cvt_i32_f64_e32 v5, v[5:6]
	s_branch .LBB71_1287
.LBB71_1285:
	s_mov_b64 s[16:17], -1
                                        ; implicit-def: $vgpr5
	s_branch .LBB71_1290
.LBB71_1286:
	s_mov_b64 s[16:17], -1
                                        ; implicit-def: $vgpr5
.LBB71_1287:
	s_andn2_b64 vcc, exec, s[16:17]
	s_cbranch_vccnz .LBB71_1289
; %bb.1288:
	s_waitcnt vmcnt(0)
	global_load_dword v1, v[3:4], off
	s_waitcnt vmcnt(0)
	v_cvt_i32_f32_e32 v5, v1
.LBB71_1289:
	s_mov_b64 s[16:17], 0
.LBB71_1290:
	s_andn2_b64 vcc, exec, s[16:17]
	s_cbranch_vccnz .LBB71_1292
; %bb.1291:
	s_waitcnt vmcnt(0)
	global_load_ushort v1, v[3:4], off
	s_waitcnt vmcnt(0)
	v_cvt_f32_f16_e32 v1, v1
	v_cvt_i32_f32_e32 v5, v1
.LBB71_1292:
	s_cbranch_execnz .LBB71_1311
.LBB71_1293:
	s_sext_i32_i16 s16, s75
	s_cmp_lt_i32 s16, 2
	s_cbranch_scc1 .LBB71_1297
; %bb.1294:
	s_cmp_lt_i32 s16, 3
	s_cbranch_scc1 .LBB71_1298
; %bb.1295:
	s_cmp_gt_i32 s16, 3
	s_cbranch_scc0 .LBB71_1299
; %bb.1296:
	s_waitcnt vmcnt(0)
	global_load_dword v5, v[3:4], off
	s_mov_b64 s[16:17], 0
	s_branch .LBB71_1300
.LBB71_1297:
                                        ; implicit-def: $vgpr5
	s_branch .LBB71_1306
.LBB71_1298:
	s_mov_b64 s[16:17], -1
                                        ; implicit-def: $vgpr5
	s_branch .LBB71_1303
.LBB71_1299:
	s_mov_b64 s[16:17], -1
                                        ; implicit-def: $vgpr5
.LBB71_1300:
	s_andn2_b64 vcc, exec, s[16:17]
	s_cbranch_vccnz .LBB71_1302
; %bb.1301:
	s_waitcnt vmcnt(0)
	global_load_dword v5, v[3:4], off
.LBB71_1302:
	s_mov_b64 s[16:17], 0
.LBB71_1303:
	s_andn2_b64 vcc, exec, s[16:17]
	s_cbranch_vccnz .LBB71_1305
; %bb.1304:
	s_waitcnt vmcnt(0)
	global_load_sshort v5, v[3:4], off
.LBB71_1305:
	s_cbranch_execnz .LBB71_1311
.LBB71_1306:
	s_sext_i32_i16 s16, s75
	s_cmp_gt_i32 s16, 0
	s_cbranch_scc0 .LBB71_1308
; %bb.1307:
	s_waitcnt vmcnt(0)
	global_load_sbyte v5, v[3:4], off
	s_mov_b64 s[16:17], 0
	s_branch .LBB71_1309
.LBB71_1308:
	s_mov_b64 s[16:17], -1
                                        ; implicit-def: $vgpr5
.LBB71_1309:
	s_andn2_b64 vcc, exec, s[16:17]
	s_cbranch_vccnz .LBB71_1311
; %bb.1310:
	s_waitcnt vmcnt(0)
	global_load_ubyte v5, v[3:4], off
.LBB71_1311:
	s_or_b64 s[50:51], s[50:51], exec
.LBB71_1312:
	s_or_b64 exec, exec, s[0:1]
	s_mov_b64 s[18:19], 0
	s_mov_b64 s[20:21], 0
	;; [unrolled: 1-line block ×3, first 2 shown]
                                        ; implicit-def: $sgpr22
                                        ; implicit-def: $vgpr3_vgpr4
                                        ; implicit-def: $vgpr6
	s_and_saveexec_b64 s[0:1], s[50:51]
	s_cbranch_execz .LBB71_1320
; %bb.1313:
	v_mov_b32_e32 v1, s13
	s_and_b32 s22, s72, 0xff
	s_waitcnt vmcnt(0)
	v_add_co_u32_e32 v3, vcc, s12, v2
	s_cmp_lt_i32 s22, 11
	v_addc_co_u32_e32 v4, vcc, 0, v1, vcc
	s_cbranch_scc1 .LBB71_1323
; %bb.1314:
	s_and_b32 s23, 0xffff, s22
	s_cmp_gt_i32 s23, 25
	s_cbranch_scc0 .LBB71_1324
; %bb.1315:
	s_cmp_gt_i32 s23, 28
	s_cbranch_scc0 .LBB71_1325
; %bb.1316:
	;; [unrolled: 3-line block ×4, first 2 shown]
	s_cmp_eq_u32 s23, 46
	s_cbranch_scc0 .LBB71_1328
; %bb.1319:
	global_load_dword v1, v[3:4], off
	s_mov_b64 s[12:13], 0
	s_mov_b64 s[16:17], -1
	s_waitcnt vmcnt(0)
	v_lshlrev_b32_e32 v1, 16, v1
	v_cvt_i32_f32_e32 v6, v1
	s_branch .LBB71_1330
.LBB71_1320:
	s_or_b64 exec, exec, s[0:1]
	s_and_saveexec_b64 s[0:1], s[40:41]
	s_cbranch_execnz .LBB71_1389
.LBB71_1321:
	s_or_b64 exec, exec, s[0:1]
	s_and_saveexec_b64 s[0:1], s[18:19]
	s_xor_b64 s[0:1], exec, s[0:1]
	s_cbranch_execz .LBB71_1390
.LBB71_1322:
	s_waitcnt vmcnt(0)
	global_load_ubyte v1, v[3:4], off
	s_or_b64 s[16:17], s[16:17], exec
	s_waitcnt vmcnt(0)
	v_cmp_ne_u16_e32 vcc, 0, v1
	v_cndmask_b32_e64 v6, 0, 1, vcc
	s_or_b64 exec, exec, s[0:1]
	s_and_saveexec_b64 s[0:1], s[20:21]
	s_cbranch_execz .LBB71_1436
	s_branch .LBB71_1391
.LBB71_1323:
	s_mov_b64 s[20:21], -1
                                        ; implicit-def: $vgpr6
	s_mov_b64 s[12:13], s[40:41]
	s_branch .LBB71_1388
.LBB71_1324:
	s_mov_b64 s[12:13], s[40:41]
                                        ; implicit-def: $vgpr6
	s_cbranch_execnz .LBB71_1357
	s_branch .LBB71_1387
.LBB71_1325:
	s_mov_b64 s[20:21], -1
	s_mov_b64 s[12:13], s[40:41]
                                        ; implicit-def: $vgpr6
	s_branch .LBB71_1340
.LBB71_1326:
	s_mov_b64 s[20:21], -1
	s_mov_b64 s[12:13], s[40:41]
                                        ; implicit-def: $vgpr6
	s_branch .LBB71_1335
.LBB71_1327:
	s_mov_b64 s[20:21], -1
	s_mov_b64 s[12:13], s[40:41]
	s_branch .LBB71_1329
.LBB71_1328:
	s_mov_b64 s[12:13], -1
.LBB71_1329:
                                        ; implicit-def: $vgpr6
.LBB71_1330:
	s_and_b64 vcc, exec, s[20:21]
	s_cbranch_vccz .LBB71_1334
; %bb.1331:
	s_cmp_eq_u32 s23, 44
	s_cbranch_scc0 .LBB71_1333
; %bb.1332:
	global_load_ubyte v1, v[3:4], off
	s_mov_b64 s[12:13], 0
	s_mov_b64 s[16:17], -1
	s_waitcnt vmcnt(0)
	v_lshlrev_b32_e32 v2, 23, v1
	v_cvt_i32_f32_e32 v2, v2
	v_cmp_ne_u32_e32 vcc, 0, v1
	v_cndmask_b32_e32 v6, 0, v2, vcc
	s_branch .LBB71_1334
.LBB71_1333:
	s_mov_b64 s[12:13], -1
                                        ; implicit-def: $vgpr6
.LBB71_1334:
	s_mov_b64 s[20:21], 0
.LBB71_1335:
	s_and_b64 vcc, exec, s[20:21]
	s_cbranch_vccz .LBB71_1339
; %bb.1336:
	s_cmp_eq_u32 s23, 29
	s_cbranch_scc0 .LBB71_1338
; %bb.1337:
	global_load_dword v6, v[3:4], off
	s_mov_b64 s[12:13], 0
	s_mov_b64 s[16:17], -1
	s_branch .LBB71_1339
.LBB71_1338:
	s_mov_b64 s[12:13], -1
                                        ; implicit-def: $vgpr6
.LBB71_1339:
	s_mov_b64 s[20:21], 0
.LBB71_1340:
	s_and_b64 vcc, exec, s[20:21]
	s_cbranch_vccz .LBB71_1356
; %bb.1341:
	s_cmp_lt_i32 s23, 27
	s_cbranch_scc1 .LBB71_1344
; %bb.1342:
	s_cmp_gt_i32 s23, 27
	s_cbranch_scc0 .LBB71_1345
; %bb.1343:
	global_load_dword v6, v[3:4], off
	s_mov_b64 s[16:17], 0
	s_branch .LBB71_1346
.LBB71_1344:
	s_mov_b64 s[16:17], -1
                                        ; implicit-def: $vgpr6
	s_branch .LBB71_1349
.LBB71_1345:
	s_mov_b64 s[16:17], -1
                                        ; implicit-def: $vgpr6
.LBB71_1346:
	s_andn2_b64 vcc, exec, s[16:17]
	s_cbranch_vccnz .LBB71_1348
; %bb.1347:
	global_load_ushort v6, v[3:4], off
.LBB71_1348:
	s_mov_b64 s[16:17], 0
.LBB71_1349:
	s_andn2_b64 vcc, exec, s[16:17]
	s_cbranch_vccnz .LBB71_1355
; %bb.1350:
	global_load_ubyte v1, v[3:4], off
	s_movk_i32 s16, 0x7f
	s_mov_b64 s[20:21], 0
	s_waitcnt vmcnt(0)
	v_cmp_lt_i16_e32 vcc, s16, v1
	s_and_saveexec_b64 s[16:17], vcc
	s_xor_b64 s[16:17], exec, s[16:17]
	s_cbranch_execz .LBB71_1366
; %bb.1351:
	s_movk_i32 s20, 0x80
	v_cmp_ne_u16_e32 vcc, s20, v1
	s_and_b64 s[20:21], vcc, exec
	s_andn2_saveexec_b64 s[16:17], s[16:17]
	s_cbranch_execnz .LBB71_1367
.LBB71_1352:
	s_or_b64 exec, exec, s[16:17]
	v_mov_b32_e32 v6, 0
	s_and_saveexec_b64 s[16:17], s[20:21]
	s_cbranch_execz .LBB71_1354
.LBB71_1353:
	v_lshlrev_b32_e32 v2, 24, v1
	v_and_b32_e32 v1, 0xffff, v1
	v_and_b32_e32 v6, 7, v1
	v_ffbh_u32_e32 v8, v6
	v_min_u32_e32 v8, 32, v8
	v_subrev_u32_e32 v9, 28, v8
	v_bfe_u32 v7, v1, 3, 4
	v_lshlrev_b32_e32 v1, v9, v1
	v_sub_u32_e32 v8, 29, v8
	v_and_b32_e32 v1, 7, v1
	v_cmp_eq_u32_e32 vcc, 0, v7
	v_cndmask_b32_e32 v7, v7, v8, vcc
	v_cndmask_b32_e32 v1, v6, v1, vcc
	v_mov_b32_e32 v6, 0x3b800000
	v_lshlrev_b32_e32 v1, 20, v1
	v_and_b32_e32 v2, 0x80000000, v2
	v_lshl_add_u32 v6, v7, 23, v6
	v_or3_b32 v1, v2, v6, v1
	v_cvt_i32_f32_e32 v6, v1
.LBB71_1354:
	s_or_b64 exec, exec, s[16:17]
.LBB71_1355:
	s_mov_b64 s[16:17], -1
.LBB71_1356:
	s_branch .LBB71_1387
.LBB71_1357:
	s_cmp_gt_i32 s23, 22
	s_cbranch_scc0 .LBB71_1365
; %bb.1358:
	s_cmp_lt_i32 s23, 24
	s_cbranch_scc1 .LBB71_1368
; %bb.1359:
	s_cmp_gt_i32 s23, 24
	s_cbranch_scc0 .LBB71_1369
; %bb.1360:
	global_load_ubyte v1, v[3:4], off
	s_movk_i32 s16, 0x7f
	s_waitcnt vmcnt(0)
	v_cmp_lt_i16_e32 vcc, s16, v1
	s_and_saveexec_b64 s[16:17], vcc
	s_xor_b64 s[16:17], exec, s[16:17]
	s_cbranch_execz .LBB71_1381
; %bb.1361:
	s_movk_i32 s18, 0x80
	v_cmp_ne_u16_e32 vcc, s18, v1
	s_and_b64 s[18:19], vcc, exec
	s_andn2_saveexec_b64 s[16:17], s[16:17]
	s_cbranch_execnz .LBB71_1382
.LBB71_1362:
	s_or_b64 exec, exec, s[16:17]
	v_mov_b32_e32 v6, 0
	s_and_saveexec_b64 s[16:17], s[18:19]
	s_cbranch_execz .LBB71_1364
.LBB71_1363:
	v_lshlrev_b32_e32 v2, 24, v1
	v_and_b32_e32 v1, 0xffff, v1
	v_and_b32_e32 v6, 3, v1
	v_ffbh_u32_e32 v8, v6
	v_min_u32_e32 v8, 32, v8
	v_subrev_u32_e32 v9, 29, v8
	v_bfe_u32 v7, v1, 2, 5
	v_lshlrev_b32_e32 v1, v9, v1
	v_sub_u32_e32 v8, 30, v8
	v_and_b32_e32 v1, 3, v1
	v_cmp_eq_u32_e32 vcc, 0, v7
	v_cndmask_b32_e32 v7, v7, v8, vcc
	v_cndmask_b32_e32 v1, v6, v1, vcc
	v_mov_b32_e32 v6, 0x37800000
	v_lshlrev_b32_e32 v1, 21, v1
	v_and_b32_e32 v2, 0x80000000, v2
	v_lshl_add_u32 v6, v7, 23, v6
	v_or3_b32 v1, v2, v6, v1
	v_cvt_i32_f32_e32 v6, v1
.LBB71_1364:
	s_or_b64 exec, exec, s[16:17]
	s_mov_b64 s[16:17], 0
	s_branch .LBB71_1370
.LBB71_1365:
	s_mov_b64 s[18:19], -1
                                        ; implicit-def: $vgpr6
	s_branch .LBB71_1376
.LBB71_1366:
	s_andn2_saveexec_b64 s[16:17], s[16:17]
	s_cbranch_execz .LBB71_1352
.LBB71_1367:
	v_cmp_ne_u16_e32 vcc, 0, v1
	s_andn2_b64 s[20:21], s[20:21], exec
	s_and_b64 s[28:29], vcc, exec
	s_or_b64 s[20:21], s[20:21], s[28:29]
	s_or_b64 exec, exec, s[16:17]
	v_mov_b32_e32 v6, 0
	s_and_saveexec_b64 s[16:17], s[20:21]
	s_cbranch_execnz .LBB71_1353
	s_branch .LBB71_1354
.LBB71_1368:
	s_mov_b64 s[16:17], -1
                                        ; implicit-def: $vgpr6
	s_branch .LBB71_1373
.LBB71_1369:
	s_mov_b64 s[16:17], -1
                                        ; implicit-def: $vgpr6
.LBB71_1370:
	s_and_b64 vcc, exec, s[16:17]
	s_cbranch_vccz .LBB71_1372
; %bb.1371:
	global_load_ubyte v1, v[3:4], off
	s_mov_b32 s16, 0x7f800000
	s_waitcnt vmcnt(0)
	v_lshlrev_b32_e32 v1, 24, v1
	v_and_b32_e32 v2, 0x7f000000, v1
	v_ffbh_u32_e32 v6, v2
	v_min_u32_e32 v6, 32, v6
	v_sub_u32_e64 v6, v6, 4 clamp
	v_lshlrev_b32_e32 v8, v6, v2
	v_lshlrev_b32_e32 v6, 23, v6
	v_lshrrev_b32_e32 v8, 4, v8
	v_add_u32_e32 v7, 0x1000000, v2
	v_sub_u32_e32 v6, v8, v6
	v_ashrrev_i32_e32 v7, 8, v7
	v_add_u32_e32 v6, 0x3c000000, v6
	v_and_or_b32 v6, v7, s16, v6
	v_cmp_ne_u32_e32 vcc, 0, v2
	v_cndmask_b32_e32 v2, 0, v6, vcc
	s_brev_b32 s16, 1
	v_and_or_b32 v1, v1, s16, v2
	v_cvt_i32_f32_e32 v6, v1
.LBB71_1372:
	s_mov_b64 s[16:17], 0
.LBB71_1373:
	s_andn2_b64 vcc, exec, s[16:17]
	s_cbranch_vccnz .LBB71_1375
; %bb.1374:
	global_load_ubyte v1, v[3:4], off
	s_movk_i32 s16, 0x7f00
	s_brev_b32 s17, 16
	s_waitcnt vmcnt(0)
	v_lshlrev_b16_e32 v2, 8, v1
	v_lshlrev_b32_e32 v1, 25, v1
	v_lshrrev_b32_e32 v6, 4, v1
	v_and_or_b32 v7, v2, s16, 0.5
	v_or_b32_e32 v6, 0x70000000, v6
	v_add_f32_e32 v7, -0.5, v7
	v_mul_f32_e32 v6, 0x7800000, v6
	v_cmp_gt_u32_e32 vcc, s17, v1
	v_bfe_i32 v2, v2, 0, 16
	v_cndmask_b32_e32 v1, v6, v7, vcc
	s_brev_b32 s16, 1
	v_and_or_b32 v1, v2, s16, v1
	v_cvt_i32_f32_e32 v6, v1
.LBB71_1375:
	s_mov_b64 s[18:19], 0
	s_mov_b64 s[16:17], -1
.LBB71_1376:
	s_andn2_b64 vcc, exec, s[18:19]
	s_mov_b64 s[18:19], 0
	s_cbranch_vccnz .LBB71_1387
; %bb.1377:
	s_cmp_gt_i32 s23, 14
	s_cbranch_scc0 .LBB71_1380
; %bb.1378:
	s_cmp_eq_u32 s23, 15
	s_cbranch_scc0 .LBB71_1383
; %bb.1379:
	global_load_ushort v1, v[3:4], off
	s_mov_b64 s[12:13], 0
	s_mov_b64 s[16:17], -1
	s_waitcnt vmcnt(0)
	v_lshlrev_b32_e32 v1, 16, v1
	v_cvt_i32_f32_e32 v6, v1
	s_branch .LBB71_1384
.LBB71_1380:
	s_mov_b64 s[20:21], -1
                                        ; implicit-def: $vgpr6
	s_branch .LBB71_1385
.LBB71_1381:
	s_andn2_saveexec_b64 s[16:17], s[16:17]
	s_cbranch_execz .LBB71_1362
.LBB71_1382:
	v_cmp_ne_u16_e32 vcc, 0, v1
	s_andn2_b64 s[18:19], s[18:19], exec
	s_and_b64 s[20:21], vcc, exec
	s_or_b64 s[18:19], s[18:19], s[20:21]
	s_or_b64 exec, exec, s[16:17]
	v_mov_b32_e32 v6, 0
	s_and_saveexec_b64 s[16:17], s[18:19]
	s_cbranch_execnz .LBB71_1363
	s_branch .LBB71_1364
.LBB71_1383:
	s_mov_b64 s[12:13], -1
                                        ; implicit-def: $vgpr6
.LBB71_1384:
	s_mov_b64 s[20:21], 0
.LBB71_1385:
	s_and_b64 vcc, exec, s[20:21]
	s_cbranch_vccz .LBB71_1387
; %bb.1386:
	s_cmp_lg_u32 s23, 11
	s_cselect_b64 s[20:21], -1, 0
	s_andn2_b64 s[12:13], s[12:13], exec
	s_and_b64 s[20:21], s[20:21], exec
	s_mov_b64 s[18:19], -1
	s_or_b64 s[12:13], s[12:13], s[20:21]
.LBB71_1387:
	s_mov_b64 s[20:21], 0
.LBB71_1388:
	s_andn2_b64 s[28:29], s[40:41], exec
	s_and_b64 s[12:13], s[12:13], exec
	s_and_b64 s[16:17], s[16:17], exec
	;; [unrolled: 1-line block ×4, first 2 shown]
	s_or_b64 s[40:41], s[28:29], s[12:13]
	s_or_b64 exec, exec, s[0:1]
	s_and_saveexec_b64 s[0:1], s[40:41]
	s_cbranch_execz .LBB71_1321
.LBB71_1389:
	s_or_b64 s[10:11], s[10:11], exec
	s_andn2_b64 s[18:19], s[18:19], exec
	s_trap 2
	s_or_b64 exec, exec, s[0:1]
	s_and_saveexec_b64 s[0:1], s[18:19]
	s_xor_b64 s[0:1], exec, s[0:1]
	s_cbranch_execnz .LBB71_1322
.LBB71_1390:
	s_or_b64 exec, exec, s[0:1]
	s_and_saveexec_b64 s[0:1], s[20:21]
	s_cbranch_execz .LBB71_1436
.LBB71_1391:
	s_sext_i32_i16 s12, s22
	s_cmp_lt_i32 s12, 5
	s_cbranch_scc1 .LBB71_1396
; %bb.1392:
	s_cmp_lt_i32 s12, 8
	s_cbranch_scc1 .LBB71_1397
; %bb.1393:
	;; [unrolled: 3-line block ×3, first 2 shown]
	s_cmp_gt_i32 s12, 9
	s_cbranch_scc0 .LBB71_1399
; %bb.1395:
	s_waitcnt vmcnt(0)
	global_load_dwordx2 v[1:2], v[3:4], off
	s_mov_b64 s[12:13], 0
	s_waitcnt vmcnt(0)
	v_cvt_i32_f64_e32 v6, v[1:2]
	s_branch .LBB71_1400
.LBB71_1396:
                                        ; implicit-def: $vgpr6
	s_branch .LBB71_1417
.LBB71_1397:
                                        ; implicit-def: $vgpr6
	s_branch .LBB71_1406
.LBB71_1398:
	s_mov_b64 s[12:13], -1
                                        ; implicit-def: $vgpr6
	s_branch .LBB71_1403
.LBB71_1399:
	s_mov_b64 s[12:13], -1
                                        ; implicit-def: $vgpr6
.LBB71_1400:
	s_andn2_b64 vcc, exec, s[12:13]
	s_cbranch_vccnz .LBB71_1402
; %bb.1401:
	s_waitcnt vmcnt(0)
	global_load_dword v1, v[3:4], off
	s_waitcnt vmcnt(0)
	v_cvt_i32_f32_e32 v6, v1
.LBB71_1402:
	s_mov_b64 s[12:13], 0
.LBB71_1403:
	s_andn2_b64 vcc, exec, s[12:13]
	s_cbranch_vccnz .LBB71_1405
; %bb.1404:
	s_waitcnt vmcnt(0)
	global_load_dword v1, v[3:4], off
	s_waitcnt vmcnt(0)
	v_cvt_f32_f16_e32 v1, v1
	v_cvt_i32_f32_e32 v6, v1
.LBB71_1405:
	s_cbranch_execnz .LBB71_1416
.LBB71_1406:
	s_sext_i32_i16 s12, s22
	s_cmp_lt_i32 s12, 6
	s_cbranch_scc1 .LBB71_1409
; %bb.1407:
	s_cmp_gt_i32 s12, 6
	s_cbranch_scc0 .LBB71_1410
; %bb.1408:
	s_waitcnt vmcnt(0)
	global_load_dwordx2 v[1:2], v[3:4], off
	s_mov_b64 s[12:13], 0
	s_waitcnt vmcnt(0)
	v_cvt_i32_f64_e32 v6, v[1:2]
	s_branch .LBB71_1411
.LBB71_1409:
	s_mov_b64 s[12:13], -1
                                        ; implicit-def: $vgpr6
	s_branch .LBB71_1414
.LBB71_1410:
	s_mov_b64 s[12:13], -1
                                        ; implicit-def: $vgpr6
.LBB71_1411:
	s_andn2_b64 vcc, exec, s[12:13]
	s_cbranch_vccnz .LBB71_1413
; %bb.1412:
	s_waitcnt vmcnt(0)
	global_load_dword v1, v[3:4], off
	s_waitcnt vmcnt(0)
	v_cvt_i32_f32_e32 v6, v1
.LBB71_1413:
	s_mov_b64 s[12:13], 0
.LBB71_1414:
	s_andn2_b64 vcc, exec, s[12:13]
	s_cbranch_vccnz .LBB71_1416
; %bb.1415:
	s_waitcnt vmcnt(0)
	global_load_ushort v1, v[3:4], off
	s_waitcnt vmcnt(0)
	v_cvt_f32_f16_e32 v1, v1
	v_cvt_i32_f32_e32 v6, v1
.LBB71_1416:
	s_cbranch_execnz .LBB71_1435
.LBB71_1417:
	s_sext_i32_i16 s12, s22
	s_cmp_lt_i32 s12, 2
	s_cbranch_scc1 .LBB71_1421
; %bb.1418:
	s_cmp_lt_i32 s12, 3
	s_cbranch_scc1 .LBB71_1422
; %bb.1419:
	s_cmp_gt_i32 s12, 3
	s_cbranch_scc0 .LBB71_1423
; %bb.1420:
	s_waitcnt vmcnt(0)
	global_load_dword v6, v[3:4], off
	s_mov_b64 s[12:13], 0
	s_branch .LBB71_1424
.LBB71_1421:
                                        ; implicit-def: $vgpr6
	s_branch .LBB71_1430
.LBB71_1422:
	s_mov_b64 s[12:13], -1
                                        ; implicit-def: $vgpr6
	s_branch .LBB71_1427
.LBB71_1423:
	s_mov_b64 s[12:13], -1
                                        ; implicit-def: $vgpr6
.LBB71_1424:
	s_andn2_b64 vcc, exec, s[12:13]
	s_cbranch_vccnz .LBB71_1426
; %bb.1425:
	s_waitcnt vmcnt(0)
	global_load_dword v6, v[3:4], off
.LBB71_1426:
	s_mov_b64 s[12:13], 0
.LBB71_1427:
	s_andn2_b64 vcc, exec, s[12:13]
	s_cbranch_vccnz .LBB71_1429
; %bb.1428:
	s_waitcnt vmcnt(0)
	global_load_sshort v6, v[3:4], off
.LBB71_1429:
	s_cbranch_execnz .LBB71_1435
.LBB71_1430:
	s_sext_i32_i16 s12, s22
	s_cmp_gt_i32 s12, 0
	s_cbranch_scc0 .LBB71_1432
; %bb.1431:
	s_waitcnt vmcnt(0)
	global_load_sbyte v6, v[3:4], off
	s_mov_b64 s[12:13], 0
	s_branch .LBB71_1433
.LBB71_1432:
	s_mov_b64 s[12:13], -1
                                        ; implicit-def: $vgpr6
.LBB71_1433:
	s_andn2_b64 vcc, exec, s[12:13]
	s_cbranch_vccnz .LBB71_1435
; %bb.1434:
	s_waitcnt vmcnt(0)
	global_load_ubyte v6, v[3:4], off
.LBB71_1435:
	s_or_b64 s[16:17], s[16:17], exec
.LBB71_1436:
	s_or_b64 exec, exec, s[0:1]
	s_mov_b64 s[20:21], 0
	s_mov_b64 s[18:19], 0
                                        ; implicit-def: $sgpr22
                                        ; implicit-def: $vgpr3_vgpr4
                                        ; implicit-def: $vgpr1
	s_and_saveexec_b64 s[12:13], s[16:17]
	s_cbranch_execz .LBB71_1444
; %bb.1437:
	v_mov_b32_e32 v1, s15
	s_waitcnt vmcnt(0)
	v_cmp_lt_i32_e32 vcc, s14, v5
	v_cndmask_b32_e32 v1, v1, v6, vcc
	v_mov_b32_e32 v2, s9
	s_and_b32 s22, s71, 0xff
	v_add_co_u32_e32 v3, vcc, s8, v0
	s_cmp_lt_i32 s22, 11
	v_addc_co_u32_e32 v4, vcc, 0, v2, vcc
	s_cbranch_scc1 .LBB71_1447
; %bb.1438:
	s_and_b32 s20, 0xffff, s22
	s_mov_b64 s[14:15], -1
	s_cmp_gt_i32 s20, 25
	s_mov_b64 s[0:1], s[38:39]
	s_cbranch_scc0 .LBB71_1475
; %bb.1439:
	s_mov_b64 s[8:9], -1
	s_cmp_gt_i32 s20, 28
	s_mov_b64 s[0:1], s[38:39]
	s_cbranch_scc0 .LBB71_1459
; %bb.1440:
	s_cmp_gt_i32 s20, 43
	s_mov_b64 s[0:1], s[38:39]
	s_cbranch_scc0 .LBB71_1455
; %bb.1441:
	;; [unrolled: 4-line block ×3, first 2 shown]
	s_cmp_eq_u32 s20, 46
	s_mov_b64 s[0:1], -1
	s_cbranch_scc0 .LBB71_1448
; %bb.1443:
	v_cvt_f32_i32_e32 v0, v1
	s_movk_i32 s0, 0x7fff
	s_mov_b64 s[8:9], 0
	v_bfe_u32 v2, v0, 16, 1
	v_add3_u32 v0, v0, v2, s0
	v_lshrrev_b32_e32 v0, 16, v0
	global_store_dword v[3:4], v0, off
	s_mov_b64 s[0:1], 0
	s_branch .LBB71_1449
.LBB71_1444:
	s_or_b64 exec, exec, s[12:13]
	s_and_saveexec_b64 s[0:1], s[38:39]
	s_cbranch_execnz .LBB71_1517
.LBB71_1445:
	s_or_b64 exec, exec, s[0:1]
	s_and_saveexec_b64 s[0:1], s[20:21]
	s_xor_b64 s[0:1], exec, s[0:1]
	s_cbranch_execz .LBB71_1518
.LBB71_1446:
	v_cmp_ne_u32_e32 vcc, 0, v1
	v_cndmask_b32_e64 v0, 0, 1, vcc
	s_waitcnt vmcnt(0)
	global_store_byte v[3:4], v0, off
	s_or_b64 exec, exec, s[0:1]
	s_and_saveexec_b64 s[0:1], s[18:19]
	s_xor_b64 s[0:1], exec, s[0:1]
	s_cbranch_execz .LBB71_1556
	s_branch .LBB71_1519
.LBB71_1447:
	s_mov_b64 s[14:15], 0
	s_mov_b64 s[8:9], -1
	s_mov_b64 s[0:1], s[38:39]
	s_branch .LBB71_1516
.LBB71_1448:
	s_mov_b64 s[8:9], 0
.LBB71_1449:
	s_and_b64 vcc, exec, s[8:9]
	s_cbranch_vccz .LBB71_1454
; %bb.1450:
	s_cmp_eq_u32 s20, 44
	s_mov_b64 s[0:1], -1
	s_cbranch_scc0 .LBB71_1454
; %bb.1451:
	v_cvt_f32_i32_e32 v0, v1
	s_movk_i32 s0, 0xff
	v_mov_b32_e32 v5, 0xff
	v_bfe_u32 v2, v0, 23, 8
	v_cmp_ne_u32_e32 vcc, s0, v2
	s_and_saveexec_b64 s[8:9], vcc
; %bb.1452:
	s_mov_b32 s0, 0x3fffff
	v_lshrrev_b32_e32 v5, 23, v0
	v_and_b32_e32 v6, 0x400000, v0
	v_and_or_b32 v0, v0, s0, v2
	v_cmp_ne_u32_e32 vcc, 0, v6
	v_cmp_ne_u32_e64 s[0:1], 0, v0
	s_and_b64 s[0:1], vcc, s[0:1]
	v_cndmask_b32_e64 v0, 0, 1, s[0:1]
	v_add_u32_e32 v5, v5, v0
; %bb.1453:
	s_or_b64 exec, exec, s[8:9]
	s_mov_b64 s[0:1], 0
	global_store_byte v[3:4], v5, off
.LBB71_1454:
	s_mov_b64 s[8:9], 0
.LBB71_1455:
	s_and_b64 vcc, exec, s[8:9]
	s_cbranch_vccz .LBB71_1458
; %bb.1456:
	s_cmp_eq_u32 s20, 29
	s_mov_b64 s[0:1], -1
	s_cbranch_scc0 .LBB71_1458
; %bb.1457:
	v_ashrrev_i32_e32 v2, 31, v1
	global_store_dwordx2 v[3:4], v[1:2], off
	s_mov_b64 s[0:1], 0
.LBB71_1458:
	s_mov_b64 s[8:9], 0
.LBB71_1459:
	s_and_b64 vcc, exec, s[8:9]
	s_cbranch_vccz .LBB71_1474
; %bb.1460:
	s_cmp_lt_i32 s20, 27
	s_mov_b64 s[8:9], -1
	s_cbranch_scc1 .LBB71_1466
; %bb.1461:
	s_cmp_gt_i32 s20, 27
	s_cbranch_scc0 .LBB71_1463
; %bb.1462:
	s_mov_b64 s[8:9], 0
	global_store_dword v[3:4], v1, off
.LBB71_1463:
	s_andn2_b64 vcc, exec, s[8:9]
	s_cbranch_vccnz .LBB71_1465
; %bb.1464:
	global_store_short v[3:4], v1, off
.LBB71_1465:
	s_mov_b64 s[8:9], 0
.LBB71_1466:
	s_andn2_b64 vcc, exec, s[8:9]
	s_cbranch_vccnz .LBB71_1474
; %bb.1467:
	v_cvt_f32_i32_e32 v0, v1
	s_mov_b32 s8, 0x43800000
	v_mov_b32_e32 v5, 0x80
	v_and_b32_e32 v2, 0x7fffffff, v0
	v_cmp_gt_u32_e32 vcc, s8, v2
	s_and_saveexec_b64 s[8:9], vcc
	s_cbranch_execz .LBB71_1473
; %bb.1468:
	s_mov_b32 s14, 0x3bffffff
	v_cmp_lt_u32_e32 vcc, s14, v2
	s_mov_b64 s[14:15], 0
                                        ; implicit-def: $vgpr2
	s_and_saveexec_b64 s[16:17], vcc
	s_xor_b64 s[16:17], exec, s[16:17]
	s_cbranch_execz .LBB71_1615
; %bb.1469:
	v_bfe_u32 v2, v0, 20, 1
	s_mov_b32 s18, 0x487ffff
	v_add3_u32 v2, v0, v2, s18
	s_mov_b64 s[14:15], exec
	v_lshrrev_b32_e32 v2, 20, v2
	s_andn2_saveexec_b64 s[16:17], s[16:17]
	s_cbranch_execnz .LBB71_1616
.LBB71_1470:
	s_or_b64 exec, exec, s[16:17]
	v_mov_b32_e32 v5, 0
	s_and_saveexec_b64 s[16:17], s[14:15]
.LBB71_1471:
	v_lshrrev_b32_e32 v0, 24, v0
	s_movk_i32 s14, 0x80
	v_and_or_b32 v5, v0, s14, v2
.LBB71_1472:
	s_or_b64 exec, exec, s[16:17]
.LBB71_1473:
	s_or_b64 exec, exec, s[8:9]
	global_store_byte v[3:4], v5, off
.LBB71_1474:
	s_mov_b64 s[14:15], 0
.LBB71_1475:
	s_mov_b64 s[8:9], 0
	s_and_b64 vcc, exec, s[14:15]
	s_cbranch_vccz .LBB71_1515
; %bb.1476:
	s_cmp_gt_i32 s20, 22
	s_mov_b64 s[14:15], -1
	s_cbranch_scc0 .LBB71_1508
; %bb.1477:
	s_cmp_lt_i32 s20, 24
	s_cbranch_scc1 .LBB71_1497
; %bb.1478:
	s_cmp_gt_i32 s20, 24
	s_cbranch_scc0 .LBB71_1486
; %bb.1479:
	v_cvt_f32_i32_e32 v0, v1
	s_mov_b32 s14, 0x47800000
	v_mov_b32_e32 v5, 0x80
	v_and_b32_e32 v2, 0x7fffffff, v0
	v_cmp_gt_u32_e32 vcc, s14, v2
	s_and_saveexec_b64 s[14:15], vcc
	s_cbranch_execz .LBB71_1485
; %bb.1480:
	s_mov_b32 s16, 0x37ffffff
	v_cmp_lt_u32_e32 vcc, s16, v2
	s_mov_b64 s[16:17], 0
                                        ; implicit-def: $vgpr2
	s_and_saveexec_b64 s[18:19], vcc
	s_xor_b64 s[18:19], exec, s[18:19]
	s_cbranch_execz .LBB71_1735
; %bb.1481:
	v_bfe_u32 v2, v0, 21, 1
	s_mov_b32 s21, 0x88fffff
	v_add3_u32 v2, v0, v2, s21
	s_mov_b64 s[16:17], exec
	v_lshrrev_b32_e32 v2, 21, v2
	s_andn2_saveexec_b64 s[18:19], s[18:19]
	s_cbranch_execnz .LBB71_1736
.LBB71_1482:
	s_or_b64 exec, exec, s[18:19]
	v_mov_b32_e32 v5, 0
	s_and_saveexec_b64 s[18:19], s[16:17]
.LBB71_1483:
	v_lshrrev_b32_e32 v0, 24, v0
	s_movk_i32 s16, 0x80
	v_and_or_b32 v5, v0, s16, v2
.LBB71_1484:
	s_or_b64 exec, exec, s[18:19]
.LBB71_1485:
	s_or_b64 exec, exec, s[14:15]
	s_mov_b64 s[14:15], 0
	global_store_byte v[3:4], v5, off
.LBB71_1486:
	s_and_b64 vcc, exec, s[14:15]
	s_cbranch_vccz .LBB71_1496
; %bb.1487:
	v_cvt_f32_i32_e32 v0, v1
	s_mov_b32 s14, 0x43f00000
                                        ; implicit-def: $vgpr2
	v_and_b32_e32 v5, 0x7fffffff, v0
	v_cmp_gt_u32_e32 vcc, s14, v5
	s_and_saveexec_b64 s[14:15], vcc
	s_xor_b64 s[14:15], exec, s[14:15]
	s_cbranch_execz .LBB71_1493
; %bb.1488:
	s_mov_b32 s16, 0x3c7fffff
	v_cmp_lt_u32_e32 vcc, s16, v5
                                        ; implicit-def: $vgpr2
	s_and_saveexec_b64 s[16:17], vcc
	s_xor_b64 s[16:17], exec, s[16:17]
; %bb.1489:
	v_bfe_u32 v2, v0, 20, 1
	s_mov_b32 s18, 0x407ffff
	v_add3_u32 v2, v0, v2, s18
	v_lshrrev_b32_e32 v5, 20, v2
	v_and_b32_e32 v2, 0xff00000, v2
	s_mov_b32 s18, 0x7f00000
	v_mov_b32_e32 v6, 0x7e
	v_cmp_ne_u32_e32 vcc, s18, v2
	v_cndmask_b32_e32 v2, v6, v5, vcc
; %bb.1490:
	s_andn2_saveexec_b64 s[16:17], s[16:17]
; %bb.1491:
	s_mov_b32 s18, 0x46800000
	v_add_f32_e64 v2, |v0|, s18
; %bb.1492:
	s_or_b64 exec, exec, s[16:17]
                                        ; implicit-def: $vgpr5
.LBB71_1493:
	s_andn2_saveexec_b64 s[14:15], s[14:15]
; %bb.1494:
	s_mov_b32 s16, 0x7f800000
	v_mov_b32_e32 v2, 0x7e
	v_mov_b32_e32 v6, 0x7f
	v_cmp_lt_u32_e32 vcc, s16, v5
	v_cndmask_b32_e32 v2, v2, v6, vcc
; %bb.1495:
	s_or_b64 exec, exec, s[14:15]
	v_lshrrev_b32_e32 v0, 24, v0
	s_movk_i32 s14, 0x80
	v_and_or_b32 v0, v0, s14, v2
	global_store_byte v[3:4], v0, off
.LBB71_1496:
	s_mov_b64 s[14:15], 0
.LBB71_1497:
	s_andn2_b64 vcc, exec, s[14:15]
	s_cbranch_vccnz .LBB71_1507
; %bb.1498:
	v_cvt_f32_i32_e32 v0, v1
	s_mov_b32 s14, 0x47800000
                                        ; implicit-def: $vgpr2
	v_and_b32_e32 v5, 0x7fffffff, v0
	v_cmp_gt_u32_e32 vcc, s14, v5
	s_and_saveexec_b64 s[14:15], vcc
	s_xor_b64 s[14:15], exec, s[14:15]
	s_cbranch_execz .LBB71_1504
; %bb.1499:
	s_mov_b32 s16, 0x387fffff
	v_cmp_lt_u32_e32 vcc, s16, v5
                                        ; implicit-def: $vgpr2
	s_and_saveexec_b64 s[16:17], vcc
	s_xor_b64 s[16:17], exec, s[16:17]
; %bb.1500:
	v_bfe_u32 v2, v0, 21, 1
	s_mov_b32 s18, 0x80fffff
	v_add3_u32 v2, v0, v2, s18
	v_lshrrev_b32_e32 v2, 21, v2
; %bb.1501:
	s_andn2_saveexec_b64 s[16:17], s[16:17]
; %bb.1502:
	s_mov_b32 s18, 0x43000000
	v_add_f32_e64 v2, |v0|, s18
; %bb.1503:
	s_or_b64 exec, exec, s[16:17]
                                        ; implicit-def: $vgpr5
.LBB71_1504:
	s_andn2_saveexec_b64 s[14:15], s[14:15]
; %bb.1505:
	s_mov_b32 s16, 0x7f800000
	v_mov_b32_e32 v2, 0x7c
	v_mov_b32_e32 v6, 0x7f
	v_cmp_lt_u32_e32 vcc, s16, v5
	v_cndmask_b32_e32 v2, v2, v6, vcc
; %bb.1506:
	s_or_b64 exec, exec, s[14:15]
	v_lshrrev_b32_e32 v0, 24, v0
	s_movk_i32 s14, 0x80
	v_and_or_b32 v0, v0, s14, v2
	global_store_byte v[3:4], v0, off
.LBB71_1507:
	s_mov_b64 s[14:15], 0
.LBB71_1508:
	s_andn2_b64 vcc, exec, s[14:15]
	s_mov_b64 s[14:15], 0
	s_cbranch_vccnz .LBB71_1516
; %bb.1509:
	s_cmp_gt_i32 s20, 14
	s_mov_b64 s[16:17], -1
	s_cbranch_scc0 .LBB71_1513
; %bb.1510:
	s_cmp_eq_u32 s20, 15
	s_mov_b64 s[0:1], -1
	s_cbranch_scc0 .LBB71_1512
; %bb.1511:
	v_cvt_f32_i32_e32 v0, v1
	s_movk_i32 s0, 0x7fff
	v_bfe_u32 v2, v0, 16, 1
	v_add3_u32 v0, v0, v2, s0
	global_store_short_d16_hi v[3:4], v0, off
	s_mov_b64 s[0:1], 0
.LBB71_1512:
	s_mov_b64 s[16:17], 0
.LBB71_1513:
	s_and_b64 vcc, exec, s[16:17]
	s_cbranch_vccz .LBB71_1516
; %bb.1514:
	s_cmp_lg_u32 s20, 11
	s_cselect_b64 s[16:17], -1, 0
	s_andn2_b64 s[0:1], s[0:1], exec
	s_and_b64 s[16:17], s[16:17], exec
	s_mov_b64 s[14:15], -1
	s_or_b64 s[0:1], s[0:1], s[16:17]
	s_branch .LBB71_1516
.LBB71_1515:
	s_mov_b64 s[14:15], 0
.LBB71_1516:
	s_and_b64 s[18:19], s[8:9], exec
	s_andn2_b64 s[8:9], s[38:39], exec
	s_and_b64 s[0:1], s[0:1], exec
	s_and_b64 s[20:21], s[14:15], exec
	s_or_b64 s[38:39], s[8:9], s[0:1]
	s_or_b64 exec, exec, s[12:13]
	s_and_saveexec_b64 s[0:1], s[38:39]
	s_cbranch_execz .LBB71_1445
.LBB71_1517:
	s_or_b64 s[10:11], s[10:11], exec
	s_andn2_b64 s[20:21], s[20:21], exec
	s_trap 2
	s_or_b64 exec, exec, s[0:1]
	s_and_saveexec_b64 s[0:1], s[20:21]
	s_xor_b64 s[0:1], exec, s[0:1]
	s_cbranch_execnz .LBB71_1446
.LBB71_1518:
	s_or_b64 exec, exec, s[0:1]
	s_and_saveexec_b64 s[0:1], s[18:19]
	s_xor_b64 s[0:1], exec, s[0:1]
	s_cbranch_execz .LBB71_1556
.LBB71_1519:
	s_sext_i32_i16 s12, s22
	s_cmp_lt_i32 s12, 5
	s_mov_b64 s[8:9], -1
	s_cbranch_scc1 .LBB71_1540
; %bb.1520:
	s_cmp_lt_i32 s12, 8
	s_cbranch_scc1 .LBB71_1530
; %bb.1521:
	s_cmp_lt_i32 s12, 9
	s_cbranch_scc1 .LBB71_1527
; %bb.1522:
	s_cmp_gt_i32 s12, 9
	s_cbranch_scc0 .LBB71_1524
; %bb.1523:
	s_waitcnt vmcnt(0)
	v_cvt_f64_i32_e32 v[5:6], v1
	v_mov_b32_e32 v7, 0
	v_mov_b32_e32 v8, v7
	s_mov_b64 s[8:9], 0
	global_store_dwordx4 v[3:4], v[5:8], off
.LBB71_1524:
	s_andn2_b64 vcc, exec, s[8:9]
	s_cbranch_vccnz .LBB71_1526
; %bb.1525:
	s_waitcnt vmcnt(0)
	v_cvt_f32_i32_e32 v5, v1
	v_mov_b32_e32 v6, 0
	global_store_dwordx2 v[3:4], v[5:6], off
.LBB71_1526:
	s_mov_b64 s[8:9], 0
.LBB71_1527:
	s_andn2_b64 vcc, exec, s[8:9]
	s_cbranch_vccnz .LBB71_1529
; %bb.1528:
	v_cvt_f32_i32_e32 v0, v1
	v_cvt_f16_f32_e32 v0, v0
	s_waitcnt vmcnt(0)
	global_store_dword v[3:4], v0, off
.LBB71_1529:
	s_mov_b64 s[8:9], 0
.LBB71_1530:
	s_andn2_b64 vcc, exec, s[8:9]
	s_cbranch_vccnz .LBB71_1539
; %bb.1531:
	s_sext_i32_i16 s12, s22
	s_cmp_lt_i32 s12, 6
	s_mov_b64 s[8:9], -1
	s_cbranch_scc1 .LBB71_1537
; %bb.1532:
	s_cmp_gt_i32 s12, 6
	s_cbranch_scc0 .LBB71_1534
; %bb.1533:
	s_waitcnt vmcnt(0)
	v_cvt_f64_i32_e32 v[5:6], v1
	s_mov_b64 s[8:9], 0
	global_store_dwordx2 v[3:4], v[5:6], off
.LBB71_1534:
	s_andn2_b64 vcc, exec, s[8:9]
	s_cbranch_vccnz .LBB71_1536
; %bb.1535:
	v_cvt_f32_i32_e32 v0, v1
	s_waitcnt vmcnt(0)
	global_store_dword v[3:4], v0, off
.LBB71_1536:
	s_mov_b64 s[8:9], 0
.LBB71_1537:
	s_andn2_b64 vcc, exec, s[8:9]
	s_cbranch_vccnz .LBB71_1539
; %bb.1538:
	v_cvt_f32_i32_e32 v0, v1
	v_cvt_f16_f32_e32 v0, v0
	s_waitcnt vmcnt(0)
	global_store_short v[3:4], v0, off
.LBB71_1539:
	s_mov_b64 s[8:9], 0
.LBB71_1540:
	s_andn2_b64 vcc, exec, s[8:9]
	s_cbranch_vccnz .LBB71_1556
; %bb.1541:
	s_sext_i32_i16 s12, s22
	s_cmp_lt_i32 s12, 2
	s_mov_b64 s[8:9], -1
	s_cbranch_scc1 .LBB71_1551
; %bb.1542:
	s_cmp_lt_i32 s12, 3
	s_cbranch_scc1 .LBB71_1548
; %bb.1543:
	s_cmp_gt_i32 s12, 3
	s_cbranch_scc0 .LBB71_1545
; %bb.1544:
	v_ashrrev_i32_e32 v2, 31, v1
	s_mov_b64 s[8:9], 0
	s_waitcnt vmcnt(0)
	global_store_dwordx2 v[3:4], v[1:2], off
.LBB71_1545:
	s_andn2_b64 vcc, exec, s[8:9]
	s_cbranch_vccnz .LBB71_1547
; %bb.1546:
	s_waitcnt vmcnt(0)
	global_store_dword v[3:4], v1, off
.LBB71_1547:
	s_mov_b64 s[8:9], 0
.LBB71_1548:
	s_andn2_b64 vcc, exec, s[8:9]
	s_cbranch_vccnz .LBB71_1550
; %bb.1549:
	s_waitcnt vmcnt(0)
	global_store_short v[3:4], v1, off
.LBB71_1550:
	s_mov_b64 s[8:9], 0
.LBB71_1551:
	s_andn2_b64 vcc, exec, s[8:9]
	s_cbranch_vccnz .LBB71_1556
; %bb.1552:
	s_sext_i32_i16 s8, s22
	s_cmp_gt_i32 s8, 0
	s_mov_b64 s[8:9], -1
	s_cbranch_scc0 .LBB71_1554
; %bb.1553:
	s_mov_b64 s[8:9], 0
	s_waitcnt vmcnt(0)
	global_store_byte v[3:4], v1, off
.LBB71_1554:
	s_andn2_b64 vcc, exec, s[8:9]
	s_cbranch_vccnz .LBB71_1556
; %bb.1555:
	s_waitcnt vmcnt(0)
	global_store_byte v[3:4], v1, off
.LBB71_1556:
	s_or_b64 exec, exec, s[0:1]
	s_and_b64 s[12:13], s[10:11], exec
                                        ; implicit-def: $vgpr23
                                        ; implicit-def: $vgpr8
.LBB71_1557:
	s_or_saveexec_b64 s[14:15], s[26:27]
	s_mov_b64 s[0:1], 0
                                        ; implicit-def: $vgpr0_vgpr1
                                        ; implicit-def: $sgpr20
                                        ; implicit-def: $vgpr2
	s_xor_b64 exec, exec, s[14:15]
	s_cbranch_execz .LBB71_3038
; %bb.1558:
	v_cndmask_b32_e64 v0, 0, 1, s[24:25]
	v_cmp_ne_u32_e64 s[0:1], 1, v0
	s_andn2_b64 vcc, exec, s[24:25]
	s_cbranch_vccnz .LBB71_1564
; %bb.1559:
	s_cmp_lg_u32 s33, 0
	s_cbranch_scc0 .LBB71_1565
; %bb.1560:
	s_min_u32 s8, s70, 15
	s_add_i32 s6, s8, 1
	s_and_b32 s9, s6, 30
	s_add_u32 s6, s2, 0xffffffe8
	s_addc_u32 s7, s3, -1
	v_mov_b32_e32 v19, 0
	v_mov_b32_e32 v21, 0
	s_waitcnt vmcnt(0)
	v_mov_b32_e32 v6, 0
	v_mov_b32_e32 v0, v8
.LBB71_1561:                            ; =>This Inner Loop Header: Depth=1
	s_load_dwordx4 s[16:19], s[6:7], 0x1c
	s_load_dwordx2 s[10:11], s[6:7], 0x2c
	s_load_dwordx2 s[24:25], s[6:7], 0xec
	s_load_dwordx4 s[20:23], s[6:7], 0xdc
	s_add_u32 s6, s6, 24
	s_waitcnt lgkmcnt(0)
	v_mul_hi_u32 v1, s17, v0
	s_addc_u32 s7, s7, 0
	s_add_i32 s9, s9, -2
	s_cmp_lg_u32 s9, 0
	v_add_u32_e32 v1, v0, v1
	v_lshrrev_b32_e32 v1, s18, v1
	v_mul_lo_u32 v2, v1, s16
	v_mul_hi_u32 v3, s10, v1
	v_sub_u32_e32 v2, v0, v2
	v_add_u32_e32 v0, v1, v3
	v_lshrrev_b32_e32 v0, s11, v0
	v_mul_lo_u32 v5, v0, s19
	v_mul_lo_u32 v3, v2, s20
	;; [unrolled: 1-line block ×4, first 2 shown]
	v_sub_u32_e32 v1, v1, v5
	v_mul_lo_u32 v5, v1, s23
	v_mul_lo_u32 v7, v1, s24
	v_mul_lo_u32 v1, v1, s25
	v_add3_u32 v6, v3, v6, v5
	v_add3_u32 v21, v4, v21, v7
	;; [unrolled: 1-line block ×3, first 2 shown]
	s_cbranch_scc1 .LBB71_1561
; %bb.1562:
	s_bitcmp1_b32 s8, 0
	s_cselect_b64 s[8:9], -1, 0
	s_and_b64 vcc, exec, s[8:9]
	s_cbranch_vccnz .LBB71_1566
; %bb.1563:
	s_load_dwordx2 s[8:9], s[6:7], 0x1c
	s_load_dword s16, s[6:7], 0x24
	s_load_dwordx2 s[10:11], s[6:7], 0xdc
	s_waitcnt lgkmcnt(0)
	v_mul_hi_u32 v1, s9, v0
	v_add_u32_e32 v1, v0, v1
	v_lshrrev_b32_e32 v1, s16, v1
	v_mul_lo_u32 v1, v1, s8
	s_load_dword s8, s[6:7], 0xe4
	v_sub_u32_e32 v0, v0, v1
	v_mad_u64_u32 v[6:7], s[6:7], v0, s10, v[6:7]
	v_mad_u64_u32 v[21:22], s[6:7], v0, s11, v[21:22]
	s_waitcnt lgkmcnt(0)
	v_mad_u64_u32 v[19:20], s[6:7], v0, s8, v[19:20]
	s_cbranch_execz .LBB71_1567
	s_branch .LBB71_1569
.LBB71_1564:
                                        ; implicit-def: $vgpr6
                                        ; implicit-def: $vgpr21
                                        ; implicit-def: $vgpr19
	s_branch .LBB71_1567
.LBB71_1565:
	s_waitcnt vmcnt(0)
	v_mov_b32_e32 v6, 0
	v_mov_b32_e32 v21, 0
	;; [unrolled: 1-line block ×3, first 2 shown]
.LBB71_1566:
	s_cbranch_execnz .LBB71_1569
.LBB71_1567:
	s_load_dwordx4 s[8:11], s[2:3], 0x4
	s_load_dwordx4 s[16:19], s[2:3], 0xc4
	s_cmp_lt_u32 s33, 2
	s_waitcnt lgkmcnt(0)
	v_mul_hi_u32 v0, s9, v8
	v_add_u32_e32 v0, v8, v0
	v_lshrrev_b32_e32 v0, s10, v0
	v_mul_lo_u32 v1, v0, s8
	v_sub_u32_e32 v1, v8, v1
	s_waitcnt vmcnt(0)
	v_mul_lo_u32 v6, v1, s16
	v_mul_lo_u32 v21, v1, s17
	;; [unrolled: 1-line block ×3, first 2 shown]
	s_cbranch_scc1 .LBB71_1569
; %bb.1568:
	s_load_dwordx4 s[8:11], s[2:3], 0x10
	s_load_dwordx4 s[16:19], s[2:3], 0xd0
	s_waitcnt lgkmcnt(0)
	v_mul_hi_u32 v1, s9, v0
	v_add_u32_e32 v1, v0, v1
	v_lshrrev_b32_e32 v1, s10, v1
	v_mul_lo_u32 v1, v1, s8
	v_sub_u32_e32 v0, v0, v1
	v_mad_u64_u32 v[6:7], s[6:7], v0, s16, v[6:7]
	v_mad_u64_u32 v[21:22], s[6:7], v0, s17, v[21:22]
	;; [unrolled: 1-line block ×3, first 2 shown]
.LBB71_1569:
	s_and_b64 vcc, exec, s[0:1]
	v_add_u32_e32 v0, 0x80, v8
	s_cbranch_vccnz .LBB71_1575
; %bb.1570:
	s_cmp_lg_u32 s33, 0
	s_cbranch_scc0 .LBB71_1576
; %bb.1571:
	s_min_u32 s8, s70, 15
	s_add_i32 s6, s8, 1
	s_and_b32 s9, s6, 30
	s_add_u32 s6, s2, 0xffffffe8
	s_addc_u32 s7, s3, -1
	v_mov_b32_e32 v15, 0
	v_mov_b32_e32 v17, 0
	;; [unrolled: 1-line block ×4, first 2 shown]
.LBB71_1572:                            ; =>This Inner Loop Header: Depth=1
	s_load_dwordx4 s[16:19], s[6:7], 0x1c
	s_load_dwordx2 s[10:11], s[6:7], 0x2c
	s_load_dwordx2 s[24:25], s[6:7], 0xec
	s_load_dwordx4 s[20:23], s[6:7], 0xdc
	s_add_u32 s6, s6, 24
	s_waitcnt lgkmcnt(0)
	v_mul_hi_u32 v2, s17, v1
	s_addc_u32 s7, s7, 0
	s_add_i32 s9, s9, -2
	s_cmp_lg_u32 s9, 0
	v_add_u32_e32 v2, v1, v2
	v_lshrrev_b32_e32 v2, s18, v2
	s_waitcnt vmcnt(0)
	v_mul_lo_u32 v3, v2, s16
	v_mul_hi_u32 v5, s10, v2
	v_sub_u32_e32 v3, v1, v3
	v_add_u32_e32 v1, v2, v5
	v_lshrrev_b32_e32 v1, s11, v1
	v_mul_lo_u32 v9, v1, s19
	v_mul_lo_u32 v5, v3, s20
	;; [unrolled: 1-line block ×4, first 2 shown]
	v_sub_u32_e32 v2, v2, v9
	v_mul_lo_u32 v9, v2, s23
	v_mul_lo_u32 v10, v2, s24
	;; [unrolled: 1-line block ×3, first 2 shown]
	v_add3_u32 v4, v5, v4, v9
	v_add3_u32 v17, v7, v17, v10
	;; [unrolled: 1-line block ×3, first 2 shown]
	s_cbranch_scc1 .LBB71_1572
; %bb.1573:
	s_bitcmp1_b32 s8, 0
	s_cselect_b64 s[8:9], -1, 0
	s_and_b64 vcc, exec, s[8:9]
	s_cbranch_vccnz .LBB71_1577
; %bb.1574:
	s_load_dwordx2 s[8:9], s[6:7], 0x1c
	s_load_dword s16, s[6:7], 0x24
	s_load_dwordx2 s[10:11], s[6:7], 0xdc
	s_waitcnt lgkmcnt(0)
	v_mul_hi_u32 v2, s9, v1
	v_add_u32_e32 v2, v1, v2
	v_lshrrev_b32_e32 v2, s16, v2
	v_mul_lo_u32 v2, v2, s8
	s_load_dword s8, s[6:7], 0xe4
	v_sub_u32_e32 v1, v1, v2
	v_mad_u64_u32 v[4:5], s[6:7], v1, s10, v[4:5]
	v_mad_u64_u32 v[17:18], s[6:7], v1, s11, v[17:18]
	s_waitcnt lgkmcnt(0)
	v_mad_u64_u32 v[15:16], s[6:7], v1, s8, v[15:16]
	s_cbranch_execz .LBB71_1578
	s_branch .LBB71_1580
.LBB71_1575:
                                        ; implicit-def: $vgpr4
                                        ; implicit-def: $vgpr17
                                        ; implicit-def: $vgpr15
	s_branch .LBB71_1578
.LBB71_1576:
	v_mov_b32_e32 v4, 0
	v_mov_b32_e32 v17, 0
	;; [unrolled: 1-line block ×3, first 2 shown]
.LBB71_1577:
	s_cbranch_execnz .LBB71_1580
.LBB71_1578:
	s_load_dwordx4 s[8:11], s[2:3], 0x4
	s_load_dwordx4 s[16:19], s[2:3], 0xc4
	s_cmp_lt_u32 s33, 2
	s_waitcnt lgkmcnt(0)
	v_mul_hi_u32 v1, s9, v0
	v_add_u32_e32 v1, v0, v1
	v_lshrrev_b32_e32 v1, s10, v1
	v_mul_lo_u32 v2, v1, s8
	v_sub_u32_e32 v0, v0, v2
	v_mul_lo_u32 v4, v0, s16
	v_mul_lo_u32 v17, v0, s17
	;; [unrolled: 1-line block ×3, first 2 shown]
	s_cbranch_scc1 .LBB71_1580
; %bb.1579:
	s_load_dwordx4 s[8:11], s[2:3], 0x10
	s_load_dwordx4 s[16:19], s[2:3], 0xd0
	s_waitcnt lgkmcnt(0)
	v_mul_hi_u32 v0, s9, v1
	v_add_u32_e32 v0, v1, v0
	v_lshrrev_b32_e32 v0, s10, v0
	v_mul_lo_u32 v0, v0, s8
	v_sub_u32_e32 v0, v1, v0
	s_waitcnt vmcnt(0)
	v_mad_u64_u32 v[4:5], s[6:7], v0, s16, v[4:5]
	v_mad_u64_u32 v[17:18], s[6:7], v0, s17, v[17:18]
	;; [unrolled: 1-line block ×3, first 2 shown]
.LBB71_1580:
	s_and_b64 vcc, exec, s[0:1]
	v_add_u32_e32 v0, 0x100, v8
	s_cbranch_vccnz .LBB71_1586
; %bb.1581:
	s_cmp_lg_u32 s33, 0
	s_cbranch_scc0 .LBB71_1587
; %bb.1582:
	s_min_u32 s8, s70, 15
	s_add_i32 s6, s8, 1
	s_and_b32 s9, s6, 30
	s_add_u32 s6, s2, 0xffffffe8
	s_addc_u32 s7, s3, -1
	v_mov_b32_e32 v11, 0
	v_mov_b32_e32 v13, 0
	;; [unrolled: 1-line block ×4, first 2 shown]
.LBB71_1583:                            ; =>This Inner Loop Header: Depth=1
	s_load_dwordx4 s[16:19], s[6:7], 0x1c
	s_load_dwordx2 s[10:11], s[6:7], 0x2c
	s_load_dwordx2 s[24:25], s[6:7], 0xec
	s_load_dwordx4 s[20:23], s[6:7], 0xdc
	s_add_u32 s6, s6, 24
	s_waitcnt vmcnt(0) lgkmcnt(0)
	v_mul_hi_u32 v3, s17, v1
	s_addc_u32 s7, s7, 0
	s_add_i32 s9, s9, -2
	s_cmp_lg_u32 s9, 0
	v_add_u32_e32 v3, v1, v3
	v_lshrrev_b32_e32 v3, s18, v3
	v_mul_lo_u32 v5, v3, s16
	v_mul_hi_u32 v7, s10, v3
	v_sub_u32_e32 v5, v1, v5
	v_add_u32_e32 v1, v3, v7
	v_lshrrev_b32_e32 v1, s11, v1
	v_mul_lo_u32 v9, v1, s19
	v_mul_lo_u32 v7, v5, s20
	;; [unrolled: 1-line block ×4, first 2 shown]
	v_sub_u32_e32 v3, v3, v9
	v_mul_lo_u32 v9, v3, s23
	v_mul_lo_u32 v10, v3, s24
	;; [unrolled: 1-line block ×3, first 2 shown]
	v_add3_u32 v2, v7, v2, v9
	v_add3_u32 v13, v8, v13, v10
	;; [unrolled: 1-line block ×3, first 2 shown]
	s_cbranch_scc1 .LBB71_1583
; %bb.1584:
	s_bitcmp1_b32 s8, 0
	s_cselect_b64 s[8:9], -1, 0
	s_and_b64 vcc, exec, s[8:9]
	s_cbranch_vccnz .LBB71_1588
; %bb.1585:
	s_load_dwordx2 s[8:9], s[6:7], 0x1c
	s_load_dword s16, s[6:7], 0x24
	s_load_dwordx2 s[10:11], s[6:7], 0xdc
	s_waitcnt lgkmcnt(0)
	v_mul_hi_u32 v3, s9, v1
	v_add_u32_e32 v3, v1, v3
	v_lshrrev_b32_e32 v3, s16, v3
	v_mul_lo_u32 v3, v3, s8
	s_load_dword s8, s[6:7], 0xe4
	v_sub_u32_e32 v1, v1, v3
	v_mad_u64_u32 v[2:3], s[6:7], v1, s10, v[2:3]
	v_mad_u64_u32 v[13:14], s[6:7], v1, s11, v[13:14]
	s_waitcnt lgkmcnt(0)
	v_mad_u64_u32 v[11:12], s[6:7], v1, s8, v[11:12]
	s_cbranch_execz .LBB71_1589
	s_branch .LBB71_1591
.LBB71_1586:
                                        ; implicit-def: $vgpr2
                                        ; implicit-def: $vgpr13
                                        ; implicit-def: $vgpr11
	s_branch .LBB71_1589
.LBB71_1587:
	v_mov_b32_e32 v2, 0
	v_mov_b32_e32 v13, 0
	;; [unrolled: 1-line block ×3, first 2 shown]
.LBB71_1588:
	s_cbranch_execnz .LBB71_1591
.LBB71_1589:
	s_load_dwordx4 s[8:11], s[2:3], 0x4
	s_load_dwordx4 s[16:19], s[2:3], 0xc4
	s_cmp_lt_u32 s33, 2
	s_waitcnt lgkmcnt(0)
	v_mul_hi_u32 v1, s9, v0
	v_add_u32_e32 v1, v0, v1
	v_lshrrev_b32_e32 v1, s10, v1
	v_mul_lo_u32 v2, v1, s8
	v_sub_u32_e32 v0, v0, v2
	v_mul_lo_u32 v2, v0, s16
	v_mul_lo_u32 v13, v0, s17
	;; [unrolled: 1-line block ×3, first 2 shown]
	s_cbranch_scc1 .LBB71_1591
; %bb.1590:
	s_load_dwordx4 s[8:11], s[2:3], 0x10
	s_load_dwordx4 s[16:19], s[2:3], 0xd0
	s_waitcnt lgkmcnt(0)
	v_mul_hi_u32 v0, s9, v1
	v_add_u32_e32 v0, v1, v0
	v_lshrrev_b32_e32 v0, s10, v0
	v_mul_lo_u32 v0, v0, s8
	v_sub_u32_e32 v0, v1, v0
	s_waitcnt vmcnt(0)
	v_mad_u64_u32 v[2:3], s[6:7], v0, s16, v[2:3]
	v_mad_u64_u32 v[13:14], s[6:7], v0, s17, v[13:14]
	;; [unrolled: 1-line block ×3, first 2 shown]
.LBB71_1591:
	s_and_b64 vcc, exec, s[0:1]
	s_cbranch_vccnz .LBB71_1597
; %bb.1592:
	s_cmp_lg_u32 s33, 0
	s_cbranch_scc0 .LBB71_1598
; %bb.1593:
	s_min_u32 s6, s70, 15
	s_add_i32 s0, s6, 1
	s_and_b32 s7, s0, 30
	s_add_u32 s0, s2, 0xffffffe8
	s_addc_u32 s1, s3, -1
	v_mov_b32_e32 v7, 0
	v_mov_b32_e32 v9, 0
	;; [unrolled: 1-line block ×4, first 2 shown]
.LBB71_1594:                            ; =>This Inner Loop Header: Depth=1
	s_load_dwordx4 s[8:11], s[0:1], 0x1c
	s_load_dwordx2 s[20:21], s[0:1], 0x2c
	s_load_dwordx2 s[22:23], s[0:1], 0xec
	s_load_dwordx4 s[16:19], s[0:1], 0xdc
	s_add_u32 s0, s0, 24
	s_waitcnt vmcnt(0) lgkmcnt(0)
	v_mul_hi_u32 v3, s9, v1
	s_addc_u32 s1, s1, 0
	s_add_i32 s7, s7, -2
	s_cmp_lg_u32 s7, 0
	v_add_u32_e32 v3, v1, v3
	v_lshrrev_b32_e32 v3, s10, v3
	v_mul_lo_u32 v5, v3, s8
	v_mul_hi_u32 v8, s20, v3
	v_sub_u32_e32 v5, v1, v5
	v_add_u32_e32 v1, v3, v8
	v_lshrrev_b32_e32 v1, s21, v1
	v_mul_lo_u32 v12, v1, s11
	v_mul_lo_u32 v8, v5, s16
	v_mul_lo_u32 v10, v5, s17
	v_mul_lo_u32 v5, v5, s18
	v_sub_u32_e32 v3, v3, v12
	v_mul_lo_u32 v12, v3, s19
	v_mul_lo_u32 v14, v3, s22
	;; [unrolled: 1-line block ×3, first 2 shown]
	v_add3_u32 v0, v8, v0, v12
	v_add3_u32 v9, v10, v9, v14
	;; [unrolled: 1-line block ×3, first 2 shown]
	s_cbranch_scc1 .LBB71_1594
; %bb.1595:
	s_bitcmp1_b32 s6, 0
	s_cselect_b64 s[6:7], -1, 0
	s_and_b64 vcc, exec, s[6:7]
	s_cbranch_vccnz .LBB71_1599
; %bb.1596:
	s_load_dwordx2 s[6:7], s[0:1], 0x1c
	s_load_dword s10, s[0:1], 0x24
	s_load_dwordx2 s[8:9], s[0:1], 0xdc
	s_waitcnt lgkmcnt(0)
	v_mul_hi_u32 v3, s7, v1
	v_add_u32_e32 v3, v1, v3
	v_lshrrev_b32_e32 v3, s10, v3
	v_mul_lo_u32 v3, v3, s6
	s_load_dword s6, s[0:1], 0xe4
	v_sub_u32_e32 v3, v1, v3
	v_mad_u64_u32 v[0:1], s[0:1], v3, s8, v[0:1]
	v_mad_u64_u32 v[9:10], s[0:1], v3, s9, v[9:10]
	s_waitcnt lgkmcnt(0)
	v_mad_u64_u32 v[7:8], s[0:1], v3, s6, v[7:8]
	s_cbranch_execz .LBB71_1600
	s_branch .LBB71_1602
.LBB71_1597:
                                        ; implicit-def: $vgpr0
                                        ; implicit-def: $vgpr9
                                        ; implicit-def: $vgpr7
	s_branch .LBB71_1600
.LBB71_1598:
	v_mov_b32_e32 v0, 0
	v_mov_b32_e32 v9, 0
	;; [unrolled: 1-line block ×3, first 2 shown]
.LBB71_1599:
	s_cbranch_execnz .LBB71_1602
.LBB71_1600:
	s_load_dwordx4 s[8:11], s[2:3], 0x4
	s_load_dwordx4 s[16:19], s[2:3], 0xc4
	s_cmp_lt_u32 s33, 2
	s_waitcnt lgkmcnt(0)
	v_mul_hi_u32 v0, s9, v23
	v_add_u32_e32 v0, v23, v0
	v_lshrrev_b32_e32 v1, s10, v0
	v_mul_lo_u32 v0, v1, s8
	s_waitcnt vmcnt(0)
	v_sub_u32_e32 v3, v23, v0
	v_mul_lo_u32 v0, v3, s16
	v_mul_lo_u32 v9, v3, s17
	;; [unrolled: 1-line block ×3, first 2 shown]
	s_cbranch_scc1 .LBB71_1602
; %bb.1601:
	s_load_dwordx4 s[8:11], s[2:3], 0x10
	s_load_dwordx4 s[16:19], s[2:3], 0xd0
	s_waitcnt lgkmcnt(0)
	v_mul_hi_u32 v3, s9, v1
	v_add_u32_e32 v3, v1, v3
	v_lshrrev_b32_e32 v3, s10, v3
	v_mul_lo_u32 v3, v3, s8
	v_sub_u32_e32 v3, v1, v3
	v_mad_u64_u32 v[0:1], s[0:1], v3, s16, v[0:1]
	v_mad_u64_u32 v[9:10], s[0:1], v3, s17, v[9:10]
	v_mad_u64_u32 v[7:8], s[0:1], v3, s18, v[7:8]
.LBB71_1602:
	s_load_dwordx4 s[8:11], s[2:3], 0x188
	s_load_dword s23, s[4:5], 0x1b0
	s_waitcnt lgkmcnt(0)
	v_mov_b32_e32 v1, s11
	s_bfe_u32 s18, s23, 0x80008
	v_add_co_u32_e32 v20, vcc, s10, v21
	s_cmp_lt_i32 s18, 11
	v_addc_co_u32_e32 v21, vcc, 0, v1, vcc
	s_cbranch_scc1 .LBB71_1609
; %bb.1603:
	s_and_b32 s19, 0xffff, s18
	s_cmp_gt_i32 s19, 25
	s_mov_b64 s[6:7], 0
	s_cbranch_scc0 .LBB71_1611
; %bb.1604:
	s_cmp_gt_i32 s19, 28
	s_cbranch_scc0 .LBB71_1612
; %bb.1605:
	s_cmp_gt_i32 s19, 43
	;; [unrolled: 3-line block ×3, first 2 shown]
	s_cbranch_scc0 .LBB71_1614
; %bb.1607:
	s_cmp_eq_u32 s19, 46
	s_mov_b64 s[4:5], 0
	s_cbranch_scc0 .LBB71_1617
; %bb.1608:
	global_load_dword v1, v[20:21], off
	s_mov_b64 s[0:1], 0
	s_mov_b64 s[16:17], -1
	s_waitcnt vmcnt(0)
	v_lshlrev_b32_e32 v1, 16, v1
	v_cvt_i32_f32_e32 v1, v1
	s_branch .LBB71_1618
.LBB71_1609:
	s_mov_b64 s[16:17], 0
                                        ; implicit-def: $vgpr1
	s_mov_b64 s[4:5], s[12:13]
	s_cbranch_execnz .LBB71_1676
.LBB71_1610:
	s_andn2_b64 vcc, exec, s[16:17]
	s_cbranch_vccz .LBB71_1721
	s_branch .LBB71_3036
.LBB71_1611:
	s_mov_b64 s[16:17], 0
	s_mov_b64 s[0:1], 0
                                        ; implicit-def: $vgpr1
	s_cbranch_execnz .LBB71_1643
	s_branch .LBB71_1672
.LBB71_1612:
	s_mov_b64 s[16:17], 0
	s_mov_b64 s[0:1], 0
                                        ; implicit-def: $vgpr1
	s_cbranch_execz .LBB71_1642
	s_branch .LBB71_1627
.LBB71_1613:
	s_mov_b64 s[16:17], 0
	s_mov_b64 s[0:1], 0
                                        ; implicit-def: $vgpr1
	s_cbranch_execnz .LBB71_1623
	s_branch .LBB71_1626
.LBB71_1614:
	s_mov_b64 s[4:5], -1
	s_mov_b64 s[16:17], 0
	s_mov_b64 s[0:1], 0
                                        ; implicit-def: $vgpr1
	s_branch .LBB71_1618
.LBB71_1615:
	s_andn2_saveexec_b64 s[16:17], s[16:17]
	s_cbranch_execz .LBB71_1470
.LBB71_1616:
	s_mov_b32 s18, 0x46000000
	v_add_f32_e64 v2, |v0|, s18
	v_and_b32_e32 v2, 0xff, v2
	v_cmp_ne_u32_e32 vcc, 0, v2
	s_andn2_b64 s[14:15], s[14:15], exec
	s_and_b64 s[18:19], vcc, exec
	s_or_b64 s[14:15], s[14:15], s[18:19]
	s_or_b64 exec, exec, s[16:17]
	v_mov_b32_e32 v5, 0
	s_and_saveexec_b64 s[16:17], s[14:15]
	s_cbranch_execnz .LBB71_1471
	s_branch .LBB71_1472
.LBB71_1617:
	s_mov_b64 s[0:1], -1
                                        ; implicit-def: $vgpr1
	s_mov_b64 s[16:17], 0
.LBB71_1618:
	s_and_b64 vcc, exec, s[4:5]
	s_cbranch_vccz .LBB71_1621
; %bb.1619:
	s_cmp_eq_u32 s19, 44
	s_cbranch_scc0 .LBB71_1622
; %bb.1620:
	global_load_ubyte v1, v[20:21], off
	s_mov_b64 s[0:1], 0
	s_mov_b64 s[16:17], -1
	s_waitcnt vmcnt(0)
	v_lshlrev_b32_e32 v3, 23, v1
	v_cvt_i32_f32_e32 v3, v3
	v_cmp_ne_u32_e32 vcc, 0, v1
	v_cndmask_b32_e32 v1, 0, v3, vcc
.LBB71_1621:
	s_branch .LBB71_1626
.LBB71_1622:
	s_mov_b64 s[0:1], -1
                                        ; implicit-def: $vgpr1
	s_branch .LBB71_1626
.LBB71_1623:
	s_cmp_eq_u32 s19, 29
	s_cbranch_scc0 .LBB71_1625
; %bb.1624:
	global_load_dword v1, v[20:21], off
	s_mov_b64 s[0:1], 0
	s_mov_b64 s[16:17], -1
	s_branch .LBB71_1626
.LBB71_1625:
	s_mov_b64 s[0:1], -1
                                        ; implicit-def: $vgpr1
.LBB71_1626:
	s_branch .LBB71_1642
.LBB71_1627:
	s_cmp_lt_i32 s19, 27
	s_cbranch_scc1 .LBB71_1630
; %bb.1628:
	s_cmp_gt_i32 s19, 27
	s_cbranch_scc0 .LBB71_1631
; %bb.1629:
	global_load_dword v1, v[20:21], off
	s_mov_b64 s[4:5], 0
	s_branch .LBB71_1632
.LBB71_1630:
	s_mov_b64 s[4:5], -1
                                        ; implicit-def: $vgpr1
	s_branch .LBB71_1635
.LBB71_1631:
	s_mov_b64 s[4:5], -1
                                        ; implicit-def: $vgpr1
.LBB71_1632:
	s_andn2_b64 vcc, exec, s[4:5]
	s_cbranch_vccnz .LBB71_1634
; %bb.1633:
	global_load_ushort v1, v[20:21], off
.LBB71_1634:
	s_mov_b64 s[4:5], 0
.LBB71_1635:
	s_andn2_b64 vcc, exec, s[4:5]
	s_cbranch_vccnz .LBB71_1641
; %bb.1636:
	global_load_ubyte v3, v[20:21], off
	s_movk_i32 s4, 0x7f
	s_mov_b64 s[16:17], 0
	s_waitcnt vmcnt(0)
	v_cmp_lt_i16_e32 vcc, s4, v3
	s_and_saveexec_b64 s[4:5], vcc
	s_xor_b64 s[4:5], exec, s[4:5]
	s_cbranch_execz .LBB71_1652
; %bb.1637:
	s_movk_i32 s16, 0x80
	v_cmp_ne_u16_e32 vcc, s16, v3
	s_and_b64 s[16:17], vcc, exec
	s_andn2_saveexec_b64 s[4:5], s[4:5]
	s_cbranch_execnz .LBB71_1653
.LBB71_1638:
	s_or_b64 exec, exec, s[4:5]
	v_mov_b32_e32 v1, 0
	s_and_saveexec_b64 s[4:5], s[16:17]
	s_cbranch_execz .LBB71_1640
.LBB71_1639:
	v_lshlrev_b32_e32 v1, 24, v3
	v_and_b32_e32 v3, 0xffff, v3
	v_and_b32_e32 v5, 7, v3
	v_ffbh_u32_e32 v10, v5
	v_min_u32_e32 v10, 32, v10
	v_subrev_u32_e32 v12, 28, v10
	v_bfe_u32 v8, v3, 3, 4
	v_lshlrev_b32_e32 v3, v12, v3
	v_sub_u32_e32 v10, 29, v10
	v_and_b32_e32 v3, 7, v3
	v_cmp_eq_u32_e32 vcc, 0, v8
	v_cndmask_b32_e32 v8, v8, v10, vcc
	v_cndmask_b32_e32 v3, v5, v3, vcc
	v_mov_b32_e32 v5, 0x3b800000
	v_lshlrev_b32_e32 v3, 20, v3
	v_and_b32_e32 v1, 0x80000000, v1
	v_lshl_add_u32 v5, v8, 23, v5
	v_or3_b32 v1, v1, v5, v3
	v_cvt_i32_f32_e32 v1, v1
.LBB71_1640:
	s_or_b64 exec, exec, s[4:5]
.LBB71_1641:
	s_mov_b64 s[16:17], -1
.LBB71_1642:
	s_branch .LBB71_1672
.LBB71_1643:
	s_cmp_gt_i32 s19, 22
	s_cbranch_scc0 .LBB71_1651
; %bb.1644:
	s_cmp_lt_i32 s19, 24
	s_cbranch_scc1 .LBB71_1654
; %bb.1645:
	s_cmp_gt_i32 s19, 24
	s_cbranch_scc0 .LBB71_1655
; %bb.1646:
	global_load_ubyte v3, v[20:21], off
	s_movk_i32 s4, 0x7f
	s_waitcnt vmcnt(0)
	v_cmp_lt_i16_e32 vcc, s4, v3
	s_and_saveexec_b64 s[4:5], vcc
	s_xor_b64 s[4:5], exec, s[4:5]
	s_cbranch_execz .LBB71_1666
; %bb.1647:
	s_movk_i32 s6, 0x80
	v_cmp_ne_u16_e32 vcc, s6, v3
	s_and_b64 s[6:7], vcc, exec
	s_andn2_saveexec_b64 s[4:5], s[4:5]
	s_cbranch_execnz .LBB71_1667
.LBB71_1648:
	s_or_b64 exec, exec, s[4:5]
	v_mov_b32_e32 v1, 0
	s_and_saveexec_b64 s[4:5], s[6:7]
	s_cbranch_execz .LBB71_1650
.LBB71_1649:
	v_lshlrev_b32_e32 v1, 24, v3
	v_and_b32_e32 v3, 0xffff, v3
	v_and_b32_e32 v5, 3, v3
	v_ffbh_u32_e32 v10, v5
	v_min_u32_e32 v10, 32, v10
	v_subrev_u32_e32 v12, 29, v10
	v_bfe_u32 v8, v3, 2, 5
	v_lshlrev_b32_e32 v3, v12, v3
	v_sub_u32_e32 v10, 30, v10
	v_and_b32_e32 v3, 3, v3
	v_cmp_eq_u32_e32 vcc, 0, v8
	v_cndmask_b32_e32 v8, v8, v10, vcc
	v_cndmask_b32_e32 v3, v5, v3, vcc
	v_mov_b32_e32 v5, 0x37800000
	v_lshlrev_b32_e32 v3, 21, v3
	v_and_b32_e32 v1, 0x80000000, v1
	v_lshl_add_u32 v5, v8, 23, v5
	v_or3_b32 v1, v1, v5, v3
	v_cvt_i32_f32_e32 v1, v1
.LBB71_1650:
	s_or_b64 exec, exec, s[4:5]
	s_mov_b64 s[4:5], 0
	s_branch .LBB71_1656
.LBB71_1651:
                                        ; implicit-def: $vgpr1
	s_mov_b64 s[6:7], 0
	s_branch .LBB71_1662
.LBB71_1652:
	s_andn2_saveexec_b64 s[4:5], s[4:5]
	s_cbranch_execz .LBB71_1638
.LBB71_1653:
	v_cmp_ne_u16_e32 vcc, 0, v3
	s_andn2_b64 s[16:17], s[16:17], exec
	s_and_b64 s[20:21], vcc, exec
	s_or_b64 s[16:17], s[16:17], s[20:21]
	s_or_b64 exec, exec, s[4:5]
	v_mov_b32_e32 v1, 0
	s_and_saveexec_b64 s[4:5], s[16:17]
	s_cbranch_execnz .LBB71_1639
	s_branch .LBB71_1640
.LBB71_1654:
	s_mov_b64 s[4:5], -1
                                        ; implicit-def: $vgpr1
	s_branch .LBB71_1659
.LBB71_1655:
	s_mov_b64 s[4:5], -1
                                        ; implicit-def: $vgpr1
.LBB71_1656:
	s_and_b64 vcc, exec, s[4:5]
	s_cbranch_vccz .LBB71_1658
; %bb.1657:
	global_load_ubyte v1, v[20:21], off
	s_mov_b32 s4, 0x7f800000
	s_waitcnt vmcnt(0)
	v_lshlrev_b32_e32 v1, 24, v1
	v_and_b32_e32 v3, 0x7f000000, v1
	v_ffbh_u32_e32 v5, v3
	v_min_u32_e32 v5, 32, v5
	v_sub_u32_e64 v5, v5, 4 clamp
	v_lshlrev_b32_e32 v10, v5, v3
	v_lshlrev_b32_e32 v5, 23, v5
	v_lshrrev_b32_e32 v10, 4, v10
	v_add_u32_e32 v8, 0x1000000, v3
	v_sub_u32_e32 v5, v10, v5
	v_ashrrev_i32_e32 v8, 8, v8
	v_add_u32_e32 v5, 0x3c000000, v5
	v_and_or_b32 v5, v8, s4, v5
	v_cmp_ne_u32_e32 vcc, 0, v3
	v_cndmask_b32_e32 v3, 0, v5, vcc
	s_brev_b32 s4, 1
	v_and_or_b32 v1, v1, s4, v3
	v_cvt_i32_f32_e32 v1, v1
.LBB71_1658:
	s_mov_b64 s[4:5], 0
.LBB71_1659:
	s_andn2_b64 vcc, exec, s[4:5]
	s_cbranch_vccnz .LBB71_1661
; %bb.1660:
	global_load_ubyte v1, v[20:21], off
	s_movk_i32 s4, 0x7f00
	s_brev_b32 s5, 16
	s_waitcnt vmcnt(0)
	v_lshlrev_b16_e32 v3, 8, v1
	v_lshlrev_b32_e32 v1, 25, v1
	v_lshrrev_b32_e32 v5, 4, v1
	v_and_or_b32 v8, v3, s4, 0.5
	v_or_b32_e32 v5, 0x70000000, v5
	v_add_f32_e32 v8, -0.5, v8
	v_mul_f32_e32 v5, 0x7800000, v5
	v_cmp_gt_u32_e32 vcc, s5, v1
	v_bfe_i32 v3, v3, 0, 16
	v_cndmask_b32_e32 v1, v5, v8, vcc
	s_brev_b32 s4, 1
	v_and_or_b32 v1, v3, s4, v1
	v_cvt_i32_f32_e32 v1, v1
.LBB71_1661:
	s_mov_b64 s[16:17], -1
	s_mov_b64 s[6:7], 0
	s_cbranch_execnz .LBB71_1672
.LBB71_1662:
	s_cmp_gt_i32 s19, 14
	s_cbranch_scc0 .LBB71_1665
; %bb.1663:
	s_cmp_eq_u32 s19, 15
	s_cbranch_scc0 .LBB71_1668
; %bb.1664:
	global_load_ushort v1, v[20:21], off
	s_mov_b64 s[0:1], 0
	s_mov_b64 s[16:17], -1
	s_waitcnt vmcnt(0)
	v_lshlrev_b32_e32 v1, 16, v1
	v_cvt_i32_f32_e32 v1, v1
	s_branch .LBB71_1669
.LBB71_1665:
	s_mov_b64 s[4:5], -1
                                        ; implicit-def: $vgpr1
	s_branch .LBB71_1670
.LBB71_1666:
	s_andn2_saveexec_b64 s[4:5], s[4:5]
	s_cbranch_execz .LBB71_1648
.LBB71_1667:
	v_cmp_ne_u16_e32 vcc, 0, v3
	s_andn2_b64 s[6:7], s[6:7], exec
	s_and_b64 s[16:17], vcc, exec
	s_or_b64 s[6:7], s[6:7], s[16:17]
	s_or_b64 exec, exec, s[4:5]
	v_mov_b32_e32 v1, 0
	s_and_saveexec_b64 s[4:5], s[6:7]
	s_cbranch_execnz .LBB71_1649
	s_branch .LBB71_1650
.LBB71_1668:
	s_mov_b64 s[0:1], -1
                                        ; implicit-def: $vgpr1
.LBB71_1669:
	s_mov_b64 s[4:5], 0
.LBB71_1670:
	s_and_b64 vcc, exec, s[4:5]
	s_cbranch_vccz .LBB71_1672
; %bb.1671:
	s_cmp_lg_u32 s19, 11
	s_mov_b64 s[6:7], -1
	s_cselect_b64 s[0:1], -1, 0
.LBB71_1672:
	s_and_b64 vcc, exec, s[0:1]
	s_mov_b64 s[4:5], s[12:13]
	s_cbranch_vccnz .LBB71_1733
; %bb.1673:
	s_andn2_b64 vcc, exec, s[6:7]
	s_cbranch_vccnz .LBB71_1675
.LBB71_1674:
	global_load_ubyte v1, v[20:21], off
	s_mov_b64 s[16:17], -1
	s_waitcnt vmcnt(0)
	v_cmp_ne_u16_e32 vcc, 0, v1
	v_cndmask_b32_e64 v1, 0, 1, vcc
.LBB71_1675:
	s_branch .LBB71_1610
.LBB71_1676:
	s_and_b32 s6, 0xffff, s18
	s_cmp_lt_i32 s6, 5
	s_cbranch_scc1 .LBB71_1681
; %bb.1677:
	s_cmp_lt_i32 s6, 8
	s_cbranch_scc1 .LBB71_1682
; %bb.1678:
	;; [unrolled: 3-line block ×3, first 2 shown]
	s_cmp_gt_i32 s6, 9
	s_cbranch_scc0 .LBB71_1684
; %bb.1680:
	global_load_dwordx2 v[22:23], v[20:21], off
	s_mov_b64 s[0:1], 0
	s_waitcnt vmcnt(0)
	v_cvt_i32_f64_e32 v1, v[22:23]
	s_branch .LBB71_1685
.LBB71_1681:
                                        ; implicit-def: $vgpr1
	s_branch .LBB71_1702
.LBB71_1682:
                                        ; implicit-def: $vgpr1
	s_branch .LBB71_1691
.LBB71_1683:
	s_mov_b64 s[0:1], -1
                                        ; implicit-def: $vgpr1
	s_branch .LBB71_1688
.LBB71_1684:
	s_mov_b64 s[0:1], -1
                                        ; implicit-def: $vgpr1
.LBB71_1685:
	s_andn2_b64 vcc, exec, s[0:1]
	s_cbranch_vccnz .LBB71_1687
; %bb.1686:
	global_load_dword v1, v[20:21], off
	s_waitcnt vmcnt(0)
	v_cvt_i32_f32_e32 v1, v1
.LBB71_1687:
	s_mov_b64 s[0:1], 0
.LBB71_1688:
	s_andn2_b64 vcc, exec, s[0:1]
	s_cbranch_vccnz .LBB71_1690
; %bb.1689:
	global_load_dword v1, v[20:21], off
	s_waitcnt vmcnt(0)
	v_cvt_f32_f16_e32 v1, v1
	v_cvt_i32_f32_e32 v1, v1
.LBB71_1690:
	s_cbranch_execnz .LBB71_1701
.LBB71_1691:
	s_cmp_lt_i32 s6, 6
	s_cbranch_scc1 .LBB71_1694
; %bb.1692:
	s_cmp_gt_i32 s6, 6
	s_cbranch_scc0 .LBB71_1695
; %bb.1693:
	global_load_dwordx2 v[22:23], v[20:21], off
	s_mov_b64 s[0:1], 0
	s_waitcnt vmcnt(0)
	v_cvt_i32_f64_e32 v1, v[22:23]
	s_branch .LBB71_1696
.LBB71_1694:
	s_mov_b64 s[0:1], -1
                                        ; implicit-def: $vgpr1
	s_branch .LBB71_1699
.LBB71_1695:
	s_mov_b64 s[0:1], -1
                                        ; implicit-def: $vgpr1
.LBB71_1696:
	s_andn2_b64 vcc, exec, s[0:1]
	s_cbranch_vccnz .LBB71_1698
; %bb.1697:
	global_load_dword v1, v[20:21], off
	s_waitcnt vmcnt(0)
	v_cvt_i32_f32_e32 v1, v1
.LBB71_1698:
	s_mov_b64 s[0:1], 0
.LBB71_1699:
	s_andn2_b64 vcc, exec, s[0:1]
	s_cbranch_vccnz .LBB71_1701
; %bb.1700:
	global_load_ushort v1, v[20:21], off
	s_waitcnt vmcnt(0)
	v_cvt_f32_f16_e32 v1, v1
	v_cvt_i32_f32_e32 v1, v1
.LBB71_1701:
	s_cbranch_execnz .LBB71_1720
.LBB71_1702:
	s_cmp_lt_i32 s6, 2
	s_cbranch_scc1 .LBB71_1706
; %bb.1703:
	s_cmp_lt_i32 s6, 3
	s_cbranch_scc1 .LBB71_1707
; %bb.1704:
	s_cmp_gt_i32 s6, 3
	s_cbranch_scc0 .LBB71_1708
; %bb.1705:
	global_load_dword v1, v[20:21], off
	s_mov_b64 s[0:1], 0
	s_branch .LBB71_1709
.LBB71_1706:
                                        ; implicit-def: $vgpr1
	s_branch .LBB71_1715
.LBB71_1707:
	s_mov_b64 s[0:1], -1
                                        ; implicit-def: $vgpr1
	s_branch .LBB71_1712
.LBB71_1708:
	s_mov_b64 s[0:1], -1
                                        ; implicit-def: $vgpr1
.LBB71_1709:
	s_andn2_b64 vcc, exec, s[0:1]
	s_cbranch_vccnz .LBB71_1711
; %bb.1710:
	global_load_dword v1, v[20:21], off
.LBB71_1711:
	s_mov_b64 s[0:1], 0
.LBB71_1712:
	s_andn2_b64 vcc, exec, s[0:1]
	s_cbranch_vccnz .LBB71_1714
; %bb.1713:
	global_load_sshort v1, v[20:21], off
.LBB71_1714:
	s_cbranch_execnz .LBB71_1720
.LBB71_1715:
	s_cmp_gt_i32 s6, 0
	s_cbranch_scc0 .LBB71_1717
; %bb.1716:
	global_load_sbyte v1, v[20:21], off
	s_mov_b64 s[0:1], 0
	s_branch .LBB71_1718
.LBB71_1717:
	s_mov_b64 s[0:1], -1
                                        ; implicit-def: $vgpr1
.LBB71_1718:
	s_andn2_b64 vcc, exec, s[0:1]
	s_cbranch_vccnz .LBB71_1720
; %bb.1719:
	global_load_ubyte v1, v[20:21], off
.LBB71_1720:
.LBB71_1721:
	s_load_dwordx2 s[0:1], s[2:3], 0x198
	s_bfe_u32 s22, s23, 0x80010
	s_cmp_lt_i32 s22, 11
	s_waitcnt vmcnt(0) lgkmcnt(0)
	v_mov_b32_e32 v3, s1
	v_add_co_u32_e32 v18, vcc, s0, v19
	v_addc_co_u32_e32 v19, vcc, 0, v3, vcc
	s_cbranch_scc1 .LBB71_1728
; %bb.1722:
	s_and_b32 s24, 0xffff, s22
	s_cmp_gt_i32 s24, 25
	s_mov_b64 s[16:17], 0
	s_cbranch_scc0 .LBB71_1730
; %bb.1723:
	s_cmp_gt_i32 s24, 28
	s_cbranch_scc0 .LBB71_1731
; %bb.1724:
	s_cmp_gt_i32 s24, 43
	;; [unrolled: 3-line block ×3, first 2 shown]
	s_cbranch_scc0 .LBB71_1734
; %bb.1726:
	s_cmp_eq_u32 s24, 46
	s_mov_b64 s[20:21], 0
	s_cbranch_scc0 .LBB71_1737
; %bb.1727:
	global_load_dword v3, v[18:19], off
	s_mov_b64 s[6:7], 0
	s_mov_b64 s[18:19], -1
	s_waitcnt vmcnt(0)
	v_lshlrev_b32_e32 v3, 16, v3
	v_cvt_i32_f32_e32 v5, v3
	s_branch .LBB71_1738
.LBB71_1728:
	s_mov_b64 s[18:19], 0
                                        ; implicit-def: $vgpr5
	s_cbranch_execnz .LBB71_1799
.LBB71_1729:
	s_andn2_b64 vcc, exec, s[18:19]
	s_cbranch_vccnz .LBB71_3036
	s_branch .LBB71_1846
.LBB71_1730:
	s_mov_b64 s[18:19], 0
	s_mov_b64 s[6:7], 0
                                        ; implicit-def: $vgpr5
	s_cbranch_execnz .LBB71_1765
	s_branch .LBB71_1795
.LBB71_1731:
	s_mov_b64 s[20:21], -1
	s_mov_b64 s[18:19], 0
	s_mov_b64 s[6:7], 0
                                        ; implicit-def: $vgpr5
	s_branch .LBB71_1748
.LBB71_1732:
	s_mov_b64 s[20:21], -1
	s_mov_b64 s[18:19], 0
	s_mov_b64 s[6:7], 0
                                        ; implicit-def: $vgpr5
	s_branch .LBB71_1743
.LBB71_1733:
	s_or_b64 s[4:5], s[12:13], exec
	s_trap 2
	s_cbranch_execz .LBB71_1674
	s_branch .LBB71_1675
.LBB71_1734:
	s_mov_b64 s[20:21], -1
	s_mov_b64 s[18:19], 0
	s_mov_b64 s[6:7], 0
                                        ; implicit-def: $vgpr5
	s_branch .LBB71_1738
.LBB71_1735:
	s_andn2_saveexec_b64 s[18:19], s[18:19]
	s_cbranch_execz .LBB71_1482
.LBB71_1736:
	s_mov_b32 s21, 0x42800000
	v_add_f32_e64 v2, |v0|, s21
	v_and_b32_e32 v2, 0xff, v2
	v_cmp_ne_u32_e32 vcc, 0, v2
	s_andn2_b64 s[16:17], s[16:17], exec
	s_and_b64 s[28:29], vcc, exec
	s_or_b64 s[16:17], s[16:17], s[28:29]
	s_or_b64 exec, exec, s[18:19]
	v_mov_b32_e32 v5, 0
	s_and_saveexec_b64 s[18:19], s[16:17]
	s_cbranch_execnz .LBB71_1483
	s_branch .LBB71_1484
.LBB71_1737:
	s_mov_b64 s[6:7], -1
                                        ; implicit-def: $vgpr5
	s_mov_b64 s[18:19], 0
.LBB71_1738:
	s_and_b64 vcc, exec, s[20:21]
	s_cbranch_vccz .LBB71_1742
; %bb.1739:
	s_cmp_eq_u32 s24, 44
	s_cbranch_scc0 .LBB71_1741
; %bb.1740:
	global_load_ubyte v3, v[18:19], off
	s_mov_b64 s[6:7], 0
	s_mov_b64 s[18:19], -1
	s_waitcnt vmcnt(0)
	v_lshlrev_b32_e32 v5, 23, v3
	v_cvt_i32_f32_e32 v5, v5
	v_cmp_ne_u32_e32 vcc, 0, v3
	v_cndmask_b32_e32 v5, 0, v5, vcc
	s_branch .LBB71_1742
.LBB71_1741:
	s_mov_b64 s[6:7], -1
                                        ; implicit-def: $vgpr5
.LBB71_1742:
	s_mov_b64 s[20:21], 0
.LBB71_1743:
	s_and_b64 vcc, exec, s[20:21]
	s_cbranch_vccz .LBB71_1747
; %bb.1744:
	s_cmp_eq_u32 s24, 29
	s_cbranch_scc0 .LBB71_1746
; %bb.1745:
	global_load_dword v5, v[18:19], off
	s_mov_b64 s[6:7], 0
	s_mov_b64 s[18:19], -1
	s_branch .LBB71_1747
.LBB71_1746:
	s_mov_b64 s[6:7], -1
                                        ; implicit-def: $vgpr5
.LBB71_1747:
	s_mov_b64 s[20:21], 0
.LBB71_1748:
	s_and_b64 vcc, exec, s[20:21]
	s_cbranch_vccz .LBB71_1764
; %bb.1749:
	s_cmp_lt_i32 s24, 27
	s_cbranch_scc1 .LBB71_1752
; %bb.1750:
	s_cmp_gt_i32 s24, 27
	s_cbranch_scc0 .LBB71_1753
; %bb.1751:
	global_load_dword v5, v[18:19], off
	s_mov_b64 s[18:19], 0
	s_branch .LBB71_1754
.LBB71_1752:
	s_mov_b64 s[18:19], -1
                                        ; implicit-def: $vgpr5
	s_branch .LBB71_1757
.LBB71_1753:
	s_mov_b64 s[18:19], -1
                                        ; implicit-def: $vgpr5
.LBB71_1754:
	s_andn2_b64 vcc, exec, s[18:19]
	s_cbranch_vccnz .LBB71_1756
; %bb.1755:
	global_load_ushort v5, v[18:19], off
.LBB71_1756:
	s_mov_b64 s[18:19], 0
.LBB71_1757:
	s_andn2_b64 vcc, exec, s[18:19]
	s_cbranch_vccnz .LBB71_1763
; %bb.1758:
	global_load_ubyte v3, v[18:19], off
	s_movk_i32 s18, 0x7f
	s_mov_b64 s[20:21], 0
	s_waitcnt vmcnt(0)
	v_cmp_lt_i16_e32 vcc, s18, v3
	s_and_saveexec_b64 s[18:19], vcc
	s_xor_b64 s[18:19], exec, s[18:19]
	s_cbranch_execz .LBB71_1774
; %bb.1759:
	s_movk_i32 s20, 0x80
	v_cmp_ne_u16_e32 vcc, s20, v3
	s_and_b64 s[20:21], vcc, exec
	s_andn2_saveexec_b64 s[18:19], s[18:19]
	s_cbranch_execnz .LBB71_1775
.LBB71_1760:
	s_or_b64 exec, exec, s[18:19]
	v_mov_b32_e32 v5, 0
	s_and_saveexec_b64 s[18:19], s[20:21]
	s_cbranch_execz .LBB71_1762
.LBB71_1761:
	v_lshlrev_b32_e32 v5, 24, v3
	v_and_b32_e32 v3, 0xffff, v3
	v_and_b32_e32 v8, 7, v3
	v_ffbh_u32_e32 v12, v8
	v_min_u32_e32 v12, 32, v12
	v_subrev_u32_e32 v14, 28, v12
	v_bfe_u32 v10, v3, 3, 4
	v_lshlrev_b32_e32 v3, v14, v3
	v_sub_u32_e32 v12, 29, v12
	v_and_b32_e32 v3, 7, v3
	v_cmp_eq_u32_e32 vcc, 0, v10
	v_cndmask_b32_e32 v10, v10, v12, vcc
	v_cndmask_b32_e32 v3, v8, v3, vcc
	v_mov_b32_e32 v8, 0x3b800000
	v_lshlrev_b32_e32 v3, 20, v3
	v_and_b32_e32 v5, 0x80000000, v5
	v_lshl_add_u32 v8, v10, 23, v8
	v_or3_b32 v3, v5, v8, v3
	v_cvt_i32_f32_e32 v5, v3
.LBB71_1762:
	s_or_b64 exec, exec, s[18:19]
.LBB71_1763:
	s_mov_b64 s[18:19], -1
.LBB71_1764:
	s_branch .LBB71_1795
.LBB71_1765:
	s_cmp_gt_i32 s24, 22
	s_cbranch_scc0 .LBB71_1773
; %bb.1766:
	s_cmp_lt_i32 s24, 24
	s_cbranch_scc1 .LBB71_1776
; %bb.1767:
	s_cmp_gt_i32 s24, 24
	s_cbranch_scc0 .LBB71_1777
; %bb.1768:
	global_load_ubyte v3, v[18:19], off
	s_movk_i32 s16, 0x7f
	s_mov_b64 s[18:19], 0
	s_waitcnt vmcnt(0)
	v_cmp_lt_i16_e32 vcc, s16, v3
	s_and_saveexec_b64 s[16:17], vcc
	s_xor_b64 s[16:17], exec, s[16:17]
	s_cbranch_execz .LBB71_1789
; %bb.1769:
	s_movk_i32 s18, 0x80
	v_cmp_ne_u16_e32 vcc, s18, v3
	s_and_b64 s[18:19], vcc, exec
	s_andn2_saveexec_b64 s[16:17], s[16:17]
	s_cbranch_execnz .LBB71_1790
.LBB71_1770:
	s_or_b64 exec, exec, s[16:17]
	v_mov_b32_e32 v5, 0
	s_and_saveexec_b64 s[16:17], s[18:19]
	s_cbranch_execz .LBB71_1772
.LBB71_1771:
	v_lshlrev_b32_e32 v5, 24, v3
	v_and_b32_e32 v3, 0xffff, v3
	v_and_b32_e32 v8, 3, v3
	v_ffbh_u32_e32 v12, v8
	v_min_u32_e32 v12, 32, v12
	v_subrev_u32_e32 v14, 29, v12
	v_bfe_u32 v10, v3, 2, 5
	v_lshlrev_b32_e32 v3, v14, v3
	v_sub_u32_e32 v12, 30, v12
	v_and_b32_e32 v3, 3, v3
	v_cmp_eq_u32_e32 vcc, 0, v10
	v_cndmask_b32_e32 v10, v10, v12, vcc
	v_cndmask_b32_e32 v3, v8, v3, vcc
	v_mov_b32_e32 v8, 0x37800000
	v_lshlrev_b32_e32 v3, 21, v3
	v_and_b32_e32 v5, 0x80000000, v5
	v_lshl_add_u32 v8, v10, 23, v8
	v_or3_b32 v3, v5, v8, v3
	v_cvt_i32_f32_e32 v5, v3
.LBB71_1772:
	s_or_b64 exec, exec, s[16:17]
	s_mov_b64 s[16:17], 0
	s_branch .LBB71_1778
.LBB71_1773:
	s_mov_b64 s[16:17], -1
                                        ; implicit-def: $vgpr5
	s_branch .LBB71_1784
.LBB71_1774:
	s_andn2_saveexec_b64 s[18:19], s[18:19]
	s_cbranch_execz .LBB71_1760
.LBB71_1775:
	v_cmp_ne_u16_e32 vcc, 0, v3
	s_andn2_b64 s[20:21], s[20:21], exec
	s_and_b64 s[26:27], vcc, exec
	s_or_b64 s[20:21], s[20:21], s[26:27]
	s_or_b64 exec, exec, s[18:19]
	v_mov_b32_e32 v5, 0
	s_and_saveexec_b64 s[18:19], s[20:21]
	s_cbranch_execnz .LBB71_1761
	s_branch .LBB71_1762
.LBB71_1776:
	s_mov_b64 s[16:17], -1
                                        ; implicit-def: $vgpr5
	s_branch .LBB71_1781
.LBB71_1777:
	s_mov_b64 s[16:17], -1
                                        ; implicit-def: $vgpr5
.LBB71_1778:
	s_and_b64 vcc, exec, s[16:17]
	s_cbranch_vccz .LBB71_1780
; %bb.1779:
	global_load_ubyte v3, v[18:19], off
	s_mov_b32 s16, 0x7f800000
	s_waitcnt vmcnt(0)
	v_lshlrev_b32_e32 v3, 24, v3
	v_and_b32_e32 v5, 0x7f000000, v3
	v_ffbh_u32_e32 v8, v5
	v_min_u32_e32 v8, 32, v8
	v_sub_u32_e64 v8, v8, 4 clamp
	v_lshlrev_b32_e32 v12, v8, v5
	v_lshlrev_b32_e32 v8, 23, v8
	v_lshrrev_b32_e32 v12, 4, v12
	v_add_u32_e32 v10, 0x1000000, v5
	v_sub_u32_e32 v8, v12, v8
	v_ashrrev_i32_e32 v10, 8, v10
	v_add_u32_e32 v8, 0x3c000000, v8
	v_and_or_b32 v8, v10, s16, v8
	v_cmp_ne_u32_e32 vcc, 0, v5
	v_cndmask_b32_e32 v5, 0, v8, vcc
	s_brev_b32 s16, 1
	v_and_or_b32 v3, v3, s16, v5
	v_cvt_i32_f32_e32 v5, v3
.LBB71_1780:
	s_mov_b64 s[16:17], 0
.LBB71_1781:
	s_andn2_b64 vcc, exec, s[16:17]
	s_cbranch_vccnz .LBB71_1783
; %bb.1782:
	global_load_ubyte v3, v[18:19], off
	s_movk_i32 s16, 0x7f00
	s_brev_b32 s17, 16
	s_waitcnt vmcnt(0)
	v_lshlrev_b16_e32 v5, 8, v3
	v_lshlrev_b32_e32 v3, 25, v3
	v_lshrrev_b32_e32 v8, 4, v3
	v_and_or_b32 v10, v5, s16, 0.5
	v_or_b32_e32 v8, 0x70000000, v8
	v_add_f32_e32 v10, -0.5, v10
	v_mul_f32_e32 v8, 0x7800000, v8
	v_cmp_gt_u32_e32 vcc, s17, v3
	v_bfe_i32 v5, v5, 0, 16
	v_cndmask_b32_e32 v3, v8, v10, vcc
	s_brev_b32 s16, 1
	v_and_or_b32 v3, v5, s16, v3
	v_cvt_i32_f32_e32 v5, v3
.LBB71_1783:
	s_mov_b64 s[16:17], 0
	s_mov_b64 s[18:19], -1
.LBB71_1784:
	s_andn2_b64 vcc, exec, s[16:17]
	s_mov_b64 s[16:17], 0
	s_cbranch_vccnz .LBB71_1795
; %bb.1785:
	s_cmp_gt_i32 s24, 14
	s_cbranch_scc0 .LBB71_1788
; %bb.1786:
	s_cmp_eq_u32 s24, 15
	s_cbranch_scc0 .LBB71_1791
; %bb.1787:
	global_load_ushort v3, v[18:19], off
	s_mov_b64 s[6:7], 0
	s_mov_b64 s[18:19], -1
	s_waitcnt vmcnt(0)
	v_lshlrev_b32_e32 v3, 16, v3
	v_cvt_i32_f32_e32 v5, v3
	s_branch .LBB71_1792
.LBB71_1788:
	s_mov_b64 s[20:21], -1
                                        ; implicit-def: $vgpr5
	s_branch .LBB71_1793
.LBB71_1789:
	s_andn2_saveexec_b64 s[16:17], s[16:17]
	s_cbranch_execz .LBB71_1770
.LBB71_1790:
	v_cmp_ne_u16_e32 vcc, 0, v3
	s_andn2_b64 s[18:19], s[18:19], exec
	s_and_b64 s[20:21], vcc, exec
	s_or_b64 s[18:19], s[18:19], s[20:21]
	s_or_b64 exec, exec, s[16:17]
	v_mov_b32_e32 v5, 0
	s_and_saveexec_b64 s[16:17], s[18:19]
	s_cbranch_execnz .LBB71_1771
	s_branch .LBB71_1772
.LBB71_1791:
	s_mov_b64 s[6:7], -1
                                        ; implicit-def: $vgpr5
.LBB71_1792:
	s_mov_b64 s[20:21], 0
.LBB71_1793:
	s_and_b64 vcc, exec, s[20:21]
	s_cbranch_vccz .LBB71_1795
; %bb.1794:
	s_cmp_lg_u32 s24, 11
	s_mov_b64 s[16:17], -1
	s_cselect_b64 s[6:7], -1, 0
.LBB71_1795:
	s_and_b64 vcc, exec, s[6:7]
	s_cbranch_vccnz .LBB71_1858
; %bb.1796:
	s_andn2_b64 vcc, exec, s[16:17]
	s_cbranch_vccnz .LBB71_1798
.LBB71_1797:
	global_load_ubyte v3, v[18:19], off
	s_mov_b64 s[18:19], -1
	s_waitcnt vmcnt(0)
	v_cmp_ne_u16_e32 vcc, 0, v3
	v_cndmask_b32_e64 v5, 0, 1, vcc
.LBB71_1798:
	s_branch .LBB71_1729
.LBB71_1799:
	s_and_b32 s16, 0xffff, s22
	s_cmp_lt_i32 s16, 5
	s_cbranch_scc1 .LBB71_1804
; %bb.1800:
	s_cmp_lt_i32 s16, 8
	s_cbranch_scc1 .LBB71_1805
; %bb.1801:
	;; [unrolled: 3-line block ×3, first 2 shown]
	s_cmp_gt_i32 s16, 9
	s_cbranch_scc0 .LBB71_1807
; %bb.1803:
	global_load_dwordx2 v[20:21], v[18:19], off
	s_mov_b64 s[6:7], 0
	s_waitcnt vmcnt(0)
	v_cvt_i32_f64_e32 v5, v[20:21]
	s_branch .LBB71_1808
.LBB71_1804:
                                        ; implicit-def: $vgpr5
	s_branch .LBB71_1826
.LBB71_1805:
	s_mov_b64 s[6:7], -1
                                        ; implicit-def: $vgpr5
	s_branch .LBB71_1814
.LBB71_1806:
	s_mov_b64 s[6:7], -1
                                        ; implicit-def: $vgpr5
	s_branch .LBB71_1811
.LBB71_1807:
	s_mov_b64 s[6:7], -1
                                        ; implicit-def: $vgpr5
.LBB71_1808:
	s_andn2_b64 vcc, exec, s[6:7]
	s_cbranch_vccnz .LBB71_1810
; %bb.1809:
	global_load_dword v3, v[18:19], off
	s_waitcnt vmcnt(0)
	v_cvt_i32_f32_e32 v5, v3
.LBB71_1810:
	s_mov_b64 s[6:7], 0
.LBB71_1811:
	s_andn2_b64 vcc, exec, s[6:7]
	s_cbranch_vccnz .LBB71_1813
; %bb.1812:
	global_load_dword v3, v[18:19], off
	s_waitcnt vmcnt(0)
	v_cvt_f32_f16_e32 v3, v3
	v_cvt_i32_f32_e32 v5, v3
.LBB71_1813:
	s_mov_b64 s[6:7], 0
.LBB71_1814:
	s_andn2_b64 vcc, exec, s[6:7]
	s_cbranch_vccnz .LBB71_1825
; %bb.1815:
	s_cmp_lt_i32 s16, 6
	s_cbranch_scc1 .LBB71_1818
; %bb.1816:
	s_cmp_gt_i32 s16, 6
	s_cbranch_scc0 .LBB71_1819
; %bb.1817:
	global_load_dwordx2 v[20:21], v[18:19], off
	s_mov_b64 s[6:7], 0
	s_waitcnt vmcnt(0)
	v_cvt_i32_f64_e32 v5, v[20:21]
	s_branch .LBB71_1820
.LBB71_1818:
	s_mov_b64 s[6:7], -1
                                        ; implicit-def: $vgpr5
	s_branch .LBB71_1823
.LBB71_1819:
	s_mov_b64 s[6:7], -1
                                        ; implicit-def: $vgpr5
.LBB71_1820:
	s_andn2_b64 vcc, exec, s[6:7]
	s_cbranch_vccnz .LBB71_1822
; %bb.1821:
	global_load_dword v3, v[18:19], off
	s_waitcnt vmcnt(0)
	v_cvt_i32_f32_e32 v5, v3
.LBB71_1822:
	s_mov_b64 s[6:7], 0
.LBB71_1823:
	s_andn2_b64 vcc, exec, s[6:7]
	s_cbranch_vccnz .LBB71_1825
; %bb.1824:
	global_load_ushort v3, v[18:19], off
	s_waitcnt vmcnt(0)
	v_cvt_f32_f16_e32 v3, v3
	v_cvt_i32_f32_e32 v5, v3
.LBB71_1825:
	s_cbranch_execnz .LBB71_1845
.LBB71_1826:
	s_cmp_lt_i32 s16, 2
	s_cbranch_scc1 .LBB71_1830
; %bb.1827:
	s_cmp_lt_i32 s16, 3
	s_cbranch_scc1 .LBB71_1831
; %bb.1828:
	s_cmp_gt_i32 s16, 3
	s_cbranch_scc0 .LBB71_1832
; %bb.1829:
	global_load_dword v5, v[18:19], off
	s_mov_b64 s[6:7], 0
	s_branch .LBB71_1833
.LBB71_1830:
	s_mov_b64 s[6:7], -1
                                        ; implicit-def: $vgpr5
	s_branch .LBB71_1839
.LBB71_1831:
	s_mov_b64 s[6:7], -1
                                        ; implicit-def: $vgpr5
	s_branch .LBB71_1836
.LBB71_1832:
	s_mov_b64 s[6:7], -1
                                        ; implicit-def: $vgpr5
.LBB71_1833:
	s_andn2_b64 vcc, exec, s[6:7]
	s_cbranch_vccnz .LBB71_1835
; %bb.1834:
	global_load_dword v5, v[18:19], off
.LBB71_1835:
	s_mov_b64 s[6:7], 0
.LBB71_1836:
	s_andn2_b64 vcc, exec, s[6:7]
	s_cbranch_vccnz .LBB71_1838
; %bb.1837:
	global_load_sshort v5, v[18:19], off
.LBB71_1838:
	s_mov_b64 s[6:7], 0
.LBB71_1839:
	s_andn2_b64 vcc, exec, s[6:7]
	s_cbranch_vccnz .LBB71_1845
; %bb.1840:
	s_cmp_gt_i32 s16, 0
	s_cbranch_scc0 .LBB71_1842
; %bb.1841:
	global_load_sbyte v5, v[18:19], off
	s_mov_b64 s[6:7], 0
	s_branch .LBB71_1843
.LBB71_1842:
	s_mov_b64 s[6:7], -1
                                        ; implicit-def: $vgpr5
.LBB71_1843:
	s_andn2_b64 vcc, exec, s[6:7]
	s_cbranch_vccnz .LBB71_1845
; %bb.1844:
	global_load_ubyte v5, v[18:19], off
.LBB71_1845:
.LBB71_1846:
	s_lshr_b32 s6, s23, 8
	v_mov_b32_e32 v3, s11
	s_and_b32 s22, s6, 0xff
	v_add_co_u32_e32 v16, vcc, s10, v17
	s_cmp_lt_i32 s22, 11
	v_addc_co_u32_e32 v17, vcc, 0, v3, vcc
	s_cbranch_scc1 .LBB71_1853
; %bb.1847:
	s_and_b32 s24, 0xffff, s22
	s_cmp_gt_i32 s24, 25
	s_mov_b64 s[16:17], 0
	s_cbranch_scc0 .LBB71_1855
; %bb.1848:
	s_cmp_gt_i32 s24, 28
	s_cbranch_scc0 .LBB71_1856
; %bb.1849:
	s_cmp_gt_i32 s24, 43
	;; [unrolled: 3-line block ×3, first 2 shown]
	s_cbranch_scc0 .LBB71_1859
; %bb.1851:
	s_cmp_eq_u32 s24, 46
	s_mov_b64 s[20:21], 0
	s_cbranch_scc0 .LBB71_1860
; %bb.1852:
	global_load_dword v3, v[16:17], off
	s_mov_b64 s[6:7], 0
	s_mov_b64 s[18:19], -1
	s_waitcnt vmcnt(0)
	v_lshlrev_b32_e32 v3, 16, v3
	v_cvt_i32_f32_e32 v3, v3
	s_branch .LBB71_1861
.LBB71_1853:
	s_mov_b64 s[18:19], 0
                                        ; implicit-def: $vgpr3
	s_cbranch_execnz .LBB71_1923
.LBB71_1854:
	s_andn2_b64 vcc, exec, s[18:19]
	s_cbranch_vccnz .LBB71_3036
	s_branch .LBB71_1971
.LBB71_1855:
	s_mov_b64 s[20:21], -1
	s_mov_b64 s[18:19], 0
	s_mov_b64 s[6:7], 0
                                        ; implicit-def: $vgpr3
	s_branch .LBB71_1888
.LBB71_1856:
	s_mov_b64 s[20:21], -1
	s_mov_b64 s[18:19], 0
	s_mov_b64 s[6:7], 0
                                        ; implicit-def: $vgpr3
	s_branch .LBB71_1871
.LBB71_1857:
	s_mov_b64 s[20:21], -1
	s_mov_b64 s[18:19], 0
	s_mov_b64 s[6:7], 0
                                        ; implicit-def: $vgpr3
	s_branch .LBB71_1866
.LBB71_1858:
	s_trap 2
	s_or_b64 s[4:5], s[4:5], exec
	s_cbranch_execz .LBB71_1797
	s_branch .LBB71_1798
.LBB71_1859:
	s_mov_b64 s[20:21], -1
	s_mov_b64 s[18:19], 0
	s_mov_b64 s[6:7], 0
                                        ; implicit-def: $vgpr3
	s_branch .LBB71_1861
.LBB71_1860:
	s_mov_b64 s[6:7], -1
                                        ; implicit-def: $vgpr3
	s_mov_b64 s[18:19], 0
.LBB71_1861:
	s_and_b64 vcc, exec, s[20:21]
	s_cbranch_vccz .LBB71_1865
; %bb.1862:
	s_cmp_eq_u32 s24, 44
	s_cbranch_scc0 .LBB71_1864
; %bb.1863:
	global_load_ubyte v3, v[16:17], off
	s_mov_b64 s[6:7], 0
	s_mov_b64 s[18:19], -1
	s_waitcnt vmcnt(0)
	v_lshlrev_b32_e32 v8, 23, v3
	v_cvt_i32_f32_e32 v8, v8
	v_cmp_ne_u32_e32 vcc, 0, v3
	v_cndmask_b32_e32 v3, 0, v8, vcc
	s_branch .LBB71_1865
.LBB71_1864:
	s_mov_b64 s[6:7], -1
                                        ; implicit-def: $vgpr3
.LBB71_1865:
	s_mov_b64 s[20:21], 0
.LBB71_1866:
	s_and_b64 vcc, exec, s[20:21]
	s_cbranch_vccz .LBB71_1870
; %bb.1867:
	s_cmp_eq_u32 s24, 29
	s_cbranch_scc0 .LBB71_1869
; %bb.1868:
	global_load_dword v3, v[16:17], off
	s_mov_b64 s[6:7], 0
	s_mov_b64 s[18:19], -1
	s_branch .LBB71_1870
.LBB71_1869:
	s_mov_b64 s[6:7], -1
                                        ; implicit-def: $vgpr3
.LBB71_1870:
	s_mov_b64 s[20:21], 0
.LBB71_1871:
	s_and_b64 vcc, exec, s[20:21]
	s_cbranch_vccz .LBB71_1887
; %bb.1872:
	s_cmp_lt_i32 s24, 27
	s_cbranch_scc1 .LBB71_1875
; %bb.1873:
	s_cmp_gt_i32 s24, 27
	s_cbranch_scc0 .LBB71_1876
; %bb.1874:
	global_load_dword v3, v[16:17], off
	s_mov_b64 s[18:19], 0
	s_branch .LBB71_1877
.LBB71_1875:
	s_mov_b64 s[18:19], -1
                                        ; implicit-def: $vgpr3
	s_branch .LBB71_1880
.LBB71_1876:
	s_mov_b64 s[18:19], -1
                                        ; implicit-def: $vgpr3
.LBB71_1877:
	s_andn2_b64 vcc, exec, s[18:19]
	s_cbranch_vccnz .LBB71_1879
; %bb.1878:
	global_load_ushort v3, v[16:17], off
.LBB71_1879:
	s_mov_b64 s[18:19], 0
.LBB71_1880:
	s_andn2_b64 vcc, exec, s[18:19]
	s_cbranch_vccnz .LBB71_1886
; %bb.1881:
	global_load_ubyte v8, v[16:17], off
	s_movk_i32 s18, 0x7f
	s_mov_b64 s[20:21], 0
	s_waitcnt vmcnt(0)
	v_cmp_lt_i16_e32 vcc, s18, v8
	s_and_saveexec_b64 s[18:19], vcc
	s_xor_b64 s[18:19], exec, s[18:19]
	s_cbranch_execz .LBB71_1898
; %bb.1882:
	s_movk_i32 s20, 0x80
	v_cmp_ne_u16_e32 vcc, s20, v8
	s_and_b64 s[20:21], vcc, exec
	s_andn2_saveexec_b64 s[18:19], s[18:19]
	s_cbranch_execnz .LBB71_1899
.LBB71_1883:
	s_or_b64 exec, exec, s[18:19]
	v_mov_b32_e32 v3, 0
	s_and_saveexec_b64 s[18:19], s[20:21]
	s_cbranch_execz .LBB71_1885
.LBB71_1884:
	v_lshlrev_b32_e32 v3, 24, v8
	v_and_b32_e32 v8, 0xffff, v8
	v_and_b32_e32 v10, 7, v8
	v_ffbh_u32_e32 v14, v10
	v_min_u32_e32 v14, 32, v14
	v_subrev_u32_e32 v18, 28, v14
	v_bfe_u32 v12, v8, 3, 4
	v_lshlrev_b32_e32 v8, v18, v8
	v_sub_u32_e32 v14, 29, v14
	v_and_b32_e32 v8, 7, v8
	v_cmp_eq_u32_e32 vcc, 0, v12
	v_cndmask_b32_e32 v12, v12, v14, vcc
	v_cndmask_b32_e32 v8, v10, v8, vcc
	v_mov_b32_e32 v10, 0x3b800000
	v_lshlrev_b32_e32 v8, 20, v8
	v_and_b32_e32 v3, 0x80000000, v3
	v_lshl_add_u32 v10, v12, 23, v10
	v_or3_b32 v3, v3, v10, v8
	v_cvt_i32_f32_e32 v3, v3
.LBB71_1885:
	s_or_b64 exec, exec, s[18:19]
.LBB71_1886:
	s_mov_b64 s[18:19], -1
.LBB71_1887:
	s_mov_b64 s[20:21], 0
.LBB71_1888:
	s_and_b64 vcc, exec, s[20:21]
	s_cbranch_vccz .LBB71_1919
; %bb.1889:
	s_cmp_gt_i32 s24, 22
	s_cbranch_scc0 .LBB71_1897
; %bb.1890:
	s_cmp_lt_i32 s24, 24
	s_cbranch_scc1 .LBB71_1900
; %bb.1891:
	s_cmp_gt_i32 s24, 24
	s_cbranch_scc0 .LBB71_1901
; %bb.1892:
	global_load_ubyte v8, v[16:17], off
	s_movk_i32 s16, 0x7f
	s_mov_b64 s[18:19], 0
	s_waitcnt vmcnt(0)
	v_cmp_lt_i16_e32 vcc, s16, v8
	s_and_saveexec_b64 s[16:17], vcc
	s_xor_b64 s[16:17], exec, s[16:17]
	s_cbranch_execz .LBB71_1913
; %bb.1893:
	s_movk_i32 s18, 0x80
	v_cmp_ne_u16_e32 vcc, s18, v8
	s_and_b64 s[18:19], vcc, exec
	s_andn2_saveexec_b64 s[16:17], s[16:17]
	s_cbranch_execnz .LBB71_1914
.LBB71_1894:
	s_or_b64 exec, exec, s[16:17]
	v_mov_b32_e32 v3, 0
	s_and_saveexec_b64 s[16:17], s[18:19]
	s_cbranch_execz .LBB71_1896
.LBB71_1895:
	v_lshlrev_b32_e32 v3, 24, v8
	v_and_b32_e32 v8, 0xffff, v8
	v_and_b32_e32 v10, 3, v8
	v_ffbh_u32_e32 v14, v10
	v_min_u32_e32 v14, 32, v14
	v_subrev_u32_e32 v18, 29, v14
	v_bfe_u32 v12, v8, 2, 5
	v_lshlrev_b32_e32 v8, v18, v8
	v_sub_u32_e32 v14, 30, v14
	v_and_b32_e32 v8, 3, v8
	v_cmp_eq_u32_e32 vcc, 0, v12
	v_cndmask_b32_e32 v12, v12, v14, vcc
	v_cndmask_b32_e32 v8, v10, v8, vcc
	v_mov_b32_e32 v10, 0x37800000
	v_lshlrev_b32_e32 v8, 21, v8
	v_and_b32_e32 v3, 0x80000000, v3
	v_lshl_add_u32 v10, v12, 23, v10
	v_or3_b32 v3, v3, v10, v8
	v_cvt_i32_f32_e32 v3, v3
.LBB71_1896:
	s_or_b64 exec, exec, s[16:17]
	s_mov_b64 s[16:17], 0
	s_branch .LBB71_1902
.LBB71_1897:
	s_mov_b64 s[16:17], -1
                                        ; implicit-def: $vgpr3
	s_branch .LBB71_1908
.LBB71_1898:
	s_andn2_saveexec_b64 s[18:19], s[18:19]
	s_cbranch_execz .LBB71_1883
.LBB71_1899:
	v_cmp_ne_u16_e32 vcc, 0, v8
	s_andn2_b64 s[20:21], s[20:21], exec
	s_and_b64 s[26:27], vcc, exec
	s_or_b64 s[20:21], s[20:21], s[26:27]
	s_or_b64 exec, exec, s[18:19]
	v_mov_b32_e32 v3, 0
	s_and_saveexec_b64 s[18:19], s[20:21]
	s_cbranch_execnz .LBB71_1884
	s_branch .LBB71_1885
.LBB71_1900:
	s_mov_b64 s[16:17], -1
                                        ; implicit-def: $vgpr3
	s_branch .LBB71_1905
.LBB71_1901:
	s_mov_b64 s[16:17], -1
                                        ; implicit-def: $vgpr3
.LBB71_1902:
	s_and_b64 vcc, exec, s[16:17]
	s_cbranch_vccz .LBB71_1904
; %bb.1903:
	global_load_ubyte v3, v[16:17], off
	s_mov_b32 s16, 0x7f800000
	s_waitcnt vmcnt(0)
	v_lshlrev_b32_e32 v3, 24, v3
	v_and_b32_e32 v8, 0x7f000000, v3
	v_ffbh_u32_e32 v10, v8
	v_min_u32_e32 v10, 32, v10
	v_sub_u32_e64 v10, v10, 4 clamp
	v_lshlrev_b32_e32 v14, v10, v8
	v_lshlrev_b32_e32 v10, 23, v10
	v_lshrrev_b32_e32 v14, 4, v14
	v_add_u32_e32 v12, 0x1000000, v8
	v_sub_u32_e32 v10, v14, v10
	v_ashrrev_i32_e32 v12, 8, v12
	v_add_u32_e32 v10, 0x3c000000, v10
	v_and_or_b32 v10, v12, s16, v10
	v_cmp_ne_u32_e32 vcc, 0, v8
	v_cndmask_b32_e32 v8, 0, v10, vcc
	s_brev_b32 s16, 1
	v_and_or_b32 v3, v3, s16, v8
	v_cvt_i32_f32_e32 v3, v3
.LBB71_1904:
	s_mov_b64 s[16:17], 0
.LBB71_1905:
	s_andn2_b64 vcc, exec, s[16:17]
	s_cbranch_vccnz .LBB71_1907
; %bb.1906:
	global_load_ubyte v3, v[16:17], off
	s_movk_i32 s16, 0x7f00
	s_brev_b32 s17, 16
	s_waitcnt vmcnt(0)
	v_lshlrev_b16_e32 v8, 8, v3
	v_lshlrev_b32_e32 v3, 25, v3
	v_lshrrev_b32_e32 v10, 4, v3
	v_and_or_b32 v12, v8, s16, 0.5
	v_or_b32_e32 v10, 0x70000000, v10
	v_add_f32_e32 v12, -0.5, v12
	v_mul_f32_e32 v10, 0x7800000, v10
	v_cmp_gt_u32_e32 vcc, s17, v3
	v_bfe_i32 v8, v8, 0, 16
	v_cndmask_b32_e32 v3, v10, v12, vcc
	s_brev_b32 s16, 1
	v_and_or_b32 v3, v8, s16, v3
	v_cvt_i32_f32_e32 v3, v3
.LBB71_1907:
	s_mov_b64 s[16:17], 0
	s_mov_b64 s[18:19], -1
.LBB71_1908:
	s_andn2_b64 vcc, exec, s[16:17]
	s_mov_b64 s[16:17], 0
	s_cbranch_vccnz .LBB71_1919
; %bb.1909:
	s_cmp_gt_i32 s24, 14
	s_cbranch_scc0 .LBB71_1912
; %bb.1910:
	s_cmp_eq_u32 s24, 15
	s_cbranch_scc0 .LBB71_1915
; %bb.1911:
	global_load_ushort v3, v[16:17], off
	s_mov_b64 s[6:7], 0
	s_mov_b64 s[18:19], -1
	s_waitcnt vmcnt(0)
	v_lshlrev_b32_e32 v3, 16, v3
	v_cvt_i32_f32_e32 v3, v3
	s_branch .LBB71_1916
.LBB71_1912:
	s_mov_b64 s[20:21], -1
                                        ; implicit-def: $vgpr3
	s_branch .LBB71_1917
.LBB71_1913:
	s_andn2_saveexec_b64 s[16:17], s[16:17]
	s_cbranch_execz .LBB71_1894
.LBB71_1914:
	v_cmp_ne_u16_e32 vcc, 0, v8
	s_andn2_b64 s[18:19], s[18:19], exec
	s_and_b64 s[20:21], vcc, exec
	s_or_b64 s[18:19], s[18:19], s[20:21]
	s_or_b64 exec, exec, s[16:17]
	v_mov_b32_e32 v3, 0
	s_and_saveexec_b64 s[16:17], s[18:19]
	s_cbranch_execnz .LBB71_1895
	s_branch .LBB71_1896
.LBB71_1915:
	s_mov_b64 s[6:7], -1
                                        ; implicit-def: $vgpr3
.LBB71_1916:
	s_mov_b64 s[20:21], 0
.LBB71_1917:
	s_and_b64 vcc, exec, s[20:21]
	s_cbranch_vccz .LBB71_1919
; %bb.1918:
	s_cmp_lg_u32 s24, 11
	s_mov_b64 s[16:17], -1
	s_cselect_b64 s[6:7], -1, 0
.LBB71_1919:
	s_and_b64 vcc, exec, s[6:7]
	s_cbranch_vccnz .LBB71_1982
; %bb.1920:
	s_andn2_b64 vcc, exec, s[16:17]
	s_cbranch_vccnz .LBB71_1922
.LBB71_1921:
	global_load_ubyte v3, v[16:17], off
	s_mov_b64 s[18:19], -1
	s_waitcnt vmcnt(0)
	v_cmp_ne_u16_e32 vcc, 0, v3
	v_cndmask_b32_e64 v3, 0, 1, vcc
.LBB71_1922:
	s_branch .LBB71_1854
.LBB71_1923:
	s_and_b32 s16, 0xffff, s22
	s_cmp_lt_i32 s16, 5
	s_cbranch_scc1 .LBB71_1928
; %bb.1924:
	s_cmp_lt_i32 s16, 8
	s_cbranch_scc1 .LBB71_1929
; %bb.1925:
	;; [unrolled: 3-line block ×3, first 2 shown]
	s_cmp_gt_i32 s16, 9
	s_cbranch_scc0 .LBB71_1931
; %bb.1927:
	global_load_dwordx2 v[18:19], v[16:17], off
	s_mov_b64 s[6:7], 0
	s_waitcnt vmcnt(0)
	v_cvt_i32_f64_e32 v3, v[18:19]
	s_branch .LBB71_1932
.LBB71_1928:
	s_mov_b64 s[6:7], -1
                                        ; implicit-def: $vgpr3
	s_branch .LBB71_1950
.LBB71_1929:
	s_mov_b64 s[6:7], -1
                                        ; implicit-def: $vgpr3
	s_branch .LBB71_1938
.LBB71_1930:
	s_mov_b64 s[6:7], -1
                                        ; implicit-def: $vgpr3
	s_branch .LBB71_1935
.LBB71_1931:
	s_mov_b64 s[6:7], -1
                                        ; implicit-def: $vgpr3
.LBB71_1932:
	s_andn2_b64 vcc, exec, s[6:7]
	s_cbranch_vccnz .LBB71_1934
; %bb.1933:
	global_load_dword v3, v[16:17], off
	s_waitcnt vmcnt(0)
	v_cvt_i32_f32_e32 v3, v3
.LBB71_1934:
	s_mov_b64 s[6:7], 0
.LBB71_1935:
	s_andn2_b64 vcc, exec, s[6:7]
	s_cbranch_vccnz .LBB71_1937
; %bb.1936:
	global_load_dword v3, v[16:17], off
	s_waitcnt vmcnt(0)
	v_cvt_f32_f16_e32 v3, v3
	v_cvt_i32_f32_e32 v3, v3
.LBB71_1937:
	s_mov_b64 s[6:7], 0
.LBB71_1938:
	s_andn2_b64 vcc, exec, s[6:7]
	s_cbranch_vccnz .LBB71_1949
; %bb.1939:
	s_cmp_lt_i32 s16, 6
	s_cbranch_scc1 .LBB71_1942
; %bb.1940:
	s_cmp_gt_i32 s16, 6
	s_cbranch_scc0 .LBB71_1943
; %bb.1941:
	global_load_dwordx2 v[18:19], v[16:17], off
	s_mov_b64 s[6:7], 0
	s_waitcnt vmcnt(0)
	v_cvt_i32_f64_e32 v3, v[18:19]
	s_branch .LBB71_1944
.LBB71_1942:
	s_mov_b64 s[6:7], -1
                                        ; implicit-def: $vgpr3
	s_branch .LBB71_1947
.LBB71_1943:
	s_mov_b64 s[6:7], -1
                                        ; implicit-def: $vgpr3
.LBB71_1944:
	s_andn2_b64 vcc, exec, s[6:7]
	s_cbranch_vccnz .LBB71_1946
; %bb.1945:
	global_load_dword v3, v[16:17], off
	s_waitcnt vmcnt(0)
	v_cvt_i32_f32_e32 v3, v3
.LBB71_1946:
	s_mov_b64 s[6:7], 0
.LBB71_1947:
	s_andn2_b64 vcc, exec, s[6:7]
	s_cbranch_vccnz .LBB71_1949
; %bb.1948:
	global_load_ushort v3, v[16:17], off
	s_waitcnt vmcnt(0)
	v_cvt_f32_f16_e32 v3, v3
	v_cvt_i32_f32_e32 v3, v3
.LBB71_1949:
	s_mov_b64 s[6:7], 0
.LBB71_1950:
	s_andn2_b64 vcc, exec, s[6:7]
	s_cbranch_vccnz .LBB71_1970
; %bb.1951:
	s_cmp_lt_i32 s16, 2
	s_cbranch_scc1 .LBB71_1955
; %bb.1952:
	s_cmp_lt_i32 s16, 3
	s_cbranch_scc1 .LBB71_1956
; %bb.1953:
	s_cmp_gt_i32 s16, 3
	s_cbranch_scc0 .LBB71_1957
; %bb.1954:
	global_load_dword v3, v[16:17], off
	s_mov_b64 s[6:7], 0
	s_branch .LBB71_1958
.LBB71_1955:
	s_mov_b64 s[6:7], -1
                                        ; implicit-def: $vgpr3
	s_branch .LBB71_1964
.LBB71_1956:
	s_mov_b64 s[6:7], -1
                                        ; implicit-def: $vgpr3
	s_branch .LBB71_1961
.LBB71_1957:
	s_mov_b64 s[6:7], -1
                                        ; implicit-def: $vgpr3
.LBB71_1958:
	s_andn2_b64 vcc, exec, s[6:7]
	s_cbranch_vccnz .LBB71_1960
; %bb.1959:
	global_load_dword v3, v[16:17], off
.LBB71_1960:
	s_mov_b64 s[6:7], 0
.LBB71_1961:
	s_andn2_b64 vcc, exec, s[6:7]
	s_cbranch_vccnz .LBB71_1963
; %bb.1962:
	global_load_sshort v3, v[16:17], off
.LBB71_1963:
	s_mov_b64 s[6:7], 0
.LBB71_1964:
	s_andn2_b64 vcc, exec, s[6:7]
	s_cbranch_vccnz .LBB71_1970
; %bb.1965:
	s_cmp_gt_i32 s16, 0
	s_cbranch_scc0 .LBB71_1967
; %bb.1966:
	global_load_sbyte v3, v[16:17], off
	s_mov_b64 s[6:7], 0
	s_branch .LBB71_1968
.LBB71_1967:
	s_mov_b64 s[6:7], -1
                                        ; implicit-def: $vgpr3
.LBB71_1968:
	s_andn2_b64 vcc, exec, s[6:7]
	s_cbranch_vccnz .LBB71_1970
; %bb.1969:
	global_load_ubyte v3, v[16:17], off
.LBB71_1970:
.LBB71_1971:
	s_lshr_b32 s6, s23, 16
	v_mov_b32_e32 v8, s1
	s_and_b32 s23, s6, 0xff
	v_add_co_u32_e32 v14, vcc, s0, v15
	s_cmp_lt_i32 s23, 11
	v_addc_co_u32_e32 v15, vcc, 0, v8, vcc
	s_cbranch_scc1 .LBB71_1978
; %bb.1972:
	s_and_b32 s24, 0xffff, s23
	s_cmp_gt_i32 s24, 25
	s_mov_b64 s[16:17], 0
	s_cbranch_scc0 .LBB71_1979
; %bb.1973:
	s_cmp_gt_i32 s24, 28
	s_cbranch_scc0 .LBB71_1980
; %bb.1974:
	s_cmp_gt_i32 s24, 43
	;; [unrolled: 3-line block ×3, first 2 shown]
	s_cbranch_scc0 .LBB71_1983
; %bb.1976:
	s_cmp_eq_u32 s24, 46
	s_mov_b64 s[20:21], 0
	s_cbranch_scc0 .LBB71_1984
; %bb.1977:
	global_load_dword v8, v[14:15], off
	s_mov_b64 s[6:7], 0
	s_mov_b64 s[18:19], -1
	s_waitcnt vmcnt(0)
	v_lshlrev_b32_e32 v8, 16, v8
	v_cvt_i32_f32_e32 v16, v8
	s_branch .LBB71_1985
.LBB71_1978:
	s_mov_b64 s[6:7], -1
	s_mov_b64 s[18:19], 0
                                        ; implicit-def: $vgpr16
	s_branch .LBB71_2047
.LBB71_1979:
	s_mov_b64 s[20:21], -1
	s_mov_b64 s[18:19], 0
	s_mov_b64 s[6:7], 0
                                        ; implicit-def: $vgpr16
	s_branch .LBB71_2012
.LBB71_1980:
	s_mov_b64 s[20:21], -1
	s_mov_b64 s[18:19], 0
	s_mov_b64 s[6:7], 0
                                        ; implicit-def: $vgpr16
	s_branch .LBB71_1995
.LBB71_1981:
	s_mov_b64 s[20:21], -1
	s_mov_b64 s[18:19], 0
	s_mov_b64 s[6:7], 0
                                        ; implicit-def: $vgpr16
	s_branch .LBB71_1990
.LBB71_1982:
	s_trap 2
	s_or_b64 s[4:5], s[4:5], exec
	s_cbranch_execz .LBB71_1921
	s_branch .LBB71_1922
.LBB71_1983:
	s_mov_b64 s[20:21], -1
	s_mov_b64 s[18:19], 0
	s_mov_b64 s[6:7], 0
                                        ; implicit-def: $vgpr16
	s_branch .LBB71_1985
.LBB71_1984:
	s_mov_b64 s[6:7], -1
                                        ; implicit-def: $vgpr16
	s_mov_b64 s[18:19], 0
.LBB71_1985:
	s_and_b64 vcc, exec, s[20:21]
	s_cbranch_vccz .LBB71_1989
; %bb.1986:
	s_cmp_eq_u32 s24, 44
	s_cbranch_scc0 .LBB71_1988
; %bb.1987:
	global_load_ubyte v8, v[14:15], off
	s_mov_b64 s[6:7], 0
	s_mov_b64 s[18:19], -1
	s_waitcnt vmcnt(0)
	v_lshlrev_b32_e32 v10, 23, v8
	v_cvt_i32_f32_e32 v10, v10
	v_cmp_ne_u32_e32 vcc, 0, v8
	v_cndmask_b32_e32 v16, 0, v10, vcc
	s_branch .LBB71_1989
.LBB71_1988:
	s_mov_b64 s[6:7], -1
                                        ; implicit-def: $vgpr16
.LBB71_1989:
	s_mov_b64 s[20:21], 0
.LBB71_1990:
	s_and_b64 vcc, exec, s[20:21]
	s_cbranch_vccz .LBB71_1994
; %bb.1991:
	s_cmp_eq_u32 s24, 29
	s_cbranch_scc0 .LBB71_1993
; %bb.1992:
	global_load_dword v16, v[14:15], off
	s_mov_b64 s[6:7], 0
	s_mov_b64 s[18:19], -1
	s_branch .LBB71_1994
.LBB71_1993:
	s_mov_b64 s[6:7], -1
                                        ; implicit-def: $vgpr16
.LBB71_1994:
	s_mov_b64 s[20:21], 0
.LBB71_1995:
	s_and_b64 vcc, exec, s[20:21]
	s_cbranch_vccz .LBB71_2011
; %bb.1996:
	s_cmp_lt_i32 s24, 27
	s_cbranch_scc1 .LBB71_1999
; %bb.1997:
	s_cmp_gt_i32 s24, 27
	s_cbranch_scc0 .LBB71_2000
; %bb.1998:
	global_load_dword v16, v[14:15], off
	s_mov_b64 s[18:19], 0
	s_branch .LBB71_2001
.LBB71_1999:
	s_mov_b64 s[18:19], -1
                                        ; implicit-def: $vgpr16
	s_branch .LBB71_2004
.LBB71_2000:
	s_mov_b64 s[18:19], -1
                                        ; implicit-def: $vgpr16
.LBB71_2001:
	s_andn2_b64 vcc, exec, s[18:19]
	s_cbranch_vccnz .LBB71_2003
; %bb.2002:
	global_load_ushort v16, v[14:15], off
.LBB71_2003:
	s_mov_b64 s[18:19], 0
.LBB71_2004:
	s_andn2_b64 vcc, exec, s[18:19]
	s_cbranch_vccnz .LBB71_2010
; %bb.2005:
	global_load_ubyte v8, v[14:15], off
	s_movk_i32 s18, 0x7f
	s_mov_b64 s[20:21], 0
	s_waitcnt vmcnt(0)
	v_cmp_lt_i16_e32 vcc, s18, v8
	s_and_saveexec_b64 s[18:19], vcc
	s_xor_b64 s[18:19], exec, s[18:19]
	s_cbranch_execz .LBB71_2022
; %bb.2006:
	s_movk_i32 s20, 0x80
	v_cmp_ne_u16_e32 vcc, s20, v8
	s_and_b64 s[20:21], vcc, exec
	s_andn2_saveexec_b64 s[18:19], s[18:19]
	s_cbranch_execnz .LBB71_2023
.LBB71_2007:
	s_or_b64 exec, exec, s[18:19]
	v_mov_b32_e32 v16, 0
	s_and_saveexec_b64 s[18:19], s[20:21]
	s_cbranch_execz .LBB71_2009
.LBB71_2008:
	v_lshlrev_b32_e32 v10, 24, v8
	v_and_b32_e32 v8, 0xffff, v8
	v_and_b32_e32 v12, 7, v8
	v_ffbh_u32_e32 v17, v12
	v_min_u32_e32 v17, 32, v17
	v_subrev_u32_e32 v18, 28, v17
	v_bfe_u32 v16, v8, 3, 4
	v_lshlrev_b32_e32 v8, v18, v8
	v_sub_u32_e32 v17, 29, v17
	v_and_b32_e32 v8, 7, v8
	v_cmp_eq_u32_e32 vcc, 0, v16
	v_cndmask_b32_e32 v16, v16, v17, vcc
	v_cndmask_b32_e32 v8, v12, v8, vcc
	v_mov_b32_e32 v12, 0x3b800000
	v_lshlrev_b32_e32 v8, 20, v8
	v_and_b32_e32 v10, 0x80000000, v10
	v_lshl_add_u32 v12, v16, 23, v12
	v_or3_b32 v8, v10, v12, v8
	v_cvt_i32_f32_e32 v16, v8
.LBB71_2009:
	s_or_b64 exec, exec, s[18:19]
.LBB71_2010:
	s_mov_b64 s[18:19], -1
.LBB71_2011:
	s_mov_b64 s[20:21], 0
.LBB71_2012:
	s_and_b64 vcc, exec, s[20:21]
	s_cbranch_vccz .LBB71_2043
; %bb.2013:
	s_cmp_gt_i32 s24, 22
	s_cbranch_scc0 .LBB71_2021
; %bb.2014:
	s_cmp_lt_i32 s24, 24
	s_cbranch_scc1 .LBB71_2024
; %bb.2015:
	s_cmp_gt_i32 s24, 24
	s_cbranch_scc0 .LBB71_2025
; %bb.2016:
	global_load_ubyte v8, v[14:15], off
	s_movk_i32 s16, 0x7f
	s_mov_b64 s[18:19], 0
	s_waitcnt vmcnt(0)
	v_cmp_lt_i16_e32 vcc, s16, v8
	s_and_saveexec_b64 s[16:17], vcc
	s_xor_b64 s[16:17], exec, s[16:17]
	s_cbranch_execz .LBB71_2037
; %bb.2017:
	s_movk_i32 s18, 0x80
	v_cmp_ne_u16_e32 vcc, s18, v8
	s_and_b64 s[18:19], vcc, exec
	s_andn2_saveexec_b64 s[16:17], s[16:17]
	s_cbranch_execnz .LBB71_2038
.LBB71_2018:
	s_or_b64 exec, exec, s[16:17]
	v_mov_b32_e32 v16, 0
	s_and_saveexec_b64 s[16:17], s[18:19]
	s_cbranch_execz .LBB71_2020
.LBB71_2019:
	v_lshlrev_b32_e32 v10, 24, v8
	v_and_b32_e32 v8, 0xffff, v8
	v_and_b32_e32 v12, 3, v8
	v_ffbh_u32_e32 v17, v12
	v_min_u32_e32 v17, 32, v17
	v_subrev_u32_e32 v18, 29, v17
	v_bfe_u32 v16, v8, 2, 5
	v_lshlrev_b32_e32 v8, v18, v8
	v_sub_u32_e32 v17, 30, v17
	v_and_b32_e32 v8, 3, v8
	v_cmp_eq_u32_e32 vcc, 0, v16
	v_cndmask_b32_e32 v16, v16, v17, vcc
	v_cndmask_b32_e32 v8, v12, v8, vcc
	v_mov_b32_e32 v12, 0x37800000
	v_lshlrev_b32_e32 v8, 21, v8
	v_and_b32_e32 v10, 0x80000000, v10
	v_lshl_add_u32 v12, v16, 23, v12
	v_or3_b32 v8, v10, v12, v8
	v_cvt_i32_f32_e32 v16, v8
.LBB71_2020:
	s_or_b64 exec, exec, s[16:17]
	s_mov_b64 s[16:17], 0
	s_branch .LBB71_2026
.LBB71_2021:
	s_mov_b64 s[16:17], -1
                                        ; implicit-def: $vgpr16
	s_branch .LBB71_2032
.LBB71_2022:
	s_andn2_saveexec_b64 s[18:19], s[18:19]
	s_cbranch_execz .LBB71_2007
.LBB71_2023:
	v_cmp_ne_u16_e32 vcc, 0, v8
	s_andn2_b64 s[20:21], s[20:21], exec
	s_and_b64 s[26:27], vcc, exec
	s_or_b64 s[20:21], s[20:21], s[26:27]
	s_or_b64 exec, exec, s[18:19]
	v_mov_b32_e32 v16, 0
	s_and_saveexec_b64 s[18:19], s[20:21]
	s_cbranch_execnz .LBB71_2008
	s_branch .LBB71_2009
.LBB71_2024:
	s_mov_b64 s[16:17], -1
                                        ; implicit-def: $vgpr16
	s_branch .LBB71_2029
.LBB71_2025:
	s_mov_b64 s[16:17], -1
                                        ; implicit-def: $vgpr16
.LBB71_2026:
	s_and_b64 vcc, exec, s[16:17]
	s_cbranch_vccz .LBB71_2028
; %bb.2027:
	global_load_ubyte v8, v[14:15], off
	s_mov_b32 s16, 0x7f800000
	s_waitcnt vmcnt(0)
	v_lshlrev_b32_e32 v8, 24, v8
	v_and_b32_e32 v10, 0x7f000000, v8
	v_ffbh_u32_e32 v12, v10
	v_min_u32_e32 v12, 32, v12
	v_sub_u32_e64 v12, v12, 4 clamp
	v_lshlrev_b32_e32 v17, v12, v10
	v_lshlrev_b32_e32 v12, 23, v12
	v_lshrrev_b32_e32 v17, 4, v17
	v_add_u32_e32 v16, 0x1000000, v10
	v_sub_u32_e32 v12, v17, v12
	v_ashrrev_i32_e32 v16, 8, v16
	v_add_u32_e32 v12, 0x3c000000, v12
	v_and_or_b32 v12, v16, s16, v12
	v_cmp_ne_u32_e32 vcc, 0, v10
	v_cndmask_b32_e32 v10, 0, v12, vcc
	s_brev_b32 s16, 1
	v_and_or_b32 v8, v8, s16, v10
	v_cvt_i32_f32_e32 v16, v8
.LBB71_2028:
	s_mov_b64 s[16:17], 0
.LBB71_2029:
	s_andn2_b64 vcc, exec, s[16:17]
	s_cbranch_vccnz .LBB71_2031
; %bb.2030:
	global_load_ubyte v8, v[14:15], off
	s_movk_i32 s16, 0x7f00
	s_brev_b32 s17, 16
	s_waitcnt vmcnt(0)
	v_lshlrev_b16_e32 v10, 8, v8
	v_lshlrev_b32_e32 v8, 25, v8
	v_lshrrev_b32_e32 v12, 4, v8
	v_and_or_b32 v16, v10, s16, 0.5
	v_or_b32_e32 v12, 0x70000000, v12
	v_add_f32_e32 v16, -0.5, v16
	v_mul_f32_e32 v12, 0x7800000, v12
	v_cmp_gt_u32_e32 vcc, s17, v8
	v_bfe_i32 v10, v10, 0, 16
	v_cndmask_b32_e32 v8, v12, v16, vcc
	s_brev_b32 s16, 1
	v_and_or_b32 v8, v10, s16, v8
	v_cvt_i32_f32_e32 v16, v8
.LBB71_2031:
	s_mov_b64 s[16:17], 0
	s_mov_b64 s[18:19], -1
.LBB71_2032:
	s_andn2_b64 vcc, exec, s[16:17]
	s_mov_b64 s[16:17], 0
	s_cbranch_vccnz .LBB71_2043
; %bb.2033:
	s_cmp_gt_i32 s24, 14
	s_cbranch_scc0 .LBB71_2036
; %bb.2034:
	s_cmp_eq_u32 s24, 15
	s_cbranch_scc0 .LBB71_2039
; %bb.2035:
	global_load_ushort v8, v[14:15], off
	s_mov_b64 s[6:7], 0
	s_mov_b64 s[18:19], -1
	s_waitcnt vmcnt(0)
	v_lshlrev_b32_e32 v8, 16, v8
	v_cvt_i32_f32_e32 v16, v8
	s_branch .LBB71_2040
.LBB71_2036:
	s_mov_b64 s[20:21], -1
                                        ; implicit-def: $vgpr16
	s_branch .LBB71_2041
.LBB71_2037:
	s_andn2_saveexec_b64 s[16:17], s[16:17]
	s_cbranch_execz .LBB71_2018
.LBB71_2038:
	v_cmp_ne_u16_e32 vcc, 0, v8
	s_andn2_b64 s[18:19], s[18:19], exec
	s_and_b64 s[20:21], vcc, exec
	s_or_b64 s[18:19], s[18:19], s[20:21]
	s_or_b64 exec, exec, s[16:17]
	v_mov_b32_e32 v16, 0
	s_and_saveexec_b64 s[16:17], s[18:19]
	s_cbranch_execnz .LBB71_2019
	s_branch .LBB71_2020
.LBB71_2039:
	s_mov_b64 s[6:7], -1
                                        ; implicit-def: $vgpr16
.LBB71_2040:
	s_mov_b64 s[20:21], 0
.LBB71_2041:
	s_and_b64 vcc, exec, s[20:21]
	s_cbranch_vccz .LBB71_2043
; %bb.2042:
	s_cmp_lg_u32 s24, 11
	s_mov_b64 s[16:17], -1
	s_cselect_b64 s[6:7], -1, 0
.LBB71_2043:
	s_and_b64 vcc, exec, s[6:7]
	s_cbranch_vccnz .LBB71_2108
; %bb.2044:
	s_andn2_b64 vcc, exec, s[16:17]
	s_cbranch_vccnz .LBB71_2046
.LBB71_2045:
	global_load_ubyte v8, v[14:15], off
	s_mov_b64 s[18:19], -1
	s_waitcnt vmcnt(0)
	v_cmp_ne_u16_e32 vcc, 0, v8
	v_cndmask_b32_e64 v16, 0, 1, vcc
.LBB71_2046:
	s_mov_b64 s[6:7], 0
.LBB71_2047:
	s_and_b64 vcc, exec, s[6:7]
	s_cbranch_vccz .LBB71_2096
; %bb.2048:
	s_and_b32 s16, 0xffff, s23
	s_cmp_lt_i32 s16, 5
	s_cbranch_scc1 .LBB71_2053
; %bb.2049:
	s_cmp_lt_i32 s16, 8
	s_cbranch_scc1 .LBB71_2054
; %bb.2050:
	;; [unrolled: 3-line block ×3, first 2 shown]
	s_cmp_gt_i32 s16, 9
	s_cbranch_scc0 .LBB71_2056
; %bb.2052:
	global_load_dwordx2 v[16:17], v[14:15], off
	s_mov_b64 s[6:7], 0
	s_waitcnt vmcnt(0)
	v_cvt_i32_f64_e32 v16, v[16:17]
	s_branch .LBB71_2057
.LBB71_2053:
	s_mov_b64 s[6:7], -1
                                        ; implicit-def: $vgpr16
	s_branch .LBB71_2075
.LBB71_2054:
	s_mov_b64 s[6:7], -1
                                        ; implicit-def: $vgpr16
	s_branch .LBB71_2063
.LBB71_2055:
	s_mov_b64 s[6:7], -1
                                        ; implicit-def: $vgpr16
	s_branch .LBB71_2060
.LBB71_2056:
	s_mov_b64 s[6:7], -1
                                        ; implicit-def: $vgpr16
.LBB71_2057:
	s_andn2_b64 vcc, exec, s[6:7]
	s_cbranch_vccnz .LBB71_2059
; %bb.2058:
	global_load_dword v8, v[14:15], off
	s_waitcnt vmcnt(0)
	v_cvt_i32_f32_e32 v16, v8
.LBB71_2059:
	s_mov_b64 s[6:7], 0
.LBB71_2060:
	s_andn2_b64 vcc, exec, s[6:7]
	s_cbranch_vccnz .LBB71_2062
; %bb.2061:
	global_load_dword v8, v[14:15], off
	s_waitcnt vmcnt(0)
	v_cvt_f32_f16_e32 v8, v8
	v_cvt_i32_f32_e32 v16, v8
.LBB71_2062:
	s_mov_b64 s[6:7], 0
.LBB71_2063:
	s_andn2_b64 vcc, exec, s[6:7]
	s_cbranch_vccnz .LBB71_2074
; %bb.2064:
	s_cmp_lt_i32 s16, 6
	s_cbranch_scc1 .LBB71_2067
; %bb.2065:
	s_cmp_gt_i32 s16, 6
	s_cbranch_scc0 .LBB71_2068
; %bb.2066:
	global_load_dwordx2 v[16:17], v[14:15], off
	s_mov_b64 s[6:7], 0
	s_waitcnt vmcnt(0)
	v_cvt_i32_f64_e32 v16, v[16:17]
	s_branch .LBB71_2069
.LBB71_2067:
	s_mov_b64 s[6:7], -1
                                        ; implicit-def: $vgpr16
	s_branch .LBB71_2072
.LBB71_2068:
	s_mov_b64 s[6:7], -1
                                        ; implicit-def: $vgpr16
.LBB71_2069:
	s_andn2_b64 vcc, exec, s[6:7]
	s_cbranch_vccnz .LBB71_2071
; %bb.2070:
	global_load_dword v8, v[14:15], off
	s_waitcnt vmcnt(0)
	v_cvt_i32_f32_e32 v16, v8
.LBB71_2071:
	s_mov_b64 s[6:7], 0
.LBB71_2072:
	s_andn2_b64 vcc, exec, s[6:7]
	s_cbranch_vccnz .LBB71_2074
; %bb.2073:
	global_load_ushort v8, v[14:15], off
	s_waitcnt vmcnt(0)
	v_cvt_f32_f16_e32 v8, v8
	v_cvt_i32_f32_e32 v16, v8
.LBB71_2074:
	s_mov_b64 s[6:7], 0
.LBB71_2075:
	s_andn2_b64 vcc, exec, s[6:7]
	s_cbranch_vccnz .LBB71_2095
; %bb.2076:
	s_cmp_lt_i32 s16, 2
	s_cbranch_scc1 .LBB71_2080
; %bb.2077:
	s_cmp_lt_i32 s16, 3
	s_cbranch_scc1 .LBB71_2081
; %bb.2078:
	s_cmp_gt_i32 s16, 3
	s_cbranch_scc0 .LBB71_2082
; %bb.2079:
	global_load_dword v16, v[14:15], off
	s_mov_b64 s[6:7], 0
	s_branch .LBB71_2083
.LBB71_2080:
	s_mov_b64 s[6:7], -1
                                        ; implicit-def: $vgpr16
	s_branch .LBB71_2089
.LBB71_2081:
	s_mov_b64 s[6:7], -1
                                        ; implicit-def: $vgpr16
	s_branch .LBB71_2086
.LBB71_2082:
	s_mov_b64 s[6:7], -1
                                        ; implicit-def: $vgpr16
.LBB71_2083:
	s_andn2_b64 vcc, exec, s[6:7]
	s_cbranch_vccnz .LBB71_2085
; %bb.2084:
	global_load_dword v16, v[14:15], off
.LBB71_2085:
	s_mov_b64 s[6:7], 0
.LBB71_2086:
	s_andn2_b64 vcc, exec, s[6:7]
	s_cbranch_vccnz .LBB71_2088
; %bb.2087:
	global_load_sshort v16, v[14:15], off
.LBB71_2088:
	s_mov_b64 s[6:7], 0
.LBB71_2089:
	s_andn2_b64 vcc, exec, s[6:7]
	s_cbranch_vccnz .LBB71_2095
; %bb.2090:
	s_cmp_gt_i32 s16, 0
	s_cbranch_scc0 .LBB71_2092
; %bb.2091:
	global_load_sbyte v16, v[14:15], off
	s_mov_b64 s[6:7], 0
	s_branch .LBB71_2093
.LBB71_2092:
	s_mov_b64 s[6:7], -1
                                        ; implicit-def: $vgpr16
.LBB71_2093:
	s_andn2_b64 vcc, exec, s[6:7]
	s_cbranch_vccnz .LBB71_2095
; %bb.2094:
	global_load_ubyte v16, v[14:15], off
.LBB71_2095:
	s_mov_b64 s[18:19], -1
.LBB71_2096:
	s_andn2_b64 vcc, exec, s[18:19]
	s_cbranch_vccnz .LBB71_3036
; %bb.2097:
	v_mov_b32_e32 v8, s11
	v_add_co_u32_e32 v12, vcc, s10, v13
	s_cmp_lt_i32 s22, 11
	v_addc_co_u32_e32 v13, vcc, 0, v8, vcc
	s_cbranch_scc1 .LBB71_2104
; %bb.2098:
	s_and_b32 s24, 0xffff, s22
	s_cmp_gt_i32 s24, 25
	s_mov_b64 s[16:17], 0
	s_cbranch_scc0 .LBB71_2105
; %bb.2099:
	s_cmp_gt_i32 s24, 28
	s_cbranch_scc0 .LBB71_2106
; %bb.2100:
	s_cmp_gt_i32 s24, 43
	;; [unrolled: 3-line block ×3, first 2 shown]
	s_cbranch_scc0 .LBB71_2109
; %bb.2102:
	s_cmp_eq_u32 s24, 46
	s_mov_b64 s[20:21], 0
	s_cbranch_scc0 .LBB71_2110
; %bb.2103:
	global_load_dword v8, v[12:13], off
	s_mov_b64 s[6:7], 0
	s_mov_b64 s[18:19], -1
	s_waitcnt vmcnt(0)
	v_lshlrev_b32_e32 v8, 16, v8
	v_cvt_i32_f32_e32 v14, v8
	s_branch .LBB71_2111
.LBB71_2104:
	s_mov_b64 s[6:7], -1
	s_mov_b64 s[18:19], 0
                                        ; implicit-def: $vgpr14
	s_branch .LBB71_2173
.LBB71_2105:
	s_mov_b64 s[20:21], -1
	s_mov_b64 s[18:19], 0
	s_mov_b64 s[6:7], 0
                                        ; implicit-def: $vgpr14
	s_branch .LBB71_2138
.LBB71_2106:
	s_mov_b64 s[20:21], -1
	s_mov_b64 s[18:19], 0
	s_mov_b64 s[6:7], 0
                                        ; implicit-def: $vgpr14
	s_branch .LBB71_2121
.LBB71_2107:
	s_mov_b64 s[20:21], -1
	s_mov_b64 s[18:19], 0
	s_mov_b64 s[6:7], 0
                                        ; implicit-def: $vgpr14
	s_branch .LBB71_2116
.LBB71_2108:
	s_trap 2
	s_or_b64 s[4:5], s[4:5], exec
	s_cbranch_execz .LBB71_2045
	s_branch .LBB71_2046
.LBB71_2109:
	s_mov_b64 s[20:21], -1
	s_mov_b64 s[18:19], 0
	s_mov_b64 s[6:7], 0
                                        ; implicit-def: $vgpr14
	s_branch .LBB71_2111
.LBB71_2110:
	s_mov_b64 s[6:7], -1
                                        ; implicit-def: $vgpr14
	s_mov_b64 s[18:19], 0
.LBB71_2111:
	s_and_b64 vcc, exec, s[20:21]
	s_cbranch_vccz .LBB71_2115
; %bb.2112:
	s_cmp_eq_u32 s24, 44
	s_cbranch_scc0 .LBB71_2114
; %bb.2113:
	global_load_ubyte v8, v[12:13], off
	s_mov_b64 s[6:7], 0
	s_mov_b64 s[18:19], -1
	s_waitcnt vmcnt(0)
	v_lshlrev_b32_e32 v10, 23, v8
	v_cvt_i32_f32_e32 v10, v10
	v_cmp_ne_u32_e32 vcc, 0, v8
	v_cndmask_b32_e32 v14, 0, v10, vcc
	s_branch .LBB71_2115
.LBB71_2114:
	s_mov_b64 s[6:7], -1
                                        ; implicit-def: $vgpr14
.LBB71_2115:
	s_mov_b64 s[20:21], 0
.LBB71_2116:
	s_and_b64 vcc, exec, s[20:21]
	s_cbranch_vccz .LBB71_2120
; %bb.2117:
	s_cmp_eq_u32 s24, 29
	s_cbranch_scc0 .LBB71_2119
; %bb.2118:
	global_load_dword v14, v[12:13], off
	s_mov_b64 s[6:7], 0
	s_mov_b64 s[18:19], -1
	s_branch .LBB71_2120
.LBB71_2119:
	s_mov_b64 s[6:7], -1
                                        ; implicit-def: $vgpr14
.LBB71_2120:
	s_mov_b64 s[20:21], 0
.LBB71_2121:
	s_and_b64 vcc, exec, s[20:21]
	s_cbranch_vccz .LBB71_2137
; %bb.2122:
	s_cmp_lt_i32 s24, 27
	s_cbranch_scc1 .LBB71_2125
; %bb.2123:
	s_cmp_gt_i32 s24, 27
	s_cbranch_scc0 .LBB71_2126
; %bb.2124:
	global_load_dword v14, v[12:13], off
	s_mov_b64 s[18:19], 0
	s_branch .LBB71_2127
.LBB71_2125:
	s_mov_b64 s[18:19], -1
                                        ; implicit-def: $vgpr14
	s_branch .LBB71_2130
.LBB71_2126:
	s_mov_b64 s[18:19], -1
                                        ; implicit-def: $vgpr14
.LBB71_2127:
	s_andn2_b64 vcc, exec, s[18:19]
	s_cbranch_vccnz .LBB71_2129
; %bb.2128:
	global_load_ushort v14, v[12:13], off
.LBB71_2129:
	s_mov_b64 s[18:19], 0
.LBB71_2130:
	s_andn2_b64 vcc, exec, s[18:19]
	s_cbranch_vccnz .LBB71_2136
; %bb.2131:
	global_load_ubyte v8, v[12:13], off
	s_movk_i32 s18, 0x7f
	s_mov_b64 s[20:21], 0
	s_waitcnt vmcnt(0)
	v_cmp_lt_i16_e32 vcc, s18, v8
	s_and_saveexec_b64 s[18:19], vcc
	s_xor_b64 s[18:19], exec, s[18:19]
	s_cbranch_execz .LBB71_2148
; %bb.2132:
	s_movk_i32 s20, 0x80
	v_cmp_ne_u16_e32 vcc, s20, v8
	s_and_b64 s[20:21], vcc, exec
	s_andn2_saveexec_b64 s[18:19], s[18:19]
	s_cbranch_execnz .LBB71_2149
.LBB71_2133:
	s_or_b64 exec, exec, s[18:19]
	v_mov_b32_e32 v14, 0
	s_and_saveexec_b64 s[18:19], s[20:21]
	s_cbranch_execz .LBB71_2135
.LBB71_2134:
	v_lshlrev_b32_e32 v10, 24, v8
	v_and_b32_e32 v8, 0xffff, v8
	v_and_b32_e32 v14, 7, v8
	v_ffbh_u32_e32 v17, v14
	v_min_u32_e32 v17, 32, v17
	v_subrev_u32_e32 v18, 28, v17
	v_bfe_u32 v15, v8, 3, 4
	v_lshlrev_b32_e32 v8, v18, v8
	v_sub_u32_e32 v17, 29, v17
	v_and_b32_e32 v8, 7, v8
	v_cmp_eq_u32_e32 vcc, 0, v15
	v_cndmask_b32_e32 v15, v15, v17, vcc
	v_cndmask_b32_e32 v8, v14, v8, vcc
	v_mov_b32_e32 v14, 0x3b800000
	v_lshlrev_b32_e32 v8, 20, v8
	v_and_b32_e32 v10, 0x80000000, v10
	v_lshl_add_u32 v14, v15, 23, v14
	v_or3_b32 v8, v10, v14, v8
	v_cvt_i32_f32_e32 v14, v8
.LBB71_2135:
	s_or_b64 exec, exec, s[18:19]
.LBB71_2136:
	s_mov_b64 s[18:19], -1
.LBB71_2137:
	s_mov_b64 s[20:21], 0
.LBB71_2138:
	s_and_b64 vcc, exec, s[20:21]
	s_cbranch_vccz .LBB71_2169
; %bb.2139:
	s_cmp_gt_i32 s24, 22
	s_cbranch_scc0 .LBB71_2147
; %bb.2140:
	s_cmp_lt_i32 s24, 24
	s_cbranch_scc1 .LBB71_2150
; %bb.2141:
	s_cmp_gt_i32 s24, 24
	s_cbranch_scc0 .LBB71_2151
; %bb.2142:
	global_load_ubyte v8, v[12:13], off
	s_movk_i32 s16, 0x7f
	s_mov_b64 s[18:19], 0
	s_waitcnt vmcnt(0)
	v_cmp_lt_i16_e32 vcc, s16, v8
	s_and_saveexec_b64 s[16:17], vcc
	s_xor_b64 s[16:17], exec, s[16:17]
	s_cbranch_execz .LBB71_2163
; %bb.2143:
	s_movk_i32 s18, 0x80
	v_cmp_ne_u16_e32 vcc, s18, v8
	s_and_b64 s[18:19], vcc, exec
	s_andn2_saveexec_b64 s[16:17], s[16:17]
	s_cbranch_execnz .LBB71_2164
.LBB71_2144:
	s_or_b64 exec, exec, s[16:17]
	v_mov_b32_e32 v14, 0
	s_and_saveexec_b64 s[16:17], s[18:19]
	s_cbranch_execz .LBB71_2146
.LBB71_2145:
	v_lshlrev_b32_e32 v10, 24, v8
	v_and_b32_e32 v8, 0xffff, v8
	v_and_b32_e32 v14, 3, v8
	v_ffbh_u32_e32 v17, v14
	v_min_u32_e32 v17, 32, v17
	v_subrev_u32_e32 v18, 29, v17
	v_bfe_u32 v15, v8, 2, 5
	v_lshlrev_b32_e32 v8, v18, v8
	v_sub_u32_e32 v17, 30, v17
	v_and_b32_e32 v8, 3, v8
	v_cmp_eq_u32_e32 vcc, 0, v15
	v_cndmask_b32_e32 v15, v15, v17, vcc
	v_cndmask_b32_e32 v8, v14, v8, vcc
	v_mov_b32_e32 v14, 0x37800000
	v_lshlrev_b32_e32 v8, 21, v8
	v_and_b32_e32 v10, 0x80000000, v10
	v_lshl_add_u32 v14, v15, 23, v14
	v_or3_b32 v8, v10, v14, v8
	v_cvt_i32_f32_e32 v14, v8
.LBB71_2146:
	s_or_b64 exec, exec, s[16:17]
	s_mov_b64 s[16:17], 0
	s_branch .LBB71_2152
.LBB71_2147:
	s_mov_b64 s[16:17], -1
                                        ; implicit-def: $vgpr14
	s_branch .LBB71_2158
.LBB71_2148:
	s_andn2_saveexec_b64 s[18:19], s[18:19]
	s_cbranch_execz .LBB71_2133
.LBB71_2149:
	v_cmp_ne_u16_e32 vcc, 0, v8
	s_andn2_b64 s[20:21], s[20:21], exec
	s_and_b64 s[26:27], vcc, exec
	s_or_b64 s[20:21], s[20:21], s[26:27]
	s_or_b64 exec, exec, s[18:19]
	v_mov_b32_e32 v14, 0
	s_and_saveexec_b64 s[18:19], s[20:21]
	s_cbranch_execnz .LBB71_2134
	s_branch .LBB71_2135
.LBB71_2150:
	s_mov_b64 s[16:17], -1
                                        ; implicit-def: $vgpr14
	s_branch .LBB71_2155
.LBB71_2151:
	s_mov_b64 s[16:17], -1
                                        ; implicit-def: $vgpr14
.LBB71_2152:
	s_and_b64 vcc, exec, s[16:17]
	s_cbranch_vccz .LBB71_2154
; %bb.2153:
	global_load_ubyte v8, v[12:13], off
	s_mov_b32 s16, 0x7f800000
	s_waitcnt vmcnt(0)
	v_lshlrev_b32_e32 v8, 24, v8
	v_and_b32_e32 v10, 0x7f000000, v8
	v_ffbh_u32_e32 v14, v10
	v_min_u32_e32 v14, 32, v14
	v_sub_u32_e64 v14, v14, 4 clamp
	v_lshlrev_b32_e32 v17, v14, v10
	v_lshlrev_b32_e32 v14, 23, v14
	v_lshrrev_b32_e32 v17, 4, v17
	v_add_u32_e32 v15, 0x1000000, v10
	v_sub_u32_e32 v14, v17, v14
	v_ashrrev_i32_e32 v15, 8, v15
	v_add_u32_e32 v14, 0x3c000000, v14
	v_and_or_b32 v14, v15, s16, v14
	v_cmp_ne_u32_e32 vcc, 0, v10
	v_cndmask_b32_e32 v10, 0, v14, vcc
	s_brev_b32 s16, 1
	v_and_or_b32 v8, v8, s16, v10
	v_cvt_i32_f32_e32 v14, v8
.LBB71_2154:
	s_mov_b64 s[16:17], 0
.LBB71_2155:
	s_andn2_b64 vcc, exec, s[16:17]
	s_cbranch_vccnz .LBB71_2157
; %bb.2156:
	global_load_ubyte v8, v[12:13], off
	s_movk_i32 s16, 0x7f00
	s_brev_b32 s17, 16
	s_waitcnt vmcnt(0)
	v_lshlrev_b16_e32 v10, 8, v8
	v_lshlrev_b32_e32 v8, 25, v8
	v_lshrrev_b32_e32 v14, 4, v8
	v_and_or_b32 v15, v10, s16, 0.5
	v_or_b32_e32 v14, 0x70000000, v14
	v_add_f32_e32 v15, -0.5, v15
	v_mul_f32_e32 v14, 0x7800000, v14
	v_cmp_gt_u32_e32 vcc, s17, v8
	v_bfe_i32 v10, v10, 0, 16
	v_cndmask_b32_e32 v8, v14, v15, vcc
	s_brev_b32 s16, 1
	v_and_or_b32 v8, v10, s16, v8
	v_cvt_i32_f32_e32 v14, v8
.LBB71_2157:
	s_mov_b64 s[16:17], 0
	s_mov_b64 s[18:19], -1
.LBB71_2158:
	s_andn2_b64 vcc, exec, s[16:17]
	s_mov_b64 s[16:17], 0
	s_cbranch_vccnz .LBB71_2169
; %bb.2159:
	s_cmp_gt_i32 s24, 14
	s_cbranch_scc0 .LBB71_2162
; %bb.2160:
	s_cmp_eq_u32 s24, 15
	s_cbranch_scc0 .LBB71_2165
; %bb.2161:
	global_load_ushort v8, v[12:13], off
	s_mov_b64 s[6:7], 0
	s_mov_b64 s[18:19], -1
	s_waitcnt vmcnt(0)
	v_lshlrev_b32_e32 v8, 16, v8
	v_cvt_i32_f32_e32 v14, v8
	s_branch .LBB71_2166
.LBB71_2162:
	s_mov_b64 s[20:21], -1
                                        ; implicit-def: $vgpr14
	s_branch .LBB71_2167
.LBB71_2163:
	s_andn2_saveexec_b64 s[16:17], s[16:17]
	s_cbranch_execz .LBB71_2144
.LBB71_2164:
	v_cmp_ne_u16_e32 vcc, 0, v8
	s_andn2_b64 s[18:19], s[18:19], exec
	s_and_b64 s[20:21], vcc, exec
	s_or_b64 s[18:19], s[18:19], s[20:21]
	s_or_b64 exec, exec, s[16:17]
	v_mov_b32_e32 v14, 0
	s_and_saveexec_b64 s[16:17], s[18:19]
	s_cbranch_execnz .LBB71_2145
	s_branch .LBB71_2146
.LBB71_2165:
	s_mov_b64 s[6:7], -1
                                        ; implicit-def: $vgpr14
.LBB71_2166:
	s_mov_b64 s[20:21], 0
.LBB71_2167:
	s_and_b64 vcc, exec, s[20:21]
	s_cbranch_vccz .LBB71_2169
; %bb.2168:
	s_cmp_lg_u32 s24, 11
	s_mov_b64 s[16:17], -1
	s_cselect_b64 s[6:7], -1, 0
.LBB71_2169:
	s_and_b64 vcc, exec, s[6:7]
	s_cbranch_vccnz .LBB71_2234
; %bb.2170:
	s_andn2_b64 vcc, exec, s[16:17]
	s_cbranch_vccnz .LBB71_2172
.LBB71_2171:
	global_load_ubyte v8, v[12:13], off
	s_mov_b64 s[18:19], -1
	s_waitcnt vmcnt(0)
	v_cmp_ne_u16_e32 vcc, 0, v8
	v_cndmask_b32_e64 v14, 0, 1, vcc
.LBB71_2172:
	s_mov_b64 s[6:7], 0
.LBB71_2173:
	s_and_b64 vcc, exec, s[6:7]
	s_cbranch_vccz .LBB71_2222
; %bb.2174:
	s_and_b32 s16, 0xffff, s22
	s_cmp_lt_i32 s16, 5
	s_cbranch_scc1 .LBB71_2179
; %bb.2175:
	s_cmp_lt_i32 s16, 8
	s_cbranch_scc1 .LBB71_2180
; %bb.2176:
	;; [unrolled: 3-line block ×3, first 2 shown]
	s_cmp_gt_i32 s16, 9
	s_cbranch_scc0 .LBB71_2182
; %bb.2178:
	global_load_dwordx2 v[14:15], v[12:13], off
	s_mov_b64 s[6:7], 0
	s_waitcnt vmcnt(0)
	v_cvt_i32_f64_e32 v14, v[14:15]
	s_branch .LBB71_2183
.LBB71_2179:
	s_mov_b64 s[6:7], -1
                                        ; implicit-def: $vgpr14
	s_branch .LBB71_2201
.LBB71_2180:
	s_mov_b64 s[6:7], -1
                                        ; implicit-def: $vgpr14
	s_branch .LBB71_2189
.LBB71_2181:
	s_mov_b64 s[6:7], -1
                                        ; implicit-def: $vgpr14
	s_branch .LBB71_2186
.LBB71_2182:
	s_mov_b64 s[6:7], -1
                                        ; implicit-def: $vgpr14
.LBB71_2183:
	s_andn2_b64 vcc, exec, s[6:7]
	s_cbranch_vccnz .LBB71_2185
; %bb.2184:
	global_load_dword v8, v[12:13], off
	s_waitcnt vmcnt(0)
	v_cvt_i32_f32_e32 v14, v8
.LBB71_2185:
	s_mov_b64 s[6:7], 0
.LBB71_2186:
	s_andn2_b64 vcc, exec, s[6:7]
	s_cbranch_vccnz .LBB71_2188
; %bb.2187:
	global_load_dword v8, v[12:13], off
	s_waitcnt vmcnt(0)
	v_cvt_f32_f16_e32 v8, v8
	v_cvt_i32_f32_e32 v14, v8
.LBB71_2188:
	s_mov_b64 s[6:7], 0
.LBB71_2189:
	s_andn2_b64 vcc, exec, s[6:7]
	s_cbranch_vccnz .LBB71_2200
; %bb.2190:
	s_cmp_lt_i32 s16, 6
	s_cbranch_scc1 .LBB71_2193
; %bb.2191:
	s_cmp_gt_i32 s16, 6
	s_cbranch_scc0 .LBB71_2194
; %bb.2192:
	global_load_dwordx2 v[14:15], v[12:13], off
	s_mov_b64 s[6:7], 0
	s_waitcnt vmcnt(0)
	v_cvt_i32_f64_e32 v14, v[14:15]
	s_branch .LBB71_2195
.LBB71_2193:
	s_mov_b64 s[6:7], -1
                                        ; implicit-def: $vgpr14
	s_branch .LBB71_2198
.LBB71_2194:
	s_mov_b64 s[6:7], -1
                                        ; implicit-def: $vgpr14
.LBB71_2195:
	s_andn2_b64 vcc, exec, s[6:7]
	s_cbranch_vccnz .LBB71_2197
; %bb.2196:
	global_load_dword v8, v[12:13], off
	s_waitcnt vmcnt(0)
	v_cvt_i32_f32_e32 v14, v8
.LBB71_2197:
	s_mov_b64 s[6:7], 0
.LBB71_2198:
	s_andn2_b64 vcc, exec, s[6:7]
	s_cbranch_vccnz .LBB71_2200
; %bb.2199:
	global_load_ushort v8, v[12:13], off
	s_waitcnt vmcnt(0)
	v_cvt_f32_f16_e32 v8, v8
	v_cvt_i32_f32_e32 v14, v8
.LBB71_2200:
	s_mov_b64 s[6:7], 0
.LBB71_2201:
	s_andn2_b64 vcc, exec, s[6:7]
	s_cbranch_vccnz .LBB71_2221
; %bb.2202:
	s_cmp_lt_i32 s16, 2
	s_cbranch_scc1 .LBB71_2206
; %bb.2203:
	s_cmp_lt_i32 s16, 3
	s_cbranch_scc1 .LBB71_2207
; %bb.2204:
	s_cmp_gt_i32 s16, 3
	s_cbranch_scc0 .LBB71_2208
; %bb.2205:
	global_load_dword v14, v[12:13], off
	s_mov_b64 s[6:7], 0
	s_branch .LBB71_2209
.LBB71_2206:
	s_mov_b64 s[6:7], -1
                                        ; implicit-def: $vgpr14
	s_branch .LBB71_2215
.LBB71_2207:
	s_mov_b64 s[6:7], -1
                                        ; implicit-def: $vgpr14
	s_branch .LBB71_2212
.LBB71_2208:
	s_mov_b64 s[6:7], -1
                                        ; implicit-def: $vgpr14
.LBB71_2209:
	s_andn2_b64 vcc, exec, s[6:7]
	s_cbranch_vccnz .LBB71_2211
; %bb.2210:
	global_load_dword v14, v[12:13], off
.LBB71_2211:
	s_mov_b64 s[6:7], 0
.LBB71_2212:
	s_andn2_b64 vcc, exec, s[6:7]
	s_cbranch_vccnz .LBB71_2214
; %bb.2213:
	global_load_sshort v14, v[12:13], off
.LBB71_2214:
	s_mov_b64 s[6:7], 0
.LBB71_2215:
	s_andn2_b64 vcc, exec, s[6:7]
	s_cbranch_vccnz .LBB71_2221
; %bb.2216:
	s_cmp_gt_i32 s16, 0
	s_cbranch_scc0 .LBB71_2218
; %bb.2217:
	global_load_sbyte v14, v[12:13], off
	s_mov_b64 s[6:7], 0
	s_branch .LBB71_2219
.LBB71_2218:
	s_mov_b64 s[6:7], -1
                                        ; implicit-def: $vgpr14
.LBB71_2219:
	s_andn2_b64 vcc, exec, s[6:7]
	s_cbranch_vccnz .LBB71_2221
; %bb.2220:
	global_load_ubyte v14, v[12:13], off
.LBB71_2221:
	s_mov_b64 s[18:19], -1
.LBB71_2222:
	s_andn2_b64 vcc, exec, s[18:19]
	s_cbranch_vccnz .LBB71_3036
; %bb.2223:
	v_mov_b32_e32 v8, s1
	v_add_co_u32_e32 v10, vcc, s0, v11
	s_cmp_lt_i32 s23, 11
	v_addc_co_u32_e32 v11, vcc, 0, v8, vcc
	s_cbranch_scc1 .LBB71_2230
; %bb.2224:
	s_and_b32 s24, 0xffff, s23
	s_cmp_gt_i32 s24, 25
	s_mov_b64 s[16:17], 0
	s_cbranch_scc0 .LBB71_2231
; %bb.2225:
	s_cmp_gt_i32 s24, 28
	s_cbranch_scc0 .LBB71_2232
; %bb.2226:
	s_cmp_gt_i32 s24, 43
	;; [unrolled: 3-line block ×3, first 2 shown]
	s_cbranch_scc0 .LBB71_2235
; %bb.2228:
	s_cmp_eq_u32 s24, 46
	s_mov_b64 s[20:21], 0
	s_cbranch_scc0 .LBB71_2238
; %bb.2229:
	global_load_dword v8, v[10:11], off
	s_mov_b64 s[6:7], 0
	s_mov_b64 s[18:19], -1
	s_waitcnt vmcnt(0)
	v_lshlrev_b32_e32 v8, 16, v8
	v_cvt_i32_f32_e32 v12, v8
	s_branch .LBB71_2239
.LBB71_2230:
	s_mov_b64 s[6:7], -1
	s_mov_b64 s[18:19], 0
                                        ; implicit-def: $vgpr12
	s_branch .LBB71_2301
.LBB71_2231:
	s_mov_b64 s[20:21], -1
	s_mov_b64 s[18:19], 0
	s_mov_b64 s[6:7], 0
                                        ; implicit-def: $vgpr12
	s_branch .LBB71_2266
.LBB71_2232:
	s_mov_b64 s[20:21], -1
	s_mov_b64 s[18:19], 0
	s_mov_b64 s[6:7], 0
                                        ; implicit-def: $vgpr12
	s_branch .LBB71_2249
.LBB71_2233:
	s_mov_b64 s[20:21], -1
	s_mov_b64 s[18:19], 0
	s_mov_b64 s[6:7], 0
                                        ; implicit-def: $vgpr12
	s_branch .LBB71_2244
.LBB71_2234:
	s_trap 2
	s_or_b64 s[4:5], s[4:5], exec
	s_cbranch_execz .LBB71_2171
	s_branch .LBB71_2172
.LBB71_2235:
	s_mov_b64 s[20:21], -1
	s_mov_b64 s[18:19], 0
	s_mov_b64 s[6:7], 0
                                        ; implicit-def: $vgpr12
	s_branch .LBB71_2239
.LBB71_2236:
	s_andn2_saveexec_b64 s[64:65], s[64:65]
	s_cbranch_execz .LBB71_1095
.LBB71_2237:
	s_mov_b32 s69, 0x42800000
	v_add_f32_e64 v2, |v0|, s69
	v_and_b32_e32 v2, 0xff, v2
	v_cmp_ne_u32_e32 vcc, 0, v2
	s_andn2_b64 s[62:63], s[62:63], exec
	s_and_b64 s[76:77], vcc, exec
	s_or_b64 s[62:63], s[62:63], s[76:77]
	s_or_b64 exec, exec, s[64:65]
	v_mov_b32_e32 v5, 0
	s_and_saveexec_b64 s[64:65], s[62:63]
	s_cbranch_execnz .LBB71_1096
	s_branch .LBB71_1097
.LBB71_2238:
	s_mov_b64 s[6:7], -1
                                        ; implicit-def: $vgpr12
	s_mov_b64 s[18:19], 0
.LBB71_2239:
	s_and_b64 vcc, exec, s[20:21]
	s_cbranch_vccz .LBB71_2243
; %bb.2240:
	s_cmp_eq_u32 s24, 44
	s_cbranch_scc0 .LBB71_2242
; %bb.2241:
	global_load_ubyte v8, v[10:11], off
	s_mov_b64 s[6:7], 0
	s_mov_b64 s[18:19], -1
	s_waitcnt vmcnt(0)
	v_lshlrev_b32_e32 v12, 23, v8
	v_cvt_i32_f32_e32 v12, v12
	v_cmp_ne_u32_e32 vcc, 0, v8
	v_cndmask_b32_e32 v12, 0, v12, vcc
	s_branch .LBB71_2243
.LBB71_2242:
	s_mov_b64 s[6:7], -1
                                        ; implicit-def: $vgpr12
.LBB71_2243:
	s_mov_b64 s[20:21], 0
.LBB71_2244:
	s_and_b64 vcc, exec, s[20:21]
	s_cbranch_vccz .LBB71_2248
; %bb.2245:
	s_cmp_eq_u32 s24, 29
	s_cbranch_scc0 .LBB71_2247
; %bb.2246:
	global_load_dword v12, v[10:11], off
	s_mov_b64 s[6:7], 0
	s_mov_b64 s[18:19], -1
	s_branch .LBB71_2248
.LBB71_2247:
	s_mov_b64 s[6:7], -1
                                        ; implicit-def: $vgpr12
.LBB71_2248:
	s_mov_b64 s[20:21], 0
.LBB71_2249:
	s_and_b64 vcc, exec, s[20:21]
	s_cbranch_vccz .LBB71_2265
; %bb.2250:
	s_cmp_lt_i32 s24, 27
	s_cbranch_scc1 .LBB71_2253
; %bb.2251:
	s_cmp_gt_i32 s24, 27
	s_cbranch_scc0 .LBB71_2254
; %bb.2252:
	global_load_dword v12, v[10:11], off
	s_mov_b64 s[18:19], 0
	s_branch .LBB71_2255
.LBB71_2253:
	s_mov_b64 s[18:19], -1
                                        ; implicit-def: $vgpr12
	s_branch .LBB71_2258
.LBB71_2254:
	s_mov_b64 s[18:19], -1
                                        ; implicit-def: $vgpr12
.LBB71_2255:
	s_andn2_b64 vcc, exec, s[18:19]
	s_cbranch_vccnz .LBB71_2257
; %bb.2256:
	global_load_ushort v12, v[10:11], off
.LBB71_2257:
	s_mov_b64 s[18:19], 0
.LBB71_2258:
	s_andn2_b64 vcc, exec, s[18:19]
	s_cbranch_vccnz .LBB71_2264
; %bb.2259:
	global_load_ubyte v8, v[10:11], off
	s_movk_i32 s18, 0x7f
	s_mov_b64 s[20:21], 0
	s_waitcnt vmcnt(0)
	v_cmp_lt_i16_e32 vcc, s18, v8
	s_and_saveexec_b64 s[18:19], vcc
	s_xor_b64 s[18:19], exec, s[18:19]
	s_cbranch_execz .LBB71_2276
; %bb.2260:
	s_movk_i32 s20, 0x80
	v_cmp_ne_u16_e32 vcc, s20, v8
	s_and_b64 s[20:21], vcc, exec
	s_andn2_saveexec_b64 s[18:19], s[18:19]
	s_cbranch_execnz .LBB71_2277
.LBB71_2261:
	s_or_b64 exec, exec, s[18:19]
	v_mov_b32_e32 v12, 0
	s_and_saveexec_b64 s[18:19], s[20:21]
	s_cbranch_execz .LBB71_2263
.LBB71_2262:
	v_lshlrev_b32_e32 v12, 24, v8
	v_and_b32_e32 v8, 0xffff, v8
	v_and_b32_e32 v13, 7, v8
	v_ffbh_u32_e32 v17, v13
	v_min_u32_e32 v17, 32, v17
	v_subrev_u32_e32 v18, 28, v17
	v_bfe_u32 v15, v8, 3, 4
	v_lshlrev_b32_e32 v8, v18, v8
	v_sub_u32_e32 v17, 29, v17
	v_and_b32_e32 v8, 7, v8
	v_cmp_eq_u32_e32 vcc, 0, v15
	v_cndmask_b32_e32 v15, v15, v17, vcc
	v_cndmask_b32_e32 v8, v13, v8, vcc
	v_mov_b32_e32 v13, 0x3b800000
	v_lshlrev_b32_e32 v8, 20, v8
	v_and_b32_e32 v12, 0x80000000, v12
	v_lshl_add_u32 v13, v15, 23, v13
	v_or3_b32 v8, v12, v13, v8
	v_cvt_i32_f32_e32 v12, v8
.LBB71_2263:
	s_or_b64 exec, exec, s[18:19]
.LBB71_2264:
	s_mov_b64 s[18:19], -1
.LBB71_2265:
	s_mov_b64 s[20:21], 0
.LBB71_2266:
	s_and_b64 vcc, exec, s[20:21]
	s_cbranch_vccz .LBB71_2297
; %bb.2267:
	s_cmp_gt_i32 s24, 22
	s_cbranch_scc0 .LBB71_2275
; %bb.2268:
	s_cmp_lt_i32 s24, 24
	s_cbranch_scc1 .LBB71_2278
; %bb.2269:
	s_cmp_gt_i32 s24, 24
	s_cbranch_scc0 .LBB71_2279
; %bb.2270:
	global_load_ubyte v8, v[10:11], off
	s_movk_i32 s16, 0x7f
	s_mov_b64 s[18:19], 0
	s_waitcnt vmcnt(0)
	v_cmp_lt_i16_e32 vcc, s16, v8
	s_and_saveexec_b64 s[16:17], vcc
	s_xor_b64 s[16:17], exec, s[16:17]
	s_cbranch_execz .LBB71_2291
; %bb.2271:
	s_movk_i32 s18, 0x80
	v_cmp_ne_u16_e32 vcc, s18, v8
	s_and_b64 s[18:19], vcc, exec
	s_andn2_saveexec_b64 s[16:17], s[16:17]
	s_cbranch_execnz .LBB71_2292
.LBB71_2272:
	s_or_b64 exec, exec, s[16:17]
	v_mov_b32_e32 v12, 0
	s_and_saveexec_b64 s[16:17], s[18:19]
	s_cbranch_execz .LBB71_2274
.LBB71_2273:
	v_lshlrev_b32_e32 v12, 24, v8
	v_and_b32_e32 v8, 0xffff, v8
	v_and_b32_e32 v13, 3, v8
	v_ffbh_u32_e32 v17, v13
	v_min_u32_e32 v17, 32, v17
	v_subrev_u32_e32 v18, 29, v17
	v_bfe_u32 v15, v8, 2, 5
	v_lshlrev_b32_e32 v8, v18, v8
	v_sub_u32_e32 v17, 30, v17
	v_and_b32_e32 v8, 3, v8
	v_cmp_eq_u32_e32 vcc, 0, v15
	v_cndmask_b32_e32 v15, v15, v17, vcc
	v_cndmask_b32_e32 v8, v13, v8, vcc
	v_mov_b32_e32 v13, 0x37800000
	v_lshlrev_b32_e32 v8, 21, v8
	v_and_b32_e32 v12, 0x80000000, v12
	v_lshl_add_u32 v13, v15, 23, v13
	v_or3_b32 v8, v12, v13, v8
	v_cvt_i32_f32_e32 v12, v8
.LBB71_2274:
	s_or_b64 exec, exec, s[16:17]
	s_mov_b64 s[16:17], 0
	s_branch .LBB71_2280
.LBB71_2275:
	s_mov_b64 s[16:17], -1
                                        ; implicit-def: $vgpr12
	s_branch .LBB71_2286
.LBB71_2276:
	s_andn2_saveexec_b64 s[18:19], s[18:19]
	s_cbranch_execz .LBB71_2261
.LBB71_2277:
	v_cmp_ne_u16_e32 vcc, 0, v8
	s_andn2_b64 s[20:21], s[20:21], exec
	s_and_b64 s[26:27], vcc, exec
	s_or_b64 s[20:21], s[20:21], s[26:27]
	s_or_b64 exec, exec, s[18:19]
	v_mov_b32_e32 v12, 0
	s_and_saveexec_b64 s[18:19], s[20:21]
	s_cbranch_execnz .LBB71_2262
	s_branch .LBB71_2263
.LBB71_2278:
	s_mov_b64 s[16:17], -1
                                        ; implicit-def: $vgpr12
	s_branch .LBB71_2283
.LBB71_2279:
	s_mov_b64 s[16:17], -1
                                        ; implicit-def: $vgpr12
.LBB71_2280:
	s_and_b64 vcc, exec, s[16:17]
	s_cbranch_vccz .LBB71_2282
; %bb.2281:
	global_load_ubyte v8, v[10:11], off
	s_mov_b32 s16, 0x7f800000
	s_waitcnt vmcnt(0)
	v_lshlrev_b32_e32 v8, 24, v8
	v_and_b32_e32 v12, 0x7f000000, v8
	v_ffbh_u32_e32 v13, v12
	v_min_u32_e32 v13, 32, v13
	v_sub_u32_e64 v13, v13, 4 clamp
	v_lshlrev_b32_e32 v17, v13, v12
	v_lshlrev_b32_e32 v13, 23, v13
	v_lshrrev_b32_e32 v17, 4, v17
	v_add_u32_e32 v15, 0x1000000, v12
	v_sub_u32_e32 v13, v17, v13
	v_ashrrev_i32_e32 v15, 8, v15
	v_add_u32_e32 v13, 0x3c000000, v13
	v_and_or_b32 v13, v15, s16, v13
	v_cmp_ne_u32_e32 vcc, 0, v12
	v_cndmask_b32_e32 v12, 0, v13, vcc
	s_brev_b32 s16, 1
	v_and_or_b32 v8, v8, s16, v12
	v_cvt_i32_f32_e32 v12, v8
.LBB71_2282:
	s_mov_b64 s[16:17], 0
.LBB71_2283:
	s_andn2_b64 vcc, exec, s[16:17]
	s_cbranch_vccnz .LBB71_2285
; %bb.2284:
	global_load_ubyte v8, v[10:11], off
	s_movk_i32 s16, 0x7f00
	s_brev_b32 s17, 16
	s_waitcnt vmcnt(0)
	v_lshlrev_b16_e32 v12, 8, v8
	v_lshlrev_b32_e32 v8, 25, v8
	v_lshrrev_b32_e32 v13, 4, v8
	v_and_or_b32 v15, v12, s16, 0.5
	v_or_b32_e32 v13, 0x70000000, v13
	v_add_f32_e32 v15, -0.5, v15
	v_mul_f32_e32 v13, 0x7800000, v13
	v_cmp_gt_u32_e32 vcc, s17, v8
	v_bfe_i32 v12, v12, 0, 16
	v_cndmask_b32_e32 v8, v13, v15, vcc
	s_brev_b32 s16, 1
	v_and_or_b32 v8, v12, s16, v8
	v_cvt_i32_f32_e32 v12, v8
.LBB71_2285:
	s_mov_b64 s[16:17], 0
	s_mov_b64 s[18:19], -1
.LBB71_2286:
	s_andn2_b64 vcc, exec, s[16:17]
	s_mov_b64 s[16:17], 0
	s_cbranch_vccnz .LBB71_2297
; %bb.2287:
	s_cmp_gt_i32 s24, 14
	s_cbranch_scc0 .LBB71_2290
; %bb.2288:
	s_cmp_eq_u32 s24, 15
	s_cbranch_scc0 .LBB71_2293
; %bb.2289:
	global_load_ushort v8, v[10:11], off
	s_mov_b64 s[6:7], 0
	s_mov_b64 s[18:19], -1
	s_waitcnt vmcnt(0)
	v_lshlrev_b32_e32 v8, 16, v8
	v_cvt_i32_f32_e32 v12, v8
	s_branch .LBB71_2294
.LBB71_2290:
	s_mov_b64 s[20:21], -1
                                        ; implicit-def: $vgpr12
	s_branch .LBB71_2295
.LBB71_2291:
	s_andn2_saveexec_b64 s[16:17], s[16:17]
	s_cbranch_execz .LBB71_2272
.LBB71_2292:
	v_cmp_ne_u16_e32 vcc, 0, v8
	s_andn2_b64 s[18:19], s[18:19], exec
	s_and_b64 s[20:21], vcc, exec
	s_or_b64 s[18:19], s[18:19], s[20:21]
	s_or_b64 exec, exec, s[16:17]
	v_mov_b32_e32 v12, 0
	s_and_saveexec_b64 s[16:17], s[18:19]
	s_cbranch_execnz .LBB71_2273
	s_branch .LBB71_2274
.LBB71_2293:
	s_mov_b64 s[6:7], -1
                                        ; implicit-def: $vgpr12
.LBB71_2294:
	s_mov_b64 s[20:21], 0
.LBB71_2295:
	s_and_b64 vcc, exec, s[20:21]
	s_cbranch_vccz .LBB71_2297
; %bb.2296:
	s_cmp_lg_u32 s24, 11
	s_mov_b64 s[16:17], -1
	s_cselect_b64 s[6:7], -1, 0
.LBB71_2297:
	s_and_b64 vcc, exec, s[6:7]
	s_cbranch_vccnz .LBB71_2362
; %bb.2298:
	s_andn2_b64 vcc, exec, s[16:17]
	s_cbranch_vccnz .LBB71_2300
.LBB71_2299:
	global_load_ubyte v8, v[10:11], off
	s_mov_b64 s[18:19], -1
	s_waitcnt vmcnt(0)
	v_cmp_ne_u16_e32 vcc, 0, v8
	v_cndmask_b32_e64 v12, 0, 1, vcc
.LBB71_2300:
	s_mov_b64 s[6:7], 0
.LBB71_2301:
	s_and_b64 vcc, exec, s[6:7]
	s_cbranch_vccz .LBB71_2350
; %bb.2302:
	s_and_b32 s16, 0xffff, s23
	s_cmp_lt_i32 s16, 5
	s_cbranch_scc1 .LBB71_2307
; %bb.2303:
	s_cmp_lt_i32 s16, 8
	s_cbranch_scc1 .LBB71_2308
; %bb.2304:
	;; [unrolled: 3-line block ×3, first 2 shown]
	s_cmp_gt_i32 s16, 9
	s_cbranch_scc0 .LBB71_2310
; %bb.2306:
	global_load_dwordx2 v[12:13], v[10:11], off
	s_mov_b64 s[6:7], 0
	s_waitcnt vmcnt(0)
	v_cvt_i32_f64_e32 v12, v[12:13]
	s_branch .LBB71_2311
.LBB71_2307:
	s_mov_b64 s[6:7], -1
                                        ; implicit-def: $vgpr12
	s_branch .LBB71_2329
.LBB71_2308:
	s_mov_b64 s[6:7], -1
                                        ; implicit-def: $vgpr12
	s_branch .LBB71_2317
.LBB71_2309:
	s_mov_b64 s[6:7], -1
                                        ; implicit-def: $vgpr12
	s_branch .LBB71_2314
.LBB71_2310:
	s_mov_b64 s[6:7], -1
                                        ; implicit-def: $vgpr12
.LBB71_2311:
	s_andn2_b64 vcc, exec, s[6:7]
	s_cbranch_vccnz .LBB71_2313
; %bb.2312:
	global_load_dword v8, v[10:11], off
	s_waitcnt vmcnt(0)
	v_cvt_i32_f32_e32 v12, v8
.LBB71_2313:
	s_mov_b64 s[6:7], 0
.LBB71_2314:
	s_andn2_b64 vcc, exec, s[6:7]
	s_cbranch_vccnz .LBB71_2316
; %bb.2315:
	global_load_dword v8, v[10:11], off
	s_waitcnt vmcnt(0)
	v_cvt_f32_f16_e32 v8, v8
	v_cvt_i32_f32_e32 v12, v8
.LBB71_2316:
	s_mov_b64 s[6:7], 0
.LBB71_2317:
	s_andn2_b64 vcc, exec, s[6:7]
	s_cbranch_vccnz .LBB71_2328
; %bb.2318:
	s_cmp_lt_i32 s16, 6
	s_cbranch_scc1 .LBB71_2321
; %bb.2319:
	s_cmp_gt_i32 s16, 6
	s_cbranch_scc0 .LBB71_2322
; %bb.2320:
	global_load_dwordx2 v[12:13], v[10:11], off
	s_mov_b64 s[6:7], 0
	s_waitcnt vmcnt(0)
	v_cvt_i32_f64_e32 v12, v[12:13]
	s_branch .LBB71_2323
.LBB71_2321:
	s_mov_b64 s[6:7], -1
                                        ; implicit-def: $vgpr12
	s_branch .LBB71_2326
.LBB71_2322:
	s_mov_b64 s[6:7], -1
                                        ; implicit-def: $vgpr12
.LBB71_2323:
	s_andn2_b64 vcc, exec, s[6:7]
	s_cbranch_vccnz .LBB71_2325
; %bb.2324:
	global_load_dword v8, v[10:11], off
	s_waitcnt vmcnt(0)
	v_cvt_i32_f32_e32 v12, v8
.LBB71_2325:
	s_mov_b64 s[6:7], 0
.LBB71_2326:
	s_andn2_b64 vcc, exec, s[6:7]
	s_cbranch_vccnz .LBB71_2328
; %bb.2327:
	global_load_ushort v8, v[10:11], off
	s_waitcnt vmcnt(0)
	v_cvt_f32_f16_e32 v8, v8
	v_cvt_i32_f32_e32 v12, v8
.LBB71_2328:
	s_mov_b64 s[6:7], 0
.LBB71_2329:
	s_andn2_b64 vcc, exec, s[6:7]
	s_cbranch_vccnz .LBB71_2349
; %bb.2330:
	s_cmp_lt_i32 s16, 2
	s_cbranch_scc1 .LBB71_2334
; %bb.2331:
	s_cmp_lt_i32 s16, 3
	s_cbranch_scc1 .LBB71_2335
; %bb.2332:
	s_cmp_gt_i32 s16, 3
	s_cbranch_scc0 .LBB71_2336
; %bb.2333:
	global_load_dword v12, v[10:11], off
	s_mov_b64 s[6:7], 0
	s_branch .LBB71_2337
.LBB71_2334:
	s_mov_b64 s[6:7], -1
                                        ; implicit-def: $vgpr12
	s_branch .LBB71_2343
.LBB71_2335:
	s_mov_b64 s[6:7], -1
                                        ; implicit-def: $vgpr12
	s_branch .LBB71_2340
.LBB71_2336:
	s_mov_b64 s[6:7], -1
                                        ; implicit-def: $vgpr12
.LBB71_2337:
	s_andn2_b64 vcc, exec, s[6:7]
	s_cbranch_vccnz .LBB71_2339
; %bb.2338:
	global_load_dword v12, v[10:11], off
.LBB71_2339:
	s_mov_b64 s[6:7], 0
.LBB71_2340:
	s_andn2_b64 vcc, exec, s[6:7]
	s_cbranch_vccnz .LBB71_2342
; %bb.2341:
	global_load_sshort v12, v[10:11], off
.LBB71_2342:
	s_mov_b64 s[6:7], 0
.LBB71_2343:
	s_andn2_b64 vcc, exec, s[6:7]
	s_cbranch_vccnz .LBB71_2349
; %bb.2344:
	s_cmp_gt_i32 s16, 0
	s_cbranch_scc0 .LBB71_2346
; %bb.2345:
	global_load_sbyte v12, v[10:11], off
	s_mov_b64 s[6:7], 0
	s_branch .LBB71_2347
.LBB71_2346:
	s_mov_b64 s[6:7], -1
                                        ; implicit-def: $vgpr12
.LBB71_2347:
	s_andn2_b64 vcc, exec, s[6:7]
	s_cbranch_vccnz .LBB71_2349
; %bb.2348:
	global_load_ubyte v12, v[10:11], off
.LBB71_2349:
	s_mov_b64 s[18:19], -1
.LBB71_2350:
	s_andn2_b64 vcc, exec, s[18:19]
	s_cbranch_vccnz .LBB71_3036
; %bb.2351:
	v_mov_b32_e32 v10, s11
	v_add_co_u32_e32 v8, vcc, s10, v9
	s_cmp_lt_i32 s22, 11
	v_addc_co_u32_e32 v9, vcc, 0, v10, vcc
	s_cbranch_scc1 .LBB71_2358
; %bb.2352:
	s_and_b32 s20, 0xffff, s22
	s_cmp_gt_i32 s20, 25
	s_mov_b64 s[10:11], 0
	s_cbranch_scc0 .LBB71_2359
; %bb.2353:
	s_cmp_gt_i32 s20, 28
	s_cbranch_scc0 .LBB71_2360
; %bb.2354:
	s_cmp_gt_i32 s20, 43
	;; [unrolled: 3-line block ×3, first 2 shown]
	s_cbranch_scc0 .LBB71_2363
; %bb.2356:
	s_cmp_eq_u32 s20, 46
	s_mov_b64 s[18:19], 0
	s_cbranch_scc0 .LBB71_2364
; %bb.2357:
	global_load_dword v10, v[8:9], off
	s_mov_b64 s[6:7], 0
	s_mov_b64 s[16:17], -1
	s_waitcnt vmcnt(0)
	v_lshlrev_b32_e32 v10, 16, v10
	v_cvt_i32_f32_e32 v10, v10
	s_branch .LBB71_2365
.LBB71_2358:
	s_mov_b64 s[6:7], -1
	s_mov_b64 s[16:17], 0
                                        ; implicit-def: $vgpr10
	s_branch .LBB71_2427
.LBB71_2359:
	s_mov_b64 s[18:19], -1
	s_mov_b64 s[16:17], 0
	s_mov_b64 s[6:7], 0
                                        ; implicit-def: $vgpr10
	s_branch .LBB71_2392
.LBB71_2360:
	s_mov_b64 s[18:19], -1
	s_mov_b64 s[16:17], 0
	s_mov_b64 s[6:7], 0
                                        ; implicit-def: $vgpr10
	s_branch .LBB71_2375
.LBB71_2361:
	s_mov_b64 s[18:19], -1
	s_mov_b64 s[16:17], 0
	s_mov_b64 s[6:7], 0
                                        ; implicit-def: $vgpr10
	s_branch .LBB71_2370
.LBB71_2362:
	s_trap 2
	s_or_b64 s[4:5], s[4:5], exec
	s_cbranch_execz .LBB71_2299
	s_branch .LBB71_2300
.LBB71_2363:
	s_mov_b64 s[18:19], -1
	s_mov_b64 s[16:17], 0
	s_mov_b64 s[6:7], 0
                                        ; implicit-def: $vgpr10
	s_branch .LBB71_2365
.LBB71_2364:
	s_mov_b64 s[6:7], -1
                                        ; implicit-def: $vgpr10
	s_mov_b64 s[16:17], 0
.LBB71_2365:
	s_and_b64 vcc, exec, s[18:19]
	s_cbranch_vccz .LBB71_2369
; %bb.2366:
	s_cmp_eq_u32 s20, 44
	s_cbranch_scc0 .LBB71_2368
; %bb.2367:
	global_load_ubyte v10, v[8:9], off
	s_mov_b64 s[6:7], 0
	s_mov_b64 s[16:17], -1
	s_waitcnt vmcnt(0)
	v_lshlrev_b32_e32 v11, 23, v10
	v_cvt_i32_f32_e32 v11, v11
	v_cmp_ne_u32_e32 vcc, 0, v10
	v_cndmask_b32_e32 v10, 0, v11, vcc
	s_branch .LBB71_2369
.LBB71_2368:
	s_mov_b64 s[6:7], -1
                                        ; implicit-def: $vgpr10
.LBB71_2369:
	s_mov_b64 s[18:19], 0
.LBB71_2370:
	s_and_b64 vcc, exec, s[18:19]
	s_cbranch_vccz .LBB71_2374
; %bb.2371:
	s_cmp_eq_u32 s20, 29
	s_cbranch_scc0 .LBB71_2373
; %bb.2372:
	global_load_dword v10, v[8:9], off
	s_mov_b64 s[6:7], 0
	s_mov_b64 s[16:17], -1
	s_branch .LBB71_2374
.LBB71_2373:
	s_mov_b64 s[6:7], -1
                                        ; implicit-def: $vgpr10
.LBB71_2374:
	s_mov_b64 s[18:19], 0
.LBB71_2375:
	s_and_b64 vcc, exec, s[18:19]
	s_cbranch_vccz .LBB71_2391
; %bb.2376:
	s_cmp_lt_i32 s20, 27
	s_cbranch_scc1 .LBB71_2379
; %bb.2377:
	s_cmp_gt_i32 s20, 27
	s_cbranch_scc0 .LBB71_2380
; %bb.2378:
	global_load_dword v10, v[8:9], off
	s_mov_b64 s[16:17], 0
	s_branch .LBB71_2381
.LBB71_2379:
	s_mov_b64 s[16:17], -1
                                        ; implicit-def: $vgpr10
	s_branch .LBB71_2384
.LBB71_2380:
	s_mov_b64 s[16:17], -1
                                        ; implicit-def: $vgpr10
.LBB71_2381:
	s_andn2_b64 vcc, exec, s[16:17]
	s_cbranch_vccnz .LBB71_2383
; %bb.2382:
	global_load_ushort v10, v[8:9], off
.LBB71_2383:
	s_mov_b64 s[16:17], 0
.LBB71_2384:
	s_andn2_b64 vcc, exec, s[16:17]
	s_cbranch_vccnz .LBB71_2390
; %bb.2385:
	global_load_ubyte v11, v[8:9], off
	s_movk_i32 s16, 0x7f
	s_mov_b64 s[18:19], 0
	s_waitcnt vmcnt(0)
	v_cmp_lt_i16_e32 vcc, s16, v11
	s_and_saveexec_b64 s[16:17], vcc
	s_xor_b64 s[16:17], exec, s[16:17]
	s_cbranch_execz .LBB71_2402
; %bb.2386:
	s_movk_i32 s18, 0x80
	v_cmp_ne_u16_e32 vcc, s18, v11
	s_and_b64 s[18:19], vcc, exec
	s_andn2_saveexec_b64 s[16:17], s[16:17]
	s_cbranch_execnz .LBB71_2403
.LBB71_2387:
	s_or_b64 exec, exec, s[16:17]
	v_mov_b32_e32 v10, 0
	s_and_saveexec_b64 s[16:17], s[18:19]
	s_cbranch_execz .LBB71_2389
.LBB71_2388:
	v_lshlrev_b32_e32 v10, 24, v11
	v_and_b32_e32 v11, 0xffff, v11
	v_and_b32_e32 v13, 7, v11
	v_ffbh_u32_e32 v17, v13
	v_min_u32_e32 v17, 32, v17
	v_subrev_u32_e32 v18, 28, v17
	v_bfe_u32 v15, v11, 3, 4
	v_lshlrev_b32_e32 v11, v18, v11
	v_sub_u32_e32 v17, 29, v17
	v_and_b32_e32 v11, 7, v11
	v_cmp_eq_u32_e32 vcc, 0, v15
	v_cndmask_b32_e32 v15, v15, v17, vcc
	v_cndmask_b32_e32 v11, v13, v11, vcc
	v_mov_b32_e32 v13, 0x3b800000
	v_lshlrev_b32_e32 v11, 20, v11
	v_and_b32_e32 v10, 0x80000000, v10
	v_lshl_add_u32 v13, v15, 23, v13
	v_or3_b32 v10, v10, v13, v11
	v_cvt_i32_f32_e32 v10, v10
.LBB71_2389:
	s_or_b64 exec, exec, s[16:17]
.LBB71_2390:
	s_mov_b64 s[16:17], -1
.LBB71_2391:
	s_mov_b64 s[18:19], 0
.LBB71_2392:
	s_and_b64 vcc, exec, s[18:19]
	s_cbranch_vccz .LBB71_2423
; %bb.2393:
	s_cmp_gt_i32 s20, 22
	s_cbranch_scc0 .LBB71_2401
; %bb.2394:
	s_cmp_lt_i32 s20, 24
	s_cbranch_scc1 .LBB71_2404
; %bb.2395:
	s_cmp_gt_i32 s20, 24
	s_cbranch_scc0 .LBB71_2405
; %bb.2396:
	global_load_ubyte v11, v[8:9], off
	s_movk_i32 s10, 0x7f
	s_mov_b64 s[16:17], 0
	s_waitcnt vmcnt(0)
	v_cmp_lt_i16_e32 vcc, s10, v11
	s_and_saveexec_b64 s[10:11], vcc
	s_xor_b64 s[10:11], exec, s[10:11]
	s_cbranch_execz .LBB71_2417
; %bb.2397:
	s_movk_i32 s16, 0x80
	v_cmp_ne_u16_e32 vcc, s16, v11
	s_and_b64 s[16:17], vcc, exec
	s_andn2_saveexec_b64 s[10:11], s[10:11]
	s_cbranch_execnz .LBB71_2418
.LBB71_2398:
	s_or_b64 exec, exec, s[10:11]
	v_mov_b32_e32 v10, 0
	s_and_saveexec_b64 s[10:11], s[16:17]
	s_cbranch_execz .LBB71_2400
.LBB71_2399:
	v_lshlrev_b32_e32 v10, 24, v11
	v_and_b32_e32 v11, 0xffff, v11
	v_and_b32_e32 v13, 3, v11
	v_ffbh_u32_e32 v17, v13
	v_min_u32_e32 v17, 32, v17
	v_subrev_u32_e32 v18, 29, v17
	v_bfe_u32 v15, v11, 2, 5
	v_lshlrev_b32_e32 v11, v18, v11
	v_sub_u32_e32 v17, 30, v17
	v_and_b32_e32 v11, 3, v11
	v_cmp_eq_u32_e32 vcc, 0, v15
	v_cndmask_b32_e32 v15, v15, v17, vcc
	v_cndmask_b32_e32 v11, v13, v11, vcc
	v_mov_b32_e32 v13, 0x37800000
	v_lshlrev_b32_e32 v11, 21, v11
	v_and_b32_e32 v10, 0x80000000, v10
	v_lshl_add_u32 v13, v15, 23, v13
	v_or3_b32 v10, v10, v13, v11
	v_cvt_i32_f32_e32 v10, v10
.LBB71_2400:
	s_or_b64 exec, exec, s[10:11]
	s_mov_b64 s[10:11], 0
	s_branch .LBB71_2406
.LBB71_2401:
	s_mov_b64 s[10:11], -1
                                        ; implicit-def: $vgpr10
	s_branch .LBB71_2412
.LBB71_2402:
	s_andn2_saveexec_b64 s[16:17], s[16:17]
	s_cbranch_execz .LBB71_2387
.LBB71_2403:
	v_cmp_ne_u16_e32 vcc, 0, v11
	s_andn2_b64 s[18:19], s[18:19], exec
	s_and_b64 s[24:25], vcc, exec
	s_or_b64 s[18:19], s[18:19], s[24:25]
	s_or_b64 exec, exec, s[16:17]
	v_mov_b32_e32 v10, 0
	s_and_saveexec_b64 s[16:17], s[18:19]
	s_cbranch_execnz .LBB71_2388
	s_branch .LBB71_2389
.LBB71_2404:
	s_mov_b64 s[10:11], -1
                                        ; implicit-def: $vgpr10
	s_branch .LBB71_2409
.LBB71_2405:
	s_mov_b64 s[10:11], -1
                                        ; implicit-def: $vgpr10
.LBB71_2406:
	s_and_b64 vcc, exec, s[10:11]
	s_cbranch_vccz .LBB71_2408
; %bb.2407:
	global_load_ubyte v10, v[8:9], off
	s_mov_b32 s10, 0x7f800000
	s_waitcnt vmcnt(0)
	v_lshlrev_b32_e32 v10, 24, v10
	v_and_b32_e32 v11, 0x7f000000, v10
	v_ffbh_u32_e32 v13, v11
	v_min_u32_e32 v13, 32, v13
	v_sub_u32_e64 v13, v13, 4 clamp
	v_lshlrev_b32_e32 v17, v13, v11
	v_lshlrev_b32_e32 v13, 23, v13
	v_lshrrev_b32_e32 v17, 4, v17
	v_add_u32_e32 v15, 0x1000000, v11
	v_sub_u32_e32 v13, v17, v13
	v_ashrrev_i32_e32 v15, 8, v15
	v_add_u32_e32 v13, 0x3c000000, v13
	v_and_or_b32 v13, v15, s10, v13
	v_cmp_ne_u32_e32 vcc, 0, v11
	v_cndmask_b32_e32 v11, 0, v13, vcc
	s_brev_b32 s10, 1
	v_and_or_b32 v10, v10, s10, v11
	v_cvt_i32_f32_e32 v10, v10
.LBB71_2408:
	s_mov_b64 s[10:11], 0
.LBB71_2409:
	s_andn2_b64 vcc, exec, s[10:11]
	s_cbranch_vccnz .LBB71_2411
; %bb.2410:
	global_load_ubyte v10, v[8:9], off
	s_movk_i32 s10, 0x7f00
	s_brev_b32 s11, 16
	s_waitcnt vmcnt(0)
	v_lshlrev_b16_e32 v11, 8, v10
	v_lshlrev_b32_e32 v10, 25, v10
	v_lshrrev_b32_e32 v13, 4, v10
	v_and_or_b32 v15, v11, s10, 0.5
	v_or_b32_e32 v13, 0x70000000, v13
	v_add_f32_e32 v15, -0.5, v15
	v_mul_f32_e32 v13, 0x7800000, v13
	v_cmp_gt_u32_e32 vcc, s11, v10
	v_bfe_i32 v11, v11, 0, 16
	v_cndmask_b32_e32 v10, v13, v15, vcc
	s_brev_b32 s10, 1
	v_and_or_b32 v10, v11, s10, v10
	v_cvt_i32_f32_e32 v10, v10
.LBB71_2411:
	s_mov_b64 s[10:11], 0
	s_mov_b64 s[16:17], -1
.LBB71_2412:
	s_andn2_b64 vcc, exec, s[10:11]
	s_mov_b64 s[10:11], 0
	s_cbranch_vccnz .LBB71_2423
; %bb.2413:
	s_cmp_gt_i32 s20, 14
	s_cbranch_scc0 .LBB71_2416
; %bb.2414:
	s_cmp_eq_u32 s20, 15
	s_cbranch_scc0 .LBB71_2419
; %bb.2415:
	global_load_ushort v10, v[8:9], off
	s_mov_b64 s[6:7], 0
	s_mov_b64 s[16:17], -1
	s_waitcnt vmcnt(0)
	v_lshlrev_b32_e32 v10, 16, v10
	v_cvt_i32_f32_e32 v10, v10
	s_branch .LBB71_2420
.LBB71_2416:
	s_mov_b64 s[18:19], -1
                                        ; implicit-def: $vgpr10
	s_branch .LBB71_2421
.LBB71_2417:
	s_andn2_saveexec_b64 s[10:11], s[10:11]
	s_cbranch_execz .LBB71_2398
.LBB71_2418:
	v_cmp_ne_u16_e32 vcc, 0, v11
	s_andn2_b64 s[16:17], s[16:17], exec
	s_and_b64 s[18:19], vcc, exec
	s_or_b64 s[16:17], s[16:17], s[18:19]
	s_or_b64 exec, exec, s[10:11]
	v_mov_b32_e32 v10, 0
	s_and_saveexec_b64 s[10:11], s[16:17]
	s_cbranch_execnz .LBB71_2399
	s_branch .LBB71_2400
.LBB71_2419:
	s_mov_b64 s[6:7], -1
                                        ; implicit-def: $vgpr10
.LBB71_2420:
	s_mov_b64 s[18:19], 0
.LBB71_2421:
	s_and_b64 vcc, exec, s[18:19]
	s_cbranch_vccz .LBB71_2423
; %bb.2422:
	s_cmp_lg_u32 s20, 11
	s_mov_b64 s[10:11], -1
	s_cselect_b64 s[6:7], -1, 0
.LBB71_2423:
	s_and_b64 vcc, exec, s[6:7]
	s_cbranch_vccnz .LBB71_2488
; %bb.2424:
	s_andn2_b64 vcc, exec, s[10:11]
	s_cbranch_vccnz .LBB71_2426
.LBB71_2425:
	global_load_ubyte v10, v[8:9], off
	s_mov_b64 s[16:17], -1
	s_waitcnt vmcnt(0)
	v_cmp_ne_u16_e32 vcc, 0, v10
	v_cndmask_b32_e64 v10, 0, 1, vcc
.LBB71_2426:
	s_mov_b64 s[6:7], 0
.LBB71_2427:
	s_and_b64 vcc, exec, s[6:7]
	s_cbranch_vccz .LBB71_2476
; %bb.2428:
	s_and_b32 s10, 0xffff, s22
	s_cmp_lt_i32 s10, 5
	s_cbranch_scc1 .LBB71_2433
; %bb.2429:
	s_cmp_lt_i32 s10, 8
	s_cbranch_scc1 .LBB71_2434
; %bb.2430:
	;; [unrolled: 3-line block ×3, first 2 shown]
	s_cmp_gt_i32 s10, 9
	s_cbranch_scc0 .LBB71_2436
; %bb.2432:
	global_load_dwordx2 v[10:11], v[8:9], off
	s_mov_b64 s[6:7], 0
	s_waitcnt vmcnt(0)
	v_cvt_i32_f64_e32 v10, v[10:11]
	s_branch .LBB71_2437
.LBB71_2433:
	s_mov_b64 s[6:7], -1
                                        ; implicit-def: $vgpr10
	s_branch .LBB71_2455
.LBB71_2434:
	s_mov_b64 s[6:7], -1
                                        ; implicit-def: $vgpr10
	s_branch .LBB71_2443
.LBB71_2435:
	s_mov_b64 s[6:7], -1
                                        ; implicit-def: $vgpr10
	s_branch .LBB71_2440
.LBB71_2436:
	s_mov_b64 s[6:7], -1
                                        ; implicit-def: $vgpr10
.LBB71_2437:
	s_andn2_b64 vcc, exec, s[6:7]
	s_cbranch_vccnz .LBB71_2439
; %bb.2438:
	global_load_dword v10, v[8:9], off
	s_waitcnt vmcnt(0)
	v_cvt_i32_f32_e32 v10, v10
.LBB71_2439:
	s_mov_b64 s[6:7], 0
.LBB71_2440:
	s_andn2_b64 vcc, exec, s[6:7]
	s_cbranch_vccnz .LBB71_2442
; %bb.2441:
	global_load_dword v10, v[8:9], off
	s_waitcnt vmcnt(0)
	v_cvt_f32_f16_e32 v10, v10
	v_cvt_i32_f32_e32 v10, v10
.LBB71_2442:
	s_mov_b64 s[6:7], 0
.LBB71_2443:
	s_andn2_b64 vcc, exec, s[6:7]
	s_cbranch_vccnz .LBB71_2454
; %bb.2444:
	s_cmp_lt_i32 s10, 6
	s_cbranch_scc1 .LBB71_2447
; %bb.2445:
	s_cmp_gt_i32 s10, 6
	s_cbranch_scc0 .LBB71_2448
; %bb.2446:
	global_load_dwordx2 v[10:11], v[8:9], off
	s_mov_b64 s[6:7], 0
	s_waitcnt vmcnt(0)
	v_cvt_i32_f64_e32 v10, v[10:11]
	s_branch .LBB71_2449
.LBB71_2447:
	s_mov_b64 s[6:7], -1
                                        ; implicit-def: $vgpr10
	s_branch .LBB71_2452
.LBB71_2448:
	s_mov_b64 s[6:7], -1
                                        ; implicit-def: $vgpr10
.LBB71_2449:
	s_andn2_b64 vcc, exec, s[6:7]
	s_cbranch_vccnz .LBB71_2451
; %bb.2450:
	global_load_dword v10, v[8:9], off
	s_waitcnt vmcnt(0)
	v_cvt_i32_f32_e32 v10, v10
.LBB71_2451:
	s_mov_b64 s[6:7], 0
.LBB71_2452:
	s_andn2_b64 vcc, exec, s[6:7]
	s_cbranch_vccnz .LBB71_2454
; %bb.2453:
	global_load_ushort v10, v[8:9], off
	s_waitcnt vmcnt(0)
	v_cvt_f32_f16_e32 v10, v10
	v_cvt_i32_f32_e32 v10, v10
.LBB71_2454:
	s_mov_b64 s[6:7], 0
.LBB71_2455:
	s_andn2_b64 vcc, exec, s[6:7]
	s_cbranch_vccnz .LBB71_2475
; %bb.2456:
	s_cmp_lt_i32 s10, 2
	s_cbranch_scc1 .LBB71_2460
; %bb.2457:
	s_cmp_lt_i32 s10, 3
	s_cbranch_scc1 .LBB71_2461
; %bb.2458:
	s_cmp_gt_i32 s10, 3
	s_cbranch_scc0 .LBB71_2462
; %bb.2459:
	global_load_dword v10, v[8:9], off
	s_mov_b64 s[6:7], 0
	s_branch .LBB71_2463
.LBB71_2460:
	s_mov_b64 s[6:7], -1
                                        ; implicit-def: $vgpr10
	s_branch .LBB71_2469
.LBB71_2461:
	s_mov_b64 s[6:7], -1
                                        ; implicit-def: $vgpr10
	s_branch .LBB71_2466
.LBB71_2462:
	s_mov_b64 s[6:7], -1
                                        ; implicit-def: $vgpr10
.LBB71_2463:
	s_andn2_b64 vcc, exec, s[6:7]
	s_cbranch_vccnz .LBB71_2465
; %bb.2464:
	global_load_dword v10, v[8:9], off
.LBB71_2465:
	s_mov_b64 s[6:7], 0
.LBB71_2466:
	s_andn2_b64 vcc, exec, s[6:7]
	s_cbranch_vccnz .LBB71_2468
; %bb.2467:
	global_load_sshort v10, v[8:9], off
.LBB71_2468:
	s_mov_b64 s[6:7], 0
.LBB71_2469:
	s_andn2_b64 vcc, exec, s[6:7]
	s_cbranch_vccnz .LBB71_2475
; %bb.2470:
	s_cmp_gt_i32 s10, 0
	s_cbranch_scc0 .LBB71_2472
; %bb.2471:
	global_load_sbyte v10, v[8:9], off
	s_mov_b64 s[6:7], 0
	s_branch .LBB71_2473
.LBB71_2472:
	s_mov_b64 s[6:7], -1
                                        ; implicit-def: $vgpr10
.LBB71_2473:
	s_andn2_b64 vcc, exec, s[6:7]
	s_cbranch_vccnz .LBB71_2475
; %bb.2474:
	global_load_ubyte v10, v[8:9], off
.LBB71_2475:
	s_mov_b64 s[16:17], -1
.LBB71_2476:
	s_andn2_b64 vcc, exec, s[16:17]
	s_cbranch_vccnz .LBB71_3036
; %bb.2477:
	v_mov_b32_e32 v8, s1
	v_add_co_u32_e32 v7, vcc, s0, v7
	s_cmp_lt_i32 s23, 11
	v_addc_co_u32_e32 v8, vcc, 0, v8, vcc
	s_cbranch_scc1 .LBB71_2484
; %bb.2478:
	s_and_b32 s18, 0xffff, s23
	s_cmp_gt_i32 s18, 25
	s_mov_b64 s[6:7], 0
	s_cbranch_scc0 .LBB71_2485
; %bb.2479:
	s_cmp_gt_i32 s18, 28
	s_cbranch_scc0 .LBB71_2486
; %bb.2480:
	s_cmp_gt_i32 s18, 43
	;; [unrolled: 3-line block ×3, first 2 shown]
	s_cbranch_scc0 .LBB71_2489
; %bb.2482:
	s_cmp_eq_u32 s18, 46
	s_mov_b64 s[16:17], 0
	s_cbranch_scc0 .LBB71_2490
; %bb.2483:
	global_load_dword v9, v[7:8], off
	s_mov_b64 s[0:1], 0
	s_mov_b64 s[10:11], -1
	s_waitcnt vmcnt(0)
	v_lshlrev_b32_e32 v9, 16, v9
	v_cvt_i32_f32_e32 v9, v9
	s_branch .LBB71_2491
.LBB71_2484:
	s_mov_b64 s[0:1], -1
	s_mov_b64 s[10:11], 0
                                        ; implicit-def: $vgpr9
	s_branch .LBB71_2553
.LBB71_2485:
	s_mov_b64 s[16:17], -1
	s_mov_b64 s[10:11], 0
	s_mov_b64 s[0:1], 0
                                        ; implicit-def: $vgpr9
	s_branch .LBB71_2518
.LBB71_2486:
	s_mov_b64 s[16:17], -1
	s_mov_b64 s[10:11], 0
	s_mov_b64 s[0:1], 0
                                        ; implicit-def: $vgpr9
	s_branch .LBB71_2501
.LBB71_2487:
	s_mov_b64 s[16:17], -1
	s_mov_b64 s[10:11], 0
	s_mov_b64 s[0:1], 0
                                        ; implicit-def: $vgpr9
	s_branch .LBB71_2496
.LBB71_2488:
	s_trap 2
	s_or_b64 s[4:5], s[4:5], exec
	s_cbranch_execz .LBB71_2425
	s_branch .LBB71_2426
.LBB71_2489:
	s_mov_b64 s[16:17], -1
	s_mov_b64 s[10:11], 0
	s_mov_b64 s[0:1], 0
                                        ; implicit-def: $vgpr9
	s_branch .LBB71_2491
.LBB71_2490:
	s_mov_b64 s[0:1], -1
                                        ; implicit-def: $vgpr9
	s_mov_b64 s[10:11], 0
.LBB71_2491:
	s_and_b64 vcc, exec, s[16:17]
	s_cbranch_vccz .LBB71_2495
; %bb.2492:
	s_cmp_eq_u32 s18, 44
	s_cbranch_scc0 .LBB71_2494
; %bb.2493:
	global_load_ubyte v9, v[7:8], off
	s_mov_b64 s[0:1], 0
	s_mov_b64 s[10:11], -1
	s_waitcnt vmcnt(0)
	v_lshlrev_b32_e32 v11, 23, v9
	v_cvt_i32_f32_e32 v11, v11
	v_cmp_ne_u32_e32 vcc, 0, v9
	v_cndmask_b32_e32 v9, 0, v11, vcc
	s_branch .LBB71_2495
.LBB71_2494:
	s_mov_b64 s[0:1], -1
                                        ; implicit-def: $vgpr9
.LBB71_2495:
	s_mov_b64 s[16:17], 0
.LBB71_2496:
	s_and_b64 vcc, exec, s[16:17]
	s_cbranch_vccz .LBB71_2500
; %bb.2497:
	s_cmp_eq_u32 s18, 29
	s_cbranch_scc0 .LBB71_2499
; %bb.2498:
	global_load_dword v9, v[7:8], off
	s_mov_b64 s[0:1], 0
	s_mov_b64 s[10:11], -1
	s_branch .LBB71_2500
.LBB71_2499:
	s_mov_b64 s[0:1], -1
                                        ; implicit-def: $vgpr9
.LBB71_2500:
	s_mov_b64 s[16:17], 0
.LBB71_2501:
	s_and_b64 vcc, exec, s[16:17]
	s_cbranch_vccz .LBB71_2517
; %bb.2502:
	s_cmp_lt_i32 s18, 27
	s_cbranch_scc1 .LBB71_2505
; %bb.2503:
	s_cmp_gt_i32 s18, 27
	s_cbranch_scc0 .LBB71_2506
; %bb.2504:
	global_load_dword v9, v[7:8], off
	s_mov_b64 s[10:11], 0
	s_branch .LBB71_2507
.LBB71_2505:
	s_mov_b64 s[10:11], -1
                                        ; implicit-def: $vgpr9
	s_branch .LBB71_2510
.LBB71_2506:
	s_mov_b64 s[10:11], -1
                                        ; implicit-def: $vgpr9
.LBB71_2507:
	s_andn2_b64 vcc, exec, s[10:11]
	s_cbranch_vccnz .LBB71_2509
; %bb.2508:
	global_load_ushort v9, v[7:8], off
.LBB71_2509:
	s_mov_b64 s[10:11], 0
.LBB71_2510:
	s_andn2_b64 vcc, exec, s[10:11]
	s_cbranch_vccnz .LBB71_2516
; %bb.2511:
	global_load_ubyte v11, v[7:8], off
	s_movk_i32 s10, 0x7f
	s_mov_b64 s[16:17], 0
	s_waitcnt vmcnt(0)
	v_cmp_lt_i16_e32 vcc, s10, v11
	s_and_saveexec_b64 s[10:11], vcc
	s_xor_b64 s[10:11], exec, s[10:11]
	s_cbranch_execz .LBB71_2528
; %bb.2512:
	s_movk_i32 s16, 0x80
	v_cmp_ne_u16_e32 vcc, s16, v11
	s_and_b64 s[16:17], vcc, exec
	s_andn2_saveexec_b64 s[10:11], s[10:11]
	s_cbranch_execnz .LBB71_2529
.LBB71_2513:
	s_or_b64 exec, exec, s[10:11]
	v_mov_b32_e32 v9, 0
	s_and_saveexec_b64 s[10:11], s[16:17]
	s_cbranch_execz .LBB71_2515
.LBB71_2514:
	v_lshlrev_b32_e32 v9, 24, v11
	v_and_b32_e32 v11, 0xffff, v11
	v_and_b32_e32 v13, 7, v11
	v_ffbh_u32_e32 v17, v13
	v_min_u32_e32 v17, 32, v17
	v_subrev_u32_e32 v18, 28, v17
	v_bfe_u32 v15, v11, 3, 4
	v_lshlrev_b32_e32 v11, v18, v11
	v_sub_u32_e32 v17, 29, v17
	v_and_b32_e32 v11, 7, v11
	v_cmp_eq_u32_e32 vcc, 0, v15
	v_cndmask_b32_e32 v15, v15, v17, vcc
	v_cndmask_b32_e32 v11, v13, v11, vcc
	v_mov_b32_e32 v13, 0x3b800000
	v_lshlrev_b32_e32 v11, 20, v11
	v_and_b32_e32 v9, 0x80000000, v9
	v_lshl_add_u32 v13, v15, 23, v13
	v_or3_b32 v9, v9, v13, v11
	v_cvt_i32_f32_e32 v9, v9
.LBB71_2515:
	s_or_b64 exec, exec, s[10:11]
.LBB71_2516:
	s_mov_b64 s[10:11], -1
.LBB71_2517:
	s_mov_b64 s[16:17], 0
.LBB71_2518:
	s_and_b64 vcc, exec, s[16:17]
	s_cbranch_vccz .LBB71_2549
; %bb.2519:
	s_cmp_gt_i32 s18, 22
	s_cbranch_scc0 .LBB71_2527
; %bb.2520:
	s_cmp_lt_i32 s18, 24
	s_cbranch_scc1 .LBB71_2530
; %bb.2521:
	s_cmp_gt_i32 s18, 24
	s_cbranch_scc0 .LBB71_2531
; %bb.2522:
	global_load_ubyte v11, v[7:8], off
	s_movk_i32 s6, 0x7f
	s_mov_b64 s[10:11], 0
	s_waitcnt vmcnt(0)
	v_cmp_lt_i16_e32 vcc, s6, v11
	s_and_saveexec_b64 s[6:7], vcc
	s_xor_b64 s[6:7], exec, s[6:7]
	s_cbranch_execz .LBB71_2543
; %bb.2523:
	s_movk_i32 s10, 0x80
	v_cmp_ne_u16_e32 vcc, s10, v11
	s_and_b64 s[10:11], vcc, exec
	s_andn2_saveexec_b64 s[6:7], s[6:7]
	s_cbranch_execnz .LBB71_2544
.LBB71_2524:
	s_or_b64 exec, exec, s[6:7]
	v_mov_b32_e32 v9, 0
	s_and_saveexec_b64 s[6:7], s[10:11]
	s_cbranch_execz .LBB71_2526
.LBB71_2525:
	v_lshlrev_b32_e32 v9, 24, v11
	v_and_b32_e32 v11, 0xffff, v11
	v_and_b32_e32 v13, 3, v11
	v_ffbh_u32_e32 v17, v13
	v_min_u32_e32 v17, 32, v17
	v_subrev_u32_e32 v18, 29, v17
	v_bfe_u32 v15, v11, 2, 5
	v_lshlrev_b32_e32 v11, v18, v11
	v_sub_u32_e32 v17, 30, v17
	v_and_b32_e32 v11, 3, v11
	v_cmp_eq_u32_e32 vcc, 0, v15
	v_cndmask_b32_e32 v15, v15, v17, vcc
	v_cndmask_b32_e32 v11, v13, v11, vcc
	v_mov_b32_e32 v13, 0x37800000
	v_lshlrev_b32_e32 v11, 21, v11
	v_and_b32_e32 v9, 0x80000000, v9
	v_lshl_add_u32 v13, v15, 23, v13
	v_or3_b32 v9, v9, v13, v11
	v_cvt_i32_f32_e32 v9, v9
.LBB71_2526:
	s_or_b64 exec, exec, s[6:7]
	s_mov_b64 s[6:7], 0
	s_branch .LBB71_2532
.LBB71_2527:
	s_mov_b64 s[6:7], -1
                                        ; implicit-def: $vgpr9
	s_branch .LBB71_2538
.LBB71_2528:
	s_andn2_saveexec_b64 s[10:11], s[10:11]
	s_cbranch_execz .LBB71_2513
.LBB71_2529:
	v_cmp_ne_u16_e32 vcc, 0, v11
	s_andn2_b64 s[16:17], s[16:17], exec
	s_and_b64 s[20:21], vcc, exec
	s_or_b64 s[16:17], s[16:17], s[20:21]
	s_or_b64 exec, exec, s[10:11]
	v_mov_b32_e32 v9, 0
	s_and_saveexec_b64 s[10:11], s[16:17]
	s_cbranch_execnz .LBB71_2514
	s_branch .LBB71_2515
.LBB71_2530:
	s_mov_b64 s[6:7], -1
                                        ; implicit-def: $vgpr9
	s_branch .LBB71_2535
.LBB71_2531:
	s_mov_b64 s[6:7], -1
                                        ; implicit-def: $vgpr9
.LBB71_2532:
	s_and_b64 vcc, exec, s[6:7]
	s_cbranch_vccz .LBB71_2534
; %bb.2533:
	global_load_ubyte v9, v[7:8], off
	s_mov_b32 s6, 0x7f800000
	s_waitcnt vmcnt(0)
	v_lshlrev_b32_e32 v9, 24, v9
	v_and_b32_e32 v11, 0x7f000000, v9
	v_ffbh_u32_e32 v13, v11
	v_min_u32_e32 v13, 32, v13
	v_sub_u32_e64 v13, v13, 4 clamp
	v_lshlrev_b32_e32 v17, v13, v11
	v_lshlrev_b32_e32 v13, 23, v13
	v_lshrrev_b32_e32 v17, 4, v17
	v_add_u32_e32 v15, 0x1000000, v11
	v_sub_u32_e32 v13, v17, v13
	v_ashrrev_i32_e32 v15, 8, v15
	v_add_u32_e32 v13, 0x3c000000, v13
	v_and_or_b32 v13, v15, s6, v13
	v_cmp_ne_u32_e32 vcc, 0, v11
	v_cndmask_b32_e32 v11, 0, v13, vcc
	s_brev_b32 s6, 1
	v_and_or_b32 v9, v9, s6, v11
	v_cvt_i32_f32_e32 v9, v9
.LBB71_2534:
	s_mov_b64 s[6:7], 0
.LBB71_2535:
	s_andn2_b64 vcc, exec, s[6:7]
	s_cbranch_vccnz .LBB71_2537
; %bb.2536:
	global_load_ubyte v9, v[7:8], off
	s_movk_i32 s6, 0x7f00
	s_brev_b32 s7, 16
	s_waitcnt vmcnt(0)
	v_lshlrev_b16_e32 v11, 8, v9
	v_lshlrev_b32_e32 v9, 25, v9
	v_lshrrev_b32_e32 v13, 4, v9
	v_and_or_b32 v15, v11, s6, 0.5
	v_or_b32_e32 v13, 0x70000000, v13
	v_add_f32_e32 v15, -0.5, v15
	v_mul_f32_e32 v13, 0x7800000, v13
	v_cmp_gt_u32_e32 vcc, s7, v9
	v_bfe_i32 v11, v11, 0, 16
	v_cndmask_b32_e32 v9, v13, v15, vcc
	s_brev_b32 s6, 1
	v_and_or_b32 v9, v11, s6, v9
	v_cvt_i32_f32_e32 v9, v9
.LBB71_2537:
	s_mov_b64 s[6:7], 0
	s_mov_b64 s[10:11], -1
.LBB71_2538:
	s_andn2_b64 vcc, exec, s[6:7]
	s_mov_b64 s[6:7], 0
	s_cbranch_vccnz .LBB71_2549
; %bb.2539:
	s_cmp_gt_i32 s18, 14
	s_cbranch_scc0 .LBB71_2542
; %bb.2540:
	s_cmp_eq_u32 s18, 15
	s_cbranch_scc0 .LBB71_2545
; %bb.2541:
	global_load_ushort v9, v[7:8], off
	s_mov_b64 s[0:1], 0
	s_mov_b64 s[10:11], -1
	s_waitcnt vmcnt(0)
	v_lshlrev_b32_e32 v9, 16, v9
	v_cvt_i32_f32_e32 v9, v9
	s_branch .LBB71_2546
.LBB71_2542:
	s_mov_b64 s[16:17], -1
                                        ; implicit-def: $vgpr9
	s_branch .LBB71_2547
.LBB71_2543:
	s_andn2_saveexec_b64 s[6:7], s[6:7]
	s_cbranch_execz .LBB71_2524
.LBB71_2544:
	v_cmp_ne_u16_e32 vcc, 0, v11
	s_andn2_b64 s[10:11], s[10:11], exec
	s_and_b64 s[16:17], vcc, exec
	s_or_b64 s[10:11], s[10:11], s[16:17]
	s_or_b64 exec, exec, s[6:7]
	v_mov_b32_e32 v9, 0
	s_and_saveexec_b64 s[6:7], s[10:11]
	s_cbranch_execnz .LBB71_2525
	s_branch .LBB71_2526
.LBB71_2545:
	s_mov_b64 s[0:1], -1
                                        ; implicit-def: $vgpr9
.LBB71_2546:
	s_mov_b64 s[16:17], 0
.LBB71_2547:
	s_and_b64 vcc, exec, s[16:17]
	s_cbranch_vccz .LBB71_2549
; %bb.2548:
	s_cmp_lg_u32 s18, 11
	s_mov_b64 s[6:7], -1
	s_cselect_b64 s[0:1], -1, 0
.LBB71_2549:
	s_and_b64 vcc, exec, s[0:1]
	s_cbranch_vccnz .LBB71_3082
; %bb.2550:
	s_andn2_b64 vcc, exec, s[6:7]
	s_cbranch_vccnz .LBB71_2552
.LBB71_2551:
	global_load_ubyte v9, v[7:8], off
	s_mov_b64 s[10:11], -1
	s_waitcnt vmcnt(0)
	v_cmp_ne_u16_e32 vcc, 0, v9
	v_cndmask_b32_e64 v9, 0, 1, vcc
.LBB71_2552:
	s_mov_b64 s[0:1], 0
.LBB71_2553:
	s_and_b64 vcc, exec, s[0:1]
	s_cbranch_vccz .LBB71_2602
; %bb.2554:
	s_and_b32 s6, 0xffff, s23
	s_cmp_lt_i32 s6, 5
	s_cbranch_scc1 .LBB71_2559
; %bb.2555:
	s_cmp_lt_i32 s6, 8
	s_cbranch_scc1 .LBB71_2560
; %bb.2556:
	;; [unrolled: 3-line block ×3, first 2 shown]
	s_cmp_gt_i32 s6, 9
	s_cbranch_scc0 .LBB71_2562
; %bb.2558:
	global_load_dwordx2 v[17:18], v[7:8], off
	s_mov_b64 s[0:1], 0
	s_waitcnt vmcnt(0)
	v_cvt_i32_f64_e32 v9, v[17:18]
	s_branch .LBB71_2563
.LBB71_2559:
	s_mov_b64 s[0:1], -1
                                        ; implicit-def: $vgpr9
	s_branch .LBB71_2581
.LBB71_2560:
	s_mov_b64 s[0:1], -1
                                        ; implicit-def: $vgpr9
	s_branch .LBB71_2569
.LBB71_2561:
	s_mov_b64 s[0:1], -1
                                        ; implicit-def: $vgpr9
	s_branch .LBB71_2566
.LBB71_2562:
	s_mov_b64 s[0:1], -1
                                        ; implicit-def: $vgpr9
.LBB71_2563:
	s_andn2_b64 vcc, exec, s[0:1]
	s_cbranch_vccnz .LBB71_2565
; %bb.2564:
	global_load_dword v9, v[7:8], off
	s_waitcnt vmcnt(0)
	v_cvt_i32_f32_e32 v9, v9
.LBB71_2565:
	s_mov_b64 s[0:1], 0
.LBB71_2566:
	s_andn2_b64 vcc, exec, s[0:1]
	s_cbranch_vccnz .LBB71_2568
; %bb.2567:
	global_load_dword v9, v[7:8], off
	s_waitcnt vmcnt(0)
	v_cvt_f32_f16_e32 v9, v9
	v_cvt_i32_f32_e32 v9, v9
.LBB71_2568:
	s_mov_b64 s[0:1], 0
.LBB71_2569:
	s_andn2_b64 vcc, exec, s[0:1]
	s_cbranch_vccnz .LBB71_2580
; %bb.2570:
	s_cmp_lt_i32 s6, 6
	s_cbranch_scc1 .LBB71_2573
; %bb.2571:
	s_cmp_gt_i32 s6, 6
	s_cbranch_scc0 .LBB71_2574
; %bb.2572:
	global_load_dwordx2 v[17:18], v[7:8], off
	s_mov_b64 s[0:1], 0
	s_waitcnt vmcnt(0)
	v_cvt_i32_f64_e32 v9, v[17:18]
	s_branch .LBB71_2575
.LBB71_2573:
	s_mov_b64 s[0:1], -1
                                        ; implicit-def: $vgpr9
	s_branch .LBB71_2578
.LBB71_2574:
	s_mov_b64 s[0:1], -1
                                        ; implicit-def: $vgpr9
.LBB71_2575:
	s_andn2_b64 vcc, exec, s[0:1]
	s_cbranch_vccnz .LBB71_2577
; %bb.2576:
	global_load_dword v9, v[7:8], off
	s_waitcnt vmcnt(0)
	v_cvt_i32_f32_e32 v9, v9
.LBB71_2577:
	s_mov_b64 s[0:1], 0
.LBB71_2578:
	s_andn2_b64 vcc, exec, s[0:1]
	s_cbranch_vccnz .LBB71_2580
; %bb.2579:
	global_load_ushort v9, v[7:8], off
	s_waitcnt vmcnt(0)
	v_cvt_f32_f16_e32 v9, v9
	v_cvt_i32_f32_e32 v9, v9
.LBB71_2580:
	s_mov_b64 s[0:1], 0
.LBB71_2581:
	s_andn2_b64 vcc, exec, s[0:1]
	s_cbranch_vccnz .LBB71_2601
; %bb.2582:
	s_cmp_lt_i32 s6, 2
	s_cbranch_scc1 .LBB71_2586
; %bb.2583:
	s_cmp_lt_i32 s6, 3
	s_cbranch_scc1 .LBB71_2587
; %bb.2584:
	s_cmp_gt_i32 s6, 3
	s_cbranch_scc0 .LBB71_2588
; %bb.2585:
	global_load_dword v9, v[7:8], off
	s_mov_b64 s[0:1], 0
	s_branch .LBB71_2589
.LBB71_2586:
	s_mov_b64 s[0:1], -1
                                        ; implicit-def: $vgpr9
	s_branch .LBB71_2595
.LBB71_2587:
	s_mov_b64 s[0:1], -1
                                        ; implicit-def: $vgpr9
	s_branch .LBB71_2592
.LBB71_2588:
	s_mov_b64 s[0:1], -1
                                        ; implicit-def: $vgpr9
.LBB71_2589:
	s_andn2_b64 vcc, exec, s[0:1]
	s_cbranch_vccnz .LBB71_2591
; %bb.2590:
	global_load_dword v9, v[7:8], off
.LBB71_2591:
	s_mov_b64 s[0:1], 0
.LBB71_2592:
	s_andn2_b64 vcc, exec, s[0:1]
	s_cbranch_vccnz .LBB71_2594
; %bb.2593:
	global_load_sshort v9, v[7:8], off
.LBB71_2594:
	s_mov_b64 s[0:1], 0
.LBB71_2595:
	s_andn2_b64 vcc, exec, s[0:1]
	s_cbranch_vccnz .LBB71_2601
; %bb.2596:
	s_cmp_gt_i32 s6, 0
	s_cbranch_scc0 .LBB71_2598
; %bb.2597:
	global_load_sbyte v9, v[7:8], off
	s_mov_b64 s[0:1], 0
	s_branch .LBB71_2599
.LBB71_2598:
	s_mov_b64 s[0:1], -1
                                        ; implicit-def: $vgpr9
.LBB71_2599:
	s_andn2_b64 vcc, exec, s[0:1]
	s_cbranch_vccnz .LBB71_2601
; %bb.2600:
	global_load_ubyte v9, v[7:8], off
.LBB71_2601:
	s_mov_b64 s[10:11], -1
.LBB71_2602:
	s_andn2_b64 vcc, exec, s[10:11]
	s_cbranch_vccnz .LBB71_3036
; %bb.2603:
	s_load_dword s0, s[2:3], 0x1a8
	s_load_dwordx2 s[6:7], s[2:3], 0x1a0
	v_mov_b32_e32 v8, s9
	s_waitcnt lgkmcnt(0)
	s_and_b32 s20, s0, 0xff
	v_mov_b32_e32 v7, s7
	v_cmp_lt_i32_e32 vcc, s6, v1
	s_waitcnt vmcnt(0)
	v_cndmask_b32_e32 v5, v7, v5, vcc
	v_add_co_u32_e32 v7, vcc, s8, v6
	s_cmp_lt_i32 s20, 11
	v_addc_co_u32_e32 v8, vcc, 0, v8, vcc
	s_cbranch_scc1 .LBB71_2681
; %bb.2604:
	s_and_b32 s21, 0xffff, s20
	s_mov_b64 s[16:17], -1
	s_mov_b64 s[2:3], 0
	s_cmp_gt_i32 s21, 25
	s_mov_b64 s[10:11], 0
	s_mov_b64 s[0:1], 0
	s_cbranch_scc0 .LBB71_2637
; %bb.2605:
	s_cmp_gt_i32 s21, 28
	s_cbranch_scc0 .LBB71_2620
; %bb.2606:
	s_cmp_gt_i32 s21, 43
	;; [unrolled: 3-line block ×3, first 2 shown]
	s_cbranch_scc0 .LBB71_2610
; %bb.2608:
	s_mov_b64 s[0:1], -1
	s_mov_b64 s[16:17], 0
	s_cmp_eq_u32 s21, 46
	s_cbranch_scc0 .LBB71_2610
; %bb.2609:
	v_cvt_f32_i32_e32 v1, v5
	s_movk_i32 s10, 0x7fff
	s_mov_b64 s[0:1], 0
	v_bfe_u32 v6, v1, 16, 1
	v_add3_u32 v1, v1, v6, s10
	v_lshrrev_b32_e32 v1, 16, v1
	global_store_dword v[7:8], v1, off
	s_mov_b64 s[10:11], -1
.LBB71_2610:
	s_and_b64 vcc, exec, s[16:17]
	s_cbranch_vccz .LBB71_2615
; %bb.2611:
	s_cmp_eq_u32 s21, 44
	s_mov_b64 s[0:1], -1
	s_cbranch_scc0 .LBB71_2615
; %bb.2612:
	v_cvt_f32_i32_e32 v1, v5
	s_movk_i32 s0, 0xff
	v_mov_b32_e32 v11, 0xff
	v_bfe_u32 v6, v1, 23, 8
	v_cmp_ne_u32_e32 vcc, s0, v6
	s_and_saveexec_b64 s[10:11], vcc
; %bb.2613:
	s_mov_b32 s0, 0x3fffff
	v_lshrrev_b32_e32 v11, 23, v1
	v_and_b32_e32 v13, 0x400000, v1
	v_and_or_b32 v1, v1, s0, v6
	v_cmp_ne_u32_e32 vcc, 0, v13
	v_cmp_ne_u32_e64 s[0:1], 0, v1
	s_and_b64 s[0:1], vcc, s[0:1]
	v_cndmask_b32_e64 v1, 0, 1, s[0:1]
	v_add_u32_e32 v11, v11, v1
; %bb.2614:
	s_or_b64 exec, exec, s[10:11]
	s_mov_b64 s[0:1], 0
	s_mov_b64 s[10:11], -1
	global_store_byte v[7:8], v11, off
.LBB71_2615:
	s_mov_b64 s[16:17], 0
.LBB71_2616:
	s_and_b64 vcc, exec, s[16:17]
	s_cbranch_vccz .LBB71_2619
; %bb.2617:
	s_cmp_eq_u32 s21, 29
	s_mov_b64 s[0:1], -1
	s_cbranch_scc0 .LBB71_2619
; %bb.2618:
	v_ashrrev_i32_e32 v6, 31, v5
	global_store_dwordx2 v[7:8], v[5:6], off
	s_mov_b64 s[0:1], 0
	s_mov_b64 s[10:11], -1
.LBB71_2619:
	s_mov_b64 s[16:17], 0
.LBB71_2620:
	s_and_b64 vcc, exec, s[16:17]
	s_cbranch_vccz .LBB71_2636
; %bb.2621:
	s_cmp_lt_i32 s21, 27
	s_mov_b64 s[10:11], -1
	s_cbranch_scc1 .LBB71_2627
; %bb.2622:
	s_cmp_gt_i32 s21, 27
	s_cbranch_scc0 .LBB71_2624
; %bb.2623:
	s_mov_b64 s[10:11], 0
	global_store_dword v[7:8], v5, off
.LBB71_2624:
	s_andn2_b64 vcc, exec, s[10:11]
	s_cbranch_vccnz .LBB71_2626
; %bb.2625:
	global_store_short v[7:8], v5, off
.LBB71_2626:
	s_mov_b64 s[10:11], 0
.LBB71_2627:
	s_andn2_b64 vcc, exec, s[10:11]
	s_cbranch_vccnz .LBB71_2635
; %bb.2628:
	v_cvt_f32_i32_e32 v1, v5
	s_mov_b32 s10, 0x43800000
	v_mov_b32_e32 v11, 0x80
	v_and_b32_e32 v6, 0x7fffffff, v1
	v_cmp_gt_u32_e32 vcc, s10, v6
	s_and_saveexec_b64 s[10:11], vcc
	s_cbranch_execz .LBB71_2634
; %bb.2629:
	s_mov_b32 s16, 0x3bffffff
	v_cmp_lt_u32_e32 vcc, s16, v6
	s_mov_b64 s[16:17], 0
                                        ; implicit-def: $vgpr6
	s_and_saveexec_b64 s[18:19], vcc
	s_xor_b64 s[18:19], exec, s[18:19]
	s_cbranch_execz .LBB71_3083
; %bb.2630:
	v_bfe_u32 v6, v1, 20, 1
	s_mov_b32 s22, 0x487ffff
	v_add3_u32 v6, v1, v6, s22
	s_mov_b64 s[16:17], exec
	v_lshrrev_b32_e32 v6, 20, v6
	s_andn2_saveexec_b64 s[18:19], s[18:19]
	s_cbranch_execnz .LBB71_3084
.LBB71_2631:
	s_or_b64 exec, exec, s[18:19]
	v_mov_b32_e32 v11, 0
	s_and_saveexec_b64 s[18:19], s[16:17]
.LBB71_2632:
	v_lshrrev_b32_e32 v1, 24, v1
	s_movk_i32 s16, 0x80
	v_and_or_b32 v11, v1, s16, v6
.LBB71_2633:
	s_or_b64 exec, exec, s[18:19]
.LBB71_2634:
	s_or_b64 exec, exec, s[10:11]
	global_store_byte v[7:8], v11, off
.LBB71_2635:
	s_mov_b64 s[10:11], -1
.LBB71_2636:
	s_mov_b64 s[16:17], 0
.LBB71_2637:
	s_and_b64 vcc, exec, s[16:17]
	s_cbranch_vccz .LBB71_2677
; %bb.2638:
	s_cmp_gt_i32 s21, 22
	s_mov_b64 s[2:3], -1
	s_cbranch_scc0 .LBB71_2670
; %bb.2639:
	s_cmp_lt_i32 s21, 24
	s_cbranch_scc1 .LBB71_2659
; %bb.2640:
	s_cmp_gt_i32 s21, 24
	s_cbranch_scc0 .LBB71_2648
; %bb.2641:
	v_cvt_f32_i32_e32 v1, v5
	s_mov_b32 s2, 0x47800000
	v_mov_b32_e32 v11, 0x80
	v_and_b32_e32 v6, 0x7fffffff, v1
	v_cmp_gt_u32_e32 vcc, s2, v6
	s_and_saveexec_b64 s[2:3], vcc
	s_cbranch_execz .LBB71_2647
; %bb.2642:
	s_mov_b32 s10, 0x37ffffff
	v_cmp_lt_u32_e32 vcc, s10, v6
	s_mov_b64 s[10:11], 0
                                        ; implicit-def: $vgpr6
	s_and_saveexec_b64 s[16:17], vcc
	s_xor_b64 s[16:17], exec, s[16:17]
	s_cbranch_execz .LBB71_3086
; %bb.2643:
	v_bfe_u32 v6, v1, 21, 1
	s_mov_b32 s18, 0x88fffff
	v_add3_u32 v6, v1, v6, s18
	s_mov_b64 s[10:11], exec
	v_lshrrev_b32_e32 v6, 21, v6
	s_andn2_saveexec_b64 s[16:17], s[16:17]
	s_cbranch_execnz .LBB71_3087
.LBB71_2644:
	s_or_b64 exec, exec, s[16:17]
	v_mov_b32_e32 v11, 0
	s_and_saveexec_b64 s[16:17], s[10:11]
.LBB71_2645:
	v_lshrrev_b32_e32 v1, 24, v1
	s_movk_i32 s10, 0x80
	v_and_or_b32 v11, v1, s10, v6
.LBB71_2646:
	s_or_b64 exec, exec, s[16:17]
.LBB71_2647:
	s_or_b64 exec, exec, s[2:3]
	s_mov_b64 s[2:3], 0
	global_store_byte v[7:8], v11, off
.LBB71_2648:
	s_and_b64 vcc, exec, s[2:3]
	s_cbranch_vccz .LBB71_2658
; %bb.2649:
	v_cvt_f32_i32_e32 v1, v5
	s_mov_b32 s2, 0x43f00000
                                        ; implicit-def: $vgpr6
	v_and_b32_e32 v11, 0x7fffffff, v1
	v_cmp_gt_u32_e32 vcc, s2, v11
	s_and_saveexec_b64 s[2:3], vcc
	s_xor_b64 s[2:3], exec, s[2:3]
	s_cbranch_execz .LBB71_2655
; %bb.2650:
	s_mov_b32 s10, 0x3c7fffff
	v_cmp_lt_u32_e32 vcc, s10, v11
                                        ; implicit-def: $vgpr6
	s_and_saveexec_b64 s[10:11], vcc
	s_xor_b64 s[10:11], exec, s[10:11]
; %bb.2651:
	v_bfe_u32 v6, v1, 20, 1
	s_mov_b32 s16, 0x407ffff
	v_add3_u32 v6, v1, v6, s16
	v_lshrrev_b32_e32 v11, 20, v6
	v_and_b32_e32 v6, 0xff00000, v6
	s_mov_b32 s16, 0x7f00000
	v_mov_b32_e32 v13, 0x7e
	v_cmp_ne_u32_e32 vcc, s16, v6
	v_cndmask_b32_e32 v6, v13, v11, vcc
; %bb.2652:
	s_andn2_saveexec_b64 s[10:11], s[10:11]
; %bb.2653:
	s_mov_b32 s16, 0x46800000
	v_add_f32_e64 v6, |v1|, s16
; %bb.2654:
	s_or_b64 exec, exec, s[10:11]
                                        ; implicit-def: $vgpr11
.LBB71_2655:
	s_andn2_saveexec_b64 s[2:3], s[2:3]
; %bb.2656:
	s_mov_b32 s10, 0x7f800000
	v_mov_b32_e32 v6, 0x7e
	v_mov_b32_e32 v13, 0x7f
	v_cmp_lt_u32_e32 vcc, s10, v11
	v_cndmask_b32_e32 v6, v6, v13, vcc
; %bb.2657:
	s_or_b64 exec, exec, s[2:3]
	v_lshrrev_b32_e32 v1, 24, v1
	s_movk_i32 s2, 0x80
	v_and_or_b32 v1, v1, s2, v6
	global_store_byte v[7:8], v1, off
.LBB71_2658:
	s_mov_b64 s[2:3], 0
.LBB71_2659:
	s_andn2_b64 vcc, exec, s[2:3]
	s_cbranch_vccnz .LBB71_2669
; %bb.2660:
	v_cvt_f32_i32_e32 v1, v5
	s_mov_b32 s2, 0x47800000
                                        ; implicit-def: $vgpr6
	v_and_b32_e32 v11, 0x7fffffff, v1
	v_cmp_gt_u32_e32 vcc, s2, v11
	s_and_saveexec_b64 s[2:3], vcc
	s_xor_b64 s[2:3], exec, s[2:3]
	s_cbranch_execz .LBB71_2666
; %bb.2661:
	s_mov_b32 s10, 0x387fffff
	v_cmp_lt_u32_e32 vcc, s10, v11
                                        ; implicit-def: $vgpr6
	s_and_saveexec_b64 s[10:11], vcc
	s_xor_b64 s[10:11], exec, s[10:11]
; %bb.2662:
	v_bfe_u32 v6, v1, 21, 1
	s_mov_b32 s16, 0x80fffff
	v_add3_u32 v6, v1, v6, s16
	v_lshrrev_b32_e32 v6, 21, v6
; %bb.2663:
	s_andn2_saveexec_b64 s[10:11], s[10:11]
; %bb.2664:
	s_mov_b32 s16, 0x43000000
	v_add_f32_e64 v6, |v1|, s16
; %bb.2665:
	s_or_b64 exec, exec, s[10:11]
                                        ; implicit-def: $vgpr11
.LBB71_2666:
	s_andn2_saveexec_b64 s[2:3], s[2:3]
; %bb.2667:
	s_mov_b32 s10, 0x7f800000
	v_mov_b32_e32 v6, 0x7c
	v_mov_b32_e32 v13, 0x7f
	v_cmp_lt_u32_e32 vcc, s10, v11
	v_cndmask_b32_e32 v6, v6, v13, vcc
; %bb.2668:
	s_or_b64 exec, exec, s[2:3]
	v_lshrrev_b32_e32 v1, 24, v1
	s_movk_i32 s2, 0x80
	v_and_or_b32 v1, v1, s2, v6
	global_store_byte v[7:8], v1, off
.LBB71_2669:
	s_mov_b64 s[2:3], 0
	s_mov_b64 s[10:11], -1
.LBB71_2670:
	s_andn2_b64 vcc, exec, s[2:3]
	s_mov_b64 s[2:3], 0
	s_cbranch_vccnz .LBB71_2677
; %bb.2671:
	s_cmp_gt_i32 s21, 14
	s_mov_b64 s[16:17], -1
	s_cbranch_scc0 .LBB71_2675
; %bb.2672:
	s_cmp_eq_u32 s21, 15
	s_mov_b64 s[0:1], -1
	s_cbranch_scc0 .LBB71_2674
; %bb.2673:
	v_cvt_f32_i32_e32 v1, v5
	s_movk_i32 s2, 0x7fff
	s_mov_b64 s[0:1], 0
	s_mov_b64 s[10:11], -1
	v_bfe_u32 v6, v1, 16, 1
	v_add3_u32 v1, v1, v6, s2
	global_store_short_d16_hi v[7:8], v1, off
.LBB71_2674:
	s_mov_b64 s[16:17], 0
.LBB71_2675:
	s_mov_b64 s[2:3], 0
	s_and_b64 vcc, exec, s[16:17]
	s_cbranch_vccz .LBB71_2677
; %bb.2676:
	s_cmp_lg_u32 s21, 11
	s_mov_b64 s[2:3], -1
	s_cselect_b64 s[0:1], -1, 0
.LBB71_2677:
	s_and_b64 vcc, exec, s[0:1]
	s_cbranch_vccnz .LBB71_3085
; %bb.2678:
	s_andn2_b64 vcc, exec, s[2:3]
	s_cbranch_vccnz .LBB71_2680
.LBB71_2679:
	v_cmp_ne_u32_e32 vcc, 0, v5
	v_cndmask_b32_e64 v1, 0, 1, vcc
	s_mov_b64 s[10:11], -1
	global_store_byte v[7:8], v1, off
.LBB71_2680:
	s_mov_b64 s[0:1], 0
	s_branch .LBB71_2682
.LBB71_2681:
	s_mov_b64 s[0:1], -1
	s_mov_b64 s[10:11], 0
.LBB71_2682:
	s_and_b64 vcc, exec, s[0:1]
	s_cbranch_vccz .LBB71_2721
; %bb.2683:
	s_and_b32 s2, 0xffff, s20
	s_cmp_lt_i32 s2, 5
	s_mov_b64 s[0:1], -1
	s_cbranch_scc1 .LBB71_2704
; %bb.2684:
	s_cmp_lt_i32 s2, 8
	s_cbranch_scc1 .LBB71_2694
; %bb.2685:
	s_cmp_lt_i32 s2, 9
	s_cbranch_scc1 .LBB71_2691
; %bb.2686:
	s_cmp_gt_i32 s2, 9
	s_cbranch_scc0 .LBB71_2688
; %bb.2687:
	v_cvt_f64_i32_e32 v[17:18], v5
	v_mov_b32_e32 v19, 0
	v_mov_b32_e32 v20, v19
	s_mov_b64 s[0:1], 0
	global_store_dwordx4 v[7:8], v[17:20], off
.LBB71_2688:
	s_andn2_b64 vcc, exec, s[0:1]
	s_cbranch_vccnz .LBB71_2690
; %bb.2689:
	v_cvt_f32_i32_e32 v17, v5
	v_mov_b32_e32 v18, 0
	global_store_dwordx2 v[7:8], v[17:18], off
.LBB71_2690:
	s_mov_b64 s[0:1], 0
.LBB71_2691:
	s_andn2_b64 vcc, exec, s[0:1]
	s_cbranch_vccnz .LBB71_2693
; %bb.2692:
	v_cvt_f32_i32_e32 v1, v5
	v_cvt_f16_f32_e32 v1, v1
	global_store_dword v[7:8], v1, off
.LBB71_2693:
	s_mov_b64 s[0:1], 0
.LBB71_2694:
	s_andn2_b64 vcc, exec, s[0:1]
	s_cbranch_vccnz .LBB71_2703
; %bb.2695:
	s_cmp_lt_i32 s2, 6
	s_mov_b64 s[0:1], -1
	s_cbranch_scc1 .LBB71_2701
; %bb.2696:
	s_cmp_gt_i32 s2, 6
	s_cbranch_scc0 .LBB71_2698
; %bb.2697:
	v_cvt_f64_i32_e32 v[17:18], v5
	s_mov_b64 s[0:1], 0
	global_store_dwordx2 v[7:8], v[17:18], off
.LBB71_2698:
	s_andn2_b64 vcc, exec, s[0:1]
	s_cbranch_vccnz .LBB71_2700
; %bb.2699:
	v_cvt_f32_i32_e32 v1, v5
	global_store_dword v[7:8], v1, off
.LBB71_2700:
	s_mov_b64 s[0:1], 0
.LBB71_2701:
	s_andn2_b64 vcc, exec, s[0:1]
	s_cbranch_vccnz .LBB71_2703
; %bb.2702:
	v_cvt_f32_i32_e32 v1, v5
	v_cvt_f16_f32_e32 v1, v1
	global_store_short v[7:8], v1, off
.LBB71_2703:
	s_mov_b64 s[0:1], 0
.LBB71_2704:
	s_andn2_b64 vcc, exec, s[0:1]
	s_cbranch_vccnz .LBB71_2720
; %bb.2705:
	s_cmp_lt_i32 s2, 2
	s_mov_b64 s[0:1], -1
	s_cbranch_scc1 .LBB71_2715
; %bb.2706:
	s_cmp_lt_i32 s2, 3
	s_cbranch_scc1 .LBB71_2712
; %bb.2707:
	s_cmp_gt_i32 s2, 3
	s_cbranch_scc0 .LBB71_2709
; %bb.2708:
	v_ashrrev_i32_e32 v6, 31, v5
	global_store_dwordx2 v[7:8], v[5:6], off
	s_mov_b64 s[0:1], 0
.LBB71_2709:
	s_andn2_b64 vcc, exec, s[0:1]
	s_cbranch_vccnz .LBB71_2711
; %bb.2710:
	global_store_dword v[7:8], v5, off
.LBB71_2711:
	s_mov_b64 s[0:1], 0
.LBB71_2712:
	s_andn2_b64 vcc, exec, s[0:1]
	s_cbranch_vccnz .LBB71_2714
; %bb.2713:
	global_store_short v[7:8], v5, off
.LBB71_2714:
	s_mov_b64 s[0:1], 0
.LBB71_2715:
	s_andn2_b64 vcc, exec, s[0:1]
	s_cbranch_vccnz .LBB71_2720
; %bb.2716:
	s_cmp_gt_i32 s2, 0
	s_mov_b64 s[0:1], -1
	s_cbranch_scc0 .LBB71_2718
; %bb.2717:
	global_store_byte v[7:8], v5, off
	s_mov_b64 s[0:1], 0
.LBB71_2718:
	s_andn2_b64 vcc, exec, s[0:1]
	s_cbranch_vccnz .LBB71_2720
; %bb.2719:
	global_store_byte v[7:8], v5, off
.LBB71_2720:
	s_mov_b64 s[10:11], -1
.LBB71_2721:
	s_andn2_b64 vcc, exec, s[10:11]
	s_cbranch_vccnz .LBB71_3036
; %bb.2722:
	v_mov_b32_e32 v1, s7
	v_cmp_lt_i32_e32 vcc, s6, v3
	v_cndmask_b32_e32 v3, v1, v16, vcc
	v_mov_b32_e32 v1, s9
	s_and_b32 s21, 0xffff, s20
	v_add_co_u32_e32 v5, vcc, s8, v4
	s_cmp_lt_i32 s21, 11
	v_addc_co_u32_e32 v6, vcc, 0, v1, vcc
	s_cbranch_scc1 .LBB71_2800
; %bb.2723:
	s_mov_b64 s[16:17], -1
	s_mov_b64 s[2:3], 0
	s_cmp_gt_i32 s21, 25
	s_mov_b64 s[10:11], 0
	s_mov_b64 s[0:1], 0
	s_cbranch_scc0 .LBB71_2756
; %bb.2724:
	s_cmp_gt_i32 s21, 28
	s_cbranch_scc0 .LBB71_2739
; %bb.2725:
	s_cmp_gt_i32 s21, 43
	s_cbranch_scc0 .LBB71_2735
; %bb.2726:
	s_cmp_gt_i32 s21, 45
	s_cbranch_scc0 .LBB71_2729
; %bb.2727:
	s_mov_b64 s[0:1], -1
	s_mov_b64 s[16:17], 0
	s_cmp_eq_u32 s21, 46
	s_cbranch_scc0 .LBB71_2729
; %bb.2728:
	v_cvt_f32_i32_e32 v1, v3
	s_movk_i32 s10, 0x7fff
	s_mov_b64 s[0:1], 0
	v_bfe_u32 v4, v1, 16, 1
	v_add3_u32 v1, v1, v4, s10
	v_lshrrev_b32_e32 v1, 16, v1
	global_store_dword v[5:6], v1, off
	s_mov_b64 s[10:11], -1
.LBB71_2729:
	s_and_b64 vcc, exec, s[16:17]
	s_cbranch_vccz .LBB71_2734
; %bb.2730:
	s_cmp_eq_u32 s21, 44
	s_mov_b64 s[0:1], -1
	s_cbranch_scc0 .LBB71_2734
; %bb.2731:
	v_cvt_f32_i32_e32 v1, v3
	s_movk_i32 s0, 0xff
	v_mov_b32_e32 v7, 0xff
	v_bfe_u32 v4, v1, 23, 8
	v_cmp_ne_u32_e32 vcc, s0, v4
	s_and_saveexec_b64 s[10:11], vcc
; %bb.2732:
	s_mov_b32 s0, 0x3fffff
	v_lshrrev_b32_e32 v7, 23, v1
	v_and_b32_e32 v8, 0x400000, v1
	v_and_or_b32 v1, v1, s0, v4
	v_cmp_ne_u32_e32 vcc, 0, v8
	v_cmp_ne_u32_e64 s[0:1], 0, v1
	s_and_b64 s[0:1], vcc, s[0:1]
	v_cndmask_b32_e64 v1, 0, 1, s[0:1]
	v_add_u32_e32 v7, v7, v1
; %bb.2733:
	s_or_b64 exec, exec, s[10:11]
	s_mov_b64 s[0:1], 0
	s_mov_b64 s[10:11], -1
	global_store_byte v[5:6], v7, off
.LBB71_2734:
	s_mov_b64 s[16:17], 0
.LBB71_2735:
	s_and_b64 vcc, exec, s[16:17]
	s_cbranch_vccz .LBB71_2738
; %bb.2736:
	s_cmp_eq_u32 s21, 29
	s_mov_b64 s[0:1], -1
	s_cbranch_scc0 .LBB71_2738
; %bb.2737:
	v_ashrrev_i32_e32 v4, 31, v3
	global_store_dwordx2 v[5:6], v[3:4], off
	s_mov_b64 s[0:1], 0
	s_mov_b64 s[10:11], -1
.LBB71_2738:
	s_mov_b64 s[16:17], 0
.LBB71_2739:
	s_and_b64 vcc, exec, s[16:17]
	s_cbranch_vccz .LBB71_2755
; %bb.2740:
	s_cmp_lt_i32 s21, 27
	s_mov_b64 s[10:11], -1
	s_cbranch_scc1 .LBB71_2746
; %bb.2741:
	s_cmp_gt_i32 s21, 27
	s_cbranch_scc0 .LBB71_2743
; %bb.2742:
	s_mov_b64 s[10:11], 0
	global_store_dword v[5:6], v3, off
.LBB71_2743:
	s_andn2_b64 vcc, exec, s[10:11]
	s_cbranch_vccnz .LBB71_2745
; %bb.2744:
	global_store_short v[5:6], v3, off
.LBB71_2745:
	s_mov_b64 s[10:11], 0
.LBB71_2746:
	s_andn2_b64 vcc, exec, s[10:11]
	s_cbranch_vccnz .LBB71_2754
; %bb.2747:
	v_cvt_f32_i32_e32 v1, v3
	s_mov_b32 s10, 0x43800000
	v_mov_b32_e32 v7, 0x80
	v_and_b32_e32 v4, 0x7fffffff, v1
	v_cmp_gt_u32_e32 vcc, s10, v4
	s_and_saveexec_b64 s[10:11], vcc
	s_cbranch_execz .LBB71_2753
; %bb.2748:
	s_mov_b32 s16, 0x3bffffff
	v_cmp_lt_u32_e32 vcc, s16, v4
	s_mov_b64 s[16:17], 0
                                        ; implicit-def: $vgpr4
	s_and_saveexec_b64 s[18:19], vcc
	s_xor_b64 s[18:19], exec, s[18:19]
	s_cbranch_execz .LBB71_3088
; %bb.2749:
	v_bfe_u32 v4, v1, 20, 1
	s_mov_b32 s22, 0x487ffff
	v_add3_u32 v4, v1, v4, s22
	s_mov_b64 s[16:17], exec
	v_lshrrev_b32_e32 v4, 20, v4
	s_andn2_saveexec_b64 s[18:19], s[18:19]
	s_cbranch_execnz .LBB71_3089
.LBB71_2750:
	s_or_b64 exec, exec, s[18:19]
	v_mov_b32_e32 v7, 0
	s_and_saveexec_b64 s[18:19], s[16:17]
.LBB71_2751:
	v_lshrrev_b32_e32 v1, 24, v1
	s_movk_i32 s16, 0x80
	v_and_or_b32 v7, v1, s16, v4
.LBB71_2752:
	s_or_b64 exec, exec, s[18:19]
.LBB71_2753:
	s_or_b64 exec, exec, s[10:11]
	global_store_byte v[5:6], v7, off
.LBB71_2754:
	s_mov_b64 s[10:11], -1
.LBB71_2755:
	s_mov_b64 s[16:17], 0
.LBB71_2756:
	s_and_b64 vcc, exec, s[16:17]
	s_cbranch_vccz .LBB71_2796
; %bb.2757:
	s_cmp_gt_i32 s21, 22
	s_mov_b64 s[2:3], -1
	s_cbranch_scc0 .LBB71_2789
; %bb.2758:
	s_cmp_lt_i32 s21, 24
	s_cbranch_scc1 .LBB71_2778
; %bb.2759:
	s_cmp_gt_i32 s21, 24
	s_cbranch_scc0 .LBB71_2767
; %bb.2760:
	v_cvt_f32_i32_e32 v1, v3
	s_mov_b32 s2, 0x47800000
	v_mov_b32_e32 v7, 0x80
	v_and_b32_e32 v4, 0x7fffffff, v1
	v_cmp_gt_u32_e32 vcc, s2, v4
	s_and_saveexec_b64 s[2:3], vcc
	s_cbranch_execz .LBB71_2766
; %bb.2761:
	s_mov_b32 s10, 0x37ffffff
	v_cmp_lt_u32_e32 vcc, s10, v4
	s_mov_b64 s[10:11], 0
                                        ; implicit-def: $vgpr4
	s_and_saveexec_b64 s[16:17], vcc
	s_xor_b64 s[16:17], exec, s[16:17]
	s_cbranch_execz .LBB71_3091
; %bb.2762:
	v_bfe_u32 v4, v1, 21, 1
	s_mov_b32 s18, 0x88fffff
	v_add3_u32 v4, v1, v4, s18
	s_mov_b64 s[10:11], exec
	v_lshrrev_b32_e32 v4, 21, v4
	s_andn2_saveexec_b64 s[16:17], s[16:17]
	s_cbranch_execnz .LBB71_3092
.LBB71_2763:
	s_or_b64 exec, exec, s[16:17]
	v_mov_b32_e32 v7, 0
	s_and_saveexec_b64 s[16:17], s[10:11]
.LBB71_2764:
	v_lshrrev_b32_e32 v1, 24, v1
	s_movk_i32 s10, 0x80
	v_and_or_b32 v7, v1, s10, v4
.LBB71_2765:
	s_or_b64 exec, exec, s[16:17]
.LBB71_2766:
	s_or_b64 exec, exec, s[2:3]
	s_mov_b64 s[2:3], 0
	global_store_byte v[5:6], v7, off
.LBB71_2767:
	s_and_b64 vcc, exec, s[2:3]
	s_cbranch_vccz .LBB71_2777
; %bb.2768:
	v_cvt_f32_i32_e32 v1, v3
	s_mov_b32 s2, 0x43f00000
                                        ; implicit-def: $vgpr4
	v_and_b32_e32 v7, 0x7fffffff, v1
	v_cmp_gt_u32_e32 vcc, s2, v7
	s_and_saveexec_b64 s[2:3], vcc
	s_xor_b64 s[2:3], exec, s[2:3]
	s_cbranch_execz .LBB71_2774
; %bb.2769:
	s_mov_b32 s10, 0x3c7fffff
	v_cmp_lt_u32_e32 vcc, s10, v7
                                        ; implicit-def: $vgpr4
	s_and_saveexec_b64 s[10:11], vcc
	s_xor_b64 s[10:11], exec, s[10:11]
; %bb.2770:
	v_bfe_u32 v4, v1, 20, 1
	s_mov_b32 s16, 0x407ffff
	v_add3_u32 v4, v1, v4, s16
	v_lshrrev_b32_e32 v7, 20, v4
	v_and_b32_e32 v4, 0xff00000, v4
	s_mov_b32 s16, 0x7f00000
	v_mov_b32_e32 v8, 0x7e
	v_cmp_ne_u32_e32 vcc, s16, v4
	v_cndmask_b32_e32 v4, v8, v7, vcc
; %bb.2771:
	s_andn2_saveexec_b64 s[10:11], s[10:11]
; %bb.2772:
	s_mov_b32 s16, 0x46800000
	v_add_f32_e64 v4, |v1|, s16
; %bb.2773:
	s_or_b64 exec, exec, s[10:11]
                                        ; implicit-def: $vgpr7
.LBB71_2774:
	s_andn2_saveexec_b64 s[2:3], s[2:3]
; %bb.2775:
	s_mov_b32 s10, 0x7f800000
	v_mov_b32_e32 v4, 0x7e
	v_mov_b32_e32 v8, 0x7f
	v_cmp_lt_u32_e32 vcc, s10, v7
	v_cndmask_b32_e32 v4, v4, v8, vcc
; %bb.2776:
	s_or_b64 exec, exec, s[2:3]
	v_lshrrev_b32_e32 v1, 24, v1
	s_movk_i32 s2, 0x80
	v_and_or_b32 v1, v1, s2, v4
	global_store_byte v[5:6], v1, off
.LBB71_2777:
	s_mov_b64 s[2:3], 0
.LBB71_2778:
	s_andn2_b64 vcc, exec, s[2:3]
	s_cbranch_vccnz .LBB71_2788
; %bb.2779:
	v_cvt_f32_i32_e32 v1, v3
	s_mov_b32 s2, 0x47800000
                                        ; implicit-def: $vgpr4
	v_and_b32_e32 v7, 0x7fffffff, v1
	v_cmp_gt_u32_e32 vcc, s2, v7
	s_and_saveexec_b64 s[2:3], vcc
	s_xor_b64 s[2:3], exec, s[2:3]
	s_cbranch_execz .LBB71_2785
; %bb.2780:
	s_mov_b32 s10, 0x387fffff
	v_cmp_lt_u32_e32 vcc, s10, v7
                                        ; implicit-def: $vgpr4
	s_and_saveexec_b64 s[10:11], vcc
	s_xor_b64 s[10:11], exec, s[10:11]
; %bb.2781:
	v_bfe_u32 v4, v1, 21, 1
	s_mov_b32 s16, 0x80fffff
	v_add3_u32 v4, v1, v4, s16
	v_lshrrev_b32_e32 v4, 21, v4
; %bb.2782:
	s_andn2_saveexec_b64 s[10:11], s[10:11]
; %bb.2783:
	s_mov_b32 s16, 0x43000000
	v_add_f32_e64 v4, |v1|, s16
; %bb.2784:
	s_or_b64 exec, exec, s[10:11]
                                        ; implicit-def: $vgpr7
.LBB71_2785:
	s_andn2_saveexec_b64 s[2:3], s[2:3]
; %bb.2786:
	s_mov_b32 s10, 0x7f800000
	v_mov_b32_e32 v4, 0x7c
	v_mov_b32_e32 v8, 0x7f
	v_cmp_lt_u32_e32 vcc, s10, v7
	v_cndmask_b32_e32 v4, v4, v8, vcc
; %bb.2787:
	s_or_b64 exec, exec, s[2:3]
	v_lshrrev_b32_e32 v1, 24, v1
	s_movk_i32 s2, 0x80
	v_and_or_b32 v1, v1, s2, v4
	global_store_byte v[5:6], v1, off
.LBB71_2788:
	s_mov_b64 s[2:3], 0
	s_mov_b64 s[10:11], -1
.LBB71_2789:
	s_andn2_b64 vcc, exec, s[2:3]
	s_mov_b64 s[2:3], 0
	s_cbranch_vccnz .LBB71_2796
; %bb.2790:
	s_cmp_gt_i32 s21, 14
	s_mov_b64 s[16:17], -1
	s_cbranch_scc0 .LBB71_2794
; %bb.2791:
	s_cmp_eq_u32 s21, 15
	s_mov_b64 s[0:1], -1
	s_cbranch_scc0 .LBB71_2793
; %bb.2792:
	v_cvt_f32_i32_e32 v1, v3
	s_movk_i32 s2, 0x7fff
	s_mov_b64 s[0:1], 0
	s_mov_b64 s[10:11], -1
	v_bfe_u32 v4, v1, 16, 1
	v_add3_u32 v1, v1, v4, s2
	global_store_short_d16_hi v[5:6], v1, off
.LBB71_2793:
	s_mov_b64 s[16:17], 0
.LBB71_2794:
	s_mov_b64 s[2:3], 0
	s_and_b64 vcc, exec, s[16:17]
	s_cbranch_vccz .LBB71_2796
; %bb.2795:
	s_cmp_lg_u32 s21, 11
	s_mov_b64 s[2:3], -1
	s_cselect_b64 s[0:1], -1, 0
.LBB71_2796:
	s_and_b64 vcc, exec, s[0:1]
	s_cbranch_vccnz .LBB71_3090
; %bb.2797:
	s_andn2_b64 vcc, exec, s[2:3]
	s_cbranch_vccnz .LBB71_2799
.LBB71_2798:
	v_cmp_ne_u32_e32 vcc, 0, v3
	v_cndmask_b32_e64 v1, 0, 1, vcc
	s_mov_b64 s[10:11], -1
	global_store_byte v[5:6], v1, off
.LBB71_2799:
	s_mov_b64 s[0:1], 0
	s_branch .LBB71_2801
.LBB71_2800:
	s_mov_b64 s[0:1], -1
	s_mov_b64 s[10:11], 0
.LBB71_2801:
	s_and_b64 vcc, exec, s[0:1]
	s_cbranch_vccz .LBB71_2840
; %bb.2802:
	s_cmp_lt_i32 s21, 5
	s_mov_b64 s[0:1], -1
	s_cbranch_scc1 .LBB71_2823
; %bb.2803:
	s_cmp_lt_i32 s21, 8
	s_cbranch_scc1 .LBB71_2813
; %bb.2804:
	s_cmp_lt_i32 s21, 9
	s_cbranch_scc1 .LBB71_2810
; %bb.2805:
	s_cmp_gt_i32 s21, 9
	s_cbranch_scc0 .LBB71_2807
; %bb.2806:
	v_cvt_f64_i32_e32 v[15:16], v3
	v_mov_b32_e32 v17, 0
	v_mov_b32_e32 v18, v17
	s_mov_b64 s[0:1], 0
	global_store_dwordx4 v[5:6], v[15:18], off
.LBB71_2807:
	s_andn2_b64 vcc, exec, s[0:1]
	s_cbranch_vccnz .LBB71_2809
; %bb.2808:
	v_cvt_f32_i32_e32 v7, v3
	v_mov_b32_e32 v8, 0
	global_store_dwordx2 v[5:6], v[7:8], off
.LBB71_2809:
	s_mov_b64 s[0:1], 0
.LBB71_2810:
	s_andn2_b64 vcc, exec, s[0:1]
	s_cbranch_vccnz .LBB71_2812
; %bb.2811:
	v_cvt_f32_i32_e32 v1, v3
	v_cvt_f16_f32_e32 v1, v1
	global_store_dword v[5:6], v1, off
.LBB71_2812:
	s_mov_b64 s[0:1], 0
.LBB71_2813:
	s_andn2_b64 vcc, exec, s[0:1]
	s_cbranch_vccnz .LBB71_2822
; %bb.2814:
	s_cmp_lt_i32 s21, 6
	s_mov_b64 s[0:1], -1
	s_cbranch_scc1 .LBB71_2820
; %bb.2815:
	s_cmp_gt_i32 s21, 6
	s_cbranch_scc0 .LBB71_2817
; %bb.2816:
	v_cvt_f64_i32_e32 v[7:8], v3
	s_mov_b64 s[0:1], 0
	global_store_dwordx2 v[5:6], v[7:8], off
.LBB71_2817:
	s_andn2_b64 vcc, exec, s[0:1]
	s_cbranch_vccnz .LBB71_2819
; %bb.2818:
	v_cvt_f32_i32_e32 v1, v3
	global_store_dword v[5:6], v1, off
.LBB71_2819:
	s_mov_b64 s[0:1], 0
.LBB71_2820:
	s_andn2_b64 vcc, exec, s[0:1]
	s_cbranch_vccnz .LBB71_2822
; %bb.2821:
	v_cvt_f32_i32_e32 v1, v3
	v_cvt_f16_f32_e32 v1, v1
	global_store_short v[5:6], v1, off
.LBB71_2822:
	s_mov_b64 s[0:1], 0
.LBB71_2823:
	s_andn2_b64 vcc, exec, s[0:1]
	s_cbranch_vccnz .LBB71_2839
; %bb.2824:
	s_cmp_lt_i32 s21, 2
	s_mov_b64 s[0:1], -1
	s_cbranch_scc1 .LBB71_2834
; %bb.2825:
	s_cmp_lt_i32 s21, 3
	s_cbranch_scc1 .LBB71_2831
; %bb.2826:
	s_cmp_gt_i32 s21, 3
	s_cbranch_scc0 .LBB71_2828
; %bb.2827:
	v_ashrrev_i32_e32 v4, 31, v3
	global_store_dwordx2 v[5:6], v[3:4], off
	s_mov_b64 s[0:1], 0
.LBB71_2828:
	s_andn2_b64 vcc, exec, s[0:1]
	s_cbranch_vccnz .LBB71_2830
; %bb.2829:
	global_store_dword v[5:6], v3, off
.LBB71_2830:
	s_mov_b64 s[0:1], 0
.LBB71_2831:
	s_andn2_b64 vcc, exec, s[0:1]
	s_cbranch_vccnz .LBB71_2833
; %bb.2832:
	global_store_short v[5:6], v3, off
.LBB71_2833:
	s_mov_b64 s[0:1], 0
.LBB71_2834:
	s_andn2_b64 vcc, exec, s[0:1]
	s_cbranch_vccnz .LBB71_2839
; %bb.2835:
	s_cmp_gt_i32 s21, 0
	s_mov_b64 s[0:1], -1
	s_cbranch_scc0 .LBB71_2837
; %bb.2836:
	global_store_byte v[5:6], v3, off
	s_mov_b64 s[0:1], 0
.LBB71_2837:
	s_andn2_b64 vcc, exec, s[0:1]
	s_cbranch_vccnz .LBB71_2839
; %bb.2838:
	global_store_byte v[5:6], v3, off
.LBB71_2839:
	s_mov_b64 s[10:11], -1
.LBB71_2840:
	s_andn2_b64 vcc, exec, s[10:11]
	s_cbranch_vccnz .LBB71_3036
; %bb.2841:
	v_mov_b32_e32 v1, s7
	v_cmp_lt_i32_e32 vcc, s6, v14
	v_cndmask_b32_e32 v1, v1, v12, vcc
	v_mov_b32_e32 v4, s9
	v_add_co_u32_e32 v3, vcc, s8, v2
	s_cmp_lt_i32 s21, 11
	v_addc_co_u32_e32 v4, vcc, 0, v4, vcc
	s_cbranch_scc1 .LBB71_2919
; %bb.2842:
	s_mov_b64 s[16:17], -1
	s_mov_b64 s[2:3], 0
	s_cmp_gt_i32 s21, 25
	s_mov_b64 s[10:11], 0
	s_mov_b64 s[0:1], 0
	s_cbranch_scc0 .LBB71_2875
; %bb.2843:
	s_cmp_gt_i32 s21, 28
	s_cbranch_scc0 .LBB71_2858
; %bb.2844:
	s_cmp_gt_i32 s21, 43
	;; [unrolled: 3-line block ×3, first 2 shown]
	s_cbranch_scc0 .LBB71_2848
; %bb.2846:
	s_mov_b64 s[0:1], -1
	s_mov_b64 s[16:17], 0
	s_cmp_eq_u32 s21, 46
	s_cbranch_scc0 .LBB71_2848
; %bb.2847:
	v_cvt_f32_i32_e32 v2, v1
	s_movk_i32 s10, 0x7fff
	s_mov_b64 s[0:1], 0
	v_bfe_u32 v5, v2, 16, 1
	v_add3_u32 v2, v2, v5, s10
	v_lshrrev_b32_e32 v2, 16, v2
	global_store_dword v[3:4], v2, off
	s_mov_b64 s[10:11], -1
.LBB71_2848:
	s_and_b64 vcc, exec, s[16:17]
	s_cbranch_vccz .LBB71_2853
; %bb.2849:
	s_cmp_eq_u32 s21, 44
	s_mov_b64 s[0:1], -1
	s_cbranch_scc0 .LBB71_2853
; %bb.2850:
	v_cvt_f32_i32_e32 v2, v1
	s_movk_i32 s0, 0xff
	v_mov_b32_e32 v6, 0xff
	v_bfe_u32 v5, v2, 23, 8
	v_cmp_ne_u32_e32 vcc, s0, v5
	s_and_saveexec_b64 s[10:11], vcc
; %bb.2851:
	s_mov_b32 s0, 0x3fffff
	v_lshrrev_b32_e32 v6, 23, v2
	v_and_b32_e32 v7, 0x400000, v2
	v_and_or_b32 v2, v2, s0, v5
	v_cmp_ne_u32_e32 vcc, 0, v7
	v_cmp_ne_u32_e64 s[0:1], 0, v2
	s_and_b64 s[0:1], vcc, s[0:1]
	v_cndmask_b32_e64 v2, 0, 1, s[0:1]
	v_add_u32_e32 v6, v6, v2
; %bb.2852:
	s_or_b64 exec, exec, s[10:11]
	s_mov_b64 s[0:1], 0
	s_mov_b64 s[10:11], -1
	global_store_byte v[3:4], v6, off
.LBB71_2853:
	s_mov_b64 s[16:17], 0
.LBB71_2854:
	s_and_b64 vcc, exec, s[16:17]
	s_cbranch_vccz .LBB71_2857
; %bb.2855:
	s_cmp_eq_u32 s21, 29
	s_mov_b64 s[0:1], -1
	s_cbranch_scc0 .LBB71_2857
; %bb.2856:
	v_ashrrev_i32_e32 v2, 31, v1
	global_store_dwordx2 v[3:4], v[1:2], off
	s_mov_b64 s[0:1], 0
	s_mov_b64 s[10:11], -1
.LBB71_2857:
	s_mov_b64 s[16:17], 0
.LBB71_2858:
	s_and_b64 vcc, exec, s[16:17]
	s_cbranch_vccz .LBB71_2874
; %bb.2859:
	s_cmp_lt_i32 s21, 27
	s_mov_b64 s[10:11], -1
	s_cbranch_scc1 .LBB71_2865
; %bb.2860:
	s_cmp_gt_i32 s21, 27
	s_cbranch_scc0 .LBB71_2862
; %bb.2861:
	s_mov_b64 s[10:11], 0
	global_store_dword v[3:4], v1, off
.LBB71_2862:
	s_andn2_b64 vcc, exec, s[10:11]
	s_cbranch_vccnz .LBB71_2864
; %bb.2863:
	global_store_short v[3:4], v1, off
.LBB71_2864:
	s_mov_b64 s[10:11], 0
.LBB71_2865:
	s_andn2_b64 vcc, exec, s[10:11]
	s_cbranch_vccnz .LBB71_2873
; %bb.2866:
	v_cvt_f32_i32_e32 v2, v1
	s_mov_b32 s10, 0x43800000
	v_mov_b32_e32 v6, 0x80
	v_and_b32_e32 v5, 0x7fffffff, v2
	v_cmp_gt_u32_e32 vcc, s10, v5
	s_and_saveexec_b64 s[10:11], vcc
	s_cbranch_execz .LBB71_2872
; %bb.2867:
	s_mov_b32 s16, 0x3bffffff
	v_cmp_lt_u32_e32 vcc, s16, v5
	s_mov_b64 s[16:17], 0
                                        ; implicit-def: $vgpr5
	s_and_saveexec_b64 s[18:19], vcc
	s_xor_b64 s[18:19], exec, s[18:19]
	s_cbranch_execz .LBB71_3093
; %bb.2868:
	v_bfe_u32 v5, v2, 20, 1
	s_mov_b32 s22, 0x487ffff
	v_add3_u32 v5, v2, v5, s22
	s_mov_b64 s[16:17], exec
	v_lshrrev_b32_e32 v5, 20, v5
	s_andn2_saveexec_b64 s[18:19], s[18:19]
	s_cbranch_execnz .LBB71_3094
.LBB71_2869:
	s_or_b64 exec, exec, s[18:19]
	v_mov_b32_e32 v6, 0
	s_and_saveexec_b64 s[18:19], s[16:17]
.LBB71_2870:
	v_lshrrev_b32_e32 v2, 24, v2
	s_movk_i32 s16, 0x80
	v_and_or_b32 v6, v2, s16, v5
.LBB71_2871:
	s_or_b64 exec, exec, s[18:19]
.LBB71_2872:
	s_or_b64 exec, exec, s[10:11]
	global_store_byte v[3:4], v6, off
.LBB71_2873:
	s_mov_b64 s[10:11], -1
.LBB71_2874:
	s_mov_b64 s[16:17], 0
.LBB71_2875:
	s_and_b64 vcc, exec, s[16:17]
	s_cbranch_vccz .LBB71_2915
; %bb.2876:
	s_cmp_gt_i32 s21, 22
	s_mov_b64 s[2:3], -1
	s_cbranch_scc0 .LBB71_2908
; %bb.2877:
	s_cmp_lt_i32 s21, 24
	s_cbranch_scc1 .LBB71_2897
; %bb.2878:
	s_cmp_gt_i32 s21, 24
	s_cbranch_scc0 .LBB71_2886
; %bb.2879:
	v_cvt_f32_i32_e32 v2, v1
	s_mov_b32 s2, 0x47800000
	v_mov_b32_e32 v6, 0x80
	v_and_b32_e32 v5, 0x7fffffff, v2
	v_cmp_gt_u32_e32 vcc, s2, v5
	s_and_saveexec_b64 s[2:3], vcc
	s_cbranch_execz .LBB71_2885
; %bb.2880:
	s_mov_b32 s10, 0x37ffffff
	v_cmp_lt_u32_e32 vcc, s10, v5
	s_mov_b64 s[10:11], 0
                                        ; implicit-def: $vgpr5
	s_and_saveexec_b64 s[16:17], vcc
	s_xor_b64 s[16:17], exec, s[16:17]
	s_cbranch_execz .LBB71_3096
; %bb.2881:
	v_bfe_u32 v5, v2, 21, 1
	s_mov_b32 s18, 0x88fffff
	v_add3_u32 v5, v2, v5, s18
	s_mov_b64 s[10:11], exec
	v_lshrrev_b32_e32 v5, 21, v5
	s_andn2_saveexec_b64 s[16:17], s[16:17]
	s_cbranch_execnz .LBB71_3097
.LBB71_2882:
	s_or_b64 exec, exec, s[16:17]
	v_mov_b32_e32 v6, 0
	s_and_saveexec_b64 s[16:17], s[10:11]
.LBB71_2883:
	v_lshrrev_b32_e32 v2, 24, v2
	s_movk_i32 s10, 0x80
	v_and_or_b32 v6, v2, s10, v5
.LBB71_2884:
	s_or_b64 exec, exec, s[16:17]
.LBB71_2885:
	s_or_b64 exec, exec, s[2:3]
	s_mov_b64 s[2:3], 0
	global_store_byte v[3:4], v6, off
.LBB71_2886:
	s_and_b64 vcc, exec, s[2:3]
	s_cbranch_vccz .LBB71_2896
; %bb.2887:
	v_cvt_f32_i32_e32 v2, v1
	s_mov_b32 s2, 0x43f00000
                                        ; implicit-def: $vgpr5
	v_and_b32_e32 v6, 0x7fffffff, v2
	v_cmp_gt_u32_e32 vcc, s2, v6
	s_and_saveexec_b64 s[2:3], vcc
	s_xor_b64 s[2:3], exec, s[2:3]
	s_cbranch_execz .LBB71_2893
; %bb.2888:
	s_mov_b32 s10, 0x3c7fffff
	v_cmp_lt_u32_e32 vcc, s10, v6
                                        ; implicit-def: $vgpr5
	s_and_saveexec_b64 s[10:11], vcc
	s_xor_b64 s[10:11], exec, s[10:11]
; %bb.2889:
	v_bfe_u32 v5, v2, 20, 1
	s_mov_b32 s16, 0x407ffff
	v_add3_u32 v5, v2, v5, s16
	v_lshrrev_b32_e32 v6, 20, v5
	v_and_b32_e32 v5, 0xff00000, v5
	s_mov_b32 s16, 0x7f00000
	v_mov_b32_e32 v7, 0x7e
	v_cmp_ne_u32_e32 vcc, s16, v5
	v_cndmask_b32_e32 v5, v7, v6, vcc
; %bb.2890:
	s_andn2_saveexec_b64 s[10:11], s[10:11]
; %bb.2891:
	s_mov_b32 s16, 0x46800000
	v_add_f32_e64 v5, |v2|, s16
; %bb.2892:
	s_or_b64 exec, exec, s[10:11]
                                        ; implicit-def: $vgpr6
.LBB71_2893:
	s_andn2_saveexec_b64 s[2:3], s[2:3]
; %bb.2894:
	s_mov_b32 s10, 0x7f800000
	v_mov_b32_e32 v5, 0x7e
	v_mov_b32_e32 v7, 0x7f
	v_cmp_lt_u32_e32 vcc, s10, v6
	v_cndmask_b32_e32 v5, v5, v7, vcc
; %bb.2895:
	s_or_b64 exec, exec, s[2:3]
	v_lshrrev_b32_e32 v2, 24, v2
	s_movk_i32 s2, 0x80
	v_and_or_b32 v2, v2, s2, v5
	global_store_byte v[3:4], v2, off
.LBB71_2896:
	s_mov_b64 s[2:3], 0
.LBB71_2897:
	s_andn2_b64 vcc, exec, s[2:3]
	s_cbranch_vccnz .LBB71_2907
; %bb.2898:
	v_cvt_f32_i32_e32 v2, v1
	s_mov_b32 s2, 0x47800000
                                        ; implicit-def: $vgpr5
	v_and_b32_e32 v6, 0x7fffffff, v2
	v_cmp_gt_u32_e32 vcc, s2, v6
	s_and_saveexec_b64 s[2:3], vcc
	s_xor_b64 s[2:3], exec, s[2:3]
	s_cbranch_execz .LBB71_2904
; %bb.2899:
	s_mov_b32 s10, 0x387fffff
	v_cmp_lt_u32_e32 vcc, s10, v6
                                        ; implicit-def: $vgpr5
	s_and_saveexec_b64 s[10:11], vcc
	s_xor_b64 s[10:11], exec, s[10:11]
; %bb.2900:
	v_bfe_u32 v5, v2, 21, 1
	s_mov_b32 s16, 0x80fffff
	v_add3_u32 v5, v2, v5, s16
	v_lshrrev_b32_e32 v5, 21, v5
; %bb.2901:
	s_andn2_saveexec_b64 s[10:11], s[10:11]
; %bb.2902:
	s_mov_b32 s16, 0x43000000
	v_add_f32_e64 v5, |v2|, s16
; %bb.2903:
	s_or_b64 exec, exec, s[10:11]
                                        ; implicit-def: $vgpr6
.LBB71_2904:
	s_andn2_saveexec_b64 s[2:3], s[2:3]
; %bb.2905:
	s_mov_b32 s10, 0x7f800000
	v_mov_b32_e32 v5, 0x7c
	v_mov_b32_e32 v7, 0x7f
	v_cmp_lt_u32_e32 vcc, s10, v6
	v_cndmask_b32_e32 v5, v5, v7, vcc
; %bb.2906:
	s_or_b64 exec, exec, s[2:3]
	v_lshrrev_b32_e32 v2, 24, v2
	s_movk_i32 s2, 0x80
	v_and_or_b32 v2, v2, s2, v5
	global_store_byte v[3:4], v2, off
.LBB71_2907:
	s_mov_b64 s[2:3], 0
	s_mov_b64 s[10:11], -1
.LBB71_2908:
	s_andn2_b64 vcc, exec, s[2:3]
	s_mov_b64 s[2:3], 0
	s_cbranch_vccnz .LBB71_2915
; %bb.2909:
	s_cmp_gt_i32 s21, 14
	s_mov_b64 s[16:17], -1
	s_cbranch_scc0 .LBB71_2913
; %bb.2910:
	s_cmp_eq_u32 s21, 15
	s_mov_b64 s[0:1], -1
	s_cbranch_scc0 .LBB71_2912
; %bb.2911:
	v_cvt_f32_i32_e32 v2, v1
	s_movk_i32 s2, 0x7fff
	s_mov_b64 s[0:1], 0
	s_mov_b64 s[10:11], -1
	v_bfe_u32 v5, v2, 16, 1
	v_add3_u32 v2, v2, v5, s2
	global_store_short_d16_hi v[3:4], v2, off
.LBB71_2912:
	s_mov_b64 s[16:17], 0
.LBB71_2913:
	s_mov_b64 s[2:3], 0
	s_and_b64 vcc, exec, s[16:17]
	s_cbranch_vccz .LBB71_2915
; %bb.2914:
	s_cmp_lg_u32 s21, 11
	s_mov_b64 s[2:3], -1
	s_cselect_b64 s[0:1], -1, 0
.LBB71_2915:
	s_and_b64 vcc, exec, s[0:1]
	s_cbranch_vccnz .LBB71_3095
; %bb.2916:
	s_andn2_b64 vcc, exec, s[2:3]
	s_cbranch_vccnz .LBB71_2918
.LBB71_2917:
	v_cmp_ne_u32_e32 vcc, 0, v1
	v_cndmask_b32_e64 v2, 0, 1, vcc
	s_mov_b64 s[10:11], -1
	global_store_byte v[3:4], v2, off
.LBB71_2918:
	s_mov_b64 s[0:1], 0
	s_branch .LBB71_2920
.LBB71_2919:
	s_mov_b64 s[0:1], -1
	s_mov_b64 s[10:11], 0
.LBB71_2920:
	s_and_b64 vcc, exec, s[0:1]
	s_cbranch_vccz .LBB71_2959
; %bb.2921:
	s_cmp_lt_i32 s21, 5
	s_mov_b64 s[0:1], -1
	s_cbranch_scc1 .LBB71_2942
; %bb.2922:
	s_cmp_lt_i32 s21, 8
	s_cbranch_scc1 .LBB71_2932
; %bb.2923:
	s_cmp_lt_i32 s21, 9
	s_cbranch_scc1 .LBB71_2929
; %bb.2924:
	s_cmp_gt_i32 s21, 9
	s_cbranch_scc0 .LBB71_2926
; %bb.2925:
	v_cvt_f64_i32_e32 v[5:6], v1
	v_mov_b32_e32 v7, 0
	v_mov_b32_e32 v8, v7
	s_mov_b64 s[0:1], 0
	global_store_dwordx4 v[3:4], v[5:8], off
.LBB71_2926:
	s_andn2_b64 vcc, exec, s[0:1]
	s_cbranch_vccnz .LBB71_2928
; %bb.2927:
	v_cvt_f32_i32_e32 v5, v1
	v_mov_b32_e32 v6, 0
	global_store_dwordx2 v[3:4], v[5:6], off
.LBB71_2928:
	s_mov_b64 s[0:1], 0
.LBB71_2929:
	s_andn2_b64 vcc, exec, s[0:1]
	s_cbranch_vccnz .LBB71_2931
; %bb.2930:
	v_cvt_f32_i32_e32 v2, v1
	v_cvt_f16_f32_e32 v2, v2
	global_store_dword v[3:4], v2, off
.LBB71_2931:
	s_mov_b64 s[0:1], 0
.LBB71_2932:
	s_andn2_b64 vcc, exec, s[0:1]
	s_cbranch_vccnz .LBB71_2941
; %bb.2933:
	s_cmp_lt_i32 s21, 6
	s_mov_b64 s[0:1], -1
	s_cbranch_scc1 .LBB71_2939
; %bb.2934:
	s_cmp_gt_i32 s21, 6
	s_cbranch_scc0 .LBB71_2936
; %bb.2935:
	v_cvt_f64_i32_e32 v[5:6], v1
	s_mov_b64 s[0:1], 0
	global_store_dwordx2 v[3:4], v[5:6], off
.LBB71_2936:
	s_andn2_b64 vcc, exec, s[0:1]
	s_cbranch_vccnz .LBB71_2938
; %bb.2937:
	v_cvt_f32_i32_e32 v2, v1
	global_store_dword v[3:4], v2, off
.LBB71_2938:
	s_mov_b64 s[0:1], 0
.LBB71_2939:
	s_andn2_b64 vcc, exec, s[0:1]
	s_cbranch_vccnz .LBB71_2941
; %bb.2940:
	v_cvt_f32_i32_e32 v2, v1
	v_cvt_f16_f32_e32 v2, v2
	global_store_short v[3:4], v2, off
.LBB71_2941:
	s_mov_b64 s[0:1], 0
.LBB71_2942:
	s_andn2_b64 vcc, exec, s[0:1]
	s_cbranch_vccnz .LBB71_2958
; %bb.2943:
	s_cmp_lt_i32 s21, 2
	s_mov_b64 s[0:1], -1
	s_cbranch_scc1 .LBB71_2953
; %bb.2944:
	s_cmp_lt_i32 s21, 3
	s_cbranch_scc1 .LBB71_2950
; %bb.2945:
	s_cmp_gt_i32 s21, 3
	s_cbranch_scc0 .LBB71_2947
; %bb.2946:
	v_ashrrev_i32_e32 v2, 31, v1
	global_store_dwordx2 v[3:4], v[1:2], off
	s_mov_b64 s[0:1], 0
.LBB71_2947:
	s_andn2_b64 vcc, exec, s[0:1]
	s_cbranch_vccnz .LBB71_2949
; %bb.2948:
	global_store_dword v[3:4], v1, off
.LBB71_2949:
	s_mov_b64 s[0:1], 0
.LBB71_2950:
	s_andn2_b64 vcc, exec, s[0:1]
	s_cbranch_vccnz .LBB71_2952
; %bb.2951:
	global_store_short v[3:4], v1, off
.LBB71_2952:
	s_mov_b64 s[0:1], 0
.LBB71_2953:
	s_andn2_b64 vcc, exec, s[0:1]
	s_cbranch_vccnz .LBB71_2958
; %bb.2954:
	s_cmp_gt_i32 s21, 0
	s_mov_b64 s[0:1], -1
	s_cbranch_scc0 .LBB71_2956
; %bb.2955:
	global_store_byte v[3:4], v1, off
	s_mov_b64 s[0:1], 0
.LBB71_2956:
	s_andn2_b64 vcc, exec, s[0:1]
	s_cbranch_vccnz .LBB71_2958
; %bb.2957:
	global_store_byte v[3:4], v1, off
.LBB71_2958:
	s_mov_b64 s[10:11], -1
.LBB71_2959:
	s_andn2_b64 vcc, exec, s[10:11]
	s_cbranch_vccnz .LBB71_3036
; %bb.2960:
	v_mov_b32_e32 v1, s7
	v_cmp_lt_i32_e32 vcc, s6, v10
	v_cndmask_b32_e32 v2, v1, v9, vcc
	v_mov_b32_e32 v1, s9
	v_add_co_u32_e32 v0, vcc, s8, v0
	s_cmp_lt_i32 s21, 11
	v_addc_co_u32_e32 v1, vcc, 0, v1, vcc
	s_cbranch_scc1 .LBB71_3081
; %bb.2961:
	s_mov_b64 s[6:7], -1
	s_mov_b64 s[2:3], 0
	s_cmp_gt_i32 s21, 25
	s_mov_b64 s[0:1], 0
	s_cbranch_scc0 .LBB71_2994
; %bb.2962:
	s_cmp_gt_i32 s21, 28
	s_cbranch_scc0 .LBB71_2978
; %bb.2963:
	s_cmp_gt_i32 s21, 43
	;; [unrolled: 3-line block ×3, first 2 shown]
	s_cbranch_scc0 .LBB71_2968
; %bb.2965:
	s_cmp_eq_u32 s21, 46
	s_mov_b64 s[0:1], -1
	s_cbranch_scc0 .LBB71_2967
; %bb.2966:
	v_cvt_f32_i32_e32 v3, v2
	s_movk_i32 s0, 0x7fff
	v_bfe_u32 v4, v3, 16, 1
	v_add3_u32 v3, v3, v4, s0
	v_lshrrev_b32_e32 v3, 16, v3
	global_store_dword v[0:1], v3, off
	s_mov_b64 s[0:1], 0
.LBB71_2967:
	s_mov_b64 s[6:7], 0
.LBB71_2968:
	s_and_b64 vcc, exec, s[6:7]
	s_cbranch_vccz .LBB71_2973
; %bb.2969:
	s_cmp_eq_u32 s21, 44
	s_mov_b64 s[0:1], -1
	s_cbranch_scc0 .LBB71_2973
; %bb.2970:
	v_cvt_f32_i32_e32 v3, v2
	s_movk_i32 s0, 0xff
	v_mov_b32_e32 v5, 0xff
	v_bfe_u32 v4, v3, 23, 8
	v_cmp_ne_u32_e32 vcc, s0, v4
	s_and_saveexec_b64 s[6:7], vcc
; %bb.2971:
	s_mov_b32 s0, 0x3fffff
	v_lshrrev_b32_e32 v5, 23, v3
	v_and_b32_e32 v6, 0x400000, v3
	v_and_or_b32 v3, v3, s0, v4
	v_cmp_ne_u32_e32 vcc, 0, v6
	v_cmp_ne_u32_e64 s[0:1], 0, v3
	s_and_b64 s[0:1], vcc, s[0:1]
	v_cndmask_b32_e64 v3, 0, 1, s[0:1]
	v_add_u32_e32 v5, v5, v3
; %bb.2972:
	s_or_b64 exec, exec, s[6:7]
	s_mov_b64 s[0:1], 0
	global_store_byte v[0:1], v5, off
.LBB71_2973:
	s_mov_b64 s[6:7], 0
.LBB71_2974:
	s_and_b64 vcc, exec, s[6:7]
	s_cbranch_vccz .LBB71_2977
; %bb.2975:
	s_cmp_eq_u32 s21, 29
	s_mov_b64 s[0:1], -1
	s_cbranch_scc0 .LBB71_2977
; %bb.2976:
	v_ashrrev_i32_e32 v3, 31, v2
	global_store_dwordx2 v[0:1], v[2:3], off
	s_mov_b64 s[0:1], 0
.LBB71_2977:
	s_mov_b64 s[6:7], 0
.LBB71_2978:
	s_and_b64 vcc, exec, s[6:7]
	s_cbranch_vccz .LBB71_2993
; %bb.2979:
	s_cmp_lt_i32 s21, 27
	s_mov_b64 s[6:7], -1
	s_cbranch_scc1 .LBB71_2985
; %bb.2980:
	s_cmp_gt_i32 s21, 27
	s_cbranch_scc0 .LBB71_2982
; %bb.2981:
	global_store_dword v[0:1], v2, off
	s_mov_b64 s[6:7], 0
.LBB71_2982:
	s_andn2_b64 vcc, exec, s[6:7]
	s_cbranch_vccnz .LBB71_2984
; %bb.2983:
	global_store_short v[0:1], v2, off
.LBB71_2984:
	s_mov_b64 s[6:7], 0
.LBB71_2985:
	s_andn2_b64 vcc, exec, s[6:7]
	s_cbranch_vccnz .LBB71_2993
; %bb.2986:
	v_cvt_f32_i32_e32 v3, v2
	s_mov_b32 s6, 0x43800000
	v_mov_b32_e32 v5, 0x80
	v_and_b32_e32 v4, 0x7fffffff, v3
	v_cmp_gt_u32_e32 vcc, s6, v4
	s_and_saveexec_b64 s[6:7], vcc
	s_cbranch_execz .LBB71_2992
; %bb.2987:
	s_mov_b32 s8, 0x3bffffff
	v_cmp_lt_u32_e32 vcc, s8, v4
	s_mov_b64 s[8:9], 0
                                        ; implicit-def: $vgpr4
	s_and_saveexec_b64 s[10:11], vcc
	s_xor_b64 s[10:11], exec, s[10:11]
	s_cbranch_execz .LBB71_3098
; %bb.2988:
	v_bfe_u32 v4, v3, 20, 1
	s_mov_b32 s16, 0x487ffff
	v_add3_u32 v4, v3, v4, s16
	s_mov_b64 s[8:9], exec
	v_lshrrev_b32_e32 v4, 20, v4
	s_andn2_saveexec_b64 s[10:11], s[10:11]
	s_cbranch_execnz .LBB71_3099
.LBB71_2989:
	s_or_b64 exec, exec, s[10:11]
	v_mov_b32_e32 v5, 0
	s_and_saveexec_b64 s[10:11], s[8:9]
.LBB71_2990:
	v_lshrrev_b32_e32 v3, 24, v3
	s_movk_i32 s8, 0x80
	v_and_or_b32 v5, v3, s8, v4
.LBB71_2991:
	s_or_b64 exec, exec, s[10:11]
.LBB71_2992:
	s_or_b64 exec, exec, s[6:7]
	global_store_byte v[0:1], v5, off
.LBB71_2993:
	s_mov_b64 s[6:7], 0
.LBB71_2994:
	s_and_b64 vcc, exec, s[6:7]
	s_cbranch_vccz .LBB71_3034
; %bb.2995:
	s_cmp_gt_i32 s21, 22
	s_mov_b64 s[2:3], -1
	s_cbranch_scc0 .LBB71_3027
; %bb.2996:
	s_cmp_lt_i32 s21, 24
	s_cbranch_scc1 .LBB71_3016
; %bb.2997:
	s_cmp_gt_i32 s21, 24
	s_cbranch_scc0 .LBB71_3005
; %bb.2998:
	v_cvt_f32_i32_e32 v3, v2
	s_mov_b32 s2, 0x47800000
	v_mov_b32_e32 v5, 0x80
	v_and_b32_e32 v4, 0x7fffffff, v3
	v_cmp_gt_u32_e32 vcc, s2, v4
	s_and_saveexec_b64 s[2:3], vcc
	s_cbranch_execz .LBB71_3004
; %bb.2999:
	s_mov_b32 s6, 0x37ffffff
	v_cmp_lt_u32_e32 vcc, s6, v4
	s_mov_b64 s[6:7], 0
                                        ; implicit-def: $vgpr4
	s_and_saveexec_b64 s[8:9], vcc
	s_xor_b64 s[8:9], exec, s[8:9]
	s_cbranch_execz .LBB71_3101
; %bb.3000:
	v_bfe_u32 v4, v3, 21, 1
	s_mov_b32 s10, 0x88fffff
	v_add3_u32 v4, v3, v4, s10
	s_mov_b64 s[6:7], exec
	v_lshrrev_b32_e32 v4, 21, v4
	s_andn2_saveexec_b64 s[8:9], s[8:9]
	s_cbranch_execnz .LBB71_3102
.LBB71_3001:
	s_or_b64 exec, exec, s[8:9]
	v_mov_b32_e32 v5, 0
	s_and_saveexec_b64 s[8:9], s[6:7]
.LBB71_3002:
	v_lshrrev_b32_e32 v3, 24, v3
	s_movk_i32 s6, 0x80
	v_and_or_b32 v5, v3, s6, v4
.LBB71_3003:
	s_or_b64 exec, exec, s[8:9]
.LBB71_3004:
	s_or_b64 exec, exec, s[2:3]
	s_mov_b64 s[2:3], 0
	global_store_byte v[0:1], v5, off
.LBB71_3005:
	s_and_b64 vcc, exec, s[2:3]
	s_cbranch_vccz .LBB71_3015
; %bb.3006:
	v_cvt_f32_i32_e32 v3, v2
	s_mov_b32 s2, 0x43f00000
                                        ; implicit-def: $vgpr4
	v_and_b32_e32 v5, 0x7fffffff, v3
	v_cmp_gt_u32_e32 vcc, s2, v5
	s_and_saveexec_b64 s[2:3], vcc
	s_xor_b64 s[2:3], exec, s[2:3]
	s_cbranch_execz .LBB71_3012
; %bb.3007:
	s_mov_b32 s6, 0x3c7fffff
	v_cmp_lt_u32_e32 vcc, s6, v5
                                        ; implicit-def: $vgpr4
	s_and_saveexec_b64 s[6:7], vcc
	s_xor_b64 s[6:7], exec, s[6:7]
; %bb.3008:
	v_bfe_u32 v4, v3, 20, 1
	s_mov_b32 s8, 0x407ffff
	v_add3_u32 v4, v3, v4, s8
	v_lshrrev_b32_e32 v5, 20, v4
	v_and_b32_e32 v4, 0xff00000, v4
	s_mov_b32 s8, 0x7f00000
	v_mov_b32_e32 v6, 0x7e
	v_cmp_ne_u32_e32 vcc, s8, v4
	v_cndmask_b32_e32 v4, v6, v5, vcc
; %bb.3009:
	s_andn2_saveexec_b64 s[6:7], s[6:7]
; %bb.3010:
	s_mov_b32 s8, 0x46800000
	v_add_f32_e64 v4, |v3|, s8
; %bb.3011:
	s_or_b64 exec, exec, s[6:7]
                                        ; implicit-def: $vgpr5
.LBB71_3012:
	s_andn2_saveexec_b64 s[2:3], s[2:3]
; %bb.3013:
	s_mov_b32 s6, 0x7f800000
	v_mov_b32_e32 v4, 0x7e
	v_mov_b32_e32 v6, 0x7f
	v_cmp_lt_u32_e32 vcc, s6, v5
	v_cndmask_b32_e32 v4, v4, v6, vcc
; %bb.3014:
	s_or_b64 exec, exec, s[2:3]
	v_lshrrev_b32_e32 v3, 24, v3
	s_movk_i32 s2, 0x80
	v_and_or_b32 v3, v3, s2, v4
	global_store_byte v[0:1], v3, off
.LBB71_3015:
	s_mov_b64 s[2:3], 0
.LBB71_3016:
	s_andn2_b64 vcc, exec, s[2:3]
	s_cbranch_vccnz .LBB71_3026
; %bb.3017:
	v_cvt_f32_i32_e32 v3, v2
	s_mov_b32 s2, 0x47800000
                                        ; implicit-def: $vgpr4
	v_and_b32_e32 v5, 0x7fffffff, v3
	v_cmp_gt_u32_e32 vcc, s2, v5
	s_and_saveexec_b64 s[2:3], vcc
	s_xor_b64 s[2:3], exec, s[2:3]
	s_cbranch_execz .LBB71_3023
; %bb.3018:
	s_mov_b32 s6, 0x387fffff
	v_cmp_lt_u32_e32 vcc, s6, v5
                                        ; implicit-def: $vgpr4
	s_and_saveexec_b64 s[6:7], vcc
	s_xor_b64 s[6:7], exec, s[6:7]
; %bb.3019:
	v_bfe_u32 v4, v3, 21, 1
	s_mov_b32 s8, 0x80fffff
	v_add3_u32 v4, v3, v4, s8
	v_lshrrev_b32_e32 v4, 21, v4
; %bb.3020:
	s_andn2_saveexec_b64 s[6:7], s[6:7]
; %bb.3021:
	s_mov_b32 s8, 0x43000000
	v_add_f32_e64 v4, |v3|, s8
; %bb.3022:
	s_or_b64 exec, exec, s[6:7]
                                        ; implicit-def: $vgpr5
.LBB71_3023:
	s_andn2_saveexec_b64 s[2:3], s[2:3]
; %bb.3024:
	s_mov_b32 s6, 0x7f800000
	v_mov_b32_e32 v4, 0x7c
	v_mov_b32_e32 v6, 0x7f
	v_cmp_lt_u32_e32 vcc, s6, v5
	v_cndmask_b32_e32 v4, v4, v6, vcc
; %bb.3025:
	s_or_b64 exec, exec, s[2:3]
	v_lshrrev_b32_e32 v3, 24, v3
	s_movk_i32 s2, 0x80
	v_and_or_b32 v3, v3, s2, v4
	global_store_byte v[0:1], v3, off
.LBB71_3026:
	s_mov_b64 s[2:3], 0
.LBB71_3027:
	s_andn2_b64 vcc, exec, s[2:3]
	s_mov_b64 s[2:3], 0
	s_cbranch_vccnz .LBB71_3034
; %bb.3028:
	s_cmp_gt_i32 s21, 14
	s_mov_b64 s[6:7], -1
	s_cbranch_scc0 .LBB71_3032
; %bb.3029:
	s_cmp_eq_u32 s21, 15
	s_mov_b64 s[0:1], -1
	s_cbranch_scc0 .LBB71_3031
; %bb.3030:
	v_cvt_f32_i32_e32 v3, v2
	s_movk_i32 s0, 0x7fff
	v_bfe_u32 v4, v3, 16, 1
	v_add3_u32 v3, v3, v4, s0
	global_store_short_d16_hi v[0:1], v3, off
	s_mov_b64 s[0:1], 0
.LBB71_3031:
	s_mov_b64 s[6:7], 0
.LBB71_3032:
	s_and_b64 vcc, exec, s[6:7]
	s_cbranch_vccz .LBB71_3034
; %bb.3033:
	s_cmp_lg_u32 s21, 11
	s_mov_b64 s[2:3], -1
	s_cselect_b64 s[0:1], -1, 0
.LBB71_3034:
	s_and_b64 vcc, exec, s[0:1]
	s_cbranch_vccnz .LBB71_3100
.LBB71_3035:
	s_mov_b64 s[0:1], 0
	s_branch .LBB71_3037
.LBB71_3036:
	s_mov_b64 s[0:1], 0
	s_mov_b64 s[2:3], 0
                                        ; implicit-def: $vgpr0_vgpr1
                                        ; implicit-def: $sgpr20
                                        ; implicit-def: $vgpr2
.LBB71_3037:
	s_and_b64 s[6:7], s[2:3], exec
	s_andn2_b64 s[2:3], s[12:13], exec
	s_and_b64 s[4:5], s[4:5], exec
	s_and_b64 s[0:1], s[0:1], exec
	s_or_b64 s[12:13], s[2:3], s[4:5]
.LBB71_3038:
	s_or_b64 exec, exec, s[14:15]
	s_and_saveexec_b64 s[2:3], s[12:13]
	s_cbranch_execz .LBB71_3041
; %bb.3039:
	; divergent unreachable
	s_or_b64 exec, exec, s[2:3]
	s_and_saveexec_b64 s[2:3], s[6:7]
	s_xor_b64 s[2:3], exec, s[2:3]
	s_cbranch_execnz .LBB71_3042
.LBB71_3040:
	s_or_b64 exec, exec, s[2:3]
	s_and_saveexec_b64 s[2:3], s[0:1]
	s_cbranch_execnz .LBB71_3043
	s_branch .LBB71_3080
.LBB71_3041:
	s_or_b64 exec, exec, s[2:3]
	s_and_saveexec_b64 s[2:3], s[6:7]
	s_xor_b64 s[2:3], exec, s[2:3]
	s_cbranch_execz .LBB71_3040
.LBB71_3042:
	v_cmp_ne_u32_e32 vcc, 0, v2
	s_waitcnt vmcnt(0)
	v_cndmask_b32_e64 v3, 0, 1, vcc
	global_store_byte v[0:1], v3, off
	s_or_b64 exec, exec, s[2:3]
	s_and_saveexec_b64 s[2:3], s[0:1]
	s_cbranch_execz .LBB71_3080
.LBB71_3043:
	s_sext_i32_i16 s2, s20
	s_cmp_lt_i32 s2, 5
	s_mov_b64 s[0:1], -1
	s_cbranch_scc1 .LBB71_3064
; %bb.3044:
	s_cmp_lt_i32 s2, 8
	s_cbranch_scc1 .LBB71_3054
; %bb.3045:
	s_cmp_lt_i32 s2, 9
	s_cbranch_scc1 .LBB71_3051
; %bb.3046:
	s_cmp_gt_i32 s2, 9
	s_cbranch_scc0 .LBB71_3048
; %bb.3047:
	s_waitcnt vmcnt(0)
	v_cvt_f64_i32_e32 v[3:4], v2
	v_mov_b32_e32 v5, 0
	v_mov_b32_e32 v6, v5
	s_mov_b64 s[0:1], 0
	global_store_dwordx4 v[0:1], v[3:6], off
.LBB71_3048:
	s_andn2_b64 vcc, exec, s[0:1]
	s_cbranch_vccnz .LBB71_3050
; %bb.3049:
	s_waitcnt vmcnt(0)
	v_cvt_f32_i32_e32 v3, v2
	v_mov_b32_e32 v4, 0
	global_store_dwordx2 v[0:1], v[3:4], off
.LBB71_3050:
	s_mov_b64 s[0:1], 0
.LBB71_3051:
	s_andn2_b64 vcc, exec, s[0:1]
	s_cbranch_vccnz .LBB71_3053
; %bb.3052:
	s_waitcnt vmcnt(0)
	v_cvt_f32_i32_e32 v3, v2
	v_cvt_f16_f32_e32 v3, v3
	global_store_dword v[0:1], v3, off
.LBB71_3053:
	s_mov_b64 s[0:1], 0
.LBB71_3054:
	s_andn2_b64 vcc, exec, s[0:1]
	s_cbranch_vccnz .LBB71_3063
; %bb.3055:
	s_sext_i32_i16 s2, s20
	s_cmp_lt_i32 s2, 6
	s_mov_b64 s[0:1], -1
	s_cbranch_scc1 .LBB71_3061
; %bb.3056:
	s_cmp_gt_i32 s2, 6
	s_cbranch_scc0 .LBB71_3058
; %bb.3057:
	s_waitcnt vmcnt(0)
	v_cvt_f64_i32_e32 v[3:4], v2
	s_mov_b64 s[0:1], 0
	global_store_dwordx2 v[0:1], v[3:4], off
.LBB71_3058:
	s_andn2_b64 vcc, exec, s[0:1]
	s_cbranch_vccnz .LBB71_3060
; %bb.3059:
	s_waitcnt vmcnt(0)
	v_cvt_f32_i32_e32 v3, v2
	global_store_dword v[0:1], v3, off
.LBB71_3060:
	s_mov_b64 s[0:1], 0
.LBB71_3061:
	s_andn2_b64 vcc, exec, s[0:1]
	s_cbranch_vccnz .LBB71_3063
; %bb.3062:
	s_waitcnt vmcnt(0)
	v_cvt_f32_i32_e32 v3, v2
	v_cvt_f16_f32_e32 v3, v3
	global_store_short v[0:1], v3, off
.LBB71_3063:
	s_mov_b64 s[0:1], 0
.LBB71_3064:
	s_andn2_b64 vcc, exec, s[0:1]
	s_cbranch_vccnz .LBB71_3080
; %bb.3065:
	s_sext_i32_i16 s2, s20
	s_cmp_lt_i32 s2, 2
	s_mov_b64 s[0:1], -1
	s_cbranch_scc1 .LBB71_3075
; %bb.3066:
	s_cmp_lt_i32 s2, 3
	s_cbranch_scc1 .LBB71_3072
; %bb.3067:
	s_cmp_gt_i32 s2, 3
	s_cbranch_scc0 .LBB71_3069
; %bb.3068:
	s_waitcnt vmcnt(0)
	v_ashrrev_i32_e32 v3, 31, v2
	global_store_dwordx2 v[0:1], v[2:3], off
	s_mov_b64 s[0:1], 0
.LBB71_3069:
	s_andn2_b64 vcc, exec, s[0:1]
	s_cbranch_vccnz .LBB71_3071
; %bb.3070:
	s_waitcnt vmcnt(0)
	global_store_dword v[0:1], v2, off
.LBB71_3071:
	s_mov_b64 s[0:1], 0
.LBB71_3072:
	s_andn2_b64 vcc, exec, s[0:1]
	s_cbranch_vccnz .LBB71_3074
; %bb.3073:
	s_waitcnt vmcnt(0)
	global_store_short v[0:1], v2, off
.LBB71_3074:
	s_mov_b64 s[0:1], 0
.LBB71_3075:
	s_andn2_b64 vcc, exec, s[0:1]
	s_cbranch_vccnz .LBB71_3080
; %bb.3076:
	s_sext_i32_i16 s0, s20
	s_cmp_gt_i32 s0, 0
	s_mov_b64 s[0:1], -1
	s_cbranch_scc0 .LBB71_3078
; %bb.3077:
	s_waitcnt vmcnt(0)
	global_store_byte v[0:1], v2, off
	s_mov_b64 s[0:1], 0
.LBB71_3078:
	s_andn2_b64 vcc, exec, s[0:1]
	s_cbranch_vccnz .LBB71_3080
; %bb.3079:
	s_waitcnt vmcnt(0)
	global_store_byte v[0:1], v2, off
	s_endpgm
.LBB71_3080:
	s_endpgm
.LBB71_3081:
	s_mov_b64 s[2:3], 0
	s_mov_b64 s[0:1], -1
	s_branch .LBB71_3037
.LBB71_3082:
	s_trap 2
	s_or_b64 s[4:5], s[4:5], exec
	s_cbranch_execz .LBB71_2551
	s_branch .LBB71_2552
.LBB71_3083:
	s_andn2_saveexec_b64 s[18:19], s[18:19]
	s_cbranch_execz .LBB71_2631
.LBB71_3084:
	s_mov_b32 s22, 0x46000000
	v_add_f32_e64 v6, |v1|, s22
	v_and_b32_e32 v6, 0xff, v6
	v_cmp_ne_u32_e32 vcc, 0, v6
	s_andn2_b64 s[16:17], s[16:17], exec
	s_and_b64 s[22:23], vcc, exec
	s_or_b64 s[16:17], s[16:17], s[22:23]
	s_or_b64 exec, exec, s[18:19]
	v_mov_b32_e32 v11, 0
	s_and_saveexec_b64 s[18:19], s[16:17]
	s_cbranch_execnz .LBB71_2632
	s_branch .LBB71_2633
.LBB71_3085:
	s_trap 2
	s_or_b64 s[4:5], s[4:5], exec
	s_cbranch_execz .LBB71_2679
	s_branch .LBB71_2680
.LBB71_3086:
	s_andn2_saveexec_b64 s[16:17], s[16:17]
	s_cbranch_execz .LBB71_2644
.LBB71_3087:
	s_mov_b32 s18, 0x42800000
	v_add_f32_e64 v6, |v1|, s18
	v_and_b32_e32 v6, 0xff, v6
	v_cmp_ne_u32_e32 vcc, 0, v6
	s_andn2_b64 s[10:11], s[10:11], exec
	s_and_b64 s[18:19], vcc, exec
	s_or_b64 s[10:11], s[10:11], s[18:19]
	s_or_b64 exec, exec, s[16:17]
	v_mov_b32_e32 v11, 0
	s_and_saveexec_b64 s[16:17], s[10:11]
	s_cbranch_execnz .LBB71_2645
	s_branch .LBB71_2646
.LBB71_3088:
	s_andn2_saveexec_b64 s[18:19], s[18:19]
	s_cbranch_execz .LBB71_2750
.LBB71_3089:
	s_mov_b32 s22, 0x46000000
	v_add_f32_e64 v4, |v1|, s22
	v_and_b32_e32 v4, 0xff, v4
	v_cmp_ne_u32_e32 vcc, 0, v4
	s_andn2_b64 s[16:17], s[16:17], exec
	s_and_b64 s[22:23], vcc, exec
	s_or_b64 s[16:17], s[16:17], s[22:23]
	s_or_b64 exec, exec, s[18:19]
	v_mov_b32_e32 v7, 0
	s_and_saveexec_b64 s[18:19], s[16:17]
	s_cbranch_execnz .LBB71_2751
	s_branch .LBB71_2752
.LBB71_3090:
	s_trap 2
	s_or_b64 s[4:5], s[4:5], exec
	s_cbranch_execz .LBB71_2798
	s_branch .LBB71_2799
.LBB71_3091:
	s_andn2_saveexec_b64 s[16:17], s[16:17]
	s_cbranch_execz .LBB71_2763
.LBB71_3092:
	s_mov_b32 s18, 0x42800000
	v_add_f32_e64 v4, |v1|, s18
	v_and_b32_e32 v4, 0xff, v4
	v_cmp_ne_u32_e32 vcc, 0, v4
	s_andn2_b64 s[10:11], s[10:11], exec
	s_and_b64 s[18:19], vcc, exec
	s_or_b64 s[10:11], s[10:11], s[18:19]
	s_or_b64 exec, exec, s[16:17]
	v_mov_b32_e32 v7, 0
	s_and_saveexec_b64 s[16:17], s[10:11]
	s_cbranch_execnz .LBB71_2764
	s_branch .LBB71_2765
.LBB71_3093:
	s_andn2_saveexec_b64 s[18:19], s[18:19]
	s_cbranch_execz .LBB71_2869
.LBB71_3094:
	s_mov_b32 s22, 0x46000000
	v_add_f32_e64 v5, |v2|, s22
	v_and_b32_e32 v5, 0xff, v5
	v_cmp_ne_u32_e32 vcc, 0, v5
	s_andn2_b64 s[16:17], s[16:17], exec
	s_and_b64 s[22:23], vcc, exec
	s_or_b64 s[16:17], s[16:17], s[22:23]
	s_or_b64 exec, exec, s[18:19]
	v_mov_b32_e32 v6, 0
	s_and_saveexec_b64 s[18:19], s[16:17]
	s_cbranch_execnz .LBB71_2870
	s_branch .LBB71_2871
.LBB71_3095:
	s_trap 2
	s_or_b64 s[4:5], s[4:5], exec
	s_cbranch_execz .LBB71_2917
	s_branch .LBB71_2918
.LBB71_3096:
	s_andn2_saveexec_b64 s[16:17], s[16:17]
	s_cbranch_execz .LBB71_2882
.LBB71_3097:
	s_mov_b32 s18, 0x42800000
	v_add_f32_e64 v5, |v2|, s18
	v_and_b32_e32 v5, 0xff, v5
	v_cmp_ne_u32_e32 vcc, 0, v5
	s_andn2_b64 s[10:11], s[10:11], exec
	s_and_b64 s[18:19], vcc, exec
	s_or_b64 s[10:11], s[10:11], s[18:19]
	s_or_b64 exec, exec, s[16:17]
	v_mov_b32_e32 v6, 0
	s_and_saveexec_b64 s[16:17], s[10:11]
	s_cbranch_execnz .LBB71_2883
	s_branch .LBB71_2884
.LBB71_3098:
	s_andn2_saveexec_b64 s[10:11], s[10:11]
	s_cbranch_execz .LBB71_2989
.LBB71_3099:
	s_mov_b32 s16, 0x46000000
	v_add_f32_e64 v4, |v3|, s16
	v_and_b32_e32 v4, 0xff, v4
	v_cmp_ne_u32_e32 vcc, 0, v4
	s_andn2_b64 s[8:9], s[8:9], exec
	s_and_b64 s[16:17], vcc, exec
	s_or_b64 s[8:9], s[8:9], s[16:17]
	s_or_b64 exec, exec, s[10:11]
	v_mov_b32_e32 v5, 0
	s_and_saveexec_b64 s[10:11], s[8:9]
	s_cbranch_execnz .LBB71_2990
	s_branch .LBB71_2991
.LBB71_3100:
	s_mov_b64 s[2:3], 0
	s_or_b64 s[4:5], s[4:5], exec
	s_trap 2
	s_branch .LBB71_3035
.LBB71_3101:
	s_andn2_saveexec_b64 s[8:9], s[8:9]
	s_cbranch_execz .LBB71_3001
.LBB71_3102:
	s_mov_b32 s10, 0x42800000
	v_add_f32_e64 v4, |v3|, s10
	v_and_b32_e32 v4, 0xff, v4
	v_cmp_ne_u32_e32 vcc, 0, v4
	s_andn2_b64 s[6:7], s[6:7], exec
	s_and_b64 s[10:11], vcc, exec
	s_or_b64 s[6:7], s[6:7], s[10:11]
	s_or_b64 exec, exec, s[8:9]
	v_mov_b32_e32 v5, 0
	s_and_saveexec_b64 s[8:9], s[6:7]
	s_cbranch_execnz .LBB71_3002
	s_branch .LBB71_3003
	.section	.rodata,"a",@progbits
	.p2align	6, 0x0
	.amdhsa_kernel _ZN2at6native32elementwise_kernel_manual_unrollILi128ELi4EZNS0_15gpu_kernel_implINS0_13BinaryFunctorIiiiZNS0_12_GLOBAL__N_121threshold_kernel_implIiEEvRNS_18TensorIteratorBaseET_S8_EUliiE_EEEEvS7_RKS8_EUlibE0_EEviT1_
		.amdhsa_group_segment_fixed_size 0
		.amdhsa_private_segment_fixed_size 0
		.amdhsa_kernarg_size 440
		.amdhsa_user_sgpr_count 6
		.amdhsa_user_sgpr_private_segment_buffer 1
		.amdhsa_user_sgpr_dispatch_ptr 0
		.amdhsa_user_sgpr_queue_ptr 0
		.amdhsa_user_sgpr_kernarg_segment_ptr 1
		.amdhsa_user_sgpr_dispatch_id 0
		.amdhsa_user_sgpr_flat_scratch_init 0
		.amdhsa_user_sgpr_private_segment_size 0
		.amdhsa_uses_dynamic_stack 0
		.amdhsa_system_sgpr_private_segment_wavefront_offset 0
		.amdhsa_system_sgpr_workgroup_id_x 1
		.amdhsa_system_sgpr_workgroup_id_y 0
		.amdhsa_system_sgpr_workgroup_id_z 0
		.amdhsa_system_sgpr_workgroup_info 0
		.amdhsa_system_vgpr_workitem_id 0
		.amdhsa_next_free_vgpr 24
		.amdhsa_next_free_sgpr 82
		.amdhsa_reserve_vcc 1
		.amdhsa_reserve_flat_scratch 0
		.amdhsa_float_round_mode_32 0
		.amdhsa_float_round_mode_16_64 0
		.amdhsa_float_denorm_mode_32 3
		.amdhsa_float_denorm_mode_16_64 3
		.amdhsa_dx10_clamp 1
		.amdhsa_ieee_mode 1
		.amdhsa_fp16_overflow 0
		.amdhsa_exception_fp_ieee_invalid_op 0
		.amdhsa_exception_fp_denorm_src 0
		.amdhsa_exception_fp_ieee_div_zero 0
		.amdhsa_exception_fp_ieee_overflow 0
		.amdhsa_exception_fp_ieee_underflow 0
		.amdhsa_exception_fp_ieee_inexact 0
		.amdhsa_exception_int_div_zero 0
	.end_amdhsa_kernel
	.section	.text._ZN2at6native32elementwise_kernel_manual_unrollILi128ELi4EZNS0_15gpu_kernel_implINS0_13BinaryFunctorIiiiZNS0_12_GLOBAL__N_121threshold_kernel_implIiEEvRNS_18TensorIteratorBaseET_S8_EUliiE_EEEEvS7_RKS8_EUlibE0_EEviT1_,"axG",@progbits,_ZN2at6native32elementwise_kernel_manual_unrollILi128ELi4EZNS0_15gpu_kernel_implINS0_13BinaryFunctorIiiiZNS0_12_GLOBAL__N_121threshold_kernel_implIiEEvRNS_18TensorIteratorBaseET_S8_EUliiE_EEEEvS7_RKS8_EUlibE0_EEviT1_,comdat
.Lfunc_end71:
	.size	_ZN2at6native32elementwise_kernel_manual_unrollILi128ELi4EZNS0_15gpu_kernel_implINS0_13BinaryFunctorIiiiZNS0_12_GLOBAL__N_121threshold_kernel_implIiEEvRNS_18TensorIteratorBaseET_S8_EUliiE_EEEEvS7_RKS8_EUlibE0_EEviT1_, .Lfunc_end71-_ZN2at6native32elementwise_kernel_manual_unrollILi128ELi4EZNS0_15gpu_kernel_implINS0_13BinaryFunctorIiiiZNS0_12_GLOBAL__N_121threshold_kernel_implIiEEvRNS_18TensorIteratorBaseET_S8_EUliiE_EEEEvS7_RKS8_EUlibE0_EEviT1_
                                        ; -- End function
	.set _ZN2at6native32elementwise_kernel_manual_unrollILi128ELi4EZNS0_15gpu_kernel_implINS0_13BinaryFunctorIiiiZNS0_12_GLOBAL__N_121threshold_kernel_implIiEEvRNS_18TensorIteratorBaseET_S8_EUliiE_EEEEvS7_RKS8_EUlibE0_EEviT1_.num_vgpr, 24
	.set _ZN2at6native32elementwise_kernel_manual_unrollILi128ELi4EZNS0_15gpu_kernel_implINS0_13BinaryFunctorIiiiZNS0_12_GLOBAL__N_121threshold_kernel_implIiEEvRNS_18TensorIteratorBaseET_S8_EUliiE_EEEEvS7_RKS8_EUlibE0_EEviT1_.num_agpr, 0
	.set _ZN2at6native32elementwise_kernel_manual_unrollILi128ELi4EZNS0_15gpu_kernel_implINS0_13BinaryFunctorIiiiZNS0_12_GLOBAL__N_121threshold_kernel_implIiEEvRNS_18TensorIteratorBaseET_S8_EUliiE_EEEEvS7_RKS8_EUlibE0_EEviT1_.numbered_sgpr, 82
	.set _ZN2at6native32elementwise_kernel_manual_unrollILi128ELi4EZNS0_15gpu_kernel_implINS0_13BinaryFunctorIiiiZNS0_12_GLOBAL__N_121threshold_kernel_implIiEEvRNS_18TensorIteratorBaseET_S8_EUliiE_EEEEvS7_RKS8_EUlibE0_EEviT1_.num_named_barrier, 0
	.set _ZN2at6native32elementwise_kernel_manual_unrollILi128ELi4EZNS0_15gpu_kernel_implINS0_13BinaryFunctorIiiiZNS0_12_GLOBAL__N_121threshold_kernel_implIiEEvRNS_18TensorIteratorBaseET_S8_EUliiE_EEEEvS7_RKS8_EUlibE0_EEviT1_.private_seg_size, 0
	.set _ZN2at6native32elementwise_kernel_manual_unrollILi128ELi4EZNS0_15gpu_kernel_implINS0_13BinaryFunctorIiiiZNS0_12_GLOBAL__N_121threshold_kernel_implIiEEvRNS_18TensorIteratorBaseET_S8_EUliiE_EEEEvS7_RKS8_EUlibE0_EEviT1_.uses_vcc, 1
	.set _ZN2at6native32elementwise_kernel_manual_unrollILi128ELi4EZNS0_15gpu_kernel_implINS0_13BinaryFunctorIiiiZNS0_12_GLOBAL__N_121threshold_kernel_implIiEEvRNS_18TensorIteratorBaseET_S8_EUliiE_EEEEvS7_RKS8_EUlibE0_EEviT1_.uses_flat_scratch, 0
	.set _ZN2at6native32elementwise_kernel_manual_unrollILi128ELi4EZNS0_15gpu_kernel_implINS0_13BinaryFunctorIiiiZNS0_12_GLOBAL__N_121threshold_kernel_implIiEEvRNS_18TensorIteratorBaseET_S8_EUliiE_EEEEvS7_RKS8_EUlibE0_EEviT1_.has_dyn_sized_stack, 0
	.set _ZN2at6native32elementwise_kernel_manual_unrollILi128ELi4EZNS0_15gpu_kernel_implINS0_13BinaryFunctorIiiiZNS0_12_GLOBAL__N_121threshold_kernel_implIiEEvRNS_18TensorIteratorBaseET_S8_EUliiE_EEEEvS7_RKS8_EUlibE0_EEviT1_.has_recursion, 0
	.set _ZN2at6native32elementwise_kernel_manual_unrollILi128ELi4EZNS0_15gpu_kernel_implINS0_13BinaryFunctorIiiiZNS0_12_GLOBAL__N_121threshold_kernel_implIiEEvRNS_18TensorIteratorBaseET_S8_EUliiE_EEEEvS7_RKS8_EUlibE0_EEviT1_.has_indirect_call, 0
	.section	.AMDGPU.csdata,"",@progbits
; Kernel info:
; codeLenInByte = 47760
; TotalNumSgprs: 86
; NumVgprs: 24
; ScratchSize: 0
; MemoryBound: 1
; FloatMode: 240
; IeeeMode: 1
; LDSByteSize: 0 bytes/workgroup (compile time only)
; SGPRBlocks: 10
; VGPRBlocks: 5
; NumSGPRsForWavesPerEU: 86
; NumVGPRsForWavesPerEU: 24
; Occupancy: 9
; WaveLimiterHint : 1
; COMPUTE_PGM_RSRC2:SCRATCH_EN: 0
; COMPUTE_PGM_RSRC2:USER_SGPR: 6
; COMPUTE_PGM_RSRC2:TRAP_HANDLER: 0
; COMPUTE_PGM_RSRC2:TGID_X_EN: 1
; COMPUTE_PGM_RSRC2:TGID_Y_EN: 0
; COMPUTE_PGM_RSRC2:TGID_Z_EN: 0
; COMPUTE_PGM_RSRC2:TIDIG_COMP_CNT: 0
	.section	.text._ZN2at6native29vectorized_elementwise_kernelILi16ENS0_13AUnaryFunctorIlllZNS0_12_GLOBAL__N_121threshold_kernel_implIlEEvRNS_18TensorIteratorBaseET_S7_EUlllE_EESt5arrayIPcLm2EEEEviT0_T1_,"axG",@progbits,_ZN2at6native29vectorized_elementwise_kernelILi16ENS0_13AUnaryFunctorIlllZNS0_12_GLOBAL__N_121threshold_kernel_implIlEEvRNS_18TensorIteratorBaseET_S7_EUlllE_EESt5arrayIPcLm2EEEEviT0_T1_,comdat
	.globl	_ZN2at6native29vectorized_elementwise_kernelILi16ENS0_13AUnaryFunctorIlllZNS0_12_GLOBAL__N_121threshold_kernel_implIlEEvRNS_18TensorIteratorBaseET_S7_EUlllE_EESt5arrayIPcLm2EEEEviT0_T1_ ; -- Begin function _ZN2at6native29vectorized_elementwise_kernelILi16ENS0_13AUnaryFunctorIlllZNS0_12_GLOBAL__N_121threshold_kernel_implIlEEvRNS_18TensorIteratorBaseET_S7_EUlllE_EESt5arrayIPcLm2EEEEviT0_T1_
	.p2align	8
	.type	_ZN2at6native29vectorized_elementwise_kernelILi16ENS0_13AUnaryFunctorIlllZNS0_12_GLOBAL__N_121threshold_kernel_implIlEEvRNS_18TensorIteratorBaseET_S7_EUlllE_EESt5arrayIPcLm2EEEEviT0_T1_,@function
_ZN2at6native29vectorized_elementwise_kernelILi16ENS0_13AUnaryFunctorIlllZNS0_12_GLOBAL__N_121threshold_kernel_implIlEEvRNS_18TensorIteratorBaseET_S7_EUlllE_EESt5arrayIPcLm2EEEEviT0_T1_: ; @_ZN2at6native29vectorized_elementwise_kernelILi16ENS0_13AUnaryFunctorIlllZNS0_12_GLOBAL__N_121threshold_kernel_implIlEEvRNS_18TensorIteratorBaseET_S7_EUlllE_EESt5arrayIPcLm2EEEEviT0_T1_
; %bb.0:
	s_load_dword s0, s[4:5], 0x0
	s_load_dwordx8 s[8:15], s[4:5], 0x8
	s_load_dwordx2 s[2:3], s[4:5], 0x28
	s_lshl_b32 s4, s6, 10
	s_waitcnt lgkmcnt(0)
	s_sub_i32 s16, s0, s4
	s_cmpk_gt_i32 s16, 0x3ff
	s_mov_b64 s[0:1], -1
	s_cbranch_scc0 .LBB72_2
; %bb.1:
	s_ashr_i32 s5, s4, 31
	s_lshl_b64 s[0:1], s[4:5], 3
	s_add_u32 s6, s2, s0
	s_addc_u32 s7, s3, s1
	v_lshlrev_b32_e32 v11, 5, v0
	global_load_dwordx4 v[1:4], v11, s[6:7]
	global_load_dwordx4 v[5:8], v11, s[6:7] offset:16
	v_mov_b32_e32 v10, s9
	v_mov_b32_e32 v9, s8
	v_cmp_gt_i64_e32 vcc, s[12:13], v[9:10]
	v_mov_b32_e32 v12, s11
	v_mov_b32_e32 v13, s10
	s_add_u32 s0, s14, s0
	s_addc_u32 s1, s15, s1
	s_waitcnt vmcnt(1)
	v_cndmask_b32_e32 v2, v12, v2, vcc
	v_cndmask_b32_e32 v1, v13, v1, vcc
	;; [unrolled: 1-line block ×4, first 2 shown]
	s_waitcnt vmcnt(0)
	v_cndmask_b32_e32 v6, v12, v6, vcc
	v_cndmask_b32_e32 v5, v13, v5, vcc
	;; [unrolled: 1-line block ×4, first 2 shown]
	global_store_dwordx4 v11, v[1:4], s[0:1]
	global_store_dwordx4 v11, v[5:8], s[0:1] offset:16
	s_mov_b64 s[0:1], 0
.LBB72_2:
	s_andn2_b64 vcc, exec, s[0:1]
	s_cbranch_vccnz .LBB72_16
; %bb.3:
	v_mov_b32_e32 v3, 0
	v_mov_b32_e32 v5, 0
	v_cmp_gt_i32_e32 vcc, s16, v0
	v_mov_b32_e32 v4, 0
	v_or_b32_e32 v1, s4, v0
	v_mov_b32_e32 v6, 0
	v_mov_b32_e32 v2, v0
	s_and_saveexec_b64 s[6:7], vcc
	s_cbranch_execz .LBB72_5
; %bb.4:
	v_mov_b32_e32 v2, 0
	v_lshlrev_b64 v[5:6], 3, v[1:2]
	v_mov_b32_e32 v2, s3
	v_add_co_u32_e64 v5, s[0:1], s2, v5
	v_addc_co_u32_e64 v6, s[0:1], v2, v6, s[0:1]
	global_load_dwordx2 v[5:6], v[5:6], off
	v_or_b32_e32 v2, 0x100, v0
.LBB72_5:
	s_or_b64 exec, exec, s[6:7]
	v_cmp_gt_i32_e64 s[0:1], s16, v2
	s_and_saveexec_b64 s[6:7], s[0:1]
	s_cbranch_execz .LBB72_7
; %bb.6:
	v_add_u32_e32 v3, s4, v2
	v_mov_b32_e32 v4, 0
	v_lshlrev_b64 v[3:4], 3, v[3:4]
	v_mov_b32_e32 v7, s3
	v_add_co_u32_e64 v3, s[0:1], s2, v3
	v_addc_co_u32_e64 v4, s[0:1], v7, v4, s[0:1]
	global_load_dwordx2 v[3:4], v[3:4], off
	v_add_u32_e32 v2, 0x100, v2
.LBB72_7:
	s_or_b64 exec, exec, s[6:7]
	v_mov_b32_e32 v7, 0
	v_mov_b32_e32 v11, 0
	;; [unrolled: 1-line block ×4, first 2 shown]
	v_cmp_gt_i32_e64 s[0:1], s16, v2
	s_and_saveexec_b64 s[6:7], s[0:1]
	s_cbranch_execz .LBB72_9
; %bb.8:
	v_add_u32_e32 v9, s4, v2
	v_mov_b32_e32 v10, 0
	v_lshlrev_b64 v[9:10], 3, v[9:10]
	v_mov_b32_e32 v11, s3
	v_add_co_u32_e64 v9, s[0:1], s2, v9
	v_addc_co_u32_e64 v10, s[0:1], v11, v10, s[0:1]
	global_load_dwordx2 v[11:12], v[9:10], off
	v_add_u32_e32 v2, 0x100, v2
.LBB72_9:
	s_or_b64 exec, exec, s[6:7]
	v_cmp_gt_i32_e64 s[0:1], s16, v2
	s_and_saveexec_b64 s[6:7], s[0:1]
	s_cbranch_execz .LBB72_11
; %bb.10:
	v_add_u32_e32 v7, s4, v2
	v_mov_b32_e32 v8, 0
	v_lshlrev_b64 v[7:8], 3, v[7:8]
	v_mov_b32_e32 v2, s3
	v_add_co_u32_e64 v7, s[0:1], s2, v7
	v_addc_co_u32_e64 v8, s[0:1], v2, v8, s[0:1]
	global_load_dwordx2 v[7:8], v[7:8], off
.LBB72_11:
	s_or_b64 exec, exec, s[6:7]
	v_mov_b32_e32 v10, s9
	v_mov_b32_e32 v9, s8
	v_cmp_gt_i64_e64 s[0:1], s[12:13], v[9:10]
	v_mov_b32_e32 v2, s10
	v_or_b32_e32 v15, 0x100, v0
	v_mov_b32_e32 v16, s11
	s_waitcnt vmcnt(0)
	v_cndmask_b32_e64 v3, v2, v3, s[0:1]
	v_cmp_gt_i32_e64 s[2:3], s16, v15
	v_cndmask_b32_e64 v5, v2, v5, s[0:1]
	v_cndmask_b32_e64 v4, v16, v4, s[0:1]
	;; [unrolled: 1-line block ×3, first 2 shown]
	v_or_b32_e32 v3, 0x200, v0
	v_cndmask_b32_e64 v6, v16, v6, s[0:1]
	v_cndmask_b32_e32 v13, 0, v5, vcc
	v_cndmask_b32_e64 v10, 0, v4, s[2:3]
	v_cndmask_b32_e64 v4, v2, v11, s[0:1]
	;; [unrolled: 1-line block ×3, first 2 shown]
	v_cmp_gt_i32_e64 s[2:3], s16, v3
	v_or_b32_e32 v3, 0x300, v0
	v_cndmask_b32_e32 v14, 0, v6, vcc
	v_cndmask_b32_e64 v6, 0, v5, s[2:3]
	v_cndmask_b32_e64 v5, 0, v4, s[2:3]
	;; [unrolled: 1-line block ×4, first 2 shown]
	v_cmp_gt_i32_e64 s[0:1], s16, v3
	v_cndmask_b32_e64 v4, 0, v4, s[0:1]
	v_cndmask_b32_e64 v3, 0, v2, s[0:1]
	s_and_saveexec_b64 s[0:1], vcc
	s_cbranch_execnz .LBB72_17
; %bb.12:
	s_or_b64 exec, exec, s[0:1]
	v_cmp_gt_i32_e32 vcc, s16, v0
	s_and_saveexec_b64 s[0:1], vcc
	s_cbranch_execnz .LBB72_18
.LBB72_13:
	s_or_b64 exec, exec, s[0:1]
	v_cmp_gt_i32_e32 vcc, s16, v0
	s_and_saveexec_b64 s[0:1], vcc
	s_cbranch_execnz .LBB72_19
.LBB72_14:
	s_or_b64 exec, exec, s[0:1]
	v_cmp_gt_i32_e32 vcc, s16, v0
	s_and_saveexec_b64 s[0:1], vcc
	s_cbranch_execz .LBB72_16
.LBB72_15:
	v_add_u32_e32 v0, s4, v0
	v_mov_b32_e32 v1, 0
	v_lshlrev_b64 v[0:1], 3, v[0:1]
	v_mov_b32_e32 v2, s15
	v_add_co_u32_e32 v0, vcc, s14, v0
	v_addc_co_u32_e32 v1, vcc, v2, v1, vcc
	global_store_dwordx2 v[0:1], v[3:4], off
.LBB72_16:
	s_endpgm
.LBB72_17:
	v_mov_b32_e32 v2, 0
	v_lshlrev_b64 v[0:1], 3, v[1:2]
	v_mov_b32_e32 v2, s15
	v_add_co_u32_e32 v0, vcc, s14, v0
	v_addc_co_u32_e32 v1, vcc, v2, v1, vcc
	global_store_dwordx2 v[0:1], v[13:14], off
	v_mov_b32_e32 v0, v15
	s_or_b64 exec, exec, s[0:1]
	v_cmp_gt_i32_e32 vcc, s16, v0
	s_and_saveexec_b64 s[0:1], vcc
	s_cbranch_execz .LBB72_13
.LBB72_18:
	v_add_u32_e32 v1, s4, v0
	v_mov_b32_e32 v2, 0
	v_lshlrev_b64 v[1:2], 3, v[1:2]
	v_mov_b32_e32 v7, s15
	v_add_co_u32_e32 v1, vcc, s14, v1
	v_addc_co_u32_e32 v2, vcc, v7, v2, vcc
	v_add_u32_e32 v0, 0x100, v0
	global_store_dwordx2 v[1:2], v[9:10], off
	s_or_b64 exec, exec, s[0:1]
	v_cmp_gt_i32_e32 vcc, s16, v0
	s_and_saveexec_b64 s[0:1], vcc
	s_cbranch_execz .LBB72_14
.LBB72_19:
	v_add_u32_e32 v1, s4, v0
	v_mov_b32_e32 v2, 0
	v_lshlrev_b64 v[1:2], 3, v[1:2]
	v_mov_b32_e32 v7, s15
	v_add_co_u32_e32 v1, vcc, s14, v1
	v_addc_co_u32_e32 v2, vcc, v7, v2, vcc
	v_add_u32_e32 v0, 0x100, v0
	global_store_dwordx2 v[1:2], v[5:6], off
	s_or_b64 exec, exec, s[0:1]
	v_cmp_gt_i32_e32 vcc, s16, v0
	s_and_saveexec_b64 s[0:1], vcc
	s_cbranch_execnz .LBB72_15
	s_branch .LBB72_16
	.section	.rodata,"a",@progbits
	.p2align	6, 0x0
	.amdhsa_kernel _ZN2at6native29vectorized_elementwise_kernelILi16ENS0_13AUnaryFunctorIlllZNS0_12_GLOBAL__N_121threshold_kernel_implIlEEvRNS_18TensorIteratorBaseET_S7_EUlllE_EESt5arrayIPcLm2EEEEviT0_T1_
		.amdhsa_group_segment_fixed_size 0
		.amdhsa_private_segment_fixed_size 0
		.amdhsa_kernarg_size 48
		.amdhsa_user_sgpr_count 6
		.amdhsa_user_sgpr_private_segment_buffer 1
		.amdhsa_user_sgpr_dispatch_ptr 0
		.amdhsa_user_sgpr_queue_ptr 0
		.amdhsa_user_sgpr_kernarg_segment_ptr 1
		.amdhsa_user_sgpr_dispatch_id 0
		.amdhsa_user_sgpr_flat_scratch_init 0
		.amdhsa_user_sgpr_private_segment_size 0
		.amdhsa_uses_dynamic_stack 0
		.amdhsa_system_sgpr_private_segment_wavefront_offset 0
		.amdhsa_system_sgpr_workgroup_id_x 1
		.amdhsa_system_sgpr_workgroup_id_y 0
		.amdhsa_system_sgpr_workgroup_id_z 0
		.amdhsa_system_sgpr_workgroup_info 0
		.amdhsa_system_vgpr_workitem_id 0
		.amdhsa_next_free_vgpr 17
		.amdhsa_next_free_sgpr 17
		.amdhsa_reserve_vcc 1
		.amdhsa_reserve_flat_scratch 0
		.amdhsa_float_round_mode_32 0
		.amdhsa_float_round_mode_16_64 0
		.amdhsa_float_denorm_mode_32 3
		.amdhsa_float_denorm_mode_16_64 3
		.amdhsa_dx10_clamp 1
		.amdhsa_ieee_mode 1
		.amdhsa_fp16_overflow 0
		.amdhsa_exception_fp_ieee_invalid_op 0
		.amdhsa_exception_fp_denorm_src 0
		.amdhsa_exception_fp_ieee_div_zero 0
		.amdhsa_exception_fp_ieee_overflow 0
		.amdhsa_exception_fp_ieee_underflow 0
		.amdhsa_exception_fp_ieee_inexact 0
		.amdhsa_exception_int_div_zero 0
	.end_amdhsa_kernel
	.section	.text._ZN2at6native29vectorized_elementwise_kernelILi16ENS0_13AUnaryFunctorIlllZNS0_12_GLOBAL__N_121threshold_kernel_implIlEEvRNS_18TensorIteratorBaseET_S7_EUlllE_EESt5arrayIPcLm2EEEEviT0_T1_,"axG",@progbits,_ZN2at6native29vectorized_elementwise_kernelILi16ENS0_13AUnaryFunctorIlllZNS0_12_GLOBAL__N_121threshold_kernel_implIlEEvRNS_18TensorIteratorBaseET_S7_EUlllE_EESt5arrayIPcLm2EEEEviT0_T1_,comdat
.Lfunc_end72:
	.size	_ZN2at6native29vectorized_elementwise_kernelILi16ENS0_13AUnaryFunctorIlllZNS0_12_GLOBAL__N_121threshold_kernel_implIlEEvRNS_18TensorIteratorBaseET_S7_EUlllE_EESt5arrayIPcLm2EEEEviT0_T1_, .Lfunc_end72-_ZN2at6native29vectorized_elementwise_kernelILi16ENS0_13AUnaryFunctorIlllZNS0_12_GLOBAL__N_121threshold_kernel_implIlEEvRNS_18TensorIteratorBaseET_S7_EUlllE_EESt5arrayIPcLm2EEEEviT0_T1_
                                        ; -- End function
	.set _ZN2at6native29vectorized_elementwise_kernelILi16ENS0_13AUnaryFunctorIlllZNS0_12_GLOBAL__N_121threshold_kernel_implIlEEvRNS_18TensorIteratorBaseET_S7_EUlllE_EESt5arrayIPcLm2EEEEviT0_T1_.num_vgpr, 17
	.set _ZN2at6native29vectorized_elementwise_kernelILi16ENS0_13AUnaryFunctorIlllZNS0_12_GLOBAL__N_121threshold_kernel_implIlEEvRNS_18TensorIteratorBaseET_S7_EUlllE_EESt5arrayIPcLm2EEEEviT0_T1_.num_agpr, 0
	.set _ZN2at6native29vectorized_elementwise_kernelILi16ENS0_13AUnaryFunctorIlllZNS0_12_GLOBAL__N_121threshold_kernel_implIlEEvRNS_18TensorIteratorBaseET_S7_EUlllE_EESt5arrayIPcLm2EEEEviT0_T1_.numbered_sgpr, 17
	.set _ZN2at6native29vectorized_elementwise_kernelILi16ENS0_13AUnaryFunctorIlllZNS0_12_GLOBAL__N_121threshold_kernel_implIlEEvRNS_18TensorIteratorBaseET_S7_EUlllE_EESt5arrayIPcLm2EEEEviT0_T1_.num_named_barrier, 0
	.set _ZN2at6native29vectorized_elementwise_kernelILi16ENS0_13AUnaryFunctorIlllZNS0_12_GLOBAL__N_121threshold_kernel_implIlEEvRNS_18TensorIteratorBaseET_S7_EUlllE_EESt5arrayIPcLm2EEEEviT0_T1_.private_seg_size, 0
	.set _ZN2at6native29vectorized_elementwise_kernelILi16ENS0_13AUnaryFunctorIlllZNS0_12_GLOBAL__N_121threshold_kernel_implIlEEvRNS_18TensorIteratorBaseET_S7_EUlllE_EESt5arrayIPcLm2EEEEviT0_T1_.uses_vcc, 1
	.set _ZN2at6native29vectorized_elementwise_kernelILi16ENS0_13AUnaryFunctorIlllZNS0_12_GLOBAL__N_121threshold_kernel_implIlEEvRNS_18TensorIteratorBaseET_S7_EUlllE_EESt5arrayIPcLm2EEEEviT0_T1_.uses_flat_scratch, 0
	.set _ZN2at6native29vectorized_elementwise_kernelILi16ENS0_13AUnaryFunctorIlllZNS0_12_GLOBAL__N_121threshold_kernel_implIlEEvRNS_18TensorIteratorBaseET_S7_EUlllE_EESt5arrayIPcLm2EEEEviT0_T1_.has_dyn_sized_stack, 0
	.set _ZN2at6native29vectorized_elementwise_kernelILi16ENS0_13AUnaryFunctorIlllZNS0_12_GLOBAL__N_121threshold_kernel_implIlEEvRNS_18TensorIteratorBaseET_S7_EUlllE_EESt5arrayIPcLm2EEEEviT0_T1_.has_recursion, 0
	.set _ZN2at6native29vectorized_elementwise_kernelILi16ENS0_13AUnaryFunctorIlllZNS0_12_GLOBAL__N_121threshold_kernel_implIlEEvRNS_18TensorIteratorBaseET_S7_EUlllE_EESt5arrayIPcLm2EEEEviT0_T1_.has_indirect_call, 0
	.section	.AMDGPU.csdata,"",@progbits
; Kernel info:
; codeLenInByte = 960
; TotalNumSgprs: 21
; NumVgprs: 17
; ScratchSize: 0
; MemoryBound: 0
; FloatMode: 240
; IeeeMode: 1
; LDSByteSize: 0 bytes/workgroup (compile time only)
; SGPRBlocks: 2
; VGPRBlocks: 4
; NumSGPRsForWavesPerEU: 21
; NumVGPRsForWavesPerEU: 17
; Occupancy: 10
; WaveLimiterHint : 0
; COMPUTE_PGM_RSRC2:SCRATCH_EN: 0
; COMPUTE_PGM_RSRC2:USER_SGPR: 6
; COMPUTE_PGM_RSRC2:TRAP_HANDLER: 0
; COMPUTE_PGM_RSRC2:TGID_X_EN: 1
; COMPUTE_PGM_RSRC2:TGID_Y_EN: 0
; COMPUTE_PGM_RSRC2:TGID_Z_EN: 0
; COMPUTE_PGM_RSRC2:TIDIG_COMP_CNT: 0
	.section	.text._ZN2at6native29vectorized_elementwise_kernelILi8ENS0_13AUnaryFunctorIlllZNS0_12_GLOBAL__N_121threshold_kernel_implIlEEvRNS_18TensorIteratorBaseET_S7_EUlllE_EESt5arrayIPcLm2EEEEviT0_T1_,"axG",@progbits,_ZN2at6native29vectorized_elementwise_kernelILi8ENS0_13AUnaryFunctorIlllZNS0_12_GLOBAL__N_121threshold_kernel_implIlEEvRNS_18TensorIteratorBaseET_S7_EUlllE_EESt5arrayIPcLm2EEEEviT0_T1_,comdat
	.globl	_ZN2at6native29vectorized_elementwise_kernelILi8ENS0_13AUnaryFunctorIlllZNS0_12_GLOBAL__N_121threshold_kernel_implIlEEvRNS_18TensorIteratorBaseET_S7_EUlllE_EESt5arrayIPcLm2EEEEviT0_T1_ ; -- Begin function _ZN2at6native29vectorized_elementwise_kernelILi8ENS0_13AUnaryFunctorIlllZNS0_12_GLOBAL__N_121threshold_kernel_implIlEEvRNS_18TensorIteratorBaseET_S7_EUlllE_EESt5arrayIPcLm2EEEEviT0_T1_
	.p2align	8
	.type	_ZN2at6native29vectorized_elementwise_kernelILi8ENS0_13AUnaryFunctorIlllZNS0_12_GLOBAL__N_121threshold_kernel_implIlEEvRNS_18TensorIteratorBaseET_S7_EUlllE_EESt5arrayIPcLm2EEEEviT0_T1_,@function
_ZN2at6native29vectorized_elementwise_kernelILi8ENS0_13AUnaryFunctorIlllZNS0_12_GLOBAL__N_121threshold_kernel_implIlEEvRNS_18TensorIteratorBaseET_S7_EUlllE_EESt5arrayIPcLm2EEEEviT0_T1_: ; @_ZN2at6native29vectorized_elementwise_kernelILi8ENS0_13AUnaryFunctorIlllZNS0_12_GLOBAL__N_121threshold_kernel_implIlEEvRNS_18TensorIteratorBaseET_S7_EUlllE_EESt5arrayIPcLm2EEEEviT0_T1_
; %bb.0:
	s_load_dword s0, s[4:5], 0x0
	s_load_dwordx8 s[8:15], s[4:5], 0x8
	s_load_dwordx2 s[2:3], s[4:5], 0x28
	s_lshl_b32 s4, s6, 10
	s_waitcnt lgkmcnt(0)
	s_sub_i32 s16, s0, s4
	s_cmpk_gt_i32 s16, 0x3ff
	s_mov_b64 s[0:1], -1
	s_cbranch_scc0 .LBB73_2
; %bb.1:
	s_ashr_i32 s5, s4, 31
	s_lshl_b64 s[0:1], s[4:5], 3
	s_add_u32 s6, s2, s0
	s_addc_u32 s7, s3, s1
	v_lshlrev_b32_e32 v11, 5, v0
	global_load_dwordx4 v[1:4], v11, s[6:7]
	global_load_dwordx4 v[5:8], v11, s[6:7] offset:16
	v_mov_b32_e32 v10, s9
	v_mov_b32_e32 v9, s8
	v_cmp_gt_i64_e32 vcc, s[12:13], v[9:10]
	v_mov_b32_e32 v12, s11
	v_mov_b32_e32 v13, s10
	s_add_u32 s0, s14, s0
	s_addc_u32 s1, s15, s1
	s_waitcnt vmcnt(1)
	v_cndmask_b32_e32 v2, v12, v2, vcc
	v_cndmask_b32_e32 v1, v13, v1, vcc
	;; [unrolled: 1-line block ×4, first 2 shown]
	s_waitcnt vmcnt(0)
	v_cndmask_b32_e32 v6, v12, v6, vcc
	v_cndmask_b32_e32 v5, v13, v5, vcc
	;; [unrolled: 1-line block ×4, first 2 shown]
	global_store_dwordx4 v11, v[1:4], s[0:1]
	global_store_dwordx4 v11, v[5:8], s[0:1] offset:16
	s_mov_b64 s[0:1], 0
.LBB73_2:
	s_andn2_b64 vcc, exec, s[0:1]
	s_cbranch_vccnz .LBB73_16
; %bb.3:
	v_mov_b32_e32 v3, 0
	v_mov_b32_e32 v5, 0
	v_cmp_gt_i32_e32 vcc, s16, v0
	v_mov_b32_e32 v4, 0
	v_or_b32_e32 v1, s4, v0
	v_mov_b32_e32 v6, 0
	v_mov_b32_e32 v2, v0
	s_and_saveexec_b64 s[6:7], vcc
	s_cbranch_execz .LBB73_5
; %bb.4:
	v_mov_b32_e32 v2, 0
	v_lshlrev_b64 v[5:6], 3, v[1:2]
	v_mov_b32_e32 v2, s3
	v_add_co_u32_e64 v5, s[0:1], s2, v5
	v_addc_co_u32_e64 v6, s[0:1], v2, v6, s[0:1]
	global_load_dwordx2 v[5:6], v[5:6], off
	v_or_b32_e32 v2, 0x100, v0
.LBB73_5:
	s_or_b64 exec, exec, s[6:7]
	v_cmp_gt_i32_e64 s[0:1], s16, v2
	s_and_saveexec_b64 s[6:7], s[0:1]
	s_cbranch_execz .LBB73_7
; %bb.6:
	v_add_u32_e32 v3, s4, v2
	v_mov_b32_e32 v4, 0
	v_lshlrev_b64 v[3:4], 3, v[3:4]
	v_mov_b32_e32 v7, s3
	v_add_co_u32_e64 v3, s[0:1], s2, v3
	v_addc_co_u32_e64 v4, s[0:1], v7, v4, s[0:1]
	global_load_dwordx2 v[3:4], v[3:4], off
	v_add_u32_e32 v2, 0x100, v2
.LBB73_7:
	s_or_b64 exec, exec, s[6:7]
	v_mov_b32_e32 v7, 0
	v_mov_b32_e32 v11, 0
	;; [unrolled: 1-line block ×4, first 2 shown]
	v_cmp_gt_i32_e64 s[0:1], s16, v2
	s_and_saveexec_b64 s[6:7], s[0:1]
	s_cbranch_execz .LBB73_9
; %bb.8:
	v_add_u32_e32 v9, s4, v2
	v_mov_b32_e32 v10, 0
	v_lshlrev_b64 v[9:10], 3, v[9:10]
	v_mov_b32_e32 v11, s3
	v_add_co_u32_e64 v9, s[0:1], s2, v9
	v_addc_co_u32_e64 v10, s[0:1], v11, v10, s[0:1]
	global_load_dwordx2 v[11:12], v[9:10], off
	v_add_u32_e32 v2, 0x100, v2
.LBB73_9:
	s_or_b64 exec, exec, s[6:7]
	v_cmp_gt_i32_e64 s[0:1], s16, v2
	s_and_saveexec_b64 s[6:7], s[0:1]
	s_cbranch_execz .LBB73_11
; %bb.10:
	v_add_u32_e32 v7, s4, v2
	v_mov_b32_e32 v8, 0
	v_lshlrev_b64 v[7:8], 3, v[7:8]
	v_mov_b32_e32 v2, s3
	v_add_co_u32_e64 v7, s[0:1], s2, v7
	v_addc_co_u32_e64 v8, s[0:1], v2, v8, s[0:1]
	global_load_dwordx2 v[7:8], v[7:8], off
.LBB73_11:
	s_or_b64 exec, exec, s[6:7]
	v_mov_b32_e32 v10, s9
	v_mov_b32_e32 v9, s8
	v_cmp_gt_i64_e64 s[0:1], s[12:13], v[9:10]
	v_mov_b32_e32 v2, s10
	v_or_b32_e32 v15, 0x100, v0
	v_mov_b32_e32 v16, s11
	s_waitcnt vmcnt(0)
	v_cndmask_b32_e64 v3, v2, v3, s[0:1]
	v_cmp_gt_i32_e64 s[2:3], s16, v15
	v_cndmask_b32_e64 v5, v2, v5, s[0:1]
	v_cndmask_b32_e64 v4, v16, v4, s[0:1]
	v_cndmask_b32_e64 v9, 0, v3, s[2:3]
	v_or_b32_e32 v3, 0x200, v0
	v_cndmask_b32_e64 v6, v16, v6, s[0:1]
	v_cndmask_b32_e32 v13, 0, v5, vcc
	v_cndmask_b32_e64 v10, 0, v4, s[2:3]
	v_cndmask_b32_e64 v4, v2, v11, s[0:1]
	;; [unrolled: 1-line block ×3, first 2 shown]
	v_cmp_gt_i32_e64 s[2:3], s16, v3
	v_or_b32_e32 v3, 0x300, v0
	v_cndmask_b32_e32 v14, 0, v6, vcc
	v_cndmask_b32_e64 v6, 0, v5, s[2:3]
	v_cndmask_b32_e64 v5, 0, v4, s[2:3]
	;; [unrolled: 1-line block ×4, first 2 shown]
	v_cmp_gt_i32_e64 s[0:1], s16, v3
	v_cndmask_b32_e64 v4, 0, v4, s[0:1]
	v_cndmask_b32_e64 v3, 0, v2, s[0:1]
	s_and_saveexec_b64 s[0:1], vcc
	s_cbranch_execnz .LBB73_17
; %bb.12:
	s_or_b64 exec, exec, s[0:1]
	v_cmp_gt_i32_e32 vcc, s16, v0
	s_and_saveexec_b64 s[0:1], vcc
	s_cbranch_execnz .LBB73_18
.LBB73_13:
	s_or_b64 exec, exec, s[0:1]
	v_cmp_gt_i32_e32 vcc, s16, v0
	s_and_saveexec_b64 s[0:1], vcc
	s_cbranch_execnz .LBB73_19
.LBB73_14:
	s_or_b64 exec, exec, s[0:1]
	v_cmp_gt_i32_e32 vcc, s16, v0
	s_and_saveexec_b64 s[0:1], vcc
	s_cbranch_execz .LBB73_16
.LBB73_15:
	v_add_u32_e32 v0, s4, v0
	v_mov_b32_e32 v1, 0
	v_lshlrev_b64 v[0:1], 3, v[0:1]
	v_mov_b32_e32 v2, s15
	v_add_co_u32_e32 v0, vcc, s14, v0
	v_addc_co_u32_e32 v1, vcc, v2, v1, vcc
	global_store_dwordx2 v[0:1], v[3:4], off
.LBB73_16:
	s_endpgm
.LBB73_17:
	v_mov_b32_e32 v2, 0
	v_lshlrev_b64 v[0:1], 3, v[1:2]
	v_mov_b32_e32 v2, s15
	v_add_co_u32_e32 v0, vcc, s14, v0
	v_addc_co_u32_e32 v1, vcc, v2, v1, vcc
	global_store_dwordx2 v[0:1], v[13:14], off
	v_mov_b32_e32 v0, v15
	s_or_b64 exec, exec, s[0:1]
	v_cmp_gt_i32_e32 vcc, s16, v0
	s_and_saveexec_b64 s[0:1], vcc
	s_cbranch_execz .LBB73_13
.LBB73_18:
	v_add_u32_e32 v1, s4, v0
	v_mov_b32_e32 v2, 0
	v_lshlrev_b64 v[1:2], 3, v[1:2]
	v_mov_b32_e32 v7, s15
	v_add_co_u32_e32 v1, vcc, s14, v1
	v_addc_co_u32_e32 v2, vcc, v7, v2, vcc
	v_add_u32_e32 v0, 0x100, v0
	global_store_dwordx2 v[1:2], v[9:10], off
	s_or_b64 exec, exec, s[0:1]
	v_cmp_gt_i32_e32 vcc, s16, v0
	s_and_saveexec_b64 s[0:1], vcc
	s_cbranch_execz .LBB73_14
.LBB73_19:
	v_add_u32_e32 v1, s4, v0
	v_mov_b32_e32 v2, 0
	v_lshlrev_b64 v[1:2], 3, v[1:2]
	v_mov_b32_e32 v7, s15
	v_add_co_u32_e32 v1, vcc, s14, v1
	v_addc_co_u32_e32 v2, vcc, v7, v2, vcc
	v_add_u32_e32 v0, 0x100, v0
	global_store_dwordx2 v[1:2], v[5:6], off
	s_or_b64 exec, exec, s[0:1]
	v_cmp_gt_i32_e32 vcc, s16, v0
	s_and_saveexec_b64 s[0:1], vcc
	s_cbranch_execnz .LBB73_15
	s_branch .LBB73_16
	.section	.rodata,"a",@progbits
	.p2align	6, 0x0
	.amdhsa_kernel _ZN2at6native29vectorized_elementwise_kernelILi8ENS0_13AUnaryFunctorIlllZNS0_12_GLOBAL__N_121threshold_kernel_implIlEEvRNS_18TensorIteratorBaseET_S7_EUlllE_EESt5arrayIPcLm2EEEEviT0_T1_
		.amdhsa_group_segment_fixed_size 0
		.amdhsa_private_segment_fixed_size 0
		.amdhsa_kernarg_size 48
		.amdhsa_user_sgpr_count 6
		.amdhsa_user_sgpr_private_segment_buffer 1
		.amdhsa_user_sgpr_dispatch_ptr 0
		.amdhsa_user_sgpr_queue_ptr 0
		.amdhsa_user_sgpr_kernarg_segment_ptr 1
		.amdhsa_user_sgpr_dispatch_id 0
		.amdhsa_user_sgpr_flat_scratch_init 0
		.amdhsa_user_sgpr_private_segment_size 0
		.amdhsa_uses_dynamic_stack 0
		.amdhsa_system_sgpr_private_segment_wavefront_offset 0
		.amdhsa_system_sgpr_workgroup_id_x 1
		.amdhsa_system_sgpr_workgroup_id_y 0
		.amdhsa_system_sgpr_workgroup_id_z 0
		.amdhsa_system_sgpr_workgroup_info 0
		.amdhsa_system_vgpr_workitem_id 0
		.amdhsa_next_free_vgpr 17
		.amdhsa_next_free_sgpr 17
		.amdhsa_reserve_vcc 1
		.amdhsa_reserve_flat_scratch 0
		.amdhsa_float_round_mode_32 0
		.amdhsa_float_round_mode_16_64 0
		.amdhsa_float_denorm_mode_32 3
		.amdhsa_float_denorm_mode_16_64 3
		.amdhsa_dx10_clamp 1
		.amdhsa_ieee_mode 1
		.amdhsa_fp16_overflow 0
		.amdhsa_exception_fp_ieee_invalid_op 0
		.amdhsa_exception_fp_denorm_src 0
		.amdhsa_exception_fp_ieee_div_zero 0
		.amdhsa_exception_fp_ieee_overflow 0
		.amdhsa_exception_fp_ieee_underflow 0
		.amdhsa_exception_fp_ieee_inexact 0
		.amdhsa_exception_int_div_zero 0
	.end_amdhsa_kernel
	.section	.text._ZN2at6native29vectorized_elementwise_kernelILi8ENS0_13AUnaryFunctorIlllZNS0_12_GLOBAL__N_121threshold_kernel_implIlEEvRNS_18TensorIteratorBaseET_S7_EUlllE_EESt5arrayIPcLm2EEEEviT0_T1_,"axG",@progbits,_ZN2at6native29vectorized_elementwise_kernelILi8ENS0_13AUnaryFunctorIlllZNS0_12_GLOBAL__N_121threshold_kernel_implIlEEvRNS_18TensorIteratorBaseET_S7_EUlllE_EESt5arrayIPcLm2EEEEviT0_T1_,comdat
.Lfunc_end73:
	.size	_ZN2at6native29vectorized_elementwise_kernelILi8ENS0_13AUnaryFunctorIlllZNS0_12_GLOBAL__N_121threshold_kernel_implIlEEvRNS_18TensorIteratorBaseET_S7_EUlllE_EESt5arrayIPcLm2EEEEviT0_T1_, .Lfunc_end73-_ZN2at6native29vectorized_elementwise_kernelILi8ENS0_13AUnaryFunctorIlllZNS0_12_GLOBAL__N_121threshold_kernel_implIlEEvRNS_18TensorIteratorBaseET_S7_EUlllE_EESt5arrayIPcLm2EEEEviT0_T1_
                                        ; -- End function
	.set _ZN2at6native29vectorized_elementwise_kernelILi8ENS0_13AUnaryFunctorIlllZNS0_12_GLOBAL__N_121threshold_kernel_implIlEEvRNS_18TensorIteratorBaseET_S7_EUlllE_EESt5arrayIPcLm2EEEEviT0_T1_.num_vgpr, 17
	.set _ZN2at6native29vectorized_elementwise_kernelILi8ENS0_13AUnaryFunctorIlllZNS0_12_GLOBAL__N_121threshold_kernel_implIlEEvRNS_18TensorIteratorBaseET_S7_EUlllE_EESt5arrayIPcLm2EEEEviT0_T1_.num_agpr, 0
	.set _ZN2at6native29vectorized_elementwise_kernelILi8ENS0_13AUnaryFunctorIlllZNS0_12_GLOBAL__N_121threshold_kernel_implIlEEvRNS_18TensorIteratorBaseET_S7_EUlllE_EESt5arrayIPcLm2EEEEviT0_T1_.numbered_sgpr, 17
	.set _ZN2at6native29vectorized_elementwise_kernelILi8ENS0_13AUnaryFunctorIlllZNS0_12_GLOBAL__N_121threshold_kernel_implIlEEvRNS_18TensorIteratorBaseET_S7_EUlllE_EESt5arrayIPcLm2EEEEviT0_T1_.num_named_barrier, 0
	.set _ZN2at6native29vectorized_elementwise_kernelILi8ENS0_13AUnaryFunctorIlllZNS0_12_GLOBAL__N_121threshold_kernel_implIlEEvRNS_18TensorIteratorBaseET_S7_EUlllE_EESt5arrayIPcLm2EEEEviT0_T1_.private_seg_size, 0
	.set _ZN2at6native29vectorized_elementwise_kernelILi8ENS0_13AUnaryFunctorIlllZNS0_12_GLOBAL__N_121threshold_kernel_implIlEEvRNS_18TensorIteratorBaseET_S7_EUlllE_EESt5arrayIPcLm2EEEEviT0_T1_.uses_vcc, 1
	.set _ZN2at6native29vectorized_elementwise_kernelILi8ENS0_13AUnaryFunctorIlllZNS0_12_GLOBAL__N_121threshold_kernel_implIlEEvRNS_18TensorIteratorBaseET_S7_EUlllE_EESt5arrayIPcLm2EEEEviT0_T1_.uses_flat_scratch, 0
	.set _ZN2at6native29vectorized_elementwise_kernelILi8ENS0_13AUnaryFunctorIlllZNS0_12_GLOBAL__N_121threshold_kernel_implIlEEvRNS_18TensorIteratorBaseET_S7_EUlllE_EESt5arrayIPcLm2EEEEviT0_T1_.has_dyn_sized_stack, 0
	.set _ZN2at6native29vectorized_elementwise_kernelILi8ENS0_13AUnaryFunctorIlllZNS0_12_GLOBAL__N_121threshold_kernel_implIlEEvRNS_18TensorIteratorBaseET_S7_EUlllE_EESt5arrayIPcLm2EEEEviT0_T1_.has_recursion, 0
	.set _ZN2at6native29vectorized_elementwise_kernelILi8ENS0_13AUnaryFunctorIlllZNS0_12_GLOBAL__N_121threshold_kernel_implIlEEvRNS_18TensorIteratorBaseET_S7_EUlllE_EESt5arrayIPcLm2EEEEviT0_T1_.has_indirect_call, 0
	.section	.AMDGPU.csdata,"",@progbits
; Kernel info:
; codeLenInByte = 960
; TotalNumSgprs: 21
; NumVgprs: 17
; ScratchSize: 0
; MemoryBound: 0
; FloatMode: 240
; IeeeMode: 1
; LDSByteSize: 0 bytes/workgroup (compile time only)
; SGPRBlocks: 2
; VGPRBlocks: 4
; NumSGPRsForWavesPerEU: 21
; NumVGPRsForWavesPerEU: 17
; Occupancy: 10
; WaveLimiterHint : 0
; COMPUTE_PGM_RSRC2:SCRATCH_EN: 0
; COMPUTE_PGM_RSRC2:USER_SGPR: 6
; COMPUTE_PGM_RSRC2:TRAP_HANDLER: 0
; COMPUTE_PGM_RSRC2:TGID_X_EN: 1
; COMPUTE_PGM_RSRC2:TGID_Y_EN: 0
; COMPUTE_PGM_RSRC2:TGID_Z_EN: 0
; COMPUTE_PGM_RSRC2:TIDIG_COMP_CNT: 0
	.section	.text._ZN2at6native29vectorized_elementwise_kernelILi4ENS0_13AUnaryFunctorIlllZNS0_12_GLOBAL__N_121threshold_kernel_implIlEEvRNS_18TensorIteratorBaseET_S7_EUlllE_EESt5arrayIPcLm2EEEEviT0_T1_,"axG",@progbits,_ZN2at6native29vectorized_elementwise_kernelILi4ENS0_13AUnaryFunctorIlllZNS0_12_GLOBAL__N_121threshold_kernel_implIlEEvRNS_18TensorIteratorBaseET_S7_EUlllE_EESt5arrayIPcLm2EEEEviT0_T1_,comdat
	.globl	_ZN2at6native29vectorized_elementwise_kernelILi4ENS0_13AUnaryFunctorIlllZNS0_12_GLOBAL__N_121threshold_kernel_implIlEEvRNS_18TensorIteratorBaseET_S7_EUlllE_EESt5arrayIPcLm2EEEEviT0_T1_ ; -- Begin function _ZN2at6native29vectorized_elementwise_kernelILi4ENS0_13AUnaryFunctorIlllZNS0_12_GLOBAL__N_121threshold_kernel_implIlEEvRNS_18TensorIteratorBaseET_S7_EUlllE_EESt5arrayIPcLm2EEEEviT0_T1_
	.p2align	8
	.type	_ZN2at6native29vectorized_elementwise_kernelILi4ENS0_13AUnaryFunctorIlllZNS0_12_GLOBAL__N_121threshold_kernel_implIlEEvRNS_18TensorIteratorBaseET_S7_EUlllE_EESt5arrayIPcLm2EEEEviT0_T1_,@function
_ZN2at6native29vectorized_elementwise_kernelILi4ENS0_13AUnaryFunctorIlllZNS0_12_GLOBAL__N_121threshold_kernel_implIlEEvRNS_18TensorIteratorBaseET_S7_EUlllE_EESt5arrayIPcLm2EEEEviT0_T1_: ; @_ZN2at6native29vectorized_elementwise_kernelILi4ENS0_13AUnaryFunctorIlllZNS0_12_GLOBAL__N_121threshold_kernel_implIlEEvRNS_18TensorIteratorBaseET_S7_EUlllE_EESt5arrayIPcLm2EEEEviT0_T1_
; %bb.0:
	s_load_dword s0, s[4:5], 0x0
	s_load_dwordx8 s[8:15], s[4:5], 0x8
	s_load_dwordx2 s[2:3], s[4:5], 0x28
	s_lshl_b32 s4, s6, 10
	s_waitcnt lgkmcnt(0)
	s_sub_i32 s16, s0, s4
	s_cmpk_gt_i32 s16, 0x3ff
	s_mov_b64 s[0:1], -1
	s_cbranch_scc0 .LBB74_2
; %bb.1:
	s_ashr_i32 s5, s4, 31
	s_lshl_b64 s[0:1], s[4:5], 3
	s_add_u32 s6, s2, s0
	s_addc_u32 s7, s3, s1
	v_lshlrev_b32_e32 v11, 5, v0
	global_load_dwordx4 v[1:4], v11, s[6:7]
	global_load_dwordx4 v[5:8], v11, s[6:7] offset:16
	v_mov_b32_e32 v10, s9
	v_mov_b32_e32 v9, s8
	v_cmp_gt_i64_e32 vcc, s[12:13], v[9:10]
	v_mov_b32_e32 v12, s11
	v_mov_b32_e32 v13, s10
	s_add_u32 s0, s14, s0
	s_addc_u32 s1, s15, s1
	s_waitcnt vmcnt(1)
	v_cndmask_b32_e32 v2, v12, v2, vcc
	v_cndmask_b32_e32 v1, v13, v1, vcc
	v_cndmask_b32_e32 v4, v12, v4, vcc
	v_cndmask_b32_e32 v3, v13, v3, vcc
	s_waitcnt vmcnt(0)
	v_cndmask_b32_e32 v6, v12, v6, vcc
	v_cndmask_b32_e32 v5, v13, v5, vcc
	;; [unrolled: 1-line block ×4, first 2 shown]
	global_store_dwordx4 v11, v[1:4], s[0:1]
	global_store_dwordx4 v11, v[5:8], s[0:1] offset:16
	s_mov_b64 s[0:1], 0
.LBB74_2:
	s_andn2_b64 vcc, exec, s[0:1]
	s_cbranch_vccnz .LBB74_16
; %bb.3:
	v_mov_b32_e32 v3, 0
	v_mov_b32_e32 v5, 0
	v_cmp_gt_i32_e32 vcc, s16, v0
	v_mov_b32_e32 v4, 0
	v_or_b32_e32 v1, s4, v0
	v_mov_b32_e32 v6, 0
	v_mov_b32_e32 v2, v0
	s_and_saveexec_b64 s[6:7], vcc
	s_cbranch_execz .LBB74_5
; %bb.4:
	v_mov_b32_e32 v2, 0
	v_lshlrev_b64 v[5:6], 3, v[1:2]
	v_mov_b32_e32 v2, s3
	v_add_co_u32_e64 v5, s[0:1], s2, v5
	v_addc_co_u32_e64 v6, s[0:1], v2, v6, s[0:1]
	global_load_dwordx2 v[5:6], v[5:6], off
	v_or_b32_e32 v2, 0x100, v0
.LBB74_5:
	s_or_b64 exec, exec, s[6:7]
	v_cmp_gt_i32_e64 s[0:1], s16, v2
	s_and_saveexec_b64 s[6:7], s[0:1]
	s_cbranch_execz .LBB74_7
; %bb.6:
	v_add_u32_e32 v3, s4, v2
	v_mov_b32_e32 v4, 0
	v_lshlrev_b64 v[3:4], 3, v[3:4]
	v_mov_b32_e32 v7, s3
	v_add_co_u32_e64 v3, s[0:1], s2, v3
	v_addc_co_u32_e64 v4, s[0:1], v7, v4, s[0:1]
	global_load_dwordx2 v[3:4], v[3:4], off
	v_add_u32_e32 v2, 0x100, v2
.LBB74_7:
	s_or_b64 exec, exec, s[6:7]
	v_mov_b32_e32 v7, 0
	v_mov_b32_e32 v11, 0
	;; [unrolled: 1-line block ×4, first 2 shown]
	v_cmp_gt_i32_e64 s[0:1], s16, v2
	s_and_saveexec_b64 s[6:7], s[0:1]
	s_cbranch_execz .LBB74_9
; %bb.8:
	v_add_u32_e32 v9, s4, v2
	v_mov_b32_e32 v10, 0
	v_lshlrev_b64 v[9:10], 3, v[9:10]
	v_mov_b32_e32 v11, s3
	v_add_co_u32_e64 v9, s[0:1], s2, v9
	v_addc_co_u32_e64 v10, s[0:1], v11, v10, s[0:1]
	global_load_dwordx2 v[11:12], v[9:10], off
	v_add_u32_e32 v2, 0x100, v2
.LBB74_9:
	s_or_b64 exec, exec, s[6:7]
	v_cmp_gt_i32_e64 s[0:1], s16, v2
	s_and_saveexec_b64 s[6:7], s[0:1]
	s_cbranch_execz .LBB74_11
; %bb.10:
	v_add_u32_e32 v7, s4, v2
	v_mov_b32_e32 v8, 0
	v_lshlrev_b64 v[7:8], 3, v[7:8]
	v_mov_b32_e32 v2, s3
	v_add_co_u32_e64 v7, s[0:1], s2, v7
	v_addc_co_u32_e64 v8, s[0:1], v2, v8, s[0:1]
	global_load_dwordx2 v[7:8], v[7:8], off
.LBB74_11:
	s_or_b64 exec, exec, s[6:7]
	v_mov_b32_e32 v10, s9
	v_mov_b32_e32 v9, s8
	v_cmp_gt_i64_e64 s[0:1], s[12:13], v[9:10]
	v_mov_b32_e32 v2, s10
	v_or_b32_e32 v15, 0x100, v0
	v_mov_b32_e32 v16, s11
	s_waitcnt vmcnt(0)
	v_cndmask_b32_e64 v3, v2, v3, s[0:1]
	v_cmp_gt_i32_e64 s[2:3], s16, v15
	v_cndmask_b32_e64 v5, v2, v5, s[0:1]
	v_cndmask_b32_e64 v4, v16, v4, s[0:1]
	;; [unrolled: 1-line block ×3, first 2 shown]
	v_or_b32_e32 v3, 0x200, v0
	v_cndmask_b32_e64 v6, v16, v6, s[0:1]
	v_cndmask_b32_e32 v13, 0, v5, vcc
	v_cndmask_b32_e64 v10, 0, v4, s[2:3]
	v_cndmask_b32_e64 v4, v2, v11, s[0:1]
	;; [unrolled: 1-line block ×3, first 2 shown]
	v_cmp_gt_i32_e64 s[2:3], s16, v3
	v_or_b32_e32 v3, 0x300, v0
	v_cndmask_b32_e32 v14, 0, v6, vcc
	v_cndmask_b32_e64 v6, 0, v5, s[2:3]
	v_cndmask_b32_e64 v5, 0, v4, s[2:3]
	;; [unrolled: 1-line block ×4, first 2 shown]
	v_cmp_gt_i32_e64 s[0:1], s16, v3
	v_cndmask_b32_e64 v4, 0, v4, s[0:1]
	v_cndmask_b32_e64 v3, 0, v2, s[0:1]
	s_and_saveexec_b64 s[0:1], vcc
	s_cbranch_execnz .LBB74_17
; %bb.12:
	s_or_b64 exec, exec, s[0:1]
	v_cmp_gt_i32_e32 vcc, s16, v0
	s_and_saveexec_b64 s[0:1], vcc
	s_cbranch_execnz .LBB74_18
.LBB74_13:
	s_or_b64 exec, exec, s[0:1]
	v_cmp_gt_i32_e32 vcc, s16, v0
	s_and_saveexec_b64 s[0:1], vcc
	s_cbranch_execnz .LBB74_19
.LBB74_14:
	s_or_b64 exec, exec, s[0:1]
	v_cmp_gt_i32_e32 vcc, s16, v0
	s_and_saveexec_b64 s[0:1], vcc
	s_cbranch_execz .LBB74_16
.LBB74_15:
	v_add_u32_e32 v0, s4, v0
	v_mov_b32_e32 v1, 0
	v_lshlrev_b64 v[0:1], 3, v[0:1]
	v_mov_b32_e32 v2, s15
	v_add_co_u32_e32 v0, vcc, s14, v0
	v_addc_co_u32_e32 v1, vcc, v2, v1, vcc
	global_store_dwordx2 v[0:1], v[3:4], off
.LBB74_16:
	s_endpgm
.LBB74_17:
	v_mov_b32_e32 v2, 0
	v_lshlrev_b64 v[0:1], 3, v[1:2]
	v_mov_b32_e32 v2, s15
	v_add_co_u32_e32 v0, vcc, s14, v0
	v_addc_co_u32_e32 v1, vcc, v2, v1, vcc
	global_store_dwordx2 v[0:1], v[13:14], off
	v_mov_b32_e32 v0, v15
	s_or_b64 exec, exec, s[0:1]
	v_cmp_gt_i32_e32 vcc, s16, v0
	s_and_saveexec_b64 s[0:1], vcc
	s_cbranch_execz .LBB74_13
.LBB74_18:
	v_add_u32_e32 v1, s4, v0
	v_mov_b32_e32 v2, 0
	v_lshlrev_b64 v[1:2], 3, v[1:2]
	v_mov_b32_e32 v7, s15
	v_add_co_u32_e32 v1, vcc, s14, v1
	v_addc_co_u32_e32 v2, vcc, v7, v2, vcc
	v_add_u32_e32 v0, 0x100, v0
	global_store_dwordx2 v[1:2], v[9:10], off
	s_or_b64 exec, exec, s[0:1]
	v_cmp_gt_i32_e32 vcc, s16, v0
	s_and_saveexec_b64 s[0:1], vcc
	s_cbranch_execz .LBB74_14
.LBB74_19:
	v_add_u32_e32 v1, s4, v0
	v_mov_b32_e32 v2, 0
	v_lshlrev_b64 v[1:2], 3, v[1:2]
	v_mov_b32_e32 v7, s15
	v_add_co_u32_e32 v1, vcc, s14, v1
	v_addc_co_u32_e32 v2, vcc, v7, v2, vcc
	v_add_u32_e32 v0, 0x100, v0
	global_store_dwordx2 v[1:2], v[5:6], off
	s_or_b64 exec, exec, s[0:1]
	v_cmp_gt_i32_e32 vcc, s16, v0
	s_and_saveexec_b64 s[0:1], vcc
	s_cbranch_execnz .LBB74_15
	s_branch .LBB74_16
	.section	.rodata,"a",@progbits
	.p2align	6, 0x0
	.amdhsa_kernel _ZN2at6native29vectorized_elementwise_kernelILi4ENS0_13AUnaryFunctorIlllZNS0_12_GLOBAL__N_121threshold_kernel_implIlEEvRNS_18TensorIteratorBaseET_S7_EUlllE_EESt5arrayIPcLm2EEEEviT0_T1_
		.amdhsa_group_segment_fixed_size 0
		.amdhsa_private_segment_fixed_size 0
		.amdhsa_kernarg_size 48
		.amdhsa_user_sgpr_count 6
		.amdhsa_user_sgpr_private_segment_buffer 1
		.amdhsa_user_sgpr_dispatch_ptr 0
		.amdhsa_user_sgpr_queue_ptr 0
		.amdhsa_user_sgpr_kernarg_segment_ptr 1
		.amdhsa_user_sgpr_dispatch_id 0
		.amdhsa_user_sgpr_flat_scratch_init 0
		.amdhsa_user_sgpr_private_segment_size 0
		.amdhsa_uses_dynamic_stack 0
		.amdhsa_system_sgpr_private_segment_wavefront_offset 0
		.amdhsa_system_sgpr_workgroup_id_x 1
		.amdhsa_system_sgpr_workgroup_id_y 0
		.amdhsa_system_sgpr_workgroup_id_z 0
		.amdhsa_system_sgpr_workgroup_info 0
		.amdhsa_system_vgpr_workitem_id 0
		.amdhsa_next_free_vgpr 17
		.amdhsa_next_free_sgpr 17
		.amdhsa_reserve_vcc 1
		.amdhsa_reserve_flat_scratch 0
		.amdhsa_float_round_mode_32 0
		.amdhsa_float_round_mode_16_64 0
		.amdhsa_float_denorm_mode_32 3
		.amdhsa_float_denorm_mode_16_64 3
		.amdhsa_dx10_clamp 1
		.amdhsa_ieee_mode 1
		.amdhsa_fp16_overflow 0
		.amdhsa_exception_fp_ieee_invalid_op 0
		.amdhsa_exception_fp_denorm_src 0
		.amdhsa_exception_fp_ieee_div_zero 0
		.amdhsa_exception_fp_ieee_overflow 0
		.amdhsa_exception_fp_ieee_underflow 0
		.amdhsa_exception_fp_ieee_inexact 0
		.amdhsa_exception_int_div_zero 0
	.end_amdhsa_kernel
	.section	.text._ZN2at6native29vectorized_elementwise_kernelILi4ENS0_13AUnaryFunctorIlllZNS0_12_GLOBAL__N_121threshold_kernel_implIlEEvRNS_18TensorIteratorBaseET_S7_EUlllE_EESt5arrayIPcLm2EEEEviT0_T1_,"axG",@progbits,_ZN2at6native29vectorized_elementwise_kernelILi4ENS0_13AUnaryFunctorIlllZNS0_12_GLOBAL__N_121threshold_kernel_implIlEEvRNS_18TensorIteratorBaseET_S7_EUlllE_EESt5arrayIPcLm2EEEEviT0_T1_,comdat
.Lfunc_end74:
	.size	_ZN2at6native29vectorized_elementwise_kernelILi4ENS0_13AUnaryFunctorIlllZNS0_12_GLOBAL__N_121threshold_kernel_implIlEEvRNS_18TensorIteratorBaseET_S7_EUlllE_EESt5arrayIPcLm2EEEEviT0_T1_, .Lfunc_end74-_ZN2at6native29vectorized_elementwise_kernelILi4ENS0_13AUnaryFunctorIlllZNS0_12_GLOBAL__N_121threshold_kernel_implIlEEvRNS_18TensorIteratorBaseET_S7_EUlllE_EESt5arrayIPcLm2EEEEviT0_T1_
                                        ; -- End function
	.set _ZN2at6native29vectorized_elementwise_kernelILi4ENS0_13AUnaryFunctorIlllZNS0_12_GLOBAL__N_121threshold_kernel_implIlEEvRNS_18TensorIteratorBaseET_S7_EUlllE_EESt5arrayIPcLm2EEEEviT0_T1_.num_vgpr, 17
	.set _ZN2at6native29vectorized_elementwise_kernelILi4ENS0_13AUnaryFunctorIlllZNS0_12_GLOBAL__N_121threshold_kernel_implIlEEvRNS_18TensorIteratorBaseET_S7_EUlllE_EESt5arrayIPcLm2EEEEviT0_T1_.num_agpr, 0
	.set _ZN2at6native29vectorized_elementwise_kernelILi4ENS0_13AUnaryFunctorIlllZNS0_12_GLOBAL__N_121threshold_kernel_implIlEEvRNS_18TensorIteratorBaseET_S7_EUlllE_EESt5arrayIPcLm2EEEEviT0_T1_.numbered_sgpr, 17
	.set _ZN2at6native29vectorized_elementwise_kernelILi4ENS0_13AUnaryFunctorIlllZNS0_12_GLOBAL__N_121threshold_kernel_implIlEEvRNS_18TensorIteratorBaseET_S7_EUlllE_EESt5arrayIPcLm2EEEEviT0_T1_.num_named_barrier, 0
	.set _ZN2at6native29vectorized_elementwise_kernelILi4ENS0_13AUnaryFunctorIlllZNS0_12_GLOBAL__N_121threshold_kernel_implIlEEvRNS_18TensorIteratorBaseET_S7_EUlllE_EESt5arrayIPcLm2EEEEviT0_T1_.private_seg_size, 0
	.set _ZN2at6native29vectorized_elementwise_kernelILi4ENS0_13AUnaryFunctorIlllZNS0_12_GLOBAL__N_121threshold_kernel_implIlEEvRNS_18TensorIteratorBaseET_S7_EUlllE_EESt5arrayIPcLm2EEEEviT0_T1_.uses_vcc, 1
	.set _ZN2at6native29vectorized_elementwise_kernelILi4ENS0_13AUnaryFunctorIlllZNS0_12_GLOBAL__N_121threshold_kernel_implIlEEvRNS_18TensorIteratorBaseET_S7_EUlllE_EESt5arrayIPcLm2EEEEviT0_T1_.uses_flat_scratch, 0
	.set _ZN2at6native29vectorized_elementwise_kernelILi4ENS0_13AUnaryFunctorIlllZNS0_12_GLOBAL__N_121threshold_kernel_implIlEEvRNS_18TensorIteratorBaseET_S7_EUlllE_EESt5arrayIPcLm2EEEEviT0_T1_.has_dyn_sized_stack, 0
	.set _ZN2at6native29vectorized_elementwise_kernelILi4ENS0_13AUnaryFunctorIlllZNS0_12_GLOBAL__N_121threshold_kernel_implIlEEvRNS_18TensorIteratorBaseET_S7_EUlllE_EESt5arrayIPcLm2EEEEviT0_T1_.has_recursion, 0
	.set _ZN2at6native29vectorized_elementwise_kernelILi4ENS0_13AUnaryFunctorIlllZNS0_12_GLOBAL__N_121threshold_kernel_implIlEEvRNS_18TensorIteratorBaseET_S7_EUlllE_EESt5arrayIPcLm2EEEEviT0_T1_.has_indirect_call, 0
	.section	.AMDGPU.csdata,"",@progbits
; Kernel info:
; codeLenInByte = 960
; TotalNumSgprs: 21
; NumVgprs: 17
; ScratchSize: 0
; MemoryBound: 0
; FloatMode: 240
; IeeeMode: 1
; LDSByteSize: 0 bytes/workgroup (compile time only)
; SGPRBlocks: 2
; VGPRBlocks: 4
; NumSGPRsForWavesPerEU: 21
; NumVGPRsForWavesPerEU: 17
; Occupancy: 10
; WaveLimiterHint : 0
; COMPUTE_PGM_RSRC2:SCRATCH_EN: 0
; COMPUTE_PGM_RSRC2:USER_SGPR: 6
; COMPUTE_PGM_RSRC2:TRAP_HANDLER: 0
; COMPUTE_PGM_RSRC2:TGID_X_EN: 1
; COMPUTE_PGM_RSRC2:TGID_Y_EN: 0
; COMPUTE_PGM_RSRC2:TGID_Z_EN: 0
; COMPUTE_PGM_RSRC2:TIDIG_COMP_CNT: 0
	.section	.text._ZN2at6native29vectorized_elementwise_kernelILi2ENS0_13AUnaryFunctorIlllZNS0_12_GLOBAL__N_121threshold_kernel_implIlEEvRNS_18TensorIteratorBaseET_S7_EUlllE_EESt5arrayIPcLm2EEEEviT0_T1_,"axG",@progbits,_ZN2at6native29vectorized_elementwise_kernelILi2ENS0_13AUnaryFunctorIlllZNS0_12_GLOBAL__N_121threshold_kernel_implIlEEvRNS_18TensorIteratorBaseET_S7_EUlllE_EESt5arrayIPcLm2EEEEviT0_T1_,comdat
	.globl	_ZN2at6native29vectorized_elementwise_kernelILi2ENS0_13AUnaryFunctorIlllZNS0_12_GLOBAL__N_121threshold_kernel_implIlEEvRNS_18TensorIteratorBaseET_S7_EUlllE_EESt5arrayIPcLm2EEEEviT0_T1_ ; -- Begin function _ZN2at6native29vectorized_elementwise_kernelILi2ENS0_13AUnaryFunctorIlllZNS0_12_GLOBAL__N_121threshold_kernel_implIlEEvRNS_18TensorIteratorBaseET_S7_EUlllE_EESt5arrayIPcLm2EEEEviT0_T1_
	.p2align	8
	.type	_ZN2at6native29vectorized_elementwise_kernelILi2ENS0_13AUnaryFunctorIlllZNS0_12_GLOBAL__N_121threshold_kernel_implIlEEvRNS_18TensorIteratorBaseET_S7_EUlllE_EESt5arrayIPcLm2EEEEviT0_T1_,@function
_ZN2at6native29vectorized_elementwise_kernelILi2ENS0_13AUnaryFunctorIlllZNS0_12_GLOBAL__N_121threshold_kernel_implIlEEvRNS_18TensorIteratorBaseET_S7_EUlllE_EESt5arrayIPcLm2EEEEviT0_T1_: ; @_ZN2at6native29vectorized_elementwise_kernelILi2ENS0_13AUnaryFunctorIlllZNS0_12_GLOBAL__N_121threshold_kernel_implIlEEvRNS_18TensorIteratorBaseET_S7_EUlllE_EESt5arrayIPcLm2EEEEviT0_T1_
; %bb.0:
	s_load_dword s0, s[4:5], 0x0
	s_load_dwordx8 s[8:15], s[4:5], 0x8
	s_load_dwordx2 s[2:3], s[4:5], 0x28
	s_lshl_b32 s4, s6, 10
	s_waitcnt lgkmcnt(0)
	s_sub_i32 s16, s0, s4
	s_cmpk_gt_i32 s16, 0x3ff
	s_mov_b64 s[0:1], -1
	s_cbranch_scc0 .LBB75_2
; %bb.1:
	s_ashr_i32 s5, s4, 31
	s_lshl_b64 s[0:1], s[4:5], 3
	s_add_u32 s6, s2, s0
	s_addc_u32 s7, s3, s1
	v_lshlrev_b32_e32 v13, 4, v0
	v_mov_b32_e32 v1, s7
	v_add_co_u32_e32 v5, vcc, s6, v13
	v_addc_co_u32_e32 v6, vcc, 0, v1, vcc
	v_add_co_u32_e32 v5, vcc, 0x1000, v5
	global_load_dwordx4 v[1:4], v13, s[6:7]
	v_addc_co_u32_e32 v6, vcc, 0, v6, vcc
	global_load_dwordx4 v[5:8], v[5:6], off
	s_add_u32 s0, s14, s0
	s_addc_u32 s1, s15, s1
	v_mov_b32_e32 v11, s1
	v_add_co_u32_e32 v12, vcc, s0, v13
	v_addc_co_u32_e32 v16, vcc, 0, v11, vcc
	v_mov_b32_e32 v10, s9
	v_add_co_u32_e32 v11, vcc, 0x1000, v12
	v_mov_b32_e32 v9, s8
	v_addc_co_u32_e32 v12, vcc, 0, v16, vcc
	v_cmp_gt_i64_e32 vcc, s[12:13], v[9:10]
	v_mov_b32_e32 v14, s11
	v_mov_b32_e32 v15, s10
	s_waitcnt vmcnt(1)
	v_cndmask_b32_e32 v2, v14, v2, vcc
	v_cndmask_b32_e32 v1, v15, v1, vcc
	;; [unrolled: 1-line block ×4, first 2 shown]
	global_store_dwordx4 v13, v[1:4], s[0:1]
	s_mov_b64 s[0:1], 0
	s_waitcnt vmcnt(1)
	v_cndmask_b32_e32 v2, v14, v6, vcc
	v_cndmask_b32_e32 v1, v15, v5, vcc
	;; [unrolled: 1-line block ×4, first 2 shown]
	global_store_dwordx4 v[11:12], v[1:4], off
.LBB75_2:
	s_andn2_b64 vcc, exec, s[0:1]
	s_cbranch_vccnz .LBB75_16
; %bb.3:
	v_mov_b32_e32 v3, 0
	v_mov_b32_e32 v5, 0
	v_cmp_gt_i32_e32 vcc, s16, v0
	v_mov_b32_e32 v4, 0
	v_or_b32_e32 v1, s4, v0
	v_mov_b32_e32 v6, 0
	v_mov_b32_e32 v2, v0
	s_and_saveexec_b64 s[6:7], vcc
	s_cbranch_execz .LBB75_5
; %bb.4:
	v_mov_b32_e32 v2, 0
	v_lshlrev_b64 v[5:6], 3, v[1:2]
	v_mov_b32_e32 v2, s3
	v_add_co_u32_e64 v5, s[0:1], s2, v5
	v_addc_co_u32_e64 v6, s[0:1], v2, v6, s[0:1]
	global_load_dwordx2 v[5:6], v[5:6], off
	v_or_b32_e32 v2, 0x100, v0
.LBB75_5:
	s_or_b64 exec, exec, s[6:7]
	v_cmp_gt_i32_e64 s[0:1], s16, v2
	s_and_saveexec_b64 s[6:7], s[0:1]
	s_cbranch_execz .LBB75_7
; %bb.6:
	v_add_u32_e32 v3, s4, v2
	v_mov_b32_e32 v4, 0
	v_lshlrev_b64 v[3:4], 3, v[3:4]
	v_mov_b32_e32 v7, s3
	v_add_co_u32_e64 v3, s[0:1], s2, v3
	v_addc_co_u32_e64 v4, s[0:1], v7, v4, s[0:1]
	global_load_dwordx2 v[3:4], v[3:4], off
	v_add_u32_e32 v2, 0x100, v2
.LBB75_7:
	s_or_b64 exec, exec, s[6:7]
	v_mov_b32_e32 v7, 0
	v_mov_b32_e32 v11, 0
	;; [unrolled: 1-line block ×4, first 2 shown]
	v_cmp_gt_i32_e64 s[0:1], s16, v2
	s_and_saveexec_b64 s[6:7], s[0:1]
	s_cbranch_execz .LBB75_9
; %bb.8:
	v_add_u32_e32 v9, s4, v2
	v_mov_b32_e32 v10, 0
	v_lshlrev_b64 v[9:10], 3, v[9:10]
	v_mov_b32_e32 v11, s3
	v_add_co_u32_e64 v9, s[0:1], s2, v9
	v_addc_co_u32_e64 v10, s[0:1], v11, v10, s[0:1]
	global_load_dwordx2 v[11:12], v[9:10], off
	v_add_u32_e32 v2, 0x100, v2
.LBB75_9:
	s_or_b64 exec, exec, s[6:7]
	v_cmp_gt_i32_e64 s[0:1], s16, v2
	s_and_saveexec_b64 s[6:7], s[0:1]
	s_cbranch_execz .LBB75_11
; %bb.10:
	v_add_u32_e32 v7, s4, v2
	v_mov_b32_e32 v8, 0
	v_lshlrev_b64 v[7:8], 3, v[7:8]
	v_mov_b32_e32 v2, s3
	v_add_co_u32_e64 v7, s[0:1], s2, v7
	v_addc_co_u32_e64 v8, s[0:1], v2, v8, s[0:1]
	global_load_dwordx2 v[7:8], v[7:8], off
.LBB75_11:
	s_or_b64 exec, exec, s[6:7]
	v_mov_b32_e32 v10, s9
	v_mov_b32_e32 v9, s8
	v_cmp_gt_i64_e64 s[0:1], s[12:13], v[9:10]
	v_mov_b32_e32 v2, s10
	v_or_b32_e32 v15, 0x100, v0
	v_mov_b32_e32 v16, s11
	s_waitcnt vmcnt(0)
	v_cndmask_b32_e64 v3, v2, v3, s[0:1]
	v_cmp_gt_i32_e64 s[2:3], s16, v15
	v_cndmask_b32_e64 v5, v2, v5, s[0:1]
	v_cndmask_b32_e64 v4, v16, v4, s[0:1]
	;; [unrolled: 1-line block ×3, first 2 shown]
	v_or_b32_e32 v3, 0x200, v0
	v_cndmask_b32_e64 v6, v16, v6, s[0:1]
	v_cndmask_b32_e32 v13, 0, v5, vcc
	v_cndmask_b32_e64 v10, 0, v4, s[2:3]
	v_cndmask_b32_e64 v4, v2, v11, s[0:1]
	;; [unrolled: 1-line block ×3, first 2 shown]
	v_cmp_gt_i32_e64 s[2:3], s16, v3
	v_or_b32_e32 v3, 0x300, v0
	v_cndmask_b32_e32 v14, 0, v6, vcc
	v_cndmask_b32_e64 v6, 0, v5, s[2:3]
	v_cndmask_b32_e64 v5, 0, v4, s[2:3]
	;; [unrolled: 1-line block ×4, first 2 shown]
	v_cmp_gt_i32_e64 s[0:1], s16, v3
	v_cndmask_b32_e64 v4, 0, v4, s[0:1]
	v_cndmask_b32_e64 v3, 0, v2, s[0:1]
	s_and_saveexec_b64 s[0:1], vcc
	s_cbranch_execnz .LBB75_17
; %bb.12:
	s_or_b64 exec, exec, s[0:1]
	v_cmp_gt_i32_e32 vcc, s16, v0
	s_and_saveexec_b64 s[0:1], vcc
	s_cbranch_execnz .LBB75_18
.LBB75_13:
	s_or_b64 exec, exec, s[0:1]
	v_cmp_gt_i32_e32 vcc, s16, v0
	s_and_saveexec_b64 s[0:1], vcc
	s_cbranch_execnz .LBB75_19
.LBB75_14:
	s_or_b64 exec, exec, s[0:1]
	v_cmp_gt_i32_e32 vcc, s16, v0
	s_and_saveexec_b64 s[0:1], vcc
	s_cbranch_execz .LBB75_16
.LBB75_15:
	v_add_u32_e32 v0, s4, v0
	v_mov_b32_e32 v1, 0
	v_lshlrev_b64 v[0:1], 3, v[0:1]
	v_mov_b32_e32 v2, s15
	v_add_co_u32_e32 v0, vcc, s14, v0
	v_addc_co_u32_e32 v1, vcc, v2, v1, vcc
	global_store_dwordx2 v[0:1], v[3:4], off
.LBB75_16:
	s_endpgm
.LBB75_17:
	v_mov_b32_e32 v2, 0
	v_lshlrev_b64 v[0:1], 3, v[1:2]
	v_mov_b32_e32 v2, s15
	v_add_co_u32_e32 v0, vcc, s14, v0
	v_addc_co_u32_e32 v1, vcc, v2, v1, vcc
	global_store_dwordx2 v[0:1], v[13:14], off
	v_mov_b32_e32 v0, v15
	s_or_b64 exec, exec, s[0:1]
	v_cmp_gt_i32_e32 vcc, s16, v0
	s_and_saveexec_b64 s[0:1], vcc
	s_cbranch_execz .LBB75_13
.LBB75_18:
	v_add_u32_e32 v1, s4, v0
	v_mov_b32_e32 v2, 0
	v_lshlrev_b64 v[1:2], 3, v[1:2]
	v_mov_b32_e32 v7, s15
	v_add_co_u32_e32 v1, vcc, s14, v1
	v_addc_co_u32_e32 v2, vcc, v7, v2, vcc
	v_add_u32_e32 v0, 0x100, v0
	global_store_dwordx2 v[1:2], v[9:10], off
	s_or_b64 exec, exec, s[0:1]
	v_cmp_gt_i32_e32 vcc, s16, v0
	s_and_saveexec_b64 s[0:1], vcc
	s_cbranch_execz .LBB75_14
.LBB75_19:
	v_add_u32_e32 v1, s4, v0
	v_mov_b32_e32 v2, 0
	v_lshlrev_b64 v[1:2], 3, v[1:2]
	v_mov_b32_e32 v7, s15
	v_add_co_u32_e32 v1, vcc, s14, v1
	v_addc_co_u32_e32 v2, vcc, v7, v2, vcc
	v_add_u32_e32 v0, 0x100, v0
	global_store_dwordx2 v[1:2], v[5:6], off
	s_or_b64 exec, exec, s[0:1]
	v_cmp_gt_i32_e32 vcc, s16, v0
	s_and_saveexec_b64 s[0:1], vcc
	s_cbranch_execnz .LBB75_15
	s_branch .LBB75_16
	.section	.rodata,"a",@progbits
	.p2align	6, 0x0
	.amdhsa_kernel _ZN2at6native29vectorized_elementwise_kernelILi2ENS0_13AUnaryFunctorIlllZNS0_12_GLOBAL__N_121threshold_kernel_implIlEEvRNS_18TensorIteratorBaseET_S7_EUlllE_EESt5arrayIPcLm2EEEEviT0_T1_
		.amdhsa_group_segment_fixed_size 0
		.amdhsa_private_segment_fixed_size 0
		.amdhsa_kernarg_size 48
		.amdhsa_user_sgpr_count 6
		.amdhsa_user_sgpr_private_segment_buffer 1
		.amdhsa_user_sgpr_dispatch_ptr 0
		.amdhsa_user_sgpr_queue_ptr 0
		.amdhsa_user_sgpr_kernarg_segment_ptr 1
		.amdhsa_user_sgpr_dispatch_id 0
		.amdhsa_user_sgpr_flat_scratch_init 0
		.amdhsa_user_sgpr_private_segment_size 0
		.amdhsa_uses_dynamic_stack 0
		.amdhsa_system_sgpr_private_segment_wavefront_offset 0
		.amdhsa_system_sgpr_workgroup_id_x 1
		.amdhsa_system_sgpr_workgroup_id_y 0
		.amdhsa_system_sgpr_workgroup_id_z 0
		.amdhsa_system_sgpr_workgroup_info 0
		.amdhsa_system_vgpr_workitem_id 0
		.amdhsa_next_free_vgpr 17
		.amdhsa_next_free_sgpr 17
		.amdhsa_reserve_vcc 1
		.amdhsa_reserve_flat_scratch 0
		.amdhsa_float_round_mode_32 0
		.amdhsa_float_round_mode_16_64 0
		.amdhsa_float_denorm_mode_32 3
		.amdhsa_float_denorm_mode_16_64 3
		.amdhsa_dx10_clamp 1
		.amdhsa_ieee_mode 1
		.amdhsa_fp16_overflow 0
		.amdhsa_exception_fp_ieee_invalid_op 0
		.amdhsa_exception_fp_denorm_src 0
		.amdhsa_exception_fp_ieee_div_zero 0
		.amdhsa_exception_fp_ieee_overflow 0
		.amdhsa_exception_fp_ieee_underflow 0
		.amdhsa_exception_fp_ieee_inexact 0
		.amdhsa_exception_int_div_zero 0
	.end_amdhsa_kernel
	.section	.text._ZN2at6native29vectorized_elementwise_kernelILi2ENS0_13AUnaryFunctorIlllZNS0_12_GLOBAL__N_121threshold_kernel_implIlEEvRNS_18TensorIteratorBaseET_S7_EUlllE_EESt5arrayIPcLm2EEEEviT0_T1_,"axG",@progbits,_ZN2at6native29vectorized_elementwise_kernelILi2ENS0_13AUnaryFunctorIlllZNS0_12_GLOBAL__N_121threshold_kernel_implIlEEvRNS_18TensorIteratorBaseET_S7_EUlllE_EESt5arrayIPcLm2EEEEviT0_T1_,comdat
.Lfunc_end75:
	.size	_ZN2at6native29vectorized_elementwise_kernelILi2ENS0_13AUnaryFunctorIlllZNS0_12_GLOBAL__N_121threshold_kernel_implIlEEvRNS_18TensorIteratorBaseET_S7_EUlllE_EESt5arrayIPcLm2EEEEviT0_T1_, .Lfunc_end75-_ZN2at6native29vectorized_elementwise_kernelILi2ENS0_13AUnaryFunctorIlllZNS0_12_GLOBAL__N_121threshold_kernel_implIlEEvRNS_18TensorIteratorBaseET_S7_EUlllE_EESt5arrayIPcLm2EEEEviT0_T1_
                                        ; -- End function
	.set _ZN2at6native29vectorized_elementwise_kernelILi2ENS0_13AUnaryFunctorIlllZNS0_12_GLOBAL__N_121threshold_kernel_implIlEEvRNS_18TensorIteratorBaseET_S7_EUlllE_EESt5arrayIPcLm2EEEEviT0_T1_.num_vgpr, 17
	.set _ZN2at6native29vectorized_elementwise_kernelILi2ENS0_13AUnaryFunctorIlllZNS0_12_GLOBAL__N_121threshold_kernel_implIlEEvRNS_18TensorIteratorBaseET_S7_EUlllE_EESt5arrayIPcLm2EEEEviT0_T1_.num_agpr, 0
	.set _ZN2at6native29vectorized_elementwise_kernelILi2ENS0_13AUnaryFunctorIlllZNS0_12_GLOBAL__N_121threshold_kernel_implIlEEvRNS_18TensorIteratorBaseET_S7_EUlllE_EESt5arrayIPcLm2EEEEviT0_T1_.numbered_sgpr, 17
	.set _ZN2at6native29vectorized_elementwise_kernelILi2ENS0_13AUnaryFunctorIlllZNS0_12_GLOBAL__N_121threshold_kernel_implIlEEvRNS_18TensorIteratorBaseET_S7_EUlllE_EESt5arrayIPcLm2EEEEviT0_T1_.num_named_barrier, 0
	.set _ZN2at6native29vectorized_elementwise_kernelILi2ENS0_13AUnaryFunctorIlllZNS0_12_GLOBAL__N_121threshold_kernel_implIlEEvRNS_18TensorIteratorBaseET_S7_EUlllE_EESt5arrayIPcLm2EEEEviT0_T1_.private_seg_size, 0
	.set _ZN2at6native29vectorized_elementwise_kernelILi2ENS0_13AUnaryFunctorIlllZNS0_12_GLOBAL__N_121threshold_kernel_implIlEEvRNS_18TensorIteratorBaseET_S7_EUlllE_EESt5arrayIPcLm2EEEEviT0_T1_.uses_vcc, 1
	.set _ZN2at6native29vectorized_elementwise_kernelILi2ENS0_13AUnaryFunctorIlllZNS0_12_GLOBAL__N_121threshold_kernel_implIlEEvRNS_18TensorIteratorBaseET_S7_EUlllE_EESt5arrayIPcLm2EEEEviT0_T1_.uses_flat_scratch, 0
	.set _ZN2at6native29vectorized_elementwise_kernelILi2ENS0_13AUnaryFunctorIlllZNS0_12_GLOBAL__N_121threshold_kernel_implIlEEvRNS_18TensorIteratorBaseET_S7_EUlllE_EESt5arrayIPcLm2EEEEviT0_T1_.has_dyn_sized_stack, 0
	.set _ZN2at6native29vectorized_elementwise_kernelILi2ENS0_13AUnaryFunctorIlllZNS0_12_GLOBAL__N_121threshold_kernel_implIlEEvRNS_18TensorIteratorBaseET_S7_EUlllE_EESt5arrayIPcLm2EEEEviT0_T1_.has_recursion, 0
	.set _ZN2at6native29vectorized_elementwise_kernelILi2ENS0_13AUnaryFunctorIlllZNS0_12_GLOBAL__N_121threshold_kernel_implIlEEvRNS_18TensorIteratorBaseET_S7_EUlllE_EESt5arrayIPcLm2EEEEviT0_T1_.has_indirect_call, 0
	.section	.AMDGPU.csdata,"",@progbits
; Kernel info:
; codeLenInByte = 1008
; TotalNumSgprs: 21
; NumVgprs: 17
; ScratchSize: 0
; MemoryBound: 0
; FloatMode: 240
; IeeeMode: 1
; LDSByteSize: 0 bytes/workgroup (compile time only)
; SGPRBlocks: 2
; VGPRBlocks: 4
; NumSGPRsForWavesPerEU: 21
; NumVGPRsForWavesPerEU: 17
; Occupancy: 10
; WaveLimiterHint : 1
; COMPUTE_PGM_RSRC2:SCRATCH_EN: 0
; COMPUTE_PGM_RSRC2:USER_SGPR: 6
; COMPUTE_PGM_RSRC2:TRAP_HANDLER: 0
; COMPUTE_PGM_RSRC2:TGID_X_EN: 1
; COMPUTE_PGM_RSRC2:TGID_Y_EN: 0
; COMPUTE_PGM_RSRC2:TGID_Z_EN: 0
; COMPUTE_PGM_RSRC2:TIDIG_COMP_CNT: 0
	.section	.text._ZN2at6native27unrolled_elementwise_kernelINS0_13AUnaryFunctorIlllZNS0_12_GLOBAL__N_121threshold_kernel_implIlEEvRNS_18TensorIteratorBaseET_S7_EUlllE_EESt5arrayIPcLm2EELi4E23TrivialOffsetCalculatorILi1EjESE_NS0_6memory15LoadWithoutCastENSF_16StoreWithoutCastEEEviS7_T0_T2_T3_T4_T5_,"axG",@progbits,_ZN2at6native27unrolled_elementwise_kernelINS0_13AUnaryFunctorIlllZNS0_12_GLOBAL__N_121threshold_kernel_implIlEEvRNS_18TensorIteratorBaseET_S7_EUlllE_EESt5arrayIPcLm2EELi4E23TrivialOffsetCalculatorILi1EjESE_NS0_6memory15LoadWithoutCastENSF_16StoreWithoutCastEEEviS7_T0_T2_T3_T4_T5_,comdat
	.globl	_ZN2at6native27unrolled_elementwise_kernelINS0_13AUnaryFunctorIlllZNS0_12_GLOBAL__N_121threshold_kernel_implIlEEvRNS_18TensorIteratorBaseET_S7_EUlllE_EESt5arrayIPcLm2EELi4E23TrivialOffsetCalculatorILi1EjESE_NS0_6memory15LoadWithoutCastENSF_16StoreWithoutCastEEEviS7_T0_T2_T3_T4_T5_ ; -- Begin function _ZN2at6native27unrolled_elementwise_kernelINS0_13AUnaryFunctorIlllZNS0_12_GLOBAL__N_121threshold_kernel_implIlEEvRNS_18TensorIteratorBaseET_S7_EUlllE_EESt5arrayIPcLm2EELi4E23TrivialOffsetCalculatorILi1EjESE_NS0_6memory15LoadWithoutCastENSF_16StoreWithoutCastEEEviS7_T0_T2_T3_T4_T5_
	.p2align	8
	.type	_ZN2at6native27unrolled_elementwise_kernelINS0_13AUnaryFunctorIlllZNS0_12_GLOBAL__N_121threshold_kernel_implIlEEvRNS_18TensorIteratorBaseET_S7_EUlllE_EESt5arrayIPcLm2EELi4E23TrivialOffsetCalculatorILi1EjESE_NS0_6memory15LoadWithoutCastENSF_16StoreWithoutCastEEEviS7_T0_T2_T3_T4_T5_,@function
_ZN2at6native27unrolled_elementwise_kernelINS0_13AUnaryFunctorIlllZNS0_12_GLOBAL__N_121threshold_kernel_implIlEEvRNS_18TensorIteratorBaseET_S7_EUlllE_EESt5arrayIPcLm2EELi4E23TrivialOffsetCalculatorILi1EjESE_NS0_6memory15LoadWithoutCastENSF_16StoreWithoutCastEEEviS7_T0_T2_T3_T4_T5_: ; @_ZN2at6native27unrolled_elementwise_kernelINS0_13AUnaryFunctorIlllZNS0_12_GLOBAL__N_121threshold_kernel_implIlEEvRNS_18TensorIteratorBaseET_S7_EUlllE_EESt5arrayIPcLm2EELi4E23TrivialOffsetCalculatorILi1EjESE_NS0_6memory15LoadWithoutCastENSF_16StoreWithoutCastEEEviS7_T0_T2_T3_T4_T5_
; %bb.0:
	s_load_dword s0, s[4:5], 0x0
	s_load_dwordx2 s[2:3], s[4:5], 0x28
	s_lshl_b32 s16, s6, 10
	v_mov_b32_e32 v3, 0
	v_mov_b32_e32 v5, 0
	s_waitcnt lgkmcnt(0)
	s_sub_i32 s17, s0, s16
	v_cmp_gt_i32_e32 vcc, s17, v0
	v_mov_b32_e32 v4, 0
	v_or_b32_e32 v1, s16, v0
	v_mov_b32_e32 v6, 0
	v_mov_b32_e32 v2, v0
	s_and_saveexec_b64 s[6:7], vcc
	s_cbranch_execz .LBB76_2
; %bb.1:
	v_mov_b32_e32 v2, 0
	v_lshlrev_b64 v[5:6], 3, v[1:2]
	v_mov_b32_e32 v2, s3
	v_add_co_u32_e64 v5, s[0:1], s2, v5
	v_addc_co_u32_e64 v6, s[0:1], v2, v6, s[0:1]
	global_load_dwordx2 v[5:6], v[5:6], off
	v_or_b32_e32 v2, 0x100, v0
.LBB76_2:
	s_or_b64 exec, exec, s[6:7]
	s_load_dwordx8 s[8:15], s[4:5], 0x8
	v_cmp_gt_i32_e64 s[0:1], s17, v2
	s_and_saveexec_b64 s[4:5], s[0:1]
	s_cbranch_execz .LBB76_4
; %bb.3:
	v_add_u32_e32 v3, s16, v2
	v_mov_b32_e32 v4, 0
	v_lshlrev_b64 v[3:4], 3, v[3:4]
	v_mov_b32_e32 v7, s3
	v_add_co_u32_e64 v3, s[0:1], s2, v3
	v_addc_co_u32_e64 v4, s[0:1], v7, v4, s[0:1]
	global_load_dwordx2 v[3:4], v[3:4], off
	v_add_u32_e32 v2, 0x100, v2
.LBB76_4:
	s_or_b64 exec, exec, s[4:5]
	v_mov_b32_e32 v7, 0
	v_mov_b32_e32 v9, 0
	;; [unrolled: 1-line block ×4, first 2 shown]
	v_cmp_gt_i32_e64 s[0:1], s17, v2
	s_and_saveexec_b64 s[4:5], s[0:1]
	s_cbranch_execz .LBB76_6
; %bb.5:
	v_add_u32_e32 v9, s16, v2
	v_mov_b32_e32 v10, 0
	v_lshlrev_b64 v[9:10], 3, v[9:10]
	v_mov_b32_e32 v11, s3
	v_add_co_u32_e64 v9, s[0:1], s2, v9
	v_addc_co_u32_e64 v10, s[0:1], v11, v10, s[0:1]
	global_load_dwordx2 v[9:10], v[9:10], off
	v_add_u32_e32 v2, 0x100, v2
.LBB76_6:
	s_or_b64 exec, exec, s[4:5]
	v_cmp_gt_i32_e64 s[0:1], s17, v2
	s_and_saveexec_b64 s[4:5], s[0:1]
	s_cbranch_execz .LBB76_8
; %bb.7:
	v_add_u32_e32 v7, s16, v2
	v_mov_b32_e32 v8, 0
	v_lshlrev_b64 v[7:8], 3, v[7:8]
	v_mov_b32_e32 v2, s3
	v_add_co_u32_e64 v7, s[0:1], s2, v7
	v_addc_co_u32_e64 v8, s[0:1], v2, v8, s[0:1]
	global_load_dwordx2 v[7:8], v[7:8], off
.LBB76_8:
	s_or_b64 exec, exec, s[4:5]
	s_waitcnt lgkmcnt(0)
	v_mov_b32_e32 v11, s8
	v_mov_b32_e32 v12, s9
	v_cmp_gt_i64_e64 s[0:1], s[12:13], v[11:12]
	v_mov_b32_e32 v2, s10
	v_or_b32_e32 v15, 0x100, v0
	v_mov_b32_e32 v16, s11
	s_waitcnt vmcnt(0)
	v_cndmask_b32_e64 v3, v2, v3, s[0:1]
	v_cmp_gt_i32_e64 s[2:3], s17, v15
	v_cndmask_b32_e64 v5, v2, v5, s[0:1]
	v_cndmask_b32_e64 v4, v16, v4, s[0:1]
	;; [unrolled: 1-line block ×3, first 2 shown]
	v_or_b32_e32 v3, 0x200, v0
	v_cndmask_b32_e64 v6, v16, v6, s[0:1]
	v_cndmask_b32_e32 v13, 0, v5, vcc
	v_cndmask_b32_e64 v12, 0, v4, s[2:3]
	v_cndmask_b32_e64 v4, v2, v9, s[0:1]
	v_cndmask_b32_e64 v5, v16, v10, s[0:1]
	v_cmp_gt_i32_e64 s[2:3], s17, v3
	v_or_b32_e32 v3, 0x300, v0
	v_cndmask_b32_e32 v14, 0, v6, vcc
	v_cndmask_b32_e64 v6, 0, v5, s[2:3]
	v_cndmask_b32_e64 v5, 0, v4, s[2:3]
	;; [unrolled: 1-line block ×4, first 2 shown]
	v_cmp_gt_i32_e64 s[0:1], s17, v3
	v_cndmask_b32_e64 v4, 0, v4, s[0:1]
	v_cndmask_b32_e64 v3, 0, v2, s[0:1]
	s_and_saveexec_b64 s[0:1], vcc
	s_cbranch_execnz .LBB76_13
; %bb.9:
	s_or_b64 exec, exec, s[0:1]
	v_cmp_gt_i32_e32 vcc, s17, v0
	s_and_saveexec_b64 s[0:1], vcc
	s_cbranch_execnz .LBB76_14
.LBB76_10:
	s_or_b64 exec, exec, s[0:1]
	v_cmp_gt_i32_e32 vcc, s17, v0
	s_and_saveexec_b64 s[0:1], vcc
	s_cbranch_execnz .LBB76_15
.LBB76_11:
	s_or_b64 exec, exec, s[0:1]
	v_cmp_gt_i32_e32 vcc, s17, v0
	s_and_saveexec_b64 s[0:1], vcc
	s_cbranch_execnz .LBB76_16
.LBB76_12:
	s_endpgm
.LBB76_13:
	v_mov_b32_e32 v2, 0
	v_lshlrev_b64 v[0:1], 3, v[1:2]
	v_mov_b32_e32 v2, s15
	v_add_co_u32_e32 v0, vcc, s14, v0
	v_addc_co_u32_e32 v1, vcc, v2, v1, vcc
	global_store_dwordx2 v[0:1], v[13:14], off
	v_mov_b32_e32 v0, v15
	s_or_b64 exec, exec, s[0:1]
	v_cmp_gt_i32_e32 vcc, s17, v0
	s_and_saveexec_b64 s[0:1], vcc
	s_cbranch_execz .LBB76_10
.LBB76_14:
	v_add_u32_e32 v2, 0x100, v0
	v_add_u32_e32 v0, s16, v0
	v_mov_b32_e32 v1, 0
	v_lshlrev_b64 v[0:1], 3, v[0:1]
	v_mov_b32_e32 v7, s15
	v_add_co_u32_e32 v0, vcc, s14, v0
	v_addc_co_u32_e32 v1, vcc, v7, v1, vcc
	global_store_dwordx2 v[0:1], v[11:12], off
	v_mov_b32_e32 v0, v2
	s_or_b64 exec, exec, s[0:1]
	v_cmp_gt_i32_e32 vcc, s17, v0
	s_and_saveexec_b64 s[0:1], vcc
	s_cbranch_execz .LBB76_11
.LBB76_15:
	v_add_u32_e32 v2, 0x100, v0
	v_add_u32_e32 v0, s16, v0
	v_mov_b32_e32 v1, 0
	v_lshlrev_b64 v[0:1], 3, v[0:1]
	v_mov_b32_e32 v7, s15
	v_add_co_u32_e32 v0, vcc, s14, v0
	v_addc_co_u32_e32 v1, vcc, v7, v1, vcc
	global_store_dwordx2 v[0:1], v[5:6], off
	v_mov_b32_e32 v0, v2
	s_or_b64 exec, exec, s[0:1]
	v_cmp_gt_i32_e32 vcc, s17, v0
	s_and_saveexec_b64 s[0:1], vcc
	s_cbranch_execz .LBB76_12
.LBB76_16:
	v_add_u32_e32 v0, s16, v0
	v_mov_b32_e32 v1, 0
	v_lshlrev_b64 v[0:1], 3, v[0:1]
	v_mov_b32_e32 v2, s15
	v_add_co_u32_e32 v0, vcc, s14, v0
	v_addc_co_u32_e32 v1, vcc, v2, v1, vcc
	global_store_dwordx2 v[0:1], v[3:4], off
	s_endpgm
	.section	.rodata,"a",@progbits
	.p2align	6, 0x0
	.amdhsa_kernel _ZN2at6native27unrolled_elementwise_kernelINS0_13AUnaryFunctorIlllZNS0_12_GLOBAL__N_121threshold_kernel_implIlEEvRNS_18TensorIteratorBaseET_S7_EUlllE_EESt5arrayIPcLm2EELi4E23TrivialOffsetCalculatorILi1EjESE_NS0_6memory15LoadWithoutCastENSF_16StoreWithoutCastEEEviS7_T0_T2_T3_T4_T5_
		.amdhsa_group_segment_fixed_size 0
		.amdhsa_private_segment_fixed_size 0
		.amdhsa_kernarg_size 52
		.amdhsa_user_sgpr_count 6
		.amdhsa_user_sgpr_private_segment_buffer 1
		.amdhsa_user_sgpr_dispatch_ptr 0
		.amdhsa_user_sgpr_queue_ptr 0
		.amdhsa_user_sgpr_kernarg_segment_ptr 1
		.amdhsa_user_sgpr_dispatch_id 0
		.amdhsa_user_sgpr_flat_scratch_init 0
		.amdhsa_user_sgpr_private_segment_size 0
		.amdhsa_uses_dynamic_stack 0
		.amdhsa_system_sgpr_private_segment_wavefront_offset 0
		.amdhsa_system_sgpr_workgroup_id_x 1
		.amdhsa_system_sgpr_workgroup_id_y 0
		.amdhsa_system_sgpr_workgroup_id_z 0
		.amdhsa_system_sgpr_workgroup_info 0
		.amdhsa_system_vgpr_workitem_id 0
		.amdhsa_next_free_vgpr 17
		.amdhsa_next_free_sgpr 18
		.amdhsa_reserve_vcc 1
		.amdhsa_reserve_flat_scratch 0
		.amdhsa_float_round_mode_32 0
		.amdhsa_float_round_mode_16_64 0
		.amdhsa_float_denorm_mode_32 3
		.amdhsa_float_denorm_mode_16_64 3
		.amdhsa_dx10_clamp 1
		.amdhsa_ieee_mode 1
		.amdhsa_fp16_overflow 0
		.amdhsa_exception_fp_ieee_invalid_op 0
		.amdhsa_exception_fp_denorm_src 0
		.amdhsa_exception_fp_ieee_div_zero 0
		.amdhsa_exception_fp_ieee_overflow 0
		.amdhsa_exception_fp_ieee_underflow 0
		.amdhsa_exception_fp_ieee_inexact 0
		.amdhsa_exception_int_div_zero 0
	.end_amdhsa_kernel
	.section	.text._ZN2at6native27unrolled_elementwise_kernelINS0_13AUnaryFunctorIlllZNS0_12_GLOBAL__N_121threshold_kernel_implIlEEvRNS_18TensorIteratorBaseET_S7_EUlllE_EESt5arrayIPcLm2EELi4E23TrivialOffsetCalculatorILi1EjESE_NS0_6memory15LoadWithoutCastENSF_16StoreWithoutCastEEEviS7_T0_T2_T3_T4_T5_,"axG",@progbits,_ZN2at6native27unrolled_elementwise_kernelINS0_13AUnaryFunctorIlllZNS0_12_GLOBAL__N_121threshold_kernel_implIlEEvRNS_18TensorIteratorBaseET_S7_EUlllE_EESt5arrayIPcLm2EELi4E23TrivialOffsetCalculatorILi1EjESE_NS0_6memory15LoadWithoutCastENSF_16StoreWithoutCastEEEviS7_T0_T2_T3_T4_T5_,comdat
.Lfunc_end76:
	.size	_ZN2at6native27unrolled_elementwise_kernelINS0_13AUnaryFunctorIlllZNS0_12_GLOBAL__N_121threshold_kernel_implIlEEvRNS_18TensorIteratorBaseET_S7_EUlllE_EESt5arrayIPcLm2EELi4E23TrivialOffsetCalculatorILi1EjESE_NS0_6memory15LoadWithoutCastENSF_16StoreWithoutCastEEEviS7_T0_T2_T3_T4_T5_, .Lfunc_end76-_ZN2at6native27unrolled_elementwise_kernelINS0_13AUnaryFunctorIlllZNS0_12_GLOBAL__N_121threshold_kernel_implIlEEvRNS_18TensorIteratorBaseET_S7_EUlllE_EESt5arrayIPcLm2EELi4E23TrivialOffsetCalculatorILi1EjESE_NS0_6memory15LoadWithoutCastENSF_16StoreWithoutCastEEEviS7_T0_T2_T3_T4_T5_
                                        ; -- End function
	.set _ZN2at6native27unrolled_elementwise_kernelINS0_13AUnaryFunctorIlllZNS0_12_GLOBAL__N_121threshold_kernel_implIlEEvRNS_18TensorIteratorBaseET_S7_EUlllE_EESt5arrayIPcLm2EELi4E23TrivialOffsetCalculatorILi1EjESE_NS0_6memory15LoadWithoutCastENSF_16StoreWithoutCastEEEviS7_T0_T2_T3_T4_T5_.num_vgpr, 17
	.set _ZN2at6native27unrolled_elementwise_kernelINS0_13AUnaryFunctorIlllZNS0_12_GLOBAL__N_121threshold_kernel_implIlEEvRNS_18TensorIteratorBaseET_S7_EUlllE_EESt5arrayIPcLm2EELi4E23TrivialOffsetCalculatorILi1EjESE_NS0_6memory15LoadWithoutCastENSF_16StoreWithoutCastEEEviS7_T0_T2_T3_T4_T5_.num_agpr, 0
	.set _ZN2at6native27unrolled_elementwise_kernelINS0_13AUnaryFunctorIlllZNS0_12_GLOBAL__N_121threshold_kernel_implIlEEvRNS_18TensorIteratorBaseET_S7_EUlllE_EESt5arrayIPcLm2EELi4E23TrivialOffsetCalculatorILi1EjESE_NS0_6memory15LoadWithoutCastENSF_16StoreWithoutCastEEEviS7_T0_T2_T3_T4_T5_.numbered_sgpr, 18
	.set _ZN2at6native27unrolled_elementwise_kernelINS0_13AUnaryFunctorIlllZNS0_12_GLOBAL__N_121threshold_kernel_implIlEEvRNS_18TensorIteratorBaseET_S7_EUlllE_EESt5arrayIPcLm2EELi4E23TrivialOffsetCalculatorILi1EjESE_NS0_6memory15LoadWithoutCastENSF_16StoreWithoutCastEEEviS7_T0_T2_T3_T4_T5_.num_named_barrier, 0
	.set _ZN2at6native27unrolled_elementwise_kernelINS0_13AUnaryFunctorIlllZNS0_12_GLOBAL__N_121threshold_kernel_implIlEEvRNS_18TensorIteratorBaseET_S7_EUlllE_EESt5arrayIPcLm2EELi4E23TrivialOffsetCalculatorILi1EjESE_NS0_6memory15LoadWithoutCastENSF_16StoreWithoutCastEEEviS7_T0_T2_T3_T4_T5_.private_seg_size, 0
	.set _ZN2at6native27unrolled_elementwise_kernelINS0_13AUnaryFunctorIlllZNS0_12_GLOBAL__N_121threshold_kernel_implIlEEvRNS_18TensorIteratorBaseET_S7_EUlllE_EESt5arrayIPcLm2EELi4E23TrivialOffsetCalculatorILi1EjESE_NS0_6memory15LoadWithoutCastENSF_16StoreWithoutCastEEEviS7_T0_T2_T3_T4_T5_.uses_vcc, 1
	.set _ZN2at6native27unrolled_elementwise_kernelINS0_13AUnaryFunctorIlllZNS0_12_GLOBAL__N_121threshold_kernel_implIlEEvRNS_18TensorIteratorBaseET_S7_EUlllE_EESt5arrayIPcLm2EELi4E23TrivialOffsetCalculatorILi1EjESE_NS0_6memory15LoadWithoutCastENSF_16StoreWithoutCastEEEviS7_T0_T2_T3_T4_T5_.uses_flat_scratch, 0
	.set _ZN2at6native27unrolled_elementwise_kernelINS0_13AUnaryFunctorIlllZNS0_12_GLOBAL__N_121threshold_kernel_implIlEEvRNS_18TensorIteratorBaseET_S7_EUlllE_EESt5arrayIPcLm2EELi4E23TrivialOffsetCalculatorILi1EjESE_NS0_6memory15LoadWithoutCastENSF_16StoreWithoutCastEEEviS7_T0_T2_T3_T4_T5_.has_dyn_sized_stack, 0
	.set _ZN2at6native27unrolled_elementwise_kernelINS0_13AUnaryFunctorIlllZNS0_12_GLOBAL__N_121threshold_kernel_implIlEEvRNS_18TensorIteratorBaseET_S7_EUlllE_EESt5arrayIPcLm2EELi4E23TrivialOffsetCalculatorILi1EjESE_NS0_6memory15LoadWithoutCastENSF_16StoreWithoutCastEEEviS7_T0_T2_T3_T4_T5_.has_recursion, 0
	.set _ZN2at6native27unrolled_elementwise_kernelINS0_13AUnaryFunctorIlllZNS0_12_GLOBAL__N_121threshold_kernel_implIlEEvRNS_18TensorIteratorBaseET_S7_EUlllE_EESt5arrayIPcLm2EELi4E23TrivialOffsetCalculatorILi1EjESE_NS0_6memory15LoadWithoutCastENSF_16StoreWithoutCastEEEviS7_T0_T2_T3_T4_T5_.has_indirect_call, 0
	.section	.AMDGPU.csdata,"",@progbits
; Kernel info:
; codeLenInByte = 828
; TotalNumSgprs: 22
; NumVgprs: 17
; ScratchSize: 0
; MemoryBound: 0
; FloatMode: 240
; IeeeMode: 1
; LDSByteSize: 0 bytes/workgroup (compile time only)
; SGPRBlocks: 2
; VGPRBlocks: 4
; NumSGPRsForWavesPerEU: 22
; NumVGPRsForWavesPerEU: 17
; Occupancy: 10
; WaveLimiterHint : 0
; COMPUTE_PGM_RSRC2:SCRATCH_EN: 0
; COMPUTE_PGM_RSRC2:USER_SGPR: 6
; COMPUTE_PGM_RSRC2:TRAP_HANDLER: 0
; COMPUTE_PGM_RSRC2:TGID_X_EN: 1
; COMPUTE_PGM_RSRC2:TGID_Y_EN: 0
; COMPUTE_PGM_RSRC2:TGID_Z_EN: 0
; COMPUTE_PGM_RSRC2:TIDIG_COMP_CNT: 0
	.section	.text._ZN2at6native32elementwise_kernel_manual_unrollILi128ELi4EZNS0_22gpu_kernel_impl_nocastINS0_13AUnaryFunctorIlllZNS0_12_GLOBAL__N_121threshold_kernel_implIlEEvRNS_18TensorIteratorBaseET_S8_EUlllE_EEEEvS7_RKS8_EUlibE_EEviT1_,"axG",@progbits,_ZN2at6native32elementwise_kernel_manual_unrollILi128ELi4EZNS0_22gpu_kernel_impl_nocastINS0_13AUnaryFunctorIlllZNS0_12_GLOBAL__N_121threshold_kernel_implIlEEvRNS_18TensorIteratorBaseET_S8_EUlllE_EEEEvS7_RKS8_EUlibE_EEviT1_,comdat
	.globl	_ZN2at6native32elementwise_kernel_manual_unrollILi128ELi4EZNS0_22gpu_kernel_impl_nocastINS0_13AUnaryFunctorIlllZNS0_12_GLOBAL__N_121threshold_kernel_implIlEEvRNS_18TensorIteratorBaseET_S8_EUlllE_EEEEvS7_RKS8_EUlibE_EEviT1_ ; -- Begin function _ZN2at6native32elementwise_kernel_manual_unrollILi128ELi4EZNS0_22gpu_kernel_impl_nocastINS0_13AUnaryFunctorIlllZNS0_12_GLOBAL__N_121threshold_kernel_implIlEEvRNS_18TensorIteratorBaseET_S8_EUlllE_EEEEvS7_RKS8_EUlibE_EEviT1_
	.p2align	8
	.type	_ZN2at6native32elementwise_kernel_manual_unrollILi128ELi4EZNS0_22gpu_kernel_impl_nocastINS0_13AUnaryFunctorIlllZNS0_12_GLOBAL__N_121threshold_kernel_implIlEEvRNS_18TensorIteratorBaseET_S8_EUlllE_EEEEvS7_RKS8_EUlibE_EEviT1_,@function
_ZN2at6native32elementwise_kernel_manual_unrollILi128ELi4EZNS0_22gpu_kernel_impl_nocastINS0_13AUnaryFunctorIlllZNS0_12_GLOBAL__N_121threshold_kernel_implIlEEvRNS_18TensorIteratorBaseET_S8_EUlllE_EEEEvS7_RKS8_EUlibE_EEviT1_: ; @_ZN2at6native32elementwise_kernel_manual_unrollILi128ELi4EZNS0_22gpu_kernel_impl_nocastINS0_13AUnaryFunctorIlllZNS0_12_GLOBAL__N_121threshold_kernel_implIlEEvRNS_18TensorIteratorBaseET_S8_EUlllE_EEEEvS7_RKS8_EUlibE_EEviT1_
; %bb.0:
	s_load_dword s59, s[4:5], 0x0
	s_load_dword s33, s[4:5], 0x8
	s_add_u32 s34, s4, 8
	s_addc_u32 s35, s5, 0
	v_lshl_or_b32 v7, s6, 9, v0
	v_or_b32_e32 v13, 0x180, v7
	s_waitcnt lgkmcnt(0)
	s_add_i32 s58, s33, -1
	s_cmp_gt_u32 s58, 1
	v_cmp_le_i32_e32 vcc, s59, v13
	s_cselect_b64 s[2:3], -1, 0
	s_and_saveexec_b64 s[0:1], vcc
	s_xor_b64 s[44:45], exec, s[0:1]
	s_cbranch_execz .LBB77_7
; %bb.1:
	s_load_dwordx4 s[28:31], s[34:35], 0x4
	s_load_dwordx2 s[46:47], s[34:35], 0x14
	s_load_dwordx8 s[4:11], s[34:35], 0x148
	s_load_dwordx4 s[36:39], s[34:35], 0xc4
	s_load_dwordx2 s[0:1], s[34:35], 0x168
	s_cmp_lg_u32 s33, 0
	s_cselect_b64 s[52:53], -1, 0
	s_add_u32 s50, s34, 0xc4
	s_addc_u32 s51, s35, 0
	s_min_u32 s60, s58, 15
	s_waitcnt lgkmcnt(0)
	v_mov_b32_e32 v0, s8
	v_mov_b32_e32 v1, s9
	s_cmp_gt_u32 s33, 1
	v_cmp_gt_i64_e64 s[0:1], s[0:1], v[0:1]
	s_cselect_b64 s[48:49], -1, 0
	v_cmp_gt_i32_e32 vcc, s59, v7
	s_and_saveexec_b64 s[8:9], vcc
	s_cbranch_execz .LBB77_14
; %bb.2:
	s_andn2_b64 vcc, exec, s[2:3]
	s_cbranch_vccnz .LBB77_21
; %bb.3:
	s_andn2_b64 vcc, exec, s[52:53]
	s_cbranch_vccnz .LBB77_73
; %bb.4:
	s_add_i32 s62, s60, 1
	s_cmp_eq_u32 s58, 2
	s_cbranch_scc1 .LBB77_75
; %bb.5:
	s_and_b32 s61, s62, 28
	v_mov_b32_e32 v2, 0
	s_mov_b32 s63, 0
	s_mov_b64 s[54:55], s[34:35]
	s_mov_b64 s[56:57], s[50:51]
	v_mov_b32_e32 v0, 0
	v_mov_b32_e32 v1, v7
.LBB77_6:                               ; =>This Inner Loop Header: Depth=1
	s_load_dwordx8 s[20:27], s[54:55], 0x4
	s_load_dwordx4 s[40:43], s[54:55], 0x24
	s_load_dwordx8 s[12:19], s[56:57], 0x0
	s_add_u32 s54, s54, 48
	s_addc_u32 s55, s55, 0
	s_waitcnt lgkmcnt(0)
	v_mul_hi_u32 v3, s21, v1
	s_add_i32 s63, s63, 4
	s_add_u32 s56, s56, 32
	s_addc_u32 s57, s57, 0
	v_add_u32_e32 v3, v1, v3
	v_lshrrev_b32_e32 v3, s22, v3
	v_mul_lo_u32 v4, v3, s20
	v_mul_hi_u32 v5, s24, v3
	s_cmp_lg_u32 s61, s63
	v_sub_u32_e32 v1, v1, v4
	v_add_u32_e32 v4, v3, v5
	v_mul_lo_u32 v5, v1, s12
	v_mul_lo_u32 v6, v1, s13
	v_lshrrev_b32_e32 v1, s25, v4
	v_mul_lo_u32 v4, v1, s23
	v_mul_hi_u32 v8, s27, v1
	v_sub_u32_e32 v3, v3, v4
	v_add_u32_e32 v4, v1, v8
	v_lshrrev_b32_e32 v4, s40, v4
	v_mul_hi_u32 v9, s42, v4
	v_mul_lo_u32 v10, v4, s26
	v_mul_lo_u32 v8, v3, s14
	;; [unrolled: 1-line block ×3, first 2 shown]
	v_sub_u32_e32 v10, v1, v10
	v_add_u32_e32 v1, v4, v9
	v_lshrrev_b32_e32 v1, s43, v1
	v_mul_lo_u32 v9, v1, s41
	v_mul_lo_u32 v11, v10, s16
	;; [unrolled: 1-line block ×3, first 2 shown]
	v_add3_u32 v0, v5, v0, v8
	v_sub_u32_e32 v4, v4, v9
	v_mul_lo_u32 v9, v4, s18
	v_mul_lo_u32 v4, v4, s19
	v_add3_u32 v2, v6, v2, v3
	v_add3_u32 v0, v11, v0, v9
	;; [unrolled: 1-line block ×3, first 2 shown]
	s_cbranch_scc1 .LBB77_6
	s_branch .LBB77_76
.LBB77_7:
	s_andn2_saveexec_b64 s[0:1], s[44:45]
	s_cbranch_execz .LBB77_101
.LBB77_8:
	v_cndmask_b32_e64 v0, 0, 1, s[2:3]
	v_cmp_ne_u32_e64 s[0:1], 1, v0
	s_andn2_b64 vcc, exec, s[2:3]
	s_cbranch_vccnz .LBB77_20
; %bb.9:
	s_cmp_lg_u32 s33, 0
	s_mov_b32 s26, 0
	s_cbranch_scc0 .LBB77_23
; %bb.10:
	s_min_u32 s27, s58, 15
	s_add_i32 s27, s27, 1
	s_cmp_eq_u32 s58, 2
	s_cbranch_scc1 .LBB77_24
; %bb.11:
	s_and_b32 s26, s27, 28
	s_add_u32 s2, s34, 0xc4
	s_addc_u32 s3, s35, 0
	v_mov_b32_e32 v2, 0
	s_mov_b32 s28, 0
	s_mov_b64 s[24:25], s[34:35]
	v_mov_b32_e32 v0, 0
	v_mov_b32_e32 v1, v7
.LBB77_12:                              ; =>This Inner Loop Header: Depth=1
	s_load_dwordx8 s[12:19], s[24:25], 0x4
	s_load_dwordx4 s[20:23], s[24:25], 0x24
	s_load_dwordx8 s[4:11], s[2:3], 0x0
	s_add_u32 s24, s24, 48
	s_addc_u32 s25, s25, 0
	s_waitcnt lgkmcnt(0)
	v_mul_hi_u32 v3, s13, v1
	s_add_i32 s28, s28, 4
	s_add_u32 s2, s2, 32
	s_addc_u32 s3, s3, 0
	v_add_u32_e32 v3, v1, v3
	v_lshrrev_b32_e32 v3, s14, v3
	v_mul_lo_u32 v4, v3, s12
	v_mul_hi_u32 v5, s16, v3
	s_cmp_lg_u32 s26, s28
	v_sub_u32_e32 v1, v1, v4
	v_add_u32_e32 v4, v3, v5
	v_mul_lo_u32 v5, v1, s4
	v_mul_lo_u32 v6, v1, s5
	v_lshrrev_b32_e32 v1, s17, v4
	v_mul_lo_u32 v4, v1, s15
	v_mul_hi_u32 v8, s19, v1
	v_sub_u32_e32 v3, v3, v4
	v_add_u32_e32 v4, v1, v8
	v_lshrrev_b32_e32 v4, s20, v4
	v_mul_hi_u32 v9, s22, v4
	v_mul_lo_u32 v10, v4, s18
	v_mul_lo_u32 v8, v3, s6
	;; [unrolled: 1-line block ×3, first 2 shown]
	v_sub_u32_e32 v10, v1, v10
	v_add_u32_e32 v1, v4, v9
	v_lshrrev_b32_e32 v1, s23, v1
	v_mul_lo_u32 v9, v1, s21
	v_mul_lo_u32 v11, v10, s8
	;; [unrolled: 1-line block ×3, first 2 shown]
	v_add3_u32 v0, v5, v0, v8
	v_sub_u32_e32 v4, v4, v9
	v_mul_lo_u32 v9, v4, s10
	v_mul_lo_u32 v4, v4, s11
	v_add3_u32 v2, v6, v2, v3
	v_add3_u32 v0, v11, v0, v9
	;; [unrolled: 1-line block ×3, first 2 shown]
	s_cbranch_scc1 .LBB77_12
; %bb.13:
	s_and_b32 s6, s27, 3
	s_cmp_eq_u32 s6, 0
	s_cbranch_scc0 .LBB77_25
	s_branch .LBB77_27
.LBB77_14:
	s_or_b64 exec, exec, s[8:9]
	v_cmp_gt_i32_e32 vcc, s59, v7
	s_and_saveexec_b64 s[8:9], vcc
	s_cbranch_execz .LBB77_83
.LBB77_15:
	s_andn2_b64 vcc, exec, s[2:3]
	s_cbranch_vccnz .LBB77_22
; %bb.16:
	s_andn2_b64 vcc, exec, s[52:53]
	s_cbranch_vccnz .LBB77_74
; %bb.17:
	s_add_i32 s62, s60, 1
	s_cmp_eq_u32 s58, 2
	s_cbranch_scc1 .LBB77_91
; %bb.18:
	s_and_b32 s61, s62, 28
	v_mov_b32_e32 v2, 0
	s_mov_b32 s63, 0
	s_mov_b64 s[54:55], s[34:35]
	s_mov_b64 s[56:57], s[50:51]
	v_mov_b32_e32 v0, 0
	v_mov_b32_e32 v1, v7
.LBB77_19:                              ; =>This Inner Loop Header: Depth=1
	s_load_dwordx8 s[20:27], s[54:55], 0x4
	s_load_dwordx4 s[40:43], s[54:55], 0x24
	s_load_dwordx8 s[12:19], s[56:57], 0x0
	s_add_u32 s54, s54, 48
	s_addc_u32 s55, s55, 0
	s_waitcnt lgkmcnt(0)
	v_mul_hi_u32 v3, s21, v1
	s_add_i32 s63, s63, 4
	s_add_u32 s56, s56, 32
	s_addc_u32 s57, s57, 0
	v_add_u32_e32 v3, v1, v3
	v_lshrrev_b32_e32 v3, s22, v3
	v_mul_lo_u32 v4, v3, s20
	v_mul_hi_u32 v5, s24, v3
	s_cmp_eq_u32 s61, s63
	v_sub_u32_e32 v1, v1, v4
	v_add_u32_e32 v4, v3, v5
	v_mul_lo_u32 v5, v1, s12
	v_mul_lo_u32 v6, v1, s13
	v_lshrrev_b32_e32 v1, s25, v4
	v_mul_lo_u32 v4, v1, s23
	v_mul_hi_u32 v8, s27, v1
	v_sub_u32_e32 v3, v3, v4
	v_add_u32_e32 v4, v1, v8
	v_lshrrev_b32_e32 v4, s40, v4
	v_mul_hi_u32 v9, s42, v4
	v_mul_lo_u32 v10, v4, s26
	v_mul_lo_u32 v8, v3, s14
	;; [unrolled: 1-line block ×3, first 2 shown]
	v_sub_u32_e32 v10, v1, v10
	v_add_u32_e32 v1, v4, v9
	v_lshrrev_b32_e32 v1, s43, v1
	v_mul_lo_u32 v9, v1, s41
	v_mul_lo_u32 v11, v10, s16
	v_mul_lo_u32 v10, v10, s17
	v_add3_u32 v0, v5, v0, v8
	v_sub_u32_e32 v4, v4, v9
	v_mul_lo_u32 v9, v4, s18
	v_mul_lo_u32 v4, v4, s19
	v_add3_u32 v2, v6, v2, v3
	v_add3_u32 v0, v11, v0, v9
	;; [unrolled: 1-line block ×3, first 2 shown]
	s_cbranch_scc0 .LBB77_19
	s_branch .LBB77_92
.LBB77_20:
                                        ; implicit-def: $vgpr0
                                        ; implicit-def: $vgpr2
	s_branch .LBB77_28
.LBB77_21:
                                        ; implicit-def: $vgpr0
                                        ; implicit-def: $vgpr2
	s_branch .LBB77_80
.LBB77_22:
                                        ; implicit-def: $vgpr0
                                        ; implicit-def: $vgpr2
	s_branch .LBB77_96
.LBB77_23:
	v_mov_b32_e32 v0, 0
	v_mov_b32_e32 v2, 0
	s_branch .LBB77_27
.LBB77_24:
	v_mov_b32_e32 v0, 0
	v_mov_b32_e32 v2, 0
	;; [unrolled: 1-line block ×3, first 2 shown]
	s_and_b32 s6, s27, 3
	s_cmp_eq_u32 s6, 0
	s_cbranch_scc1 .LBB77_27
.LBB77_25:
	s_lshl_b32 s2, s26, 3
	s_add_u32 s2, s34, s2
	s_addc_u32 s3, s35, 0
	s_add_u32 s2, s2, 0xc4
	s_addc_u32 s3, s3, 0
	s_mul_i32 s4, s26, 12
	s_add_u32 s4, s34, s4
	s_addc_u32 s5, s35, 0
.LBB77_26:                              ; =>This Inner Loop Header: Depth=1
	s_load_dwordx2 s[8:9], s[4:5], 0x4
	s_load_dword s7, s[4:5], 0xc
	s_load_dwordx2 s[10:11], s[2:3], 0x0
	s_add_u32 s4, s4, 12
	s_addc_u32 s5, s5, 0
	s_waitcnt lgkmcnt(0)
	v_mul_hi_u32 v4, s9, v1
	s_add_u32 s2, s2, 8
	s_addc_u32 s3, s3, 0
	s_add_i32 s6, s6, -1
	v_add_u32_e32 v4, v1, v4
	v_lshrrev_b32_e32 v4, s7, v4
	v_mul_lo_u32 v5, v4, s8
	s_cmp_lg_u32 s6, 0
	v_sub_u32_e32 v5, v1, v5
	v_mad_u64_u32 v[0:1], s[8:9], v5, s10, v[0:1]
	v_mad_u64_u32 v[2:3], s[8:9], v5, s11, v[2:3]
	v_mov_b32_e32 v1, v4
	s_cbranch_scc1 .LBB77_26
.LBB77_27:
	s_cbranch_execnz .LBB77_30
.LBB77_28:
	s_load_dwordx4 s[4:7], s[34:35], 0x4
	s_load_dwordx2 s[2:3], s[34:35], 0xc4
	s_cmp_lt_u32 s33, 2
	s_waitcnt lgkmcnt(0)
	v_mul_hi_u32 v0, s5, v7
	v_add_u32_e32 v0, v7, v0
	v_lshrrev_b32_e32 v1, s6, v0
	v_mul_lo_u32 v0, v1, s4
	v_sub_u32_e32 v2, v7, v0
	v_mul_lo_u32 v0, v2, s2
	v_mul_lo_u32 v2, v2, s3
	s_cbranch_scc1 .LBB77_30
; %bb.29:
	s_load_dwordx4 s[4:7], s[34:35], 0x10
	s_load_dwordx2 s[2:3], s[34:35], 0xcc
	s_waitcnt lgkmcnt(0)
	v_mul_hi_u32 v3, s5, v1
	v_add_u32_e32 v3, v1, v3
	v_lshrrev_b32_e32 v3, s6, v3
	v_mul_lo_u32 v3, v3, s4
	v_sub_u32_e32 v3, v1, v3
	v_mad_u64_u32 v[0:1], s[4:5], v3, s2, v[0:1]
	v_mad_u64_u32 v[2:3], s[2:3], v3, s3, v[2:3]
.LBB77_30:
	s_and_b64 vcc, exec, s[0:1]
	v_add_u32_e32 v1, 0x80, v7
	s_cbranch_vccnz .LBB77_36
; %bb.31:
	s_cmp_lg_u32 s33, 0
	s_mov_b32 s26, 0
	s_cbranch_scc0 .LBB77_37
; %bb.32:
	s_min_u32 s27, s58, 15
	s_add_i32 s27, s27, 1
	s_cmp_eq_u32 s58, 2
	s_cbranch_scc1 .LBB77_38
; %bb.33:
	s_and_b32 s26, s27, 28
	s_add_u32 s2, s34, 0xc4
	s_addc_u32 s3, s35, 0
	v_mov_b32_e32 v5, 0
	s_mov_b32 s28, 0
	s_mov_b64 s[24:25], s[34:35]
	v_mov_b32_e32 v3, 0
	v_mov_b32_e32 v4, v1
.LBB77_34:                              ; =>This Inner Loop Header: Depth=1
	s_load_dwordx8 s[12:19], s[24:25], 0x4
	s_load_dwordx4 s[20:23], s[24:25], 0x24
	s_load_dwordx8 s[4:11], s[2:3], 0x0
	s_add_u32 s24, s24, 48
	s_addc_u32 s25, s25, 0
	s_waitcnt lgkmcnt(0)
	v_mul_hi_u32 v6, s13, v4
	s_add_i32 s28, s28, 4
	s_add_u32 s2, s2, 32
	s_addc_u32 s3, s3, 0
	v_add_u32_e32 v6, v4, v6
	v_lshrrev_b32_e32 v6, s14, v6
	v_mul_lo_u32 v8, v6, s12
	v_mul_hi_u32 v9, s16, v6
	s_cmp_lg_u32 s26, s28
	v_sub_u32_e32 v4, v4, v8
	v_add_u32_e32 v8, v6, v9
	v_mul_lo_u32 v9, v4, s4
	v_mul_lo_u32 v10, v4, s5
	v_lshrrev_b32_e32 v4, s17, v8
	v_mul_lo_u32 v8, v4, s15
	v_mul_hi_u32 v11, s19, v4
	v_sub_u32_e32 v6, v6, v8
	v_add_u32_e32 v8, v4, v11
	v_lshrrev_b32_e32 v8, s20, v8
	v_mul_hi_u32 v12, s22, v8
	v_mul_lo_u32 v14, v8, s18
	v_mul_lo_u32 v11, v6, s6
	;; [unrolled: 1-line block ×3, first 2 shown]
	v_sub_u32_e32 v14, v4, v14
	v_add_u32_e32 v4, v8, v12
	v_lshrrev_b32_e32 v4, s23, v4
	v_mul_lo_u32 v12, v4, s21
	v_mul_lo_u32 v15, v14, s8
	;; [unrolled: 1-line block ×3, first 2 shown]
	v_add3_u32 v3, v9, v3, v11
	v_sub_u32_e32 v8, v8, v12
	v_mul_lo_u32 v12, v8, s10
	v_mul_lo_u32 v8, v8, s11
	v_add3_u32 v5, v10, v5, v6
	v_add3_u32 v3, v15, v3, v12
	;; [unrolled: 1-line block ×3, first 2 shown]
	s_cbranch_scc1 .LBB77_34
; %bb.35:
	s_and_b32 s6, s27, 3
	s_cmp_eq_u32 s6, 0
	s_cbranch_scc0 .LBB77_39
	s_branch .LBB77_41
.LBB77_36:
                                        ; implicit-def: $vgpr3
                                        ; implicit-def: $vgpr5
	s_branch .LBB77_42
.LBB77_37:
	v_mov_b32_e32 v3, 0
	v_mov_b32_e32 v5, 0
	s_branch .LBB77_41
.LBB77_38:
	v_mov_b32_e32 v3, 0
	v_mov_b32_e32 v5, 0
	v_mov_b32_e32 v4, v1
	s_and_b32 s6, s27, 3
	s_cmp_eq_u32 s6, 0
	s_cbranch_scc1 .LBB77_41
.LBB77_39:
	s_lshl_b32 s2, s26, 3
	s_add_u32 s2, s34, s2
	s_addc_u32 s3, s35, 0
	s_add_u32 s2, s2, 0xc4
	s_addc_u32 s3, s3, 0
	s_mul_i32 s4, s26, 12
	s_add_u32 s4, s34, s4
	s_addc_u32 s5, s35, 0
.LBB77_40:                              ; =>This Inner Loop Header: Depth=1
	s_load_dwordx2 s[8:9], s[4:5], 0x4
	s_load_dword s7, s[4:5], 0xc
	s_load_dwordx2 s[10:11], s[2:3], 0x0
	s_add_u32 s4, s4, 12
	s_addc_u32 s5, s5, 0
	s_waitcnt lgkmcnt(0)
	v_mul_hi_u32 v8, s9, v4
	s_add_u32 s2, s2, 8
	s_addc_u32 s3, s3, 0
	s_add_i32 s6, s6, -1
	v_add_u32_e32 v8, v4, v8
	v_lshrrev_b32_e32 v8, s7, v8
	v_mul_lo_u32 v9, v8, s8
	s_cmp_lg_u32 s6, 0
	v_sub_u32_e32 v9, v4, v9
	v_mad_u64_u32 v[3:4], s[8:9], v9, s10, v[3:4]
	v_mad_u64_u32 v[5:6], s[8:9], v9, s11, v[5:6]
	v_mov_b32_e32 v4, v8
	s_cbranch_scc1 .LBB77_40
.LBB77_41:
	s_cbranch_execnz .LBB77_44
.LBB77_42:
	s_load_dwordx4 s[4:7], s[34:35], 0x4
	s_load_dwordx2 s[2:3], s[34:35], 0xc4
	s_cmp_lt_u32 s33, 2
	s_waitcnt lgkmcnt(0)
	v_mul_hi_u32 v3, s5, v1
	v_add_u32_e32 v3, v1, v3
	v_lshrrev_b32_e32 v4, s6, v3
	v_mul_lo_u32 v3, v4, s4
	v_sub_u32_e32 v1, v1, v3
	v_mul_lo_u32 v3, v1, s2
	v_mul_lo_u32 v5, v1, s3
	s_cbranch_scc1 .LBB77_44
; %bb.43:
	s_load_dwordx4 s[4:7], s[34:35], 0x10
	s_load_dwordx2 s[2:3], s[34:35], 0xcc
	s_waitcnt lgkmcnt(0)
	v_mul_hi_u32 v1, s5, v4
	v_add_u32_e32 v1, v4, v1
	v_lshrrev_b32_e32 v1, s6, v1
	v_mul_lo_u32 v1, v1, s4
	v_sub_u32_e32 v1, v4, v1
	v_mad_u64_u32 v[3:4], s[4:5], v1, s2, v[3:4]
	v_mad_u64_u32 v[5:6], s[2:3], v1, s3, v[5:6]
.LBB77_44:
	s_and_b64 vcc, exec, s[0:1]
	v_add_u32_e32 v1, 0x100, v7
	s_cbranch_vccnz .LBB77_50
; %bb.45:
	s_cmp_lg_u32 s33, 0
	s_mov_b32 s26, 0
	s_cbranch_scc0 .LBB77_51
; %bb.46:
	s_min_u32 s27, s58, 15
	s_add_i32 s27, s27, 1
	s_cmp_eq_u32 s58, 2
	s_cbranch_scc1 .LBB77_52
; %bb.47:
	s_and_b32 s26, s27, 28
	s_add_u32 s2, s34, 0xc4
	s_addc_u32 s3, s35, 0
	v_mov_b32_e32 v8, 0
	s_mov_b32 s28, 0
	s_mov_b64 s[24:25], s[34:35]
	v_mov_b32_e32 v6, 0
	v_mov_b32_e32 v4, v1
.LBB77_48:                              ; =>This Inner Loop Header: Depth=1
	s_load_dwordx8 s[12:19], s[24:25], 0x4
	s_load_dwordx4 s[20:23], s[24:25], 0x24
	s_load_dwordx8 s[4:11], s[2:3], 0x0
	s_add_u32 s24, s24, 48
	s_addc_u32 s25, s25, 0
	s_waitcnt lgkmcnt(0)
	v_mul_hi_u32 v7, s13, v4
	s_add_i32 s28, s28, 4
	s_add_u32 s2, s2, 32
	s_addc_u32 s3, s3, 0
	v_add_u32_e32 v7, v4, v7
	v_lshrrev_b32_e32 v7, s14, v7
	v_mul_lo_u32 v9, v7, s12
	v_mul_hi_u32 v10, s16, v7
	s_cmp_lg_u32 s26, s28
	v_sub_u32_e32 v4, v4, v9
	v_add_u32_e32 v9, v7, v10
	v_mul_lo_u32 v10, v4, s4
	v_mul_lo_u32 v11, v4, s5
	v_lshrrev_b32_e32 v4, s17, v9
	v_mul_lo_u32 v9, v4, s15
	v_mul_hi_u32 v12, s19, v4
	v_sub_u32_e32 v7, v7, v9
	v_add_u32_e32 v9, v4, v12
	v_lshrrev_b32_e32 v9, s20, v9
	v_mul_hi_u32 v14, s22, v9
	v_mul_lo_u32 v15, v9, s18
	v_mul_lo_u32 v12, v7, s6
	v_mul_lo_u32 v7, v7, s7
	v_sub_u32_e32 v15, v4, v15
	v_add_u32_e32 v4, v9, v14
	v_lshrrev_b32_e32 v4, s23, v4
	v_mul_lo_u32 v14, v4, s21
	v_mul_lo_u32 v16, v15, s8
	;; [unrolled: 1-line block ×3, first 2 shown]
	v_add3_u32 v6, v10, v6, v12
	v_sub_u32_e32 v9, v9, v14
	v_mul_lo_u32 v14, v9, s10
	v_mul_lo_u32 v9, v9, s11
	v_add3_u32 v7, v11, v8, v7
	v_add3_u32 v6, v16, v6, v14
	;; [unrolled: 1-line block ×3, first 2 shown]
	s_cbranch_scc1 .LBB77_48
; %bb.49:
	s_and_b32 s6, s27, 3
	s_cmp_eq_u32 s6, 0
	s_cbranch_scc0 .LBB77_53
	s_branch .LBB77_55
.LBB77_50:
                                        ; implicit-def: $vgpr6
                                        ; implicit-def: $vgpr8
	s_branch .LBB77_56
.LBB77_51:
	v_mov_b32_e32 v6, 0
	v_mov_b32_e32 v8, 0
	s_branch .LBB77_55
.LBB77_52:
	v_mov_b32_e32 v6, 0
	v_mov_b32_e32 v8, 0
	;; [unrolled: 1-line block ×3, first 2 shown]
	s_and_b32 s6, s27, 3
	s_cmp_eq_u32 s6, 0
	s_cbranch_scc1 .LBB77_55
.LBB77_53:
	s_lshl_b32 s2, s26, 3
	s_add_u32 s2, s34, s2
	s_addc_u32 s3, s35, 0
	s_add_u32 s2, s2, 0xc4
	s_addc_u32 s3, s3, 0
	s_mul_i32 s4, s26, 12
	s_add_u32 s4, s34, s4
	s_addc_u32 s5, s35, 0
.LBB77_54:                              ; =>This Inner Loop Header: Depth=1
	s_load_dwordx2 s[8:9], s[4:5], 0x4
	s_load_dword s7, s[4:5], 0xc
	s_load_dwordx2 s[10:11], s[2:3], 0x0
	s_add_u32 s4, s4, 12
	s_addc_u32 s5, s5, 0
	s_waitcnt lgkmcnt(0)
	v_mul_hi_u32 v7, s9, v4
	s_add_u32 s2, s2, 8
	s_addc_u32 s3, s3, 0
	s_add_i32 s6, s6, -1
	v_add_u32_e32 v7, v4, v7
	v_lshrrev_b32_e32 v10, s7, v7
	v_mul_lo_u32 v7, v10, s8
	s_cmp_lg_u32 s6, 0
	v_sub_u32_e32 v4, v4, v7
	v_mad_u64_u32 v[6:7], s[8:9], v4, s10, v[6:7]
	v_mad_u64_u32 v[8:9], s[8:9], v4, s11, v[8:9]
	v_mov_b32_e32 v4, v10
	s_cbranch_scc1 .LBB77_54
.LBB77_55:
	s_cbranch_execnz .LBB77_58
.LBB77_56:
	s_load_dwordx4 s[4:7], s[34:35], 0x4
	s_load_dwordx2 s[2:3], s[34:35], 0xc4
	s_cmp_lt_u32 s33, 2
	s_waitcnt lgkmcnt(0)
	v_mul_hi_u32 v4, s5, v1
	v_add_u32_e32 v4, v1, v4
	v_lshrrev_b32_e32 v4, s6, v4
	v_mul_lo_u32 v6, v4, s4
	v_sub_u32_e32 v1, v1, v6
	v_mul_lo_u32 v6, v1, s2
	v_mul_lo_u32 v8, v1, s3
	s_cbranch_scc1 .LBB77_58
; %bb.57:
	s_load_dwordx4 s[4:7], s[34:35], 0x10
	s_load_dwordx2 s[2:3], s[34:35], 0xcc
	s_waitcnt lgkmcnt(0)
	v_mul_hi_u32 v1, s5, v4
	v_add_u32_e32 v1, v4, v1
	v_lshrrev_b32_e32 v1, s6, v1
	v_mul_lo_u32 v1, v1, s4
	v_sub_u32_e32 v1, v4, v1
	v_mad_u64_u32 v[6:7], s[4:5], v1, s2, v[6:7]
	v_mad_u64_u32 v[8:9], s[2:3], v1, s3, v[8:9]
.LBB77_58:
	s_and_b64 vcc, exec, s[0:1]
	s_cbranch_vccnz .LBB77_64
; %bb.59:
	s_cmp_lg_u32 s33, 0
	s_mov_b32 s24, 0
	s_cbranch_scc0 .LBB77_65
; %bb.60:
	s_min_u32 s25, s58, 15
	s_add_i32 s25, s25, 1
	s_cmp_eq_u32 s58, 2
	s_cbranch_scc1 .LBB77_66
; %bb.61:
	s_and_b32 s24, s25, 28
	s_add_u32 s20, s34, 0xc4
	s_addc_u32 s21, s35, 0
	v_mov_b32_e32 v11, 0
	s_mov_b32 s26, 0
	s_mov_b64 s[22:23], s[34:35]
	v_mov_b32_e32 v9, 0
	v_mov_b32_e32 v1, v13
.LBB77_62:                              ; =>This Inner Loop Header: Depth=1
	s_load_dwordx8 s[8:15], s[22:23], 0x4
	s_load_dwordx4 s[16:19], s[22:23], 0x24
	s_load_dwordx8 s[0:7], s[20:21], 0x0
	s_add_u32 s22, s22, 48
	s_addc_u32 s23, s23, 0
	s_waitcnt lgkmcnt(0)
	v_mul_hi_u32 v4, s9, v1
	s_add_i32 s26, s26, 4
	s_add_u32 s20, s20, 32
	s_addc_u32 s21, s21, 0
	v_add_u32_e32 v4, v1, v4
	v_lshrrev_b32_e32 v4, s10, v4
	v_mul_lo_u32 v7, v4, s8
	v_mul_hi_u32 v10, s12, v4
	s_cmp_lg_u32 s24, s26
	v_sub_u32_e32 v1, v1, v7
	v_add_u32_e32 v7, v4, v10
	v_mul_lo_u32 v10, v1, s0
	v_mul_lo_u32 v12, v1, s1
	v_lshrrev_b32_e32 v1, s13, v7
	v_mul_lo_u32 v7, v1, s11
	v_mul_hi_u32 v14, s15, v1
	v_sub_u32_e32 v4, v4, v7
	v_add_u32_e32 v7, v1, v14
	v_lshrrev_b32_e32 v7, s16, v7
	v_mul_hi_u32 v15, s18, v7
	v_mul_lo_u32 v16, v7, s14
	v_mul_lo_u32 v14, v4, s2
	;; [unrolled: 1-line block ×3, first 2 shown]
	v_sub_u32_e32 v16, v1, v16
	v_add_u32_e32 v1, v7, v15
	v_lshrrev_b32_e32 v1, s19, v1
	v_mul_lo_u32 v15, v1, s17
	v_mul_lo_u32 v17, v16, s4
	;; [unrolled: 1-line block ×3, first 2 shown]
	v_add3_u32 v9, v10, v9, v14
	v_sub_u32_e32 v7, v7, v15
	v_mul_lo_u32 v15, v7, s6
	v_mul_lo_u32 v7, v7, s7
	v_add3_u32 v4, v12, v11, v4
	v_add3_u32 v9, v17, v9, v15
	;; [unrolled: 1-line block ×3, first 2 shown]
	s_cbranch_scc1 .LBB77_62
; %bb.63:
	s_and_b32 s4, s25, 3
	s_cmp_eq_u32 s4, 0
	s_cbranch_scc0 .LBB77_67
	s_branch .LBB77_69
.LBB77_64:
                                        ; implicit-def: $vgpr9
                                        ; implicit-def: $vgpr11
	s_branch .LBB77_70
.LBB77_65:
	v_mov_b32_e32 v9, 0
	v_mov_b32_e32 v11, 0
	s_branch .LBB77_69
.LBB77_66:
	v_mov_b32_e32 v9, 0
	v_mov_b32_e32 v11, 0
	;; [unrolled: 1-line block ×3, first 2 shown]
	s_and_b32 s4, s25, 3
	s_cmp_eq_u32 s4, 0
	s_cbranch_scc1 .LBB77_69
.LBB77_67:
	s_lshl_b32 s0, s24, 3
	s_add_u32 s0, s34, s0
	s_addc_u32 s1, s35, 0
	s_add_u32 s0, s0, 0xc4
	s_addc_u32 s1, s1, 0
	s_mul_i32 s2, s24, 12
	s_add_u32 s2, s34, s2
	s_addc_u32 s3, s35, 0
.LBB77_68:                              ; =>This Inner Loop Header: Depth=1
	s_load_dwordx2 s[6:7], s[2:3], 0x4
	s_load_dword s5, s[2:3], 0xc
	s_load_dwordx2 s[8:9], s[0:1], 0x0
	s_add_u32 s2, s2, 12
	s_addc_u32 s3, s3, 0
	s_waitcnt lgkmcnt(0)
	v_mul_hi_u32 v4, s7, v1
	s_add_u32 s0, s0, 8
	s_addc_u32 s1, s1, 0
	s_add_i32 s4, s4, -1
	v_add_u32_e32 v4, v1, v4
	v_lshrrev_b32_e32 v4, s5, v4
	v_mul_lo_u32 v7, v4, s6
	s_cmp_lg_u32 s4, 0
	v_sub_u32_e32 v1, v1, v7
	v_mad_u64_u32 v[9:10], s[6:7], v1, s8, v[9:10]
	v_mad_u64_u32 v[11:12], s[6:7], v1, s9, v[11:12]
	v_mov_b32_e32 v1, v4
	s_cbranch_scc1 .LBB77_68
.LBB77_69:
	s_cbranch_execnz .LBB77_72
.LBB77_70:
	s_load_dwordx4 s[0:3], s[34:35], 0x4
	s_load_dwordx2 s[4:5], s[34:35], 0xc4
	s_cmp_lt_u32 s33, 2
	s_waitcnt lgkmcnt(0)
	v_mul_hi_u32 v1, s1, v13
	v_add_u32_e32 v1, v13, v1
	v_lshrrev_b32_e32 v1, s2, v1
	v_mul_lo_u32 v4, v1, s0
	v_sub_u32_e32 v4, v13, v4
	v_mul_lo_u32 v9, v4, s4
	v_mul_lo_u32 v11, v4, s5
	s_cbranch_scc1 .LBB77_72
; %bb.71:
	s_load_dwordx4 s[0:3], s[34:35], 0x10
	s_load_dwordx2 s[4:5], s[34:35], 0xcc
	s_waitcnt lgkmcnt(0)
	v_mul_hi_u32 v4, s1, v1
	v_add_u32_e32 v4, v1, v4
	v_lshrrev_b32_e32 v4, s2, v4
	v_mul_lo_u32 v4, v4, s0
	v_sub_u32_e32 v1, v1, v4
	v_mad_u64_u32 v[9:10], s[0:1], v1, s4, v[9:10]
	v_mad_u64_u32 v[11:12], s[0:1], v1, s5, v[11:12]
.LBB77_72:
	s_load_dwordx8 s[0:7], s[34:35], 0x148
	s_waitcnt lgkmcnt(0)
	global_load_dwordx2 v[12:13], v2, s[2:3]
	global_load_dwordx2 v[14:15], v5, s[2:3]
	;; [unrolled: 1-line block ×4, first 2 shown]
	s_load_dwordx2 s[2:3], s[34:35], 0x168
	v_mov_b32_e32 v1, s4
	v_mov_b32_e32 v2, s5
	;; [unrolled: 1-line block ×4, first 2 shown]
	s_waitcnt lgkmcnt(0)
	v_cmp_gt_i64_e32 vcc, s[2:3], v[1:2]
	s_waitcnt vmcnt(3)
	v_cndmask_b32_e32 v2, v10, v13, vcc
	v_cndmask_b32_e32 v1, v20, v12, vcc
	s_waitcnt vmcnt(2)
	v_cndmask_b32_e32 v5, v10, v15, vcc
	v_cndmask_b32_e32 v4, v20, v14, vcc
	;; [unrolled: 3-line block ×4, first 2 shown]
	global_store_dwordx2 v0, v[1:2], s[0:1]
	global_store_dwordx2 v3, v[4:5], s[0:1]
	;; [unrolled: 1-line block ×4, first 2 shown]
	s_endpgm
.LBB77_73:
	v_mov_b32_e32 v0, 0
	v_mov_b32_e32 v2, 0
	s_branch .LBB77_79
.LBB77_74:
	v_mov_b32_e32 v0, 0
	v_mov_b32_e32 v2, 0
	s_branch .LBB77_95
.LBB77_75:
	s_mov_b32 s61, 0
	v_mov_b32_e32 v0, 0
	v_mov_b32_e32 v2, 0
	;; [unrolled: 1-line block ×3, first 2 shown]
.LBB77_76:
	s_and_b32 s16, s62, 3
	s_cmp_eq_u32 s16, 0
	s_cbranch_scc1 .LBB77_79
; %bb.77:
	s_lshl_b32 s12, s61, 3
	s_add_u32 s12, s34, s12
	s_addc_u32 s13, s35, 0
	s_add_u32 s12, s12, 0xc4
	s_addc_u32 s13, s13, 0
	s_mul_i32 s14, s61, 12
	s_add_u32 s14, s34, s14
	s_addc_u32 s15, s35, 0
.LBB77_78:                              ; =>This Inner Loop Header: Depth=1
	s_load_dwordx2 s[18:19], s[14:15], 0x4
	s_load_dword s17, s[14:15], 0xc
	s_load_dwordx2 s[20:21], s[12:13], 0x0
	s_add_u32 s14, s14, 12
	s_addc_u32 s15, s15, 0
	s_waitcnt lgkmcnt(0)
	v_mul_hi_u32 v3, s19, v1
	s_add_u32 s12, s12, 8
	s_addc_u32 s13, s13, 0
	s_add_i32 s16, s16, -1
	v_add_u32_e32 v3, v1, v3
	v_lshrrev_b32_e32 v4, s17, v3
	v_mul_lo_u32 v3, v4, s18
	s_cmp_lg_u32 s16, 0
	v_sub_u32_e32 v3, v1, v3
	v_mad_u64_u32 v[0:1], s[18:19], v3, s20, v[0:1]
	v_mad_u64_u32 v[2:3], s[18:19], v3, s21, v[2:3]
	v_mov_b32_e32 v1, v4
	s_cbranch_scc1 .LBB77_78
.LBB77_79:
	s_cbranch_execnz .LBB77_82
.LBB77_80:
	v_mul_hi_u32 v0, s29, v7
	s_andn2_b64 vcc, exec, s[48:49]
	v_add_u32_e32 v0, v7, v0
	v_lshrrev_b32_e32 v1, s30, v0
	v_mul_lo_u32 v0, v1, s28
	v_sub_u32_e32 v2, v7, v0
	v_mul_lo_u32 v0, v2, s36
	v_mul_lo_u32 v2, v2, s37
	s_cbranch_vccnz .LBB77_82
; %bb.81:
	v_mul_hi_u32 v3, s46, v1
	v_add_u32_e32 v3, v1, v3
	v_lshrrev_b32_e32 v3, s47, v3
	v_mul_lo_u32 v3, v3, s31
	v_sub_u32_e32 v3, v1, v3
	v_mad_u64_u32 v[0:1], s[12:13], v3, s38, v[0:1]
	v_mad_u64_u32 v[2:3], s[12:13], v3, s39, v[2:3]
.LBB77_82:
	global_load_dwordx2 v[1:2], v2, s[6:7]
	v_mov_b32_e32 v3, s11
	v_mov_b32_e32 v4, s10
	v_add_u32_e32 v7, 0x80, v7
	s_waitcnt vmcnt(0)
	v_cndmask_b32_e64 v2, v3, v2, s[0:1]
	v_cndmask_b32_e64 v1, v4, v1, s[0:1]
	global_store_dwordx2 v0, v[1:2], s[4:5]
	s_or_b64 exec, exec, s[8:9]
	v_cmp_gt_i32_e32 vcc, s59, v7
	s_and_saveexec_b64 s[8:9], vcc
	s_cbranch_execnz .LBB77_15
.LBB77_83:
	s_or_b64 exec, exec, s[8:9]
	v_cmp_gt_i32_e32 vcc, s59, v7
	s_and_saveexec_b64 s[8:9], vcc
	s_cbranch_execz .LBB77_99
.LBB77_84:
	s_andn2_b64 vcc, exec, s[2:3]
	s_cbranch_vccnz .LBB77_89
; %bb.85:
	s_andn2_b64 vcc, exec, s[52:53]
	s_cbranch_vccnz .LBB77_90
; %bb.86:
	s_add_i32 s62, s60, 1
	s_cmp_eq_u32 s58, 2
	s_cbranch_scc1 .LBB77_102
; %bb.87:
	s_and_b32 s61, s62, 28
	v_mov_b32_e32 v2, 0
	s_mov_b32 s63, 0
	s_mov_b64 s[54:55], s[34:35]
	s_mov_b64 s[56:57], s[50:51]
	v_mov_b32_e32 v0, 0
	v_mov_b32_e32 v1, v7
.LBB77_88:                              ; =>This Inner Loop Header: Depth=1
	s_load_dwordx8 s[20:27], s[54:55], 0x4
	s_load_dwordx4 s[40:43], s[54:55], 0x24
	s_load_dwordx8 s[12:19], s[56:57], 0x0
	s_add_u32 s54, s54, 48
	s_addc_u32 s55, s55, 0
	s_waitcnt lgkmcnt(0)
	v_mul_hi_u32 v3, s21, v1
	s_add_i32 s63, s63, 4
	s_add_u32 s56, s56, 32
	s_addc_u32 s57, s57, 0
	v_add_u32_e32 v3, v1, v3
	v_lshrrev_b32_e32 v3, s22, v3
	v_mul_lo_u32 v4, v3, s20
	v_mul_hi_u32 v5, s24, v3
	s_cmp_eq_u32 s61, s63
	v_sub_u32_e32 v1, v1, v4
	v_add_u32_e32 v4, v3, v5
	v_mul_lo_u32 v5, v1, s12
	v_mul_lo_u32 v6, v1, s13
	v_lshrrev_b32_e32 v1, s25, v4
	v_mul_lo_u32 v4, v1, s23
	v_mul_hi_u32 v8, s27, v1
	v_sub_u32_e32 v3, v3, v4
	v_add_u32_e32 v4, v1, v8
	v_lshrrev_b32_e32 v4, s40, v4
	v_mul_hi_u32 v9, s42, v4
	v_mul_lo_u32 v10, v4, s26
	v_mul_lo_u32 v8, v3, s14
	;; [unrolled: 1-line block ×3, first 2 shown]
	v_sub_u32_e32 v10, v1, v10
	v_add_u32_e32 v1, v4, v9
	v_lshrrev_b32_e32 v1, s43, v1
	v_mul_lo_u32 v9, v1, s41
	v_mul_lo_u32 v11, v10, s16
	;; [unrolled: 1-line block ×3, first 2 shown]
	v_add3_u32 v0, v5, v0, v8
	v_sub_u32_e32 v4, v4, v9
	v_mul_lo_u32 v9, v4, s18
	v_mul_lo_u32 v4, v4, s19
	v_add3_u32 v2, v6, v2, v3
	v_add3_u32 v0, v11, v0, v9
	v_add3_u32 v2, v10, v2, v4
	s_cbranch_scc0 .LBB77_88
	s_branch .LBB77_103
.LBB77_89:
                                        ; implicit-def: $vgpr0
                                        ; implicit-def: $vgpr2
	s_branch .LBB77_107
.LBB77_90:
	v_mov_b32_e32 v0, 0
	v_mov_b32_e32 v2, 0
	s_branch .LBB77_106
.LBB77_91:
	s_mov_b32 s61, 0
	v_mov_b32_e32 v0, 0
	v_mov_b32_e32 v2, 0
	;; [unrolled: 1-line block ×3, first 2 shown]
.LBB77_92:
	s_and_b32 s16, s62, 3
	s_cmp_eq_u32 s16, 0
	s_cbranch_scc1 .LBB77_95
; %bb.93:
	s_lshl_b32 s12, s61, 3
	s_add_u32 s12, s34, s12
	s_addc_u32 s13, s35, 0
	s_add_u32 s12, s12, 0xc4
	s_addc_u32 s13, s13, 0
	s_mul_i32 s14, s61, 12
	s_add_u32 s14, s34, s14
	s_addc_u32 s15, s35, 0
.LBB77_94:                              ; =>This Inner Loop Header: Depth=1
	s_load_dwordx2 s[18:19], s[14:15], 0x4
	s_load_dword s17, s[14:15], 0xc
	s_load_dwordx2 s[20:21], s[12:13], 0x0
	s_add_u32 s14, s14, 12
	s_addc_u32 s15, s15, 0
	s_waitcnt lgkmcnt(0)
	v_mul_hi_u32 v3, s19, v1
	s_add_u32 s12, s12, 8
	s_addc_u32 s13, s13, 0
	s_add_i32 s16, s16, -1
	v_add_u32_e32 v3, v1, v3
	v_lshrrev_b32_e32 v4, s17, v3
	v_mul_lo_u32 v3, v4, s18
	s_cmp_lg_u32 s16, 0
	v_sub_u32_e32 v3, v1, v3
	v_mad_u64_u32 v[0:1], s[18:19], v3, s20, v[0:1]
	v_mad_u64_u32 v[2:3], s[18:19], v3, s21, v[2:3]
	v_mov_b32_e32 v1, v4
	s_cbranch_scc1 .LBB77_94
.LBB77_95:
	s_cbranch_execnz .LBB77_98
.LBB77_96:
	v_mul_hi_u32 v0, s29, v7
	s_andn2_b64 vcc, exec, s[48:49]
	v_add_u32_e32 v0, v7, v0
	v_lshrrev_b32_e32 v1, s30, v0
	v_mul_lo_u32 v0, v1, s28
	v_sub_u32_e32 v2, v7, v0
	v_mul_lo_u32 v0, v2, s36
	v_mul_lo_u32 v2, v2, s37
	s_cbranch_vccnz .LBB77_98
; %bb.97:
	v_mul_hi_u32 v3, s46, v1
	v_add_u32_e32 v3, v1, v3
	v_lshrrev_b32_e32 v3, s47, v3
	v_mul_lo_u32 v3, v3, s31
	v_sub_u32_e32 v3, v1, v3
	v_mad_u64_u32 v[0:1], s[12:13], v3, s38, v[0:1]
	v_mad_u64_u32 v[2:3], s[12:13], v3, s39, v[2:3]
.LBB77_98:
	global_load_dwordx2 v[1:2], v2, s[6:7]
	v_mov_b32_e32 v3, s11
	v_mov_b32_e32 v4, s10
	v_add_u32_e32 v7, 0x80, v7
	s_waitcnt vmcnt(0)
	v_cndmask_b32_e64 v2, v3, v2, s[0:1]
	v_cndmask_b32_e64 v1, v4, v1, s[0:1]
	global_store_dwordx2 v0, v[1:2], s[4:5]
	s_or_b64 exec, exec, s[8:9]
	v_cmp_gt_i32_e32 vcc, s59, v7
	s_and_saveexec_b64 s[8:9], vcc
	s_cbranch_execnz .LBB77_84
.LBB77_99:
	s_or_b64 exec, exec, s[8:9]
	v_cmp_gt_i32_e32 vcc, s59, v7
	s_and_saveexec_b64 s[8:9], vcc
	s_cbranch_execnz .LBB77_110
.LBB77_100:
	s_or_b64 exec, exec, s[8:9]
                                        ; implicit-def: $vgpr13
                                        ; implicit-def: $vgpr7
	s_andn2_saveexec_b64 s[0:1], s[44:45]
	s_cbranch_execnz .LBB77_8
.LBB77_101:
	s_endpgm
.LBB77_102:
	s_mov_b32 s61, 0
	v_mov_b32_e32 v0, 0
	v_mov_b32_e32 v2, 0
	;; [unrolled: 1-line block ×3, first 2 shown]
.LBB77_103:
	s_and_b32 s16, s62, 3
	s_cmp_eq_u32 s16, 0
	s_cbranch_scc1 .LBB77_106
; %bb.104:
	s_lshl_b32 s12, s61, 3
	s_add_u32 s12, s34, s12
	s_addc_u32 s13, s35, 0
	s_add_u32 s12, s12, 0xc4
	s_addc_u32 s13, s13, 0
	s_mul_i32 s14, s61, 12
	s_add_u32 s14, s34, s14
	s_addc_u32 s15, s35, 0
.LBB77_105:                             ; =>This Inner Loop Header: Depth=1
	s_load_dwordx2 s[18:19], s[14:15], 0x4
	s_load_dword s17, s[14:15], 0xc
	s_load_dwordx2 s[20:21], s[12:13], 0x0
	s_add_u32 s14, s14, 12
	s_addc_u32 s15, s15, 0
	s_waitcnt lgkmcnt(0)
	v_mul_hi_u32 v3, s19, v1
	s_add_u32 s12, s12, 8
	s_addc_u32 s13, s13, 0
	s_add_i32 s16, s16, -1
	v_add_u32_e32 v3, v1, v3
	v_lshrrev_b32_e32 v4, s17, v3
	v_mul_lo_u32 v3, v4, s18
	s_cmp_lg_u32 s16, 0
	v_sub_u32_e32 v3, v1, v3
	v_mad_u64_u32 v[0:1], s[18:19], v3, s20, v[0:1]
	v_mad_u64_u32 v[2:3], s[18:19], v3, s21, v[2:3]
	v_mov_b32_e32 v1, v4
	s_cbranch_scc1 .LBB77_105
.LBB77_106:
	s_cbranch_execnz .LBB77_109
.LBB77_107:
	v_mul_hi_u32 v0, s29, v7
	s_andn2_b64 vcc, exec, s[48:49]
	v_add_u32_e32 v0, v7, v0
	v_lshrrev_b32_e32 v1, s30, v0
	v_mul_lo_u32 v0, v1, s28
	v_sub_u32_e32 v2, v7, v0
	v_mul_lo_u32 v0, v2, s36
	v_mul_lo_u32 v2, v2, s37
	s_cbranch_vccnz .LBB77_109
; %bb.108:
	v_mul_hi_u32 v3, s46, v1
	v_add_u32_e32 v3, v1, v3
	v_lshrrev_b32_e32 v3, s47, v3
	v_mul_lo_u32 v3, v3, s31
	v_sub_u32_e32 v3, v1, v3
	v_mad_u64_u32 v[0:1], s[12:13], v3, s38, v[0:1]
	v_mad_u64_u32 v[2:3], s[12:13], v3, s39, v[2:3]
.LBB77_109:
	global_load_dwordx2 v[1:2], v2, s[6:7]
	v_mov_b32_e32 v3, s11
	v_mov_b32_e32 v4, s10
	v_add_u32_e32 v7, 0x80, v7
	s_waitcnt vmcnt(0)
	v_cndmask_b32_e64 v2, v3, v2, s[0:1]
	v_cndmask_b32_e64 v1, v4, v1, s[0:1]
	global_store_dwordx2 v0, v[1:2], s[4:5]
	s_or_b64 exec, exec, s[8:9]
	v_cmp_gt_i32_e32 vcc, s59, v7
	s_and_saveexec_b64 s[8:9], vcc
	s_cbranch_execz .LBB77_100
.LBB77_110:
	s_andn2_b64 vcc, exec, s[2:3]
	s_cbranch_vccnz .LBB77_115
; %bb.111:
	s_andn2_b64 vcc, exec, s[52:53]
	s_cbranch_vccnz .LBB77_116
; %bb.112:
	s_add_i32 s60, s60, 1
	s_cmp_eq_u32 s58, 2
	s_cbranch_scc1 .LBB77_117
; %bb.113:
	s_and_b32 s54, s60, 28
	v_mov_b32_e32 v2, 0
	s_mov_b32 s55, 0
	s_mov_b64 s[52:53], s[34:35]
	v_mov_b32_e32 v0, 0
	v_mov_b32_e32 v1, v7
.LBB77_114:                             ; =>This Inner Loop Header: Depth=1
	s_load_dwordx8 s[20:27], s[52:53], 0x4
	s_load_dwordx4 s[40:43], s[52:53], 0x24
	s_load_dwordx8 s[12:19], s[50:51], 0x0
	s_add_u32 s52, s52, 48
	s_addc_u32 s53, s53, 0
	s_waitcnt lgkmcnt(0)
	v_mul_hi_u32 v3, s21, v1
	s_add_i32 s55, s55, 4
	s_add_u32 s50, s50, 32
	s_addc_u32 s51, s51, 0
	v_add_u32_e32 v3, v1, v3
	v_lshrrev_b32_e32 v3, s22, v3
	v_mul_lo_u32 v4, v3, s20
	v_mul_hi_u32 v5, s24, v3
	s_cmp_eq_u32 s54, s55
	v_sub_u32_e32 v1, v1, v4
	v_add_u32_e32 v4, v3, v5
	v_mul_lo_u32 v5, v1, s12
	v_mul_lo_u32 v6, v1, s13
	v_lshrrev_b32_e32 v1, s25, v4
	v_mul_lo_u32 v4, v1, s23
	v_mul_hi_u32 v8, s27, v1
	v_sub_u32_e32 v3, v3, v4
	v_add_u32_e32 v4, v1, v8
	v_lshrrev_b32_e32 v4, s40, v4
	v_mul_hi_u32 v9, s42, v4
	v_mul_lo_u32 v10, v4, s26
	v_mul_lo_u32 v8, v3, s14
	;; [unrolled: 1-line block ×3, first 2 shown]
	v_sub_u32_e32 v10, v1, v10
	v_add_u32_e32 v1, v4, v9
	v_lshrrev_b32_e32 v1, s43, v1
	v_mul_lo_u32 v9, v1, s41
	v_mul_lo_u32 v11, v10, s16
	;; [unrolled: 1-line block ×3, first 2 shown]
	v_add3_u32 v0, v5, v0, v8
	v_sub_u32_e32 v4, v4, v9
	v_mul_lo_u32 v9, v4, s18
	v_mul_lo_u32 v4, v4, s19
	v_add3_u32 v2, v6, v2, v3
	v_add3_u32 v0, v11, v0, v9
	;; [unrolled: 1-line block ×3, first 2 shown]
	s_cbranch_scc0 .LBB77_114
	s_branch .LBB77_118
.LBB77_115:
                                        ; implicit-def: $vgpr0
                                        ; implicit-def: $vgpr2
	s_branch .LBB77_122
.LBB77_116:
	v_mov_b32_e32 v0, 0
	v_mov_b32_e32 v2, 0
	s_branch .LBB77_121
.LBB77_117:
	s_mov_b32 s54, 0
	v_mov_b32_e32 v0, 0
	v_mov_b32_e32 v2, 0
	;; [unrolled: 1-line block ×3, first 2 shown]
.LBB77_118:
	s_and_b32 s16, s60, 3
	s_cmp_eq_u32 s16, 0
	s_cbranch_scc1 .LBB77_121
; %bb.119:
	s_lshl_b32 s12, s54, 3
	s_add_u32 s12, s34, s12
	s_addc_u32 s13, s35, 0
	s_add_u32 s12, s12, 0xc4
	s_addc_u32 s13, s13, 0
	s_mul_i32 s14, s54, 12
	s_add_u32 s14, s34, s14
	s_addc_u32 s15, s35, 0
.LBB77_120:                             ; =>This Inner Loop Header: Depth=1
	s_load_dwordx2 s[18:19], s[14:15], 0x4
	s_load_dword s17, s[14:15], 0xc
	s_load_dwordx2 s[20:21], s[12:13], 0x0
	s_add_u32 s14, s14, 12
	s_addc_u32 s15, s15, 0
	s_waitcnt lgkmcnt(0)
	v_mul_hi_u32 v3, s19, v1
	s_add_u32 s12, s12, 8
	s_addc_u32 s13, s13, 0
	s_add_i32 s16, s16, -1
	v_add_u32_e32 v3, v1, v3
	v_lshrrev_b32_e32 v4, s17, v3
	v_mul_lo_u32 v3, v4, s18
	s_cmp_lg_u32 s16, 0
	v_sub_u32_e32 v3, v1, v3
	v_mad_u64_u32 v[0:1], s[18:19], v3, s20, v[0:1]
	v_mad_u64_u32 v[2:3], s[18:19], v3, s21, v[2:3]
	v_mov_b32_e32 v1, v4
	s_cbranch_scc1 .LBB77_120
.LBB77_121:
	s_cbranch_execnz .LBB77_124
.LBB77_122:
	v_mul_hi_u32 v0, s29, v7
	s_andn2_b64 vcc, exec, s[48:49]
	v_add_u32_e32 v0, v7, v0
	v_lshrrev_b32_e32 v1, s30, v0
	v_mul_lo_u32 v0, v1, s28
	v_sub_u32_e32 v2, v7, v0
	v_mul_lo_u32 v0, v2, s36
	v_mul_lo_u32 v2, v2, s37
	s_cbranch_vccnz .LBB77_124
; %bb.123:
	v_mul_hi_u32 v3, s46, v1
	v_add_u32_e32 v3, v1, v3
	v_lshrrev_b32_e32 v3, s47, v3
	v_mul_lo_u32 v3, v3, s31
	v_sub_u32_e32 v3, v1, v3
	v_mad_u64_u32 v[0:1], s[12:13], v3, s38, v[0:1]
	v_mad_u64_u32 v[2:3], s[12:13], v3, s39, v[2:3]
.LBB77_124:
	global_load_dwordx2 v[1:2], v2, s[6:7]
	v_mov_b32_e32 v3, s11
	v_mov_b32_e32 v4, s10
	s_waitcnt vmcnt(0)
	v_cndmask_b32_e64 v2, v3, v2, s[0:1]
	v_cndmask_b32_e64 v1, v4, v1, s[0:1]
	global_store_dwordx2 v0, v[1:2], s[4:5]
	s_or_b64 exec, exec, s[8:9]
                                        ; implicit-def: $vgpr13
                                        ; implicit-def: $vgpr7
	s_andn2_saveexec_b64 s[0:1], s[44:45]
	s_cbranch_execz .LBB77_101
	s_branch .LBB77_8
	.section	.rodata,"a",@progbits
	.p2align	6, 0x0
	.amdhsa_kernel _ZN2at6native32elementwise_kernel_manual_unrollILi128ELi4EZNS0_22gpu_kernel_impl_nocastINS0_13AUnaryFunctorIlllZNS0_12_GLOBAL__N_121threshold_kernel_implIlEEvRNS_18TensorIteratorBaseET_S8_EUlllE_EEEEvS7_RKS8_EUlibE_EEviT1_
		.amdhsa_group_segment_fixed_size 0
		.amdhsa_private_segment_fixed_size 0
		.amdhsa_kernarg_size 376
		.amdhsa_user_sgpr_count 6
		.amdhsa_user_sgpr_private_segment_buffer 1
		.amdhsa_user_sgpr_dispatch_ptr 0
		.amdhsa_user_sgpr_queue_ptr 0
		.amdhsa_user_sgpr_kernarg_segment_ptr 1
		.amdhsa_user_sgpr_dispatch_id 0
		.amdhsa_user_sgpr_flat_scratch_init 0
		.amdhsa_user_sgpr_private_segment_size 0
		.amdhsa_uses_dynamic_stack 0
		.amdhsa_system_sgpr_private_segment_wavefront_offset 0
		.amdhsa_system_sgpr_workgroup_id_x 1
		.amdhsa_system_sgpr_workgroup_id_y 0
		.amdhsa_system_sgpr_workgroup_id_z 0
		.amdhsa_system_sgpr_workgroup_info 0
		.amdhsa_system_vgpr_workitem_id 0
		.amdhsa_next_free_vgpr 21
		.amdhsa_next_free_sgpr 64
		.amdhsa_reserve_vcc 1
		.amdhsa_reserve_flat_scratch 0
		.amdhsa_float_round_mode_32 0
		.amdhsa_float_round_mode_16_64 0
		.amdhsa_float_denorm_mode_32 3
		.amdhsa_float_denorm_mode_16_64 3
		.amdhsa_dx10_clamp 1
		.amdhsa_ieee_mode 1
		.amdhsa_fp16_overflow 0
		.amdhsa_exception_fp_ieee_invalid_op 0
		.amdhsa_exception_fp_denorm_src 0
		.amdhsa_exception_fp_ieee_div_zero 0
		.amdhsa_exception_fp_ieee_overflow 0
		.amdhsa_exception_fp_ieee_underflow 0
		.amdhsa_exception_fp_ieee_inexact 0
		.amdhsa_exception_int_div_zero 0
	.end_amdhsa_kernel
	.section	.text._ZN2at6native32elementwise_kernel_manual_unrollILi128ELi4EZNS0_22gpu_kernel_impl_nocastINS0_13AUnaryFunctorIlllZNS0_12_GLOBAL__N_121threshold_kernel_implIlEEvRNS_18TensorIteratorBaseET_S8_EUlllE_EEEEvS7_RKS8_EUlibE_EEviT1_,"axG",@progbits,_ZN2at6native32elementwise_kernel_manual_unrollILi128ELi4EZNS0_22gpu_kernel_impl_nocastINS0_13AUnaryFunctorIlllZNS0_12_GLOBAL__N_121threshold_kernel_implIlEEvRNS_18TensorIteratorBaseET_S8_EUlllE_EEEEvS7_RKS8_EUlibE_EEviT1_,comdat
.Lfunc_end77:
	.size	_ZN2at6native32elementwise_kernel_manual_unrollILi128ELi4EZNS0_22gpu_kernel_impl_nocastINS0_13AUnaryFunctorIlllZNS0_12_GLOBAL__N_121threshold_kernel_implIlEEvRNS_18TensorIteratorBaseET_S8_EUlllE_EEEEvS7_RKS8_EUlibE_EEviT1_, .Lfunc_end77-_ZN2at6native32elementwise_kernel_manual_unrollILi128ELi4EZNS0_22gpu_kernel_impl_nocastINS0_13AUnaryFunctorIlllZNS0_12_GLOBAL__N_121threshold_kernel_implIlEEvRNS_18TensorIteratorBaseET_S8_EUlllE_EEEEvS7_RKS8_EUlibE_EEviT1_
                                        ; -- End function
	.set _ZN2at6native32elementwise_kernel_manual_unrollILi128ELi4EZNS0_22gpu_kernel_impl_nocastINS0_13AUnaryFunctorIlllZNS0_12_GLOBAL__N_121threshold_kernel_implIlEEvRNS_18TensorIteratorBaseET_S8_EUlllE_EEEEvS7_RKS8_EUlibE_EEviT1_.num_vgpr, 21
	.set _ZN2at6native32elementwise_kernel_manual_unrollILi128ELi4EZNS0_22gpu_kernel_impl_nocastINS0_13AUnaryFunctorIlllZNS0_12_GLOBAL__N_121threshold_kernel_implIlEEvRNS_18TensorIteratorBaseET_S8_EUlllE_EEEEvS7_RKS8_EUlibE_EEviT1_.num_agpr, 0
	.set _ZN2at6native32elementwise_kernel_manual_unrollILi128ELi4EZNS0_22gpu_kernel_impl_nocastINS0_13AUnaryFunctorIlllZNS0_12_GLOBAL__N_121threshold_kernel_implIlEEvRNS_18TensorIteratorBaseET_S8_EUlllE_EEEEvS7_RKS8_EUlibE_EEviT1_.numbered_sgpr, 64
	.set _ZN2at6native32elementwise_kernel_manual_unrollILi128ELi4EZNS0_22gpu_kernel_impl_nocastINS0_13AUnaryFunctorIlllZNS0_12_GLOBAL__N_121threshold_kernel_implIlEEvRNS_18TensorIteratorBaseET_S8_EUlllE_EEEEvS7_RKS8_EUlibE_EEviT1_.num_named_barrier, 0
	.set _ZN2at6native32elementwise_kernel_manual_unrollILi128ELi4EZNS0_22gpu_kernel_impl_nocastINS0_13AUnaryFunctorIlllZNS0_12_GLOBAL__N_121threshold_kernel_implIlEEvRNS_18TensorIteratorBaseET_S8_EUlllE_EEEEvS7_RKS8_EUlibE_EEviT1_.private_seg_size, 0
	.set _ZN2at6native32elementwise_kernel_manual_unrollILi128ELi4EZNS0_22gpu_kernel_impl_nocastINS0_13AUnaryFunctorIlllZNS0_12_GLOBAL__N_121threshold_kernel_implIlEEvRNS_18TensorIteratorBaseET_S8_EUlllE_EEEEvS7_RKS8_EUlibE_EEviT1_.uses_vcc, 1
	.set _ZN2at6native32elementwise_kernel_manual_unrollILi128ELi4EZNS0_22gpu_kernel_impl_nocastINS0_13AUnaryFunctorIlllZNS0_12_GLOBAL__N_121threshold_kernel_implIlEEvRNS_18TensorIteratorBaseET_S8_EUlllE_EEEEvS7_RKS8_EUlibE_EEviT1_.uses_flat_scratch, 0
	.set _ZN2at6native32elementwise_kernel_manual_unrollILi128ELi4EZNS0_22gpu_kernel_impl_nocastINS0_13AUnaryFunctorIlllZNS0_12_GLOBAL__N_121threshold_kernel_implIlEEvRNS_18TensorIteratorBaseET_S8_EUlllE_EEEEvS7_RKS8_EUlibE_EEviT1_.has_dyn_sized_stack, 0
	.set _ZN2at6native32elementwise_kernel_manual_unrollILi128ELi4EZNS0_22gpu_kernel_impl_nocastINS0_13AUnaryFunctorIlllZNS0_12_GLOBAL__N_121threshold_kernel_implIlEEvRNS_18TensorIteratorBaseET_S8_EUlllE_EEEEvS7_RKS8_EUlibE_EEviT1_.has_recursion, 0
	.set _ZN2at6native32elementwise_kernel_manual_unrollILi128ELi4EZNS0_22gpu_kernel_impl_nocastINS0_13AUnaryFunctorIlllZNS0_12_GLOBAL__N_121threshold_kernel_implIlEEvRNS_18TensorIteratorBaseET_S8_EUlllE_EEEEvS7_RKS8_EUlibE_EEviT1_.has_indirect_call, 0
	.section	.AMDGPU.csdata,"",@progbits
; Kernel info:
; codeLenInByte = 5820
; TotalNumSgprs: 68
; NumVgprs: 21
; ScratchSize: 0
; MemoryBound: 0
; FloatMode: 240
; IeeeMode: 1
; LDSByteSize: 0 bytes/workgroup (compile time only)
; SGPRBlocks: 8
; VGPRBlocks: 5
; NumSGPRsForWavesPerEU: 68
; NumVGPRsForWavesPerEU: 21
; Occupancy: 10
; WaveLimiterHint : 1
; COMPUTE_PGM_RSRC2:SCRATCH_EN: 0
; COMPUTE_PGM_RSRC2:USER_SGPR: 6
; COMPUTE_PGM_RSRC2:TRAP_HANDLER: 0
; COMPUTE_PGM_RSRC2:TGID_X_EN: 1
; COMPUTE_PGM_RSRC2:TGID_Y_EN: 0
; COMPUTE_PGM_RSRC2:TGID_Z_EN: 0
; COMPUTE_PGM_RSRC2:TIDIG_COMP_CNT: 0
	.section	.text._ZN2at6native32elementwise_kernel_manual_unrollILi128ELi4EZNS0_15gpu_kernel_implINS0_13AUnaryFunctorIlllZNS0_12_GLOBAL__N_121threshold_kernel_implIlEEvRNS_18TensorIteratorBaseET_S8_EUlllE_EEEEvS7_RKS8_EUlibE_EEviT1_,"axG",@progbits,_ZN2at6native32elementwise_kernel_manual_unrollILi128ELi4EZNS0_15gpu_kernel_implINS0_13AUnaryFunctorIlllZNS0_12_GLOBAL__N_121threshold_kernel_implIlEEvRNS_18TensorIteratorBaseET_S8_EUlllE_EEEEvS7_RKS8_EUlibE_EEviT1_,comdat
	.globl	_ZN2at6native32elementwise_kernel_manual_unrollILi128ELi4EZNS0_15gpu_kernel_implINS0_13AUnaryFunctorIlllZNS0_12_GLOBAL__N_121threshold_kernel_implIlEEvRNS_18TensorIteratorBaseET_S8_EUlllE_EEEEvS7_RKS8_EUlibE_EEviT1_ ; -- Begin function _ZN2at6native32elementwise_kernel_manual_unrollILi128ELi4EZNS0_15gpu_kernel_implINS0_13AUnaryFunctorIlllZNS0_12_GLOBAL__N_121threshold_kernel_implIlEEvRNS_18TensorIteratorBaseET_S8_EUlllE_EEEEvS7_RKS8_EUlibE_EEviT1_
	.p2align	8
	.type	_ZN2at6native32elementwise_kernel_manual_unrollILi128ELi4EZNS0_15gpu_kernel_implINS0_13AUnaryFunctorIlllZNS0_12_GLOBAL__N_121threshold_kernel_implIlEEvRNS_18TensorIteratorBaseET_S8_EUlllE_EEEEvS7_RKS8_EUlibE_EEviT1_,@function
_ZN2at6native32elementwise_kernel_manual_unrollILi128ELi4EZNS0_15gpu_kernel_implINS0_13AUnaryFunctorIlllZNS0_12_GLOBAL__N_121threshold_kernel_implIlEEvRNS_18TensorIteratorBaseET_S8_EUlllE_EEEEvS7_RKS8_EUlibE_EEviT1_: ; @_ZN2at6native32elementwise_kernel_manual_unrollILi128ELi4EZNS0_15gpu_kernel_implINS0_13AUnaryFunctorIlllZNS0_12_GLOBAL__N_121threshold_kernel_implIlEEvRNS_18TensorIteratorBaseET_S8_EUlllE_EEEEvS7_RKS8_EUlibE_EEviT1_
; %bb.0:
	s_load_dwordx2 s[18:19], s[4:5], 0x30
	s_load_dword s33, s[4:5], 0x38
	s_load_dword s46, s[4:5], 0x0
	s_load_dwordx4 s[8:11], s[4:5], 0x8
	s_load_dwordx2 s[16:17], s[4:5], 0x18
	s_load_dwordx4 s[12:15], s[4:5], 0x20
	v_lshl_or_b32 v10, s6, 9, v0
	v_or_b32_e32 v0, 0x180, v10
	s_waitcnt lgkmcnt(0)
	s_bfe_u32 s50, s33, 0x80008
	v_cmp_le_i32_e32 vcc, s46, v0
	s_mov_b64 s[4:5], 0
	s_mov_b64 s[20:21], 0
	s_and_saveexec_b64 s[0:1], vcc
	s_xor_b64 s[6:7], exec, s[0:1]
	s_cbranch_execz .LBB78_1011
; %bb.1:
	v_mov_b32_e32 v0, s12
	v_mov_b32_e32 v1, s13
	v_cmp_gt_i64_e64 s[0:1], s[18:19], v[0:1]
	v_cmp_gt_i32_e32 vcc, s46, v10
	s_mov_b64 s[2:3], -1
	s_mov_b64 s[28:29], 0
	s_mov_b64 s[22:23], 0
	s_and_saveexec_b64 s[24:25], vcc
	s_cbranch_execz .LBB78_248
; %bb.2:
	v_mul_lo_u32 v0, v10, s17
	v_mov_b32_e32 v1, s11
	s_and_b32 s26, 0xffff, s50
	s_cmp_lt_i32 s26, 11
	v_ashrrev_i32_e32 v2, 31, v0
	v_add_co_u32_e32 v0, vcc, s10, v0
	v_addc_co_u32_e32 v1, vcc, v1, v2, vcc
	s_cbranch_scc1 .LBB78_9
; %bb.3:
	s_cmp_gt_i32 s26, 25
	s_cbranch_scc0 .LBB78_18
; %bb.4:
	s_cmp_gt_i32 s26, 28
	s_cbranch_scc0 .LBB78_22
	;; [unrolled: 3-line block ×4, first 2 shown]
; %bb.7:
	s_cmp_eq_u32 s26, 46
	s_cbranch_scc0 .LBB78_28
; %bb.8:
	global_load_dword v2, v[0:1], off
	s_mov_b32 s2, 0x2f800000
	s_mov_b32 s3, 0xcf800000
	s_waitcnt vmcnt(0)
	v_lshlrev_b32_e32 v2, 16, v2
	v_trunc_f32_e32 v2, v2
	v_mul_f32_e64 v3, |v2|, s2
	v_floor_f32_e32 v3, v3
	v_fma_f32 v4, v3, s3, |v2|
	v_cvt_u32_f32_e32 v4, v4
	v_cvt_u32_f32_e32 v3, v3
	v_ashrrev_i32_e32 v5, 31, v2
	s_mov_b64 s[2:3], -1
	v_xor_b32_e32 v2, v4, v5
	v_xor_b32_e32 v3, v3, v5
	v_sub_co_u32_e32 v2, vcc, v2, v5
	v_subb_co_u32_e32 v3, vcc, v3, v5, vcc
	s_branch .LBB78_30
.LBB78_9:
                                        ; implicit-def: $vgpr2_vgpr3
	s_mov_b64 s[2:3], 0
	s_cbranch_execnz .LBB78_199
.LBB78_10:
	s_andn2_b64 vcc, exec, s[2:3]
	s_cbranch_vccnz .LBB78_246
.LBB78_11:
	v_mul_lo_u32 v4, v10, s16
	v_mov_b32_e32 v0, s15
	s_waitcnt vmcnt(0)
	v_cndmask_b32_e64 v1, v0, v3, s[0:1]
	v_mov_b32_e32 v0, s14
	v_cndmask_b32_e64 v0, v0, v2, s[0:1]
	v_ashrrev_i32_e32 v3, 31, v4
	v_mov_b32_e32 v5, s9
	s_and_b32 s34, s33, 0xff
	v_add_co_u32_e32 v2, vcc, s8, v4
	s_cmp_lt_i32 s34, 11
	v_addc_co_u32_e32 v3, vcc, v5, v3, vcc
	s_cbranch_scc1 .LBB78_19
; %bb.12:
	s_and_b32 s35, 0xffff, s34
	s_cmp_gt_i32 s35, 25
	s_cbranch_scc0 .LBB78_23
; %bb.13:
	s_cmp_gt_i32 s35, 28
	s_cbranch_scc0 .LBB78_25
; %bb.14:
	;; [unrolled: 3-line block ×4, first 2 shown]
	s_mov_b64 s[26:27], 0
	s_mov_b64 s[2:3], -1
	s_cmp_eq_u32 s35, 46
	s_mov_b64 s[20:21], 0
	s_cbranch_scc0 .LBB78_34
; %bb.17:
	v_xor_b32_e32 v5, v0, v1
	v_ffbh_i32_e32 v4, v1
	v_ashrrev_i32_e32 v5, 31, v5
	v_add_u32_e32 v4, -1, v4
	v_add_u32_e32 v5, 32, v5
	v_min_u32_e32 v6, v4, v5
	v_lshlrev_b64 v[4:5], v6, v[0:1]
	s_movk_i32 s2, 0x7fff
	v_min_u32_e32 v4, 1, v4
	v_or_b32_e32 v4, v5, v4
	v_cvt_f32_i32_e32 v4, v4
	v_sub_u32_e32 v5, 32, v6
	s_mov_b64 s[20:21], -1
	v_ldexp_f32 v4, v4, v5
	v_bfe_u32 v5, v4, 16, 1
	v_add3_u32 v4, v4, v5, s2
	v_lshrrev_b32_e32 v4, 16, v4
	global_store_dword v[2:3], v4, off
	s_mov_b64 s[2:3], 0
	s_branch .LBB78_34
.LBB78_18:
	s_mov_b64 s[2:3], 0
                                        ; implicit-def: $vgpr2_vgpr3
	s_cbranch_execnz .LBB78_168
	s_branch .LBB78_198
.LBB78_19:
	s_mov_b64 s[2:3], 0
	s_mov_b64 s[20:21], 0
	s_cbranch_execnz .LBB78_103
.LBB78_20:
	s_andn2_b64 vcc, exec, s[20:21]
	s_cbranch_vccnz .LBB78_141
.LBB78_21:
	v_add_u32_e32 v10, 0x80, v10
	s_mov_b64 s[26:27], -1
	s_branch .LBB78_247
.LBB78_22:
	s_mov_b64 s[20:21], -1
	s_mov_b64 s[2:3], 0
                                        ; implicit-def: $vgpr2_vgpr3
	s_branch .LBB78_149
.LBB78_23:
	s_mov_b64 s[26:27], -1
	s_mov_b64 s[2:3], 0
	s_mov_b64 s[20:21], 0
	s_branch .LBB78_61
.LBB78_24:
	s_mov_b64 s[20:21], -1
	s_mov_b64 s[2:3], 0
                                        ; implicit-def: $vgpr2_vgpr3
	s_branch .LBB78_144
.LBB78_25:
	s_mov_b64 s[26:27], -1
	s_mov_b64 s[2:3], 0
	s_mov_b64 s[20:21], 0
	s_branch .LBB78_44
.LBB78_26:
	s_mov_b64 s[20:21], -1
	s_branch .LBB78_29
.LBB78_27:
	s_mov_b64 s[26:27], -1
	s_mov_b64 s[2:3], 0
	s_mov_b64 s[20:21], 0
	s_branch .LBB78_40
.LBB78_28:
	s_mov_b64 s[22:23], -1
.LBB78_29:
	s_mov_b64 s[2:3], 0
                                        ; implicit-def: $vgpr2_vgpr3
.LBB78_30:
	s_and_b64 vcc, exec, s[20:21]
	s_cbranch_vccz .LBB78_143
; %bb.31:
	s_cmp_eq_u32 s26, 44
	s_cbranch_scc0 .LBB78_142
; %bb.32:
	global_load_ubyte v2, v[0:1], off
	s_mov_b32 s2, 0x2f800000
	s_mov_b32 s3, 0xcf800000
	s_mov_b64 s[22:23], 0
	s_waitcnt vmcnt(0)
	v_lshlrev_b32_e32 v3, 23, v2
	v_trunc_f32_e32 v3, v3
	v_mul_f32_e64 v4, |v3|, s2
	v_floor_f32_e32 v4, v4
	v_fma_f32 v5, v4, s3, |v3|
	v_cvt_u32_f32_e32 v5, v5
	v_cvt_u32_f32_e32 v4, v4
	v_ashrrev_i32_e32 v3, 31, v3
	s_mov_b64 s[2:3], -1
	v_xor_b32_e32 v5, v5, v3
	v_xor_b32_e32 v4, v4, v3
	v_sub_co_u32_e32 v5, vcc, v5, v3
	v_subb_co_u32_e32 v3, vcc, v4, v3, vcc
	v_cmp_ne_u32_e32 vcc, 0, v2
	v_cndmask_b32_e32 v3, 0, v3, vcc
	v_cndmask_b32_e32 v2, 0, v5, vcc
	s_branch .LBB78_143
.LBB78_33:
	s_mov_b64 s[26:27], -1
	s_mov_b64 s[2:3], 0
	s_mov_b64 s[20:21], 0
.LBB78_34:
	s_and_b64 vcc, exec, s[26:27]
	s_cbranch_vccz .LBB78_39
; %bb.35:
	s_cmp_eq_u32 s35, 44
	s_mov_b64 s[2:3], -1
	s_cbranch_scc0 .LBB78_39
; %bb.36:
	v_xor_b32_e32 v5, v0, v1
	v_ffbh_i32_e32 v4, v1
	v_ashrrev_i32_e32 v5, 31, v5
	v_add_u32_e32 v4, -1, v4
	v_add_u32_e32 v5, 32, v5
	v_min_u32_e32 v6, v4, v5
	v_lshlrev_b64 v[4:5], v6, v[0:1]
	s_movk_i32 s2, 0xff
	v_min_u32_e32 v4, 1, v4
	v_or_b32_e32 v4, v5, v4
	v_cvt_f32_i32_e32 v4, v4
	v_sub_u32_e32 v5, 32, v6
	v_mov_b32_e32 v6, 0xff
	v_ldexp_f32 v4, v4, v5
	v_bfe_u32 v5, v4, 23, 8
	v_cmp_ne_u32_e32 vcc, s2, v5
	s_and_saveexec_b64 s[20:21], vcc
; %bb.37:
	s_mov_b32 s2, 0x3fffff
	v_lshrrev_b32_e32 v6, 23, v4
	v_and_b32_e32 v7, 0x400000, v4
	v_and_or_b32 v4, v4, s2, v5
	v_cmp_ne_u32_e32 vcc, 0, v7
	v_cmp_ne_u32_e64 s[2:3], 0, v4
	s_and_b64 s[2:3], vcc, s[2:3]
	v_cndmask_b32_e64 v4, 0, 1, s[2:3]
	v_add_u32_e32 v6, v6, v4
; %bb.38:
	s_or_b64 exec, exec, s[20:21]
	s_mov_b64 s[20:21], -1
	s_mov_b64 s[2:3], 0
	global_store_byte v[2:3], v6, off
.LBB78_39:
	s_mov_b64 s[26:27], 0
.LBB78_40:
	s_and_b64 vcc, exec, s[26:27]
	s_cbranch_vccz .LBB78_43
; %bb.41:
	s_cmp_eq_u32 s35, 29
	s_mov_b64 s[2:3], -1
	s_cbranch_scc0 .LBB78_43
; %bb.42:
	global_store_dwordx2 v[2:3], v[0:1], off
	s_mov_b64 s[20:21], -1
	s_mov_b64 s[2:3], 0
.LBB78_43:
	s_mov_b64 s[26:27], 0
.LBB78_44:
	s_and_b64 vcc, exec, s[26:27]
	s_cbranch_vccz .LBB78_60
; %bb.45:
	s_cmp_lt_i32 s35, 27
	s_mov_b64 s[20:21], -1
	s_cbranch_scc1 .LBB78_51
; %bb.46:
	s_cmp_gt_i32 s35, 27
	s_cbranch_scc0 .LBB78_48
; %bb.47:
	s_mov_b64 s[20:21], 0
	global_store_dword v[2:3], v0, off
.LBB78_48:
	s_andn2_b64 vcc, exec, s[20:21]
	s_cbranch_vccnz .LBB78_50
; %bb.49:
	global_store_short v[2:3], v0, off
.LBB78_50:
	s_mov_b64 s[20:21], 0
.LBB78_51:
	s_andn2_b64 vcc, exec, s[20:21]
	s_cbranch_vccnz .LBB78_59
; %bb.52:
	v_xor_b32_e32 v5, v0, v1
	v_ffbh_i32_e32 v4, v1
	v_ashrrev_i32_e32 v5, 31, v5
	v_add_u32_e32 v4, -1, v4
	v_add_u32_e32 v5, 32, v5
	v_min_u32_e32 v6, v4, v5
	v_lshlrev_b64 v[4:5], v6, v[0:1]
	s_mov_b32 s20, 0x43800000
	v_min_u32_e32 v4, 1, v4
	v_or_b32_e32 v4, v5, v4
	v_cvt_f32_i32_e32 v4, v4
	v_sub_u32_e32 v5, 32, v6
	v_mov_b32_e32 v6, 0x80
	v_ldexp_f32 v4, v4, v5
	v_and_b32_e32 v5, 0x7fffffff, v4
	v_cmp_gt_u32_e32 vcc, s20, v5
	s_and_saveexec_b64 s[20:21], vcc
	s_cbranch_execz .LBB78_58
; %bb.53:
	s_mov_b32 s26, 0x3bffffff
	v_cmp_lt_u32_e32 vcc, s26, v5
	s_mov_b64 s[26:27], 0
                                        ; implicit-def: $vgpr5
	s_and_saveexec_b64 s[30:31], vcc
	s_xor_b64 s[30:31], exec, s[30:31]
	s_cbranch_execz .LBB78_275
; %bb.54:
	v_bfe_u32 v5, v4, 20, 1
	s_mov_b32 s36, 0x487ffff
	v_add3_u32 v5, v4, v5, s36
	s_mov_b64 s[26:27], exec
	v_lshrrev_b32_e32 v5, 20, v5
	s_andn2_saveexec_b64 s[30:31], s[30:31]
	s_cbranch_execnz .LBB78_276
.LBB78_55:
	s_or_b64 exec, exec, s[30:31]
	v_mov_b32_e32 v6, 0
	s_and_saveexec_b64 s[30:31], s[26:27]
.LBB78_56:
	v_lshrrev_b32_e32 v4, 24, v4
	s_movk_i32 s26, 0x80
	v_and_or_b32 v6, v4, s26, v5
.LBB78_57:
	s_or_b64 exec, exec, s[30:31]
.LBB78_58:
	s_or_b64 exec, exec, s[20:21]
	global_store_byte v[2:3], v6, off
.LBB78_59:
	s_mov_b64 s[20:21], -1
.LBB78_60:
	s_mov_b64 s[26:27], 0
.LBB78_61:
	s_and_b64 vcc, exec, s[26:27]
	s_cbranch_vccz .LBB78_102
; %bb.62:
	s_cmp_gt_i32 s35, 22
	s_mov_b64 s[26:27], -1
	s_cbranch_scc0 .LBB78_94
; %bb.63:
	s_cmp_lt_i32 s35, 24
	s_mov_b64 s[20:21], -1
	s_cbranch_scc1 .LBB78_83
; %bb.64:
	s_cmp_gt_i32 s35, 24
	s_cbranch_scc0 .LBB78_72
; %bb.65:
	v_xor_b32_e32 v5, v0, v1
	v_ffbh_i32_e32 v4, v1
	v_ashrrev_i32_e32 v5, 31, v5
	v_add_u32_e32 v4, -1, v4
	v_add_u32_e32 v5, 32, v5
	v_min_u32_e32 v6, v4, v5
	v_lshlrev_b64 v[4:5], v6, v[0:1]
	s_mov_b32 s20, 0x47800000
	v_min_u32_e32 v4, 1, v4
	v_or_b32_e32 v4, v5, v4
	v_cvt_f32_i32_e32 v4, v4
	v_sub_u32_e32 v5, 32, v6
	v_mov_b32_e32 v6, 0x80
	v_ldexp_f32 v4, v4, v5
	v_and_b32_e32 v5, 0x7fffffff, v4
	v_cmp_gt_u32_e32 vcc, s20, v5
	s_and_saveexec_b64 s[20:21], vcc
	s_cbranch_execz .LBB78_71
; %bb.66:
	s_mov_b32 s26, 0x37ffffff
	v_cmp_lt_u32_e32 vcc, s26, v5
	s_mov_b64 s[26:27], 0
                                        ; implicit-def: $vgpr5
	s_and_saveexec_b64 s[30:31], vcc
	s_xor_b64 s[30:31], exec, s[30:31]
	s_cbranch_execz .LBB78_279
; %bb.67:
	v_bfe_u32 v5, v4, 21, 1
	s_mov_b32 s36, 0x88fffff
	v_add3_u32 v5, v4, v5, s36
	s_mov_b64 s[26:27], exec
	v_lshrrev_b32_e32 v5, 21, v5
	s_andn2_saveexec_b64 s[30:31], s[30:31]
	s_cbranch_execnz .LBB78_280
.LBB78_68:
	s_or_b64 exec, exec, s[30:31]
	v_mov_b32_e32 v6, 0
	s_and_saveexec_b64 s[30:31], s[26:27]
.LBB78_69:
	v_lshrrev_b32_e32 v4, 24, v4
	s_movk_i32 s26, 0x80
	v_and_or_b32 v6, v4, s26, v5
.LBB78_70:
	s_or_b64 exec, exec, s[30:31]
.LBB78_71:
	s_or_b64 exec, exec, s[20:21]
	s_mov_b64 s[20:21], 0
	global_store_byte v[2:3], v6, off
.LBB78_72:
	s_and_b64 vcc, exec, s[20:21]
	s_cbranch_vccz .LBB78_82
; %bb.73:
	v_xor_b32_e32 v5, v0, v1
	v_ffbh_i32_e32 v4, v1
	v_ashrrev_i32_e32 v5, 31, v5
	v_add_u32_e32 v4, -1, v4
	v_add_u32_e32 v5, 32, v5
	v_min_u32_e32 v6, v4, v5
	v_lshlrev_b64 v[4:5], v6, v[0:1]
	s_mov_b32 s20, 0x43f00000
	v_min_u32_e32 v4, 1, v4
	v_or_b32_e32 v4, v5, v4
	v_cvt_f32_i32_e32 v4, v4
	v_sub_u32_e32 v5, 32, v6
	v_ldexp_f32 v4, v4, v5
	v_and_b32_e32 v6, 0x7fffffff, v4
	v_cmp_gt_u32_e32 vcc, s20, v6
                                        ; implicit-def: $vgpr5
	s_and_saveexec_b64 s[20:21], vcc
	s_xor_b64 s[20:21], exec, s[20:21]
	s_cbranch_execz .LBB78_79
; %bb.74:
	s_mov_b32 s26, 0x3c7fffff
	v_cmp_lt_u32_e32 vcc, s26, v6
                                        ; implicit-def: $vgpr5
	s_and_saveexec_b64 s[26:27], vcc
	s_xor_b64 s[26:27], exec, s[26:27]
; %bb.75:
	v_bfe_u32 v5, v4, 20, 1
	s_mov_b32 s30, 0x407ffff
	v_add3_u32 v5, v4, v5, s30
	v_lshrrev_b32_e32 v6, 20, v5
	v_and_b32_e32 v5, 0xff00000, v5
	s_mov_b32 s30, 0x7f00000
	v_mov_b32_e32 v7, 0x7e
	v_cmp_ne_u32_e32 vcc, s30, v5
	v_cndmask_b32_e32 v5, v7, v6, vcc
; %bb.76:
	s_andn2_saveexec_b64 s[26:27], s[26:27]
; %bb.77:
	s_mov_b32 s30, 0x46800000
	v_add_f32_e64 v5, |v4|, s30
; %bb.78:
	s_or_b64 exec, exec, s[26:27]
                                        ; implicit-def: $vgpr6
.LBB78_79:
	s_andn2_saveexec_b64 s[20:21], s[20:21]
; %bb.80:
	s_mov_b32 s26, 0x7f800000
	v_mov_b32_e32 v5, 0x7e
	v_mov_b32_e32 v7, 0x7f
	v_cmp_lt_u32_e32 vcc, s26, v6
	v_cndmask_b32_e32 v5, v5, v7, vcc
; %bb.81:
	s_or_b64 exec, exec, s[20:21]
	v_lshrrev_b32_e32 v4, 24, v4
	s_movk_i32 s20, 0x80
	v_and_or_b32 v4, v4, s20, v5
	global_store_byte v[2:3], v4, off
.LBB78_82:
	s_mov_b64 s[20:21], 0
.LBB78_83:
	s_andn2_b64 vcc, exec, s[20:21]
	s_cbranch_vccnz .LBB78_93
; %bb.84:
	v_xor_b32_e32 v5, v0, v1
	v_ffbh_i32_e32 v4, v1
	v_ashrrev_i32_e32 v5, 31, v5
	v_add_u32_e32 v4, -1, v4
	v_add_u32_e32 v5, 32, v5
	v_min_u32_e32 v6, v4, v5
	v_lshlrev_b64 v[4:5], v6, v[0:1]
	s_mov_b32 s20, 0x47800000
	v_min_u32_e32 v4, 1, v4
	v_or_b32_e32 v4, v5, v4
	v_cvt_f32_i32_e32 v4, v4
	v_sub_u32_e32 v5, 32, v6
	v_ldexp_f32 v4, v4, v5
	v_and_b32_e32 v6, 0x7fffffff, v4
	v_cmp_gt_u32_e32 vcc, s20, v6
                                        ; implicit-def: $vgpr5
	s_and_saveexec_b64 s[20:21], vcc
	s_xor_b64 s[20:21], exec, s[20:21]
	s_cbranch_execz .LBB78_90
; %bb.85:
	s_mov_b32 s26, 0x387fffff
	v_cmp_lt_u32_e32 vcc, s26, v6
                                        ; implicit-def: $vgpr5
	s_and_saveexec_b64 s[26:27], vcc
	s_xor_b64 s[26:27], exec, s[26:27]
; %bb.86:
	v_bfe_u32 v5, v4, 21, 1
	s_mov_b32 s30, 0x80fffff
	v_add3_u32 v5, v4, v5, s30
	v_lshrrev_b32_e32 v5, 21, v5
; %bb.87:
	s_andn2_saveexec_b64 s[26:27], s[26:27]
; %bb.88:
	s_mov_b32 s30, 0x43000000
	v_add_f32_e64 v5, |v4|, s30
; %bb.89:
	s_or_b64 exec, exec, s[26:27]
                                        ; implicit-def: $vgpr6
.LBB78_90:
	s_andn2_saveexec_b64 s[20:21], s[20:21]
; %bb.91:
	s_mov_b32 s26, 0x7f800000
	v_mov_b32_e32 v5, 0x7c
	v_mov_b32_e32 v7, 0x7f
	v_cmp_lt_u32_e32 vcc, s26, v6
	v_cndmask_b32_e32 v5, v5, v7, vcc
; %bb.92:
	s_or_b64 exec, exec, s[20:21]
	v_lshrrev_b32_e32 v4, 24, v4
	s_movk_i32 s20, 0x80
	v_and_or_b32 v4, v4, s20, v5
	global_store_byte v[2:3], v4, off
.LBB78_93:
	s_mov_b64 s[26:27], 0
	s_mov_b64 s[20:21], -1
.LBB78_94:
	s_andn2_b64 vcc, exec, s[26:27]
	s_cbranch_vccnz .LBB78_102
; %bb.95:
	s_cmp_gt_i32 s35, 14
	s_mov_b64 s[26:27], -1
	s_cbranch_scc0 .LBB78_99
; %bb.96:
	s_cmp_eq_u32 s35, 15
	s_mov_b64 s[2:3], -1
	s_cbranch_scc0 .LBB78_98
; %bb.97:
	v_xor_b32_e32 v5, v0, v1
	v_ffbh_i32_e32 v4, v1
	v_ashrrev_i32_e32 v5, 31, v5
	v_add_u32_e32 v4, -1, v4
	v_add_u32_e32 v5, 32, v5
	v_min_u32_e32 v6, v4, v5
	v_lshlrev_b64 v[4:5], v6, v[0:1]
	s_movk_i32 s2, 0x7fff
	v_min_u32_e32 v4, 1, v4
	v_or_b32_e32 v4, v5, v4
	v_cvt_f32_i32_e32 v4, v4
	v_sub_u32_e32 v5, 32, v6
	s_mov_b64 s[20:21], -1
	v_ldexp_f32 v4, v4, v5
	v_bfe_u32 v5, v4, 16, 1
	v_add3_u32 v4, v4, v5, s2
	global_store_short_d16_hi v[2:3], v4, off
	s_mov_b64 s[2:3], 0
.LBB78_98:
	s_mov_b64 s[26:27], 0
.LBB78_99:
	s_and_b64 vcc, exec, s[26:27]
	s_cbranch_vccz .LBB78_102
; %bb.100:
	s_cmp_eq_u32 s35, 11
	s_mov_b64 s[2:3], -1
	s_cbranch_scc0 .LBB78_102
; %bb.101:
	v_cmp_ne_u64_e32 vcc, 0, v[0:1]
	s_mov_b64 s[2:3], 0
	v_cndmask_b32_e64 v4, 0, 1, vcc
	s_mov_b64 s[20:21], -1
	global_store_byte v[2:3], v4, off
.LBB78_102:
	s_branch .LBB78_20
.LBB78_103:
	s_and_b32 s26, 0xffff, s34
	s_cmp_lt_i32 s26, 5
	s_mov_b64 s[20:21], -1
	s_cbranch_scc1 .LBB78_124
; %bb.104:
	s_cmp_lt_i32 s26, 8
	s_cbranch_scc1 .LBB78_114
; %bb.105:
	s_cmp_lt_i32 s26, 9
	s_cbranch_scc1 .LBB78_111
; %bb.106:
	s_cmp_gt_i32 s26, 9
	s_cbranch_scc0 .LBB78_108
; %bb.107:
	v_cvt_f64_i32_e32 v[4:5], v1
	v_cvt_f64_u32_e32 v[6:7], v0
	s_mov_b64 s[20:21], 0
	v_ldexp_f64 v[4:5], v[4:5], 32
	v_add_f64 v[4:5], v[4:5], v[6:7]
	v_mov_b32_e32 v6, 0
	v_mov_b32_e32 v7, v6
	global_store_dwordx4 v[2:3], v[4:7], off
.LBB78_108:
	s_andn2_b64 vcc, exec, s[20:21]
	s_cbranch_vccnz .LBB78_110
; %bb.109:
	v_xor_b32_e32 v5, v0, v1
	v_ffbh_i32_e32 v4, v1
	v_ashrrev_i32_e32 v5, 31, v5
	v_add_u32_e32 v4, -1, v4
	v_add_u32_e32 v5, 32, v5
	v_min_u32_e32 v6, v4, v5
	v_lshlrev_b64 v[4:5], v6, v[0:1]
	v_min_u32_e32 v4, 1, v4
	v_or_b32_e32 v4, v5, v4
	v_cvt_f32_i32_e32 v4, v4
	v_sub_u32_e32 v5, 32, v6
	v_ldexp_f32 v4, v4, v5
	v_mov_b32_e32 v5, 0
	global_store_dwordx2 v[2:3], v[4:5], off
.LBB78_110:
	s_mov_b64 s[20:21], 0
.LBB78_111:
	s_andn2_b64 vcc, exec, s[20:21]
	s_cbranch_vccnz .LBB78_113
; %bb.112:
	v_xor_b32_e32 v5, v0, v1
	v_ffbh_i32_e32 v4, v1
	v_ashrrev_i32_e32 v5, 31, v5
	v_add_u32_e32 v4, -1, v4
	v_add_u32_e32 v5, 32, v5
	v_min_u32_e32 v6, v4, v5
	v_lshlrev_b64 v[4:5], v6, v[0:1]
	v_min_u32_e32 v4, 1, v4
	v_or_b32_e32 v4, v5, v4
	v_cvt_f32_i32_e32 v4, v4
	v_sub_u32_e32 v5, 32, v6
	v_ldexp_f32 v4, v4, v5
	v_cvt_f16_f32_e32 v4, v4
	global_store_dword v[2:3], v4, off
.LBB78_113:
	s_mov_b64 s[20:21], 0
.LBB78_114:
	s_andn2_b64 vcc, exec, s[20:21]
	s_cbranch_vccnz .LBB78_123
; %bb.115:
	s_cmp_lt_i32 s26, 6
	s_mov_b64 s[20:21], -1
	s_cbranch_scc1 .LBB78_121
; %bb.116:
	s_cmp_gt_i32 s26, 6
	s_cbranch_scc0 .LBB78_118
; %bb.117:
	v_cvt_f64_i32_e32 v[4:5], v1
	v_cvt_f64_u32_e32 v[6:7], v0
	s_mov_b64 s[20:21], 0
	v_ldexp_f64 v[4:5], v[4:5], 32
	v_add_f64 v[4:5], v[4:5], v[6:7]
	global_store_dwordx2 v[2:3], v[4:5], off
.LBB78_118:
	s_andn2_b64 vcc, exec, s[20:21]
	s_cbranch_vccnz .LBB78_120
; %bb.119:
	v_xor_b32_e32 v5, v0, v1
	v_ffbh_i32_e32 v4, v1
	v_ashrrev_i32_e32 v5, 31, v5
	v_add_u32_e32 v4, -1, v4
	v_add_u32_e32 v5, 32, v5
	v_min_u32_e32 v6, v4, v5
	v_lshlrev_b64 v[4:5], v6, v[0:1]
	v_min_u32_e32 v4, 1, v4
	v_or_b32_e32 v4, v5, v4
	v_cvt_f32_i32_e32 v4, v4
	v_sub_u32_e32 v5, 32, v6
	v_ldexp_f32 v4, v4, v5
	global_store_dword v[2:3], v4, off
.LBB78_120:
	s_mov_b64 s[20:21], 0
.LBB78_121:
	s_andn2_b64 vcc, exec, s[20:21]
	s_cbranch_vccnz .LBB78_123
; %bb.122:
	v_xor_b32_e32 v5, v0, v1
	v_ffbh_i32_e32 v4, v1
	v_ashrrev_i32_e32 v5, 31, v5
	v_add_u32_e32 v4, -1, v4
	v_add_u32_e32 v5, 32, v5
	v_min_u32_e32 v6, v4, v5
	v_lshlrev_b64 v[4:5], v6, v[0:1]
	v_min_u32_e32 v4, 1, v4
	v_or_b32_e32 v4, v5, v4
	v_cvt_f32_i32_e32 v4, v4
	v_sub_u32_e32 v5, 32, v6
	v_ldexp_f32 v4, v4, v5
	v_cvt_f16_f32_e32 v4, v4
	global_store_short v[2:3], v4, off
.LBB78_123:
	s_mov_b64 s[20:21], 0
.LBB78_124:
	s_andn2_b64 vcc, exec, s[20:21]
	s_cbranch_vccnz .LBB78_140
; %bb.125:
	s_cmp_lt_i32 s26, 2
	s_mov_b64 s[20:21], -1
	s_cbranch_scc1 .LBB78_135
; %bb.126:
	s_cmp_lt_i32 s26, 3
	s_cbranch_scc1 .LBB78_132
; %bb.127:
	s_cmp_gt_i32 s26, 3
	s_cbranch_scc0 .LBB78_129
; %bb.128:
	global_store_dwordx2 v[2:3], v[0:1], off
	s_mov_b64 s[20:21], 0
.LBB78_129:
	s_andn2_b64 vcc, exec, s[20:21]
	s_cbranch_vccnz .LBB78_131
; %bb.130:
	global_store_dword v[2:3], v0, off
.LBB78_131:
	s_mov_b64 s[20:21], 0
.LBB78_132:
	s_andn2_b64 vcc, exec, s[20:21]
	s_cbranch_vccnz .LBB78_134
; %bb.133:
	global_store_short v[2:3], v0, off
.LBB78_134:
	s_mov_b64 s[20:21], 0
.LBB78_135:
	s_andn2_b64 vcc, exec, s[20:21]
	s_cbranch_vccnz .LBB78_140
; %bb.136:
	s_cmp_gt_i32 s26, 0
	s_mov_b64 s[20:21], -1
	s_cbranch_scc0 .LBB78_138
; %bb.137:
	global_store_byte v[2:3], v0, off
	s_mov_b64 s[20:21], 0
.LBB78_138:
	s_andn2_b64 vcc, exec, s[20:21]
	s_cbranch_vccnz .LBB78_140
; %bb.139:
	global_store_byte v[2:3], v0, off
.LBB78_140:
	s_branch .LBB78_21
.LBB78_141:
	s_mov_b64 s[26:27], 0
                                        ; implicit-def: $vgpr10
	s_branch .LBB78_247
.LBB78_142:
	s_mov_b64 s[22:23], -1
                                        ; implicit-def: $vgpr2_vgpr3
.LBB78_143:
	s_mov_b64 s[20:21], 0
.LBB78_144:
	s_and_b64 vcc, exec, s[20:21]
	s_cbranch_vccz .LBB78_148
; %bb.145:
	s_cmp_eq_u32 s26, 29
	s_cbranch_scc0 .LBB78_147
; %bb.146:
	global_load_dwordx2 v[2:3], v[0:1], off
	s_mov_b64 s[2:3], -1
	s_mov_b64 s[22:23], 0
	s_branch .LBB78_148
.LBB78_147:
	s_mov_b64 s[22:23], -1
                                        ; implicit-def: $vgpr2_vgpr3
.LBB78_148:
	s_mov_b64 s[20:21], 0
.LBB78_149:
	s_and_b64 vcc, exec, s[20:21]
	s_cbranch_vccz .LBB78_167
; %bb.150:
	s_cmp_lt_i32 s26, 27
	s_cbranch_scc1 .LBB78_153
; %bb.151:
	s_cmp_gt_i32 s26, 27
	s_cbranch_scc0 .LBB78_154
; %bb.152:
	global_load_dword v2, v[0:1], off
	s_waitcnt vmcnt(1)
	v_mov_b32_e32 v3, 0
	s_mov_b64 s[2:3], 0
	s_branch .LBB78_155
.LBB78_153:
	s_mov_b64 s[2:3], -1
                                        ; implicit-def: $vgpr2_vgpr3
	s_branch .LBB78_158
.LBB78_154:
	s_mov_b64 s[2:3], -1
                                        ; implicit-def: $vgpr2_vgpr3
.LBB78_155:
	s_andn2_b64 vcc, exec, s[2:3]
	s_cbranch_vccnz .LBB78_157
; %bb.156:
	global_load_ushort v2, v[0:1], off
	s_mov_b32 s2, 0
	s_waitcnt vmcnt(1)
	v_mov_b32_e32 v3, s2
	s_waitcnt vmcnt(0)
	v_and_b32_e32 v2, 0xffff, v2
.LBB78_157:
	s_mov_b64 s[2:3], 0
.LBB78_158:
	s_andn2_b64 vcc, exec, s[2:3]
	s_cbranch_vccnz .LBB78_166
; %bb.159:
	global_load_ubyte v4, v[0:1], off
	s_movk_i32 s2, 0x7f
	s_mov_b64 s[20:21], 0
	s_waitcnt vmcnt(0)
	v_cmp_lt_i16_e32 vcc, s2, v4
	s_and_saveexec_b64 s[2:3], vcc
	s_xor_b64 s[2:3], exec, s[2:3]
; %bb.160:
	s_movk_i32 s20, 0x80
	v_cmp_ne_u16_e32 vcc, s20, v4
	s_and_b64 s[20:21], vcc, exec
; %bb.161:
	s_andn2_saveexec_b64 s[2:3], s[2:3]
; %bb.162:
	v_cmp_ne_u16_e32 vcc, 0, v4
	s_andn2_b64 s[20:21], s[20:21], exec
	s_and_b64 s[30:31], vcc, exec
	s_or_b64 s[20:21], s[20:21], s[30:31]
; %bb.163:
	s_or_b64 exec, exec, s[2:3]
	v_mov_b32_e32 v2, 0
	v_mov_b32_e32 v3, 0
	s_and_saveexec_b64 s[2:3], s[20:21]
	s_cbranch_execz .LBB78_165
; %bb.164:
	v_and_b32_e32 v3, 0xffff, v4
	v_lshlrev_b32_e32 v2, 24, v4
	v_and_b32_e32 v4, 7, v3
	v_ffbh_u32_e32 v6, v4
	v_min_u32_e32 v6, 32, v6
	v_subrev_u32_e32 v7, 28, v6
	v_bfe_u32 v5, v3, 3, 4
	v_lshlrev_b32_e32 v3, v7, v3
	v_sub_u32_e32 v6, 29, v6
	v_and_b32_e32 v3, 7, v3
	v_cmp_eq_u32_e32 vcc, 0, v5
	v_cndmask_b32_e32 v5, v5, v6, vcc
	v_cndmask_b32_e32 v3, v4, v3, vcc
	v_mov_b32_e32 v4, 0x3b800000
	v_lshlrev_b32_e32 v3, 20, v3
	v_and_b32_e32 v2, 0x80000000, v2
	v_lshl_add_u32 v4, v5, 23, v4
	v_or3_b32 v2, v2, v4, v3
	v_trunc_f32_e32 v2, v2
	s_mov_b32 s20, 0x2f800000
	v_mul_f32_e64 v3, |v2|, s20
	v_floor_f32_e32 v3, v3
	s_mov_b32 s20, 0xcf800000
	v_fma_f32 v4, v3, s20, |v2|
	v_cvt_u32_f32_e32 v4, v4
	v_cvt_u32_f32_e32 v3, v3
	v_ashrrev_i32_e32 v5, 31, v2
	v_xor_b32_e32 v2, v4, v5
	v_xor_b32_e32 v3, v3, v5
	v_sub_co_u32_e32 v2, vcc, v2, v5
	v_subb_co_u32_e32 v3, vcc, v3, v5, vcc
.LBB78_165:
	s_or_b64 exec, exec, s[2:3]
.LBB78_166:
	s_mov_b64 s[2:3], -1
.LBB78_167:
	s_branch .LBB78_198
.LBB78_168:
	s_cmp_gt_i32 s26, 22
	s_cbranch_scc0 .LBB78_178
; %bb.169:
	s_cmp_lt_i32 s26, 24
	s_cbranch_scc1 .LBB78_179
; %bb.170:
	s_cmp_gt_i32 s26, 24
	s_cbranch_scc0 .LBB78_180
; %bb.171:
	global_load_ubyte v4, v[0:1], off
	s_movk_i32 s2, 0x7f
	s_mov_b64 s[20:21], 0
	s_waitcnt vmcnt(0)
	v_cmp_lt_i16_e32 vcc, s2, v4
	s_and_saveexec_b64 s[2:3], vcc
	s_xor_b64 s[2:3], exec, s[2:3]
; %bb.172:
	s_movk_i32 s20, 0x80
	v_cmp_ne_u16_e32 vcc, s20, v4
	s_and_b64 s[20:21], vcc, exec
; %bb.173:
	s_andn2_saveexec_b64 s[2:3], s[2:3]
; %bb.174:
	v_cmp_ne_u16_e32 vcc, 0, v4
	s_andn2_b64 s[20:21], s[20:21], exec
	s_and_b64 s[30:31], vcc, exec
	s_or_b64 s[20:21], s[20:21], s[30:31]
; %bb.175:
	s_or_b64 exec, exec, s[2:3]
	v_mov_b32_e32 v2, 0
	v_mov_b32_e32 v3, 0
	s_and_saveexec_b64 s[2:3], s[20:21]
	s_cbranch_execz .LBB78_177
; %bb.176:
	v_and_b32_e32 v3, 0xffff, v4
	v_lshlrev_b32_e32 v2, 24, v4
	v_and_b32_e32 v4, 3, v3
	v_ffbh_u32_e32 v6, v4
	v_min_u32_e32 v6, 32, v6
	v_subrev_u32_e32 v7, 29, v6
	v_bfe_u32 v5, v3, 2, 5
	v_lshlrev_b32_e32 v3, v7, v3
	v_sub_u32_e32 v6, 30, v6
	v_and_b32_e32 v3, 3, v3
	v_cmp_eq_u32_e32 vcc, 0, v5
	v_cndmask_b32_e32 v5, v5, v6, vcc
	v_cndmask_b32_e32 v3, v4, v3, vcc
	v_mov_b32_e32 v4, 0x37800000
	v_lshlrev_b32_e32 v3, 21, v3
	v_and_b32_e32 v2, 0x80000000, v2
	v_lshl_add_u32 v4, v5, 23, v4
	v_or3_b32 v2, v2, v4, v3
	v_trunc_f32_e32 v2, v2
	s_mov_b32 s20, 0x2f800000
	v_mul_f32_e64 v3, |v2|, s20
	v_floor_f32_e32 v3, v3
	s_mov_b32 s20, 0xcf800000
	v_fma_f32 v4, v3, s20, |v2|
	v_cvt_u32_f32_e32 v4, v4
	v_cvt_u32_f32_e32 v3, v3
	v_ashrrev_i32_e32 v5, 31, v2
	v_xor_b32_e32 v2, v4, v5
	v_xor_b32_e32 v3, v3, v5
	v_sub_co_u32_e32 v2, vcc, v2, v5
	v_subb_co_u32_e32 v3, vcc, v3, v5, vcc
.LBB78_177:
	s_or_b64 exec, exec, s[2:3]
	s_mov_b64 s[2:3], 0
	s_branch .LBB78_181
.LBB78_178:
	s_mov_b64 s[20:21], -1
                                        ; implicit-def: $vgpr2_vgpr3
	s_branch .LBB78_187
.LBB78_179:
	s_mov_b64 s[2:3], -1
                                        ; implicit-def: $vgpr2_vgpr3
	s_branch .LBB78_184
.LBB78_180:
	s_mov_b64 s[2:3], -1
                                        ; implicit-def: $vgpr2_vgpr3
.LBB78_181:
	s_and_b64 vcc, exec, s[2:3]
	s_cbranch_vccz .LBB78_183
; %bb.182:
	global_load_ubyte v2, v[0:1], off
	s_mov_b32 s2, 0x7f800000
	s_brev_b32 s3, 1
	s_mov_b32 s20, 0x2f800000
	s_mov_b32 s21, 0xcf800000
	s_waitcnt vmcnt(0)
	v_lshlrev_b32_e32 v2, 24, v2
	v_and_b32_e32 v3, 0x7f000000, v2
	v_ffbh_u32_e32 v4, v3
	v_min_u32_e32 v4, 32, v4
	v_sub_u32_e64 v4, v4, 4 clamp
	v_lshlrev_b32_e32 v6, v4, v3
	v_lshlrev_b32_e32 v4, 23, v4
	v_lshrrev_b32_e32 v6, 4, v6
	v_add_u32_e32 v5, 0x1000000, v3
	v_sub_u32_e32 v4, v6, v4
	v_ashrrev_i32_e32 v5, 8, v5
	v_add_u32_e32 v4, 0x3c000000, v4
	v_and_or_b32 v4, v5, s2, v4
	v_cmp_ne_u32_e32 vcc, 0, v3
	v_cndmask_b32_e32 v3, 0, v4, vcc
	v_and_or_b32 v2, v2, s3, v3
	v_trunc_f32_e32 v2, v2
	v_mul_f32_e64 v3, |v2|, s20
	v_floor_f32_e32 v3, v3
	v_fma_f32 v4, v3, s21, |v2|
	v_cvt_u32_f32_e32 v4, v4
	v_cvt_u32_f32_e32 v3, v3
	v_ashrrev_i32_e32 v5, 31, v2
	v_xor_b32_e32 v2, v4, v5
	v_xor_b32_e32 v3, v3, v5
	v_sub_co_u32_e32 v2, vcc, v2, v5
	v_subb_co_u32_e32 v3, vcc, v3, v5, vcc
.LBB78_183:
	s_mov_b64 s[2:3], 0
.LBB78_184:
	s_andn2_b64 vcc, exec, s[2:3]
	s_cbranch_vccnz .LBB78_186
; %bb.185:
	global_load_ubyte v2, v[0:1], off
	s_movk_i32 s2, 0x7f00
	s_brev_b32 s3, 16
	s_brev_b32 s20, 1
	s_mov_b32 s21, 0x2f800000
	s_mov_b32 s27, 0xcf800000
	s_waitcnt vmcnt(0)
	v_lshlrev_b16_e32 v3, 8, v2
	v_lshlrev_b32_e32 v2, 25, v2
	v_lshrrev_b32_e32 v4, 4, v2
	v_and_or_b32 v5, v3, s2, 0.5
	v_or_b32_e32 v4, 0x70000000, v4
	v_add_f32_e32 v5, -0.5, v5
	v_mul_f32_e32 v4, 0x7800000, v4
	v_cmp_gt_u32_e32 vcc, s3, v2
	v_bfe_i32 v3, v3, 0, 16
	v_cndmask_b32_e32 v2, v4, v5, vcc
	v_and_or_b32 v2, v3, s20, v2
	v_trunc_f32_e32 v2, v2
	v_mul_f32_e64 v3, |v2|, s21
	v_floor_f32_e32 v3, v3
	v_fma_f32 v4, v3, s27, |v2|
	v_cvt_u32_f32_e32 v4, v4
	v_cvt_u32_f32_e32 v3, v3
	v_ashrrev_i32_e32 v5, 31, v2
	v_xor_b32_e32 v2, v4, v5
	v_xor_b32_e32 v3, v3, v5
	v_sub_co_u32_e32 v2, vcc, v2, v5
	v_subb_co_u32_e32 v3, vcc, v3, v5, vcc
.LBB78_186:
	s_mov_b64 s[20:21], 0
	s_mov_b64 s[2:3], -1
.LBB78_187:
	s_andn2_b64 vcc, exec, s[20:21]
	s_cbranch_vccnz .LBB78_198
; %bb.188:
	s_cmp_gt_i32 s26, 14
	s_cbranch_scc0 .LBB78_191
; %bb.189:
	s_cmp_eq_u32 s26, 15
	s_cbranch_scc0 .LBB78_192
; %bb.190:
	global_load_ushort v2, v[0:1], off
	s_mov_b32 s2, 0x2f800000
	s_mov_b32 s3, 0xcf800000
	s_mov_b64 s[22:23], 0
	s_waitcnt vmcnt(0)
	v_lshlrev_b32_e32 v2, 16, v2
	v_trunc_f32_e32 v2, v2
	v_mul_f32_e64 v3, |v2|, s2
	v_floor_f32_e32 v3, v3
	v_fma_f32 v4, v3, s3, |v2|
	v_cvt_u32_f32_e32 v4, v4
	v_cvt_u32_f32_e32 v3, v3
	v_ashrrev_i32_e32 v5, 31, v2
	s_mov_b64 s[2:3], -1
	v_xor_b32_e32 v2, v4, v5
	v_xor_b32_e32 v3, v3, v5
	v_sub_co_u32_e32 v2, vcc, v2, v5
	v_subb_co_u32_e32 v3, vcc, v3, v5, vcc
	s_branch .LBB78_193
.LBB78_191:
	s_mov_b64 s[20:21], -1
                                        ; implicit-def: $vgpr2_vgpr3
	s_branch .LBB78_194
.LBB78_192:
	s_mov_b64 s[22:23], -1
                                        ; implicit-def: $vgpr2_vgpr3
.LBB78_193:
	s_mov_b64 s[20:21], 0
.LBB78_194:
	s_and_b64 vcc, exec, s[20:21]
	s_cbranch_vccz .LBB78_198
; %bb.195:
	s_cmp_eq_u32 s26, 11
	s_cbranch_scc0 .LBB78_197
; %bb.196:
	global_load_ubyte v2, v[0:1], off
	s_mov_b32 s20, 0
	s_mov_b64 s[2:3], -1
	s_waitcnt vmcnt(1)
	v_mov_b32_e32 v3, s20
	s_mov_b64 s[22:23], 0
	s_waitcnt vmcnt(0)
	v_cmp_ne_u16_e32 vcc, 0, v2
	v_cndmask_b32_e64 v2, 0, 1, vcc
	s_branch .LBB78_198
.LBB78_197:
	s_mov_b64 s[22:23], -1
                                        ; implicit-def: $vgpr2_vgpr3
.LBB78_198:
	s_branch .LBB78_10
.LBB78_199:
	s_cmp_lt_i32 s26, 5
	s_cbranch_scc1 .LBB78_204
; %bb.200:
	s_cmp_lt_i32 s26, 8
	s_cbranch_scc1 .LBB78_205
; %bb.201:
	;; [unrolled: 3-line block ×3, first 2 shown]
	s_cmp_gt_i32 s26, 9
	s_cbranch_scc0 .LBB78_207
; %bb.203:
	global_load_dwordx2 v[2:3], v[0:1], off
	s_movk_i32 s2, 0xffe0
	s_waitcnt vmcnt(0)
	v_trunc_f64_e32 v[2:3], v[2:3]
	v_ldexp_f64 v[4:5], v[2:3], s2
	s_mov_b32 s2, 0
	s_mov_b32 s3, 0xc1f00000
	v_floor_f64_e32 v[4:5], v[4:5]
	v_fma_f64 v[6:7], v[4:5], s[2:3], v[2:3]
	v_cvt_i32_f64_e32 v3, v[4:5]
	s_mov_b64 s[2:3], 0
	v_cvt_u32_f64_e32 v2, v[6:7]
	s_branch .LBB78_208
.LBB78_204:
                                        ; implicit-def: $vgpr2_vgpr3
	s_branch .LBB78_226
.LBB78_205:
	s_mov_b64 s[2:3], -1
                                        ; implicit-def: $vgpr2_vgpr3
	s_branch .LBB78_214
.LBB78_206:
	s_mov_b64 s[2:3], -1
                                        ; implicit-def: $vgpr2_vgpr3
	s_branch .LBB78_211
.LBB78_207:
	s_mov_b64 s[2:3], -1
                                        ; implicit-def: $vgpr2_vgpr3
.LBB78_208:
	s_andn2_b64 vcc, exec, s[2:3]
	s_cbranch_vccnz .LBB78_210
; %bb.209:
	global_load_dword v2, v[0:1], off
	s_mov_b32 s2, 0x2f800000
	s_mov_b32 s3, 0xcf800000
	s_waitcnt vmcnt(0)
	v_trunc_f32_e32 v2, v2
	v_mul_f32_e64 v3, |v2|, s2
	v_floor_f32_e32 v3, v3
	v_cvt_u32_f32_e32 v4, v3
	v_fma_f32 v3, v3, s3, |v2|
	v_cvt_u32_f32_e32 v3, v3
	v_ashrrev_i32_e32 v5, 31, v2
	v_xor_b32_e32 v4, v4, v5
	v_xor_b32_e32 v2, v3, v5
	v_sub_co_u32_e32 v2, vcc, v2, v5
	v_subb_co_u32_e32 v3, vcc, v4, v5, vcc
.LBB78_210:
	s_mov_b64 s[2:3], 0
.LBB78_211:
	s_andn2_b64 vcc, exec, s[2:3]
	s_cbranch_vccnz .LBB78_213
; %bb.212:
	global_load_dword v2, v[0:1], off
	s_waitcnt vmcnt(0)
	v_cvt_f32_f16_e32 v2, v2
	v_cvt_i32_f32_e32 v2, v2
	v_ashrrev_i32_e32 v3, 31, v2
.LBB78_213:
	s_mov_b64 s[2:3], 0
.LBB78_214:
	s_andn2_b64 vcc, exec, s[2:3]
	s_cbranch_vccnz .LBB78_225
; %bb.215:
	s_cmp_lt_i32 s26, 6
	s_cbranch_scc1 .LBB78_218
; %bb.216:
	s_cmp_gt_i32 s26, 6
	s_cbranch_scc0 .LBB78_219
; %bb.217:
	global_load_dwordx2 v[2:3], v[0:1], off
	s_movk_i32 s2, 0xffe0
	s_waitcnt vmcnt(0)
	v_trunc_f64_e32 v[2:3], v[2:3]
	v_ldexp_f64 v[4:5], v[2:3], s2
	s_mov_b32 s2, 0
	s_mov_b32 s3, 0xc1f00000
	v_floor_f64_e32 v[4:5], v[4:5]
	v_fma_f64 v[6:7], v[4:5], s[2:3], v[2:3]
	v_cvt_i32_f64_e32 v3, v[4:5]
	s_mov_b64 s[2:3], 0
	v_cvt_u32_f64_e32 v2, v[6:7]
	s_branch .LBB78_220
.LBB78_218:
	s_mov_b64 s[2:3], -1
                                        ; implicit-def: $vgpr2_vgpr3
	s_branch .LBB78_223
.LBB78_219:
	s_mov_b64 s[2:3], -1
                                        ; implicit-def: $vgpr2_vgpr3
.LBB78_220:
	s_andn2_b64 vcc, exec, s[2:3]
	s_cbranch_vccnz .LBB78_222
; %bb.221:
	global_load_dword v2, v[0:1], off
	s_mov_b32 s2, 0x2f800000
	s_mov_b32 s3, 0xcf800000
	s_waitcnt vmcnt(0)
	v_trunc_f32_e32 v2, v2
	v_mul_f32_e64 v3, |v2|, s2
	v_floor_f32_e32 v3, v3
	v_cvt_u32_f32_e32 v4, v3
	v_fma_f32 v3, v3, s3, |v2|
	v_cvt_u32_f32_e32 v3, v3
	v_ashrrev_i32_e32 v5, 31, v2
	v_xor_b32_e32 v4, v4, v5
	v_xor_b32_e32 v2, v3, v5
	v_sub_co_u32_e32 v2, vcc, v2, v5
	v_subb_co_u32_e32 v3, vcc, v4, v5, vcc
.LBB78_222:
	s_mov_b64 s[2:3], 0
.LBB78_223:
	s_andn2_b64 vcc, exec, s[2:3]
	s_cbranch_vccnz .LBB78_225
; %bb.224:
	global_load_ushort v2, v[0:1], off
	s_waitcnt vmcnt(0)
	v_cvt_f32_f16_e32 v2, v2
	v_cvt_i32_f32_e32 v2, v2
	v_ashrrev_i32_e32 v3, 31, v2
.LBB78_225:
	s_cbranch_execnz .LBB78_245
.LBB78_226:
	s_cmp_lt_i32 s26, 2
	s_cbranch_scc1 .LBB78_230
; %bb.227:
	s_cmp_lt_i32 s26, 3
	s_cbranch_scc1 .LBB78_231
; %bb.228:
	s_cmp_gt_i32 s26, 3
	s_cbranch_scc0 .LBB78_232
; %bb.229:
	global_load_dwordx2 v[2:3], v[0:1], off
	s_mov_b64 s[2:3], 0
	s_branch .LBB78_233
.LBB78_230:
	s_mov_b64 s[2:3], -1
                                        ; implicit-def: $vgpr2_vgpr3
	s_branch .LBB78_239
.LBB78_231:
	s_mov_b64 s[2:3], -1
                                        ; implicit-def: $vgpr2_vgpr3
	s_branch .LBB78_236
.LBB78_232:
	s_mov_b64 s[2:3], -1
                                        ; implicit-def: $vgpr2_vgpr3
.LBB78_233:
	s_andn2_b64 vcc, exec, s[2:3]
	s_cbranch_vccnz .LBB78_235
; %bb.234:
	global_load_dword v2, v[0:1], off
	s_waitcnt vmcnt(0)
	v_ashrrev_i32_e32 v3, 31, v2
.LBB78_235:
	s_mov_b64 s[2:3], 0
.LBB78_236:
	s_andn2_b64 vcc, exec, s[2:3]
	s_cbranch_vccnz .LBB78_238
; %bb.237:
	global_load_ushort v2, v[0:1], off
	s_waitcnt vmcnt(0)
	v_bfe_i32 v2, v2, 0, 16
	v_ashrrev_i32_e32 v3, 31, v2
.LBB78_238:
	s_mov_b64 s[2:3], 0
.LBB78_239:
	s_andn2_b64 vcc, exec, s[2:3]
	s_cbranch_vccnz .LBB78_245
; %bb.240:
	s_cmp_gt_i32 s26, 0
	s_cbranch_scc0 .LBB78_242
; %bb.241:
	global_load_sbyte v2, v[0:1], off
	s_mov_b64 s[2:3], 0
	s_waitcnt vmcnt(0)
	v_bfe_i32 v2, v2, 0, 16
	v_ashrrev_i32_e32 v3, 31, v2
	s_branch .LBB78_243
.LBB78_242:
	s_mov_b64 s[2:3], -1
                                        ; implicit-def: $vgpr2_vgpr3
.LBB78_243:
	s_andn2_b64 vcc, exec, s[2:3]
	s_cbranch_vccnz .LBB78_245
; %bb.244:
	global_load_ubyte v0, v[0:1], off
	s_mov_b32 s2, 0
	s_waitcnt vmcnt(1)
	v_mov_b32_e32 v3, s2
	s_waitcnt vmcnt(0)
	v_and_b32_e32 v2, 0xffff, v0
.LBB78_245:
	s_branch .LBB78_11
.LBB78_246:
	s_mov_b64 s[2:3], 0
                                        ; implicit-def: $vgpr10
	s_mov_b64 s[26:27], 0
.LBB78_247:
	s_and_b64 s[20:21], s[2:3], exec
	s_and_b64 s[22:23], s[22:23], exec
	s_orn2_b64 s[2:3], s[26:27], exec
.LBB78_248:
	s_or_b64 exec, exec, s[24:25]
	s_mov_b64 s[34:35], 0
	s_mov_b64 s[30:31], 0
                                        ; implicit-def: $vgpr0_vgpr1
                                        ; implicit-def: $vgpr4_vgpr5
	s_and_saveexec_b64 s[24:25], s[2:3]
	s_cbranch_execz .LBB78_257
; %bb.249:
	v_cmp_gt_i32_e32 vcc, s46, v10
	s_mov_b64 s[2:3], -1
	s_mov_b64 s[26:27], s[22:23]
	s_mov_b64 s[28:29], s[20:21]
	s_and_saveexec_b64 s[30:31], vcc
	s_cbranch_execz .LBB78_505
; %bb.250:
	v_mul_lo_u32 v0, v10, s17
	v_mov_b32_e32 v1, s11
	s_and_b32 s34, 0xffff, s50
	s_cmp_lt_i32 s34, 11
	s_waitcnt vmcnt(0)
	v_ashrrev_i32_e32 v2, 31, v0
	v_add_co_u32_e32 v0, vcc, s10, v0
	v_addc_co_u32_e32 v1, vcc, v1, v2, vcc
	s_cbranch_scc1 .LBB78_260
; %bb.251:
	s_cmp_gt_i32 s34, 25
	s_cbranch_scc0 .LBB78_269
; %bb.252:
	s_cmp_gt_i32 s34, 28
	s_cbranch_scc0 .LBB78_271
	;; [unrolled: 3-line block ×4, first 2 shown]
; %bb.255:
	s_cmp_eq_u32 s34, 46
	s_mov_b64 s[28:29], 0
	s_cbranch_scc0 .LBB78_281
; %bb.256:
	global_load_dword v2, v[0:1], off
	s_mov_b32 s2, 0x2f800000
	s_mov_b32 s3, 0xcf800000
	s_mov_b64 s[26:27], 0
	s_waitcnt vmcnt(0)
	v_lshlrev_b32_e32 v2, 16, v2
	v_trunc_f32_e32 v2, v2
	v_mul_f32_e64 v3, |v2|, s2
	v_floor_f32_e32 v3, v3
	v_fma_f32 v4, v3, s3, |v2|
	v_cvt_u32_f32_e32 v4, v4
	v_cvt_u32_f32_e32 v3, v3
	v_ashrrev_i32_e32 v5, 31, v2
	s_mov_b64 s[2:3], -1
	v_xor_b32_e32 v2, v4, v5
	v_xor_b32_e32 v3, v3, v5
	v_sub_co_u32_e32 v2, vcc, v2, v5
	v_subb_co_u32_e32 v3, vcc, v3, v5, vcc
	s_branch .LBB78_282
.LBB78_257:
	s_or_b64 exec, exec, s[24:25]
	s_mov_b64 s[2:3], 0
	s_and_saveexec_b64 s[24:25], s[22:23]
	s_cbranch_execnz .LBB78_843
.LBB78_258:
	s_or_b64 exec, exec, s[24:25]
	s_and_saveexec_b64 s[22:23], s[28:29]
	s_xor_b64 s[22:23], exec, s[22:23]
	s_cbranch_execz .LBB78_844
.LBB78_259:
	global_load_ubyte v2, v[0:1], off
	s_mov_b32 s24, 0
	s_waitcnt vmcnt(1)
	v_mov_b32_e32 v5, s24
	s_or_b64 s[30:31], s[30:31], exec
	s_waitcnt vmcnt(0)
	v_cmp_ne_u16_e32 vcc, 0, v2
	v_cndmask_b32_e64 v4, 0, 1, vcc
	s_or_b64 exec, exec, s[22:23]
	s_and_saveexec_b64 s[22:23], s[34:35]
	s_cbranch_execz .LBB78_890
	s_branch .LBB78_845
.LBB78_260:
	s_mov_b64 s[2:3], 0
                                        ; implicit-def: $vgpr2_vgpr3
	s_mov_b64 s[26:27], s[22:23]
	s_cbranch_execnz .LBB78_455
.LBB78_261:
	s_andn2_b64 vcc, exec, s[2:3]
	s_cbranch_vccnz .LBB78_503
.LBB78_262:
	v_mul_lo_u32 v4, v10, s16
	v_mov_b32_e32 v0, s15
	s_waitcnt vmcnt(0)
	v_cndmask_b32_e64 v1, v0, v3, s[0:1]
	v_mov_b32_e32 v0, s14
	v_cndmask_b32_e64 v0, v0, v2, s[0:1]
	v_ashrrev_i32_e32 v3, 31, v4
	v_mov_b32_e32 v5, s9
	s_and_b32 s38, s33, 0xff
	v_add_co_u32_e32 v2, vcc, s8, v4
	s_cmp_lt_i32 s38, 11
	v_addc_co_u32_e32 v3, vcc, v5, v3, vcc
	s_cbranch_scc1 .LBB78_270
; %bb.263:
	s_and_b32 s39, 0xffff, s38
	s_cmp_gt_i32 s39, 25
	s_cbranch_scc0 .LBB78_272
; %bb.264:
	s_cmp_gt_i32 s39, 28
	s_cbranch_scc0 .LBB78_274
; %bb.265:
	;; [unrolled: 3-line block ×4, first 2 shown]
	s_mov_b64 s[34:35], 0
	s_mov_b64 s[2:3], -1
	s_cmp_eq_u32 s39, 46
	s_mov_b64 s[28:29], 0
	s_cbranch_scc0 .LBB78_286
; %bb.268:
	v_xor_b32_e32 v5, v0, v1
	v_ffbh_i32_e32 v4, v1
	v_ashrrev_i32_e32 v5, 31, v5
	v_add_u32_e32 v4, -1, v4
	v_add_u32_e32 v5, 32, v5
	v_min_u32_e32 v6, v4, v5
	v_lshlrev_b64 v[4:5], v6, v[0:1]
	s_movk_i32 s2, 0x7fff
	v_min_u32_e32 v4, 1, v4
	v_or_b32_e32 v4, v5, v4
	v_cvt_f32_i32_e32 v4, v4
	v_sub_u32_e32 v5, 32, v6
	s_mov_b64 s[28:29], -1
	v_ldexp_f32 v4, v4, v5
	v_bfe_u32 v5, v4, 16, 1
	v_add3_u32 v4, v4, v5, s2
	v_lshrrev_b32_e32 v4, 16, v4
	global_store_dword v[2:3], v4, off
	s_mov_b64 s[2:3], 0
	s_branch .LBB78_286
.LBB78_269:
	s_mov_b64 s[28:29], -1
	s_mov_b64 s[2:3], 0
	s_mov_b64 s[26:27], s[22:23]
                                        ; implicit-def: $vgpr2_vgpr3
	s_branch .LBB78_423
.LBB78_270:
	s_mov_b64 s[34:35], -1
	s_mov_b64 s[28:29], 0
	s_mov_b64 s[2:3], s[20:21]
	s_branch .LBB78_355
.LBB78_271:
	s_mov_b64 s[28:29], -1
	s_mov_b64 s[2:3], 0
	s_mov_b64 s[26:27], s[22:23]
                                        ; implicit-def: $vgpr2_vgpr3
	s_branch .LBB78_404
.LBB78_272:
	s_mov_b64 s[34:35], -1
	s_mov_b64 s[28:29], 0
	s_mov_b64 s[2:3], s[20:21]
	s_branch .LBB78_313
.LBB78_273:
	s_mov_b64 s[28:29], -1
	s_mov_b64 s[2:3], 0
	s_mov_b64 s[26:27], s[22:23]
                                        ; implicit-def: $vgpr2_vgpr3
	s_branch .LBB78_399
.LBB78_274:
	s_mov_b64 s[34:35], -1
	s_mov_b64 s[28:29], 0
	s_mov_b64 s[2:3], s[20:21]
	s_branch .LBB78_296
.LBB78_275:
	s_andn2_saveexec_b64 s[30:31], s[30:31]
	s_cbranch_execz .LBB78_55
.LBB78_276:
	s_mov_b32 s36, 0x46000000
	v_add_f32_e64 v5, |v4|, s36
	v_and_b32_e32 v5, 0xff, v5
	v_cmp_ne_u32_e32 vcc, 0, v5
	s_andn2_b64 s[26:27], s[26:27], exec
	s_and_b64 s[36:37], vcc, exec
	s_or_b64 s[26:27], s[26:27], s[36:37]
	s_or_b64 exec, exec, s[30:31]
	v_mov_b32_e32 v6, 0
	s_and_saveexec_b64 s[30:31], s[26:27]
	s_cbranch_execnz .LBB78_56
	s_branch .LBB78_57
.LBB78_277:
	s_mov_b64 s[28:29], -1
	s_mov_b64 s[2:3], 0
	s_mov_b64 s[26:27], s[22:23]
                                        ; implicit-def: $vgpr2_vgpr3
	s_branch .LBB78_282
.LBB78_278:
	s_mov_b64 s[34:35], -1
	s_mov_b64 s[28:29], 0
	s_mov_b64 s[2:3], s[20:21]
	s_branch .LBB78_292
.LBB78_279:
	s_andn2_saveexec_b64 s[30:31], s[30:31]
	s_cbranch_execz .LBB78_68
.LBB78_280:
	s_mov_b32 s36, 0x42800000
	v_add_f32_e64 v5, |v4|, s36
	v_and_b32_e32 v5, 0xff, v5
	v_cmp_ne_u32_e32 vcc, 0, v5
	s_andn2_b64 s[26:27], s[26:27], exec
	s_and_b64 s[36:37], vcc, exec
	s_or_b64 s[26:27], s[26:27], s[36:37]
	s_or_b64 exec, exec, s[30:31]
	v_mov_b32_e32 v6, 0
	s_and_saveexec_b64 s[30:31], s[26:27]
	s_cbranch_execnz .LBB78_69
	s_branch .LBB78_70
.LBB78_281:
	s_mov_b64 s[26:27], -1
                                        ; implicit-def: $vgpr2_vgpr3
	s_mov_b64 s[2:3], 0
.LBB78_282:
	s_and_b64 vcc, exec, s[28:29]
	s_cbranch_vccz .LBB78_398
; %bb.283:
	s_cmp_eq_u32 s34, 44
	s_cbranch_scc0 .LBB78_397
; %bb.284:
	global_load_ubyte v2, v[0:1], off
	s_mov_b32 s2, 0x2f800000
	s_mov_b32 s3, 0xcf800000
	s_mov_b64 s[26:27], 0
	s_waitcnt vmcnt(0)
	v_lshlrev_b32_e32 v3, 23, v2
	v_trunc_f32_e32 v3, v3
	v_mul_f32_e64 v4, |v3|, s2
	v_floor_f32_e32 v4, v4
	v_fma_f32 v5, v4, s3, |v3|
	v_cvt_u32_f32_e32 v5, v5
	v_cvt_u32_f32_e32 v4, v4
	v_ashrrev_i32_e32 v3, 31, v3
	s_mov_b64 s[2:3], -1
	v_xor_b32_e32 v5, v5, v3
	v_xor_b32_e32 v4, v4, v3
	v_sub_co_u32_e32 v5, vcc, v5, v3
	v_subb_co_u32_e32 v3, vcc, v4, v3, vcc
	v_cmp_ne_u32_e32 vcc, 0, v2
	v_cndmask_b32_e32 v3, 0, v3, vcc
	v_cndmask_b32_e32 v2, 0, v5, vcc
	s_branch .LBB78_398
.LBB78_285:
	s_mov_b64 s[34:35], -1
	s_mov_b64 s[28:29], 0
	s_mov_b64 s[2:3], s[20:21]
.LBB78_286:
	s_and_b64 vcc, exec, s[34:35]
	s_cbranch_vccz .LBB78_291
; %bb.287:
	s_cmp_eq_u32 s39, 44
	s_mov_b64 s[2:3], -1
	s_cbranch_scc0 .LBB78_291
; %bb.288:
	v_xor_b32_e32 v5, v0, v1
	v_ffbh_i32_e32 v4, v1
	v_ashrrev_i32_e32 v5, 31, v5
	v_add_u32_e32 v4, -1, v4
	v_add_u32_e32 v5, 32, v5
	v_min_u32_e32 v6, v4, v5
	v_lshlrev_b64 v[4:5], v6, v[0:1]
	s_movk_i32 s2, 0xff
	v_min_u32_e32 v4, 1, v4
	v_or_b32_e32 v4, v5, v4
	v_cvt_f32_i32_e32 v4, v4
	v_sub_u32_e32 v5, 32, v6
	v_mov_b32_e32 v6, 0xff
	v_ldexp_f32 v4, v4, v5
	v_bfe_u32 v5, v4, 23, 8
	v_cmp_ne_u32_e32 vcc, s2, v5
	s_and_saveexec_b64 s[28:29], vcc
; %bb.289:
	s_mov_b32 s2, 0x3fffff
	v_lshrrev_b32_e32 v6, 23, v4
	v_and_b32_e32 v7, 0x400000, v4
	v_and_or_b32 v4, v4, s2, v5
	v_cmp_ne_u32_e32 vcc, 0, v7
	v_cmp_ne_u32_e64 s[2:3], 0, v4
	s_and_b64 s[2:3], vcc, s[2:3]
	v_cndmask_b32_e64 v4, 0, 1, s[2:3]
	v_add_u32_e32 v6, v6, v4
; %bb.290:
	s_or_b64 exec, exec, s[28:29]
	s_mov_b64 s[28:29], -1
	s_mov_b64 s[2:3], 0
	global_store_byte v[2:3], v6, off
.LBB78_291:
	s_mov_b64 s[34:35], 0
.LBB78_292:
	s_and_b64 vcc, exec, s[34:35]
	s_cbranch_vccz .LBB78_295
; %bb.293:
	s_cmp_eq_u32 s39, 29
	s_mov_b64 s[2:3], -1
	s_cbranch_scc0 .LBB78_295
; %bb.294:
	global_store_dwordx2 v[2:3], v[0:1], off
	s_mov_b64 s[28:29], -1
	s_mov_b64 s[2:3], 0
.LBB78_295:
	s_mov_b64 s[34:35], 0
.LBB78_296:
	s_and_b64 vcc, exec, s[34:35]
	s_cbranch_vccz .LBB78_312
; %bb.297:
	s_cmp_lt_i32 s39, 27
	s_mov_b64 s[28:29], -1
	s_cbranch_scc1 .LBB78_303
; %bb.298:
	s_cmp_gt_i32 s39, 27
	s_cbranch_scc0 .LBB78_300
; %bb.299:
	s_mov_b64 s[28:29], 0
	global_store_dword v[2:3], v0, off
.LBB78_300:
	s_andn2_b64 vcc, exec, s[28:29]
	s_cbranch_vccnz .LBB78_302
; %bb.301:
	global_store_short v[2:3], v0, off
.LBB78_302:
	s_mov_b64 s[28:29], 0
.LBB78_303:
	s_andn2_b64 vcc, exec, s[28:29]
	s_cbranch_vccnz .LBB78_311
; %bb.304:
	v_xor_b32_e32 v5, v0, v1
	v_ffbh_i32_e32 v4, v1
	v_ashrrev_i32_e32 v5, 31, v5
	v_add_u32_e32 v4, -1, v4
	v_add_u32_e32 v5, 32, v5
	v_min_u32_e32 v6, v4, v5
	v_lshlrev_b64 v[4:5], v6, v[0:1]
	s_mov_b32 s28, 0x43800000
	v_min_u32_e32 v4, 1, v4
	v_or_b32_e32 v4, v5, v4
	v_cvt_f32_i32_e32 v4, v4
	v_sub_u32_e32 v5, 32, v6
	v_mov_b32_e32 v6, 0x80
	v_ldexp_f32 v4, v4, v5
	v_and_b32_e32 v5, 0x7fffffff, v4
	v_cmp_gt_u32_e32 vcc, s28, v5
	s_and_saveexec_b64 s[28:29], vcc
	s_cbranch_execz .LBB78_310
; %bb.305:
	s_mov_b32 s34, 0x3bffffff
	v_cmp_lt_u32_e32 vcc, s34, v5
	s_mov_b64 s[34:35], 0
                                        ; implicit-def: $vgpr5
	s_and_saveexec_b64 s[36:37], vcc
	s_xor_b64 s[36:37], exec, s[36:37]
	s_cbranch_execz .LBB78_518
; %bb.306:
	v_bfe_u32 v5, v4, 20, 1
	s_mov_b32 s40, 0x487ffff
	v_add3_u32 v5, v4, v5, s40
	s_mov_b64 s[34:35], exec
	v_lshrrev_b32_e32 v5, 20, v5
	s_andn2_saveexec_b64 s[36:37], s[36:37]
	s_cbranch_execnz .LBB78_519
.LBB78_307:
	s_or_b64 exec, exec, s[36:37]
	v_mov_b32_e32 v6, 0
	s_and_saveexec_b64 s[36:37], s[34:35]
.LBB78_308:
	v_lshrrev_b32_e32 v4, 24, v4
	s_movk_i32 s34, 0x80
	v_and_or_b32 v6, v4, s34, v5
.LBB78_309:
	s_or_b64 exec, exec, s[36:37]
.LBB78_310:
	s_or_b64 exec, exec, s[28:29]
	global_store_byte v[2:3], v6, off
.LBB78_311:
	s_mov_b64 s[28:29], -1
.LBB78_312:
	s_mov_b64 s[34:35], 0
.LBB78_313:
	s_and_b64 vcc, exec, s[34:35]
	s_cbranch_vccz .LBB78_354
; %bb.314:
	s_cmp_gt_i32 s39, 22
	s_mov_b64 s[34:35], -1
	s_cbranch_scc0 .LBB78_346
; %bb.315:
	s_cmp_lt_i32 s39, 24
	s_mov_b64 s[28:29], -1
	s_cbranch_scc1 .LBB78_335
; %bb.316:
	s_cmp_gt_i32 s39, 24
	s_cbranch_scc0 .LBB78_324
; %bb.317:
	v_xor_b32_e32 v5, v0, v1
	v_ffbh_i32_e32 v4, v1
	v_ashrrev_i32_e32 v5, 31, v5
	v_add_u32_e32 v4, -1, v4
	v_add_u32_e32 v5, 32, v5
	v_min_u32_e32 v6, v4, v5
	v_lshlrev_b64 v[4:5], v6, v[0:1]
	s_mov_b32 s28, 0x47800000
	v_min_u32_e32 v4, 1, v4
	v_or_b32_e32 v4, v5, v4
	v_cvt_f32_i32_e32 v4, v4
	v_sub_u32_e32 v5, 32, v6
	v_mov_b32_e32 v6, 0x80
	v_ldexp_f32 v4, v4, v5
	v_and_b32_e32 v5, 0x7fffffff, v4
	v_cmp_gt_u32_e32 vcc, s28, v5
	s_and_saveexec_b64 s[28:29], vcc
	s_cbranch_execz .LBB78_323
; %bb.318:
	s_mov_b32 s34, 0x37ffffff
	v_cmp_lt_u32_e32 vcc, s34, v5
	s_mov_b64 s[34:35], 0
                                        ; implicit-def: $vgpr5
	s_and_saveexec_b64 s[36:37], vcc
	s_xor_b64 s[36:37], exec, s[36:37]
	s_cbranch_execz .LBB78_521
; %bb.319:
	v_bfe_u32 v5, v4, 21, 1
	s_mov_b32 s40, 0x88fffff
	v_add3_u32 v5, v4, v5, s40
	s_mov_b64 s[34:35], exec
	v_lshrrev_b32_e32 v5, 21, v5
	s_andn2_saveexec_b64 s[36:37], s[36:37]
	s_cbranch_execnz .LBB78_522
.LBB78_320:
	s_or_b64 exec, exec, s[36:37]
	v_mov_b32_e32 v6, 0
	s_and_saveexec_b64 s[36:37], s[34:35]
.LBB78_321:
	v_lshrrev_b32_e32 v4, 24, v4
	s_movk_i32 s34, 0x80
	v_and_or_b32 v6, v4, s34, v5
.LBB78_322:
	s_or_b64 exec, exec, s[36:37]
.LBB78_323:
	s_or_b64 exec, exec, s[28:29]
	s_mov_b64 s[28:29], 0
	global_store_byte v[2:3], v6, off
.LBB78_324:
	s_and_b64 vcc, exec, s[28:29]
	s_cbranch_vccz .LBB78_334
; %bb.325:
	v_xor_b32_e32 v5, v0, v1
	v_ffbh_i32_e32 v4, v1
	v_ashrrev_i32_e32 v5, 31, v5
	v_add_u32_e32 v4, -1, v4
	v_add_u32_e32 v5, 32, v5
	v_min_u32_e32 v6, v4, v5
	v_lshlrev_b64 v[4:5], v6, v[0:1]
	s_mov_b32 s28, 0x43f00000
	v_min_u32_e32 v4, 1, v4
	v_or_b32_e32 v4, v5, v4
	v_cvt_f32_i32_e32 v4, v4
	v_sub_u32_e32 v5, 32, v6
	v_ldexp_f32 v4, v4, v5
	v_and_b32_e32 v6, 0x7fffffff, v4
	v_cmp_gt_u32_e32 vcc, s28, v6
                                        ; implicit-def: $vgpr5
	s_and_saveexec_b64 s[28:29], vcc
	s_xor_b64 s[28:29], exec, s[28:29]
	s_cbranch_execz .LBB78_331
; %bb.326:
	s_mov_b32 s34, 0x3c7fffff
	v_cmp_lt_u32_e32 vcc, s34, v6
                                        ; implicit-def: $vgpr5
	s_and_saveexec_b64 s[34:35], vcc
	s_xor_b64 s[34:35], exec, s[34:35]
; %bb.327:
	v_bfe_u32 v5, v4, 20, 1
	s_mov_b32 s36, 0x407ffff
	v_add3_u32 v5, v4, v5, s36
	v_lshrrev_b32_e32 v6, 20, v5
	v_and_b32_e32 v5, 0xff00000, v5
	s_mov_b32 s36, 0x7f00000
	v_mov_b32_e32 v7, 0x7e
	v_cmp_ne_u32_e32 vcc, s36, v5
	v_cndmask_b32_e32 v5, v7, v6, vcc
; %bb.328:
	s_andn2_saveexec_b64 s[34:35], s[34:35]
; %bb.329:
	s_mov_b32 s36, 0x46800000
	v_add_f32_e64 v5, |v4|, s36
; %bb.330:
	s_or_b64 exec, exec, s[34:35]
                                        ; implicit-def: $vgpr6
.LBB78_331:
	s_andn2_saveexec_b64 s[28:29], s[28:29]
; %bb.332:
	s_mov_b32 s34, 0x7f800000
	v_mov_b32_e32 v5, 0x7e
	v_mov_b32_e32 v7, 0x7f
	v_cmp_lt_u32_e32 vcc, s34, v6
	v_cndmask_b32_e32 v5, v5, v7, vcc
; %bb.333:
	s_or_b64 exec, exec, s[28:29]
	v_lshrrev_b32_e32 v4, 24, v4
	s_movk_i32 s28, 0x80
	v_and_or_b32 v4, v4, s28, v5
	global_store_byte v[2:3], v4, off
.LBB78_334:
	s_mov_b64 s[28:29], 0
.LBB78_335:
	s_andn2_b64 vcc, exec, s[28:29]
	s_cbranch_vccnz .LBB78_345
; %bb.336:
	v_xor_b32_e32 v5, v0, v1
	v_ffbh_i32_e32 v4, v1
	v_ashrrev_i32_e32 v5, 31, v5
	v_add_u32_e32 v4, -1, v4
	v_add_u32_e32 v5, 32, v5
	v_min_u32_e32 v6, v4, v5
	v_lshlrev_b64 v[4:5], v6, v[0:1]
	s_mov_b32 s28, 0x47800000
	v_min_u32_e32 v4, 1, v4
	v_or_b32_e32 v4, v5, v4
	v_cvt_f32_i32_e32 v4, v4
	v_sub_u32_e32 v5, 32, v6
	v_ldexp_f32 v4, v4, v5
	v_and_b32_e32 v6, 0x7fffffff, v4
	v_cmp_gt_u32_e32 vcc, s28, v6
                                        ; implicit-def: $vgpr5
	s_and_saveexec_b64 s[28:29], vcc
	s_xor_b64 s[28:29], exec, s[28:29]
	s_cbranch_execz .LBB78_342
; %bb.337:
	s_mov_b32 s34, 0x387fffff
	v_cmp_lt_u32_e32 vcc, s34, v6
                                        ; implicit-def: $vgpr5
	s_and_saveexec_b64 s[34:35], vcc
	s_xor_b64 s[34:35], exec, s[34:35]
; %bb.338:
	v_bfe_u32 v5, v4, 21, 1
	s_mov_b32 s36, 0x80fffff
	v_add3_u32 v5, v4, v5, s36
	v_lshrrev_b32_e32 v5, 21, v5
; %bb.339:
	s_andn2_saveexec_b64 s[34:35], s[34:35]
; %bb.340:
	s_mov_b32 s36, 0x43000000
	v_add_f32_e64 v5, |v4|, s36
; %bb.341:
	s_or_b64 exec, exec, s[34:35]
                                        ; implicit-def: $vgpr6
.LBB78_342:
	s_andn2_saveexec_b64 s[28:29], s[28:29]
; %bb.343:
	s_mov_b32 s34, 0x7f800000
	v_mov_b32_e32 v5, 0x7c
	v_mov_b32_e32 v7, 0x7f
	v_cmp_lt_u32_e32 vcc, s34, v6
	v_cndmask_b32_e32 v5, v5, v7, vcc
; %bb.344:
	s_or_b64 exec, exec, s[28:29]
	v_lshrrev_b32_e32 v4, 24, v4
	s_movk_i32 s28, 0x80
	v_and_or_b32 v4, v4, s28, v5
	global_store_byte v[2:3], v4, off
.LBB78_345:
	s_mov_b64 s[34:35], 0
	s_mov_b64 s[28:29], -1
.LBB78_346:
	s_andn2_b64 vcc, exec, s[34:35]
	s_cbranch_vccnz .LBB78_354
; %bb.347:
	s_cmp_gt_i32 s39, 14
	s_mov_b64 s[34:35], -1
	s_cbranch_scc0 .LBB78_351
; %bb.348:
	s_cmp_eq_u32 s39, 15
	s_mov_b64 s[2:3], -1
	s_cbranch_scc0 .LBB78_350
; %bb.349:
	v_xor_b32_e32 v5, v0, v1
	v_ffbh_i32_e32 v4, v1
	v_ashrrev_i32_e32 v5, 31, v5
	v_add_u32_e32 v4, -1, v4
	v_add_u32_e32 v5, 32, v5
	v_min_u32_e32 v6, v4, v5
	v_lshlrev_b64 v[4:5], v6, v[0:1]
	s_movk_i32 s2, 0x7fff
	v_min_u32_e32 v4, 1, v4
	v_or_b32_e32 v4, v5, v4
	v_cvt_f32_i32_e32 v4, v4
	v_sub_u32_e32 v5, 32, v6
	s_mov_b64 s[28:29], -1
	v_ldexp_f32 v4, v4, v5
	v_bfe_u32 v5, v4, 16, 1
	v_add3_u32 v4, v4, v5, s2
	global_store_short_d16_hi v[2:3], v4, off
	s_mov_b64 s[2:3], 0
.LBB78_350:
	s_mov_b64 s[34:35], 0
.LBB78_351:
	s_and_b64 vcc, exec, s[34:35]
	s_cbranch_vccz .LBB78_354
; %bb.352:
	s_cmp_eq_u32 s39, 11
	s_mov_b64 s[2:3], -1
	s_cbranch_scc0 .LBB78_354
; %bb.353:
	v_cmp_ne_u64_e32 vcc, 0, v[0:1]
	s_mov_b64 s[2:3], 0
	v_cndmask_b32_e64 v4, 0, 1, vcc
	s_mov_b64 s[28:29], -1
	global_store_byte v[2:3], v4, off
.LBB78_354:
	s_mov_b64 s[34:35], 0
.LBB78_355:
	s_and_b64 vcc, exec, s[34:35]
	s_cbranch_vccz .LBB78_394
; %bb.356:
	s_and_b32 s34, 0xffff, s38
	s_cmp_lt_i32 s34, 5
	s_mov_b64 s[28:29], -1
	s_cbranch_scc1 .LBB78_377
; %bb.357:
	s_cmp_lt_i32 s34, 8
	s_cbranch_scc1 .LBB78_367
; %bb.358:
	s_cmp_lt_i32 s34, 9
	s_cbranch_scc1 .LBB78_364
; %bb.359:
	s_cmp_gt_i32 s34, 9
	s_cbranch_scc0 .LBB78_361
; %bb.360:
	v_cvt_f64_i32_e32 v[4:5], v1
	v_cvt_f64_u32_e32 v[6:7], v0
	s_mov_b64 s[28:29], 0
	v_ldexp_f64 v[4:5], v[4:5], 32
	v_add_f64 v[4:5], v[4:5], v[6:7]
	v_mov_b32_e32 v6, 0
	v_mov_b32_e32 v7, v6
	global_store_dwordx4 v[2:3], v[4:7], off
.LBB78_361:
	s_andn2_b64 vcc, exec, s[28:29]
	s_cbranch_vccnz .LBB78_363
; %bb.362:
	v_xor_b32_e32 v5, v0, v1
	v_ffbh_i32_e32 v4, v1
	v_ashrrev_i32_e32 v5, 31, v5
	v_add_u32_e32 v4, -1, v4
	v_add_u32_e32 v5, 32, v5
	v_min_u32_e32 v6, v4, v5
	v_lshlrev_b64 v[4:5], v6, v[0:1]
	v_min_u32_e32 v4, 1, v4
	v_or_b32_e32 v4, v5, v4
	v_cvt_f32_i32_e32 v4, v4
	v_sub_u32_e32 v5, 32, v6
	v_ldexp_f32 v4, v4, v5
	v_mov_b32_e32 v5, 0
	global_store_dwordx2 v[2:3], v[4:5], off
.LBB78_363:
	s_mov_b64 s[28:29], 0
.LBB78_364:
	s_andn2_b64 vcc, exec, s[28:29]
	s_cbranch_vccnz .LBB78_366
; %bb.365:
	v_xor_b32_e32 v5, v0, v1
	v_ffbh_i32_e32 v4, v1
	v_ashrrev_i32_e32 v5, 31, v5
	v_add_u32_e32 v4, -1, v4
	v_add_u32_e32 v5, 32, v5
	v_min_u32_e32 v6, v4, v5
	v_lshlrev_b64 v[4:5], v6, v[0:1]
	v_min_u32_e32 v4, 1, v4
	v_or_b32_e32 v4, v5, v4
	v_cvt_f32_i32_e32 v4, v4
	v_sub_u32_e32 v5, 32, v6
	v_ldexp_f32 v4, v4, v5
	v_cvt_f16_f32_e32 v4, v4
	global_store_dword v[2:3], v4, off
.LBB78_366:
	s_mov_b64 s[28:29], 0
.LBB78_367:
	s_andn2_b64 vcc, exec, s[28:29]
	s_cbranch_vccnz .LBB78_376
; %bb.368:
	s_cmp_lt_i32 s34, 6
	s_mov_b64 s[28:29], -1
	s_cbranch_scc1 .LBB78_374
; %bb.369:
	s_cmp_gt_i32 s34, 6
	s_cbranch_scc0 .LBB78_371
; %bb.370:
	v_cvt_f64_i32_e32 v[4:5], v1
	v_cvt_f64_u32_e32 v[6:7], v0
	s_mov_b64 s[28:29], 0
	v_ldexp_f64 v[4:5], v[4:5], 32
	v_add_f64 v[4:5], v[4:5], v[6:7]
	global_store_dwordx2 v[2:3], v[4:5], off
.LBB78_371:
	s_andn2_b64 vcc, exec, s[28:29]
	s_cbranch_vccnz .LBB78_373
; %bb.372:
	v_xor_b32_e32 v5, v0, v1
	v_ffbh_i32_e32 v4, v1
	v_ashrrev_i32_e32 v5, 31, v5
	v_add_u32_e32 v4, -1, v4
	v_add_u32_e32 v5, 32, v5
	v_min_u32_e32 v6, v4, v5
	v_lshlrev_b64 v[4:5], v6, v[0:1]
	v_min_u32_e32 v4, 1, v4
	v_or_b32_e32 v4, v5, v4
	v_cvt_f32_i32_e32 v4, v4
	v_sub_u32_e32 v5, 32, v6
	v_ldexp_f32 v4, v4, v5
	global_store_dword v[2:3], v4, off
.LBB78_373:
	s_mov_b64 s[28:29], 0
.LBB78_374:
	s_andn2_b64 vcc, exec, s[28:29]
	s_cbranch_vccnz .LBB78_376
; %bb.375:
	v_xor_b32_e32 v5, v0, v1
	v_ffbh_i32_e32 v4, v1
	v_ashrrev_i32_e32 v5, 31, v5
	v_add_u32_e32 v4, -1, v4
	v_add_u32_e32 v5, 32, v5
	v_min_u32_e32 v6, v4, v5
	v_lshlrev_b64 v[4:5], v6, v[0:1]
	v_min_u32_e32 v4, 1, v4
	v_or_b32_e32 v4, v5, v4
	v_cvt_f32_i32_e32 v4, v4
	v_sub_u32_e32 v5, 32, v6
	v_ldexp_f32 v4, v4, v5
	v_cvt_f16_f32_e32 v4, v4
	global_store_short v[2:3], v4, off
.LBB78_376:
	s_mov_b64 s[28:29], 0
.LBB78_377:
	s_andn2_b64 vcc, exec, s[28:29]
	s_cbranch_vccnz .LBB78_393
; %bb.378:
	s_cmp_lt_i32 s34, 2
	s_mov_b64 s[28:29], -1
	s_cbranch_scc1 .LBB78_388
; %bb.379:
	s_cmp_lt_i32 s34, 3
	s_cbranch_scc1 .LBB78_385
; %bb.380:
	s_cmp_gt_i32 s34, 3
	s_cbranch_scc0 .LBB78_382
; %bb.381:
	s_mov_b64 s[28:29], 0
	global_store_dwordx2 v[2:3], v[0:1], off
.LBB78_382:
	s_andn2_b64 vcc, exec, s[28:29]
	s_cbranch_vccnz .LBB78_384
; %bb.383:
	global_store_dword v[2:3], v0, off
.LBB78_384:
	s_mov_b64 s[28:29], 0
.LBB78_385:
	s_andn2_b64 vcc, exec, s[28:29]
	s_cbranch_vccnz .LBB78_387
; %bb.386:
	global_store_short v[2:3], v0, off
.LBB78_387:
	s_mov_b64 s[28:29], 0
.LBB78_388:
	s_andn2_b64 vcc, exec, s[28:29]
	s_cbranch_vccnz .LBB78_393
; %bb.389:
	s_cmp_gt_i32 s34, 0
	s_mov_b64 s[28:29], -1
	s_cbranch_scc0 .LBB78_391
; %bb.390:
	s_mov_b64 s[28:29], 0
	global_store_byte v[2:3], v0, off
.LBB78_391:
	s_andn2_b64 vcc, exec, s[28:29]
	s_cbranch_vccnz .LBB78_393
; %bb.392:
	global_store_byte v[2:3], v0, off
.LBB78_393:
	s_mov_b64 s[28:29], -1
.LBB78_394:
	s_andn2_b64 vcc, exec, s[28:29]
	s_cbranch_vccnz .LBB78_396
; %bb.395:
	v_add_u32_e32 v10, 0x80, v10
	s_mov_b64 s[34:35], -1
	s_branch .LBB78_504
.LBB78_396:
	s_mov_b64 s[34:35], 0
                                        ; implicit-def: $vgpr10
	s_branch .LBB78_504
.LBB78_397:
	s_mov_b64 s[26:27], -1
                                        ; implicit-def: $vgpr2_vgpr3
.LBB78_398:
	s_mov_b64 s[28:29], 0
.LBB78_399:
	s_and_b64 vcc, exec, s[28:29]
	s_cbranch_vccz .LBB78_403
; %bb.400:
	s_cmp_eq_u32 s34, 29
	s_cbranch_scc0 .LBB78_402
; %bb.401:
	global_load_dwordx2 v[2:3], v[0:1], off
	s_mov_b64 s[2:3], -1
	s_mov_b64 s[26:27], 0
	s_branch .LBB78_403
.LBB78_402:
	s_mov_b64 s[26:27], -1
                                        ; implicit-def: $vgpr2_vgpr3
.LBB78_403:
	s_mov_b64 s[28:29], 0
.LBB78_404:
	s_and_b64 vcc, exec, s[28:29]
	s_cbranch_vccz .LBB78_422
; %bb.405:
	s_cmp_lt_i32 s34, 27
	s_cbranch_scc1 .LBB78_408
; %bb.406:
	s_cmp_gt_i32 s34, 27
	s_cbranch_scc0 .LBB78_409
; %bb.407:
	global_load_dword v2, v[0:1], off
	s_waitcnt vmcnt(1)
	v_mov_b32_e32 v3, 0
	s_mov_b64 s[2:3], 0
	s_branch .LBB78_410
.LBB78_408:
	s_mov_b64 s[2:3], -1
                                        ; implicit-def: $vgpr2_vgpr3
	s_branch .LBB78_413
.LBB78_409:
	s_mov_b64 s[2:3], -1
                                        ; implicit-def: $vgpr2_vgpr3
.LBB78_410:
	s_andn2_b64 vcc, exec, s[2:3]
	s_cbranch_vccnz .LBB78_412
; %bb.411:
	global_load_ushort v2, v[0:1], off
	s_mov_b32 s2, 0
	s_waitcnt vmcnt(1)
	v_mov_b32_e32 v3, s2
	s_waitcnt vmcnt(0)
	v_and_b32_e32 v2, 0xffff, v2
.LBB78_412:
	s_mov_b64 s[2:3], 0
.LBB78_413:
	s_andn2_b64 vcc, exec, s[2:3]
	s_cbranch_vccnz .LBB78_421
; %bb.414:
	global_load_ubyte v4, v[0:1], off
	s_movk_i32 s2, 0x7f
	s_mov_b64 s[28:29], 0
	s_waitcnt vmcnt(0)
	v_cmp_lt_i16_e32 vcc, s2, v4
	s_and_saveexec_b64 s[2:3], vcc
	s_xor_b64 s[2:3], exec, s[2:3]
; %bb.415:
	s_movk_i32 s28, 0x80
	v_cmp_ne_u16_e32 vcc, s28, v4
	s_and_b64 s[28:29], vcc, exec
; %bb.416:
	s_andn2_saveexec_b64 s[2:3], s[2:3]
; %bb.417:
	v_cmp_ne_u16_e32 vcc, 0, v4
	s_andn2_b64 s[28:29], s[28:29], exec
	s_and_b64 s[36:37], vcc, exec
	s_or_b64 s[28:29], s[28:29], s[36:37]
; %bb.418:
	s_or_b64 exec, exec, s[2:3]
	v_mov_b32_e32 v2, 0
	v_mov_b32_e32 v3, 0
	s_and_saveexec_b64 s[2:3], s[28:29]
	s_cbranch_execz .LBB78_420
; %bb.419:
	v_and_b32_e32 v3, 0xffff, v4
	v_lshlrev_b32_e32 v2, 24, v4
	v_and_b32_e32 v4, 7, v3
	v_ffbh_u32_e32 v6, v4
	v_min_u32_e32 v6, 32, v6
	v_subrev_u32_e32 v7, 28, v6
	v_bfe_u32 v5, v3, 3, 4
	v_lshlrev_b32_e32 v3, v7, v3
	v_sub_u32_e32 v6, 29, v6
	v_and_b32_e32 v3, 7, v3
	v_cmp_eq_u32_e32 vcc, 0, v5
	v_cndmask_b32_e32 v5, v5, v6, vcc
	v_cndmask_b32_e32 v3, v4, v3, vcc
	v_mov_b32_e32 v4, 0x3b800000
	v_lshlrev_b32_e32 v3, 20, v3
	v_and_b32_e32 v2, 0x80000000, v2
	v_lshl_add_u32 v4, v5, 23, v4
	v_or3_b32 v2, v2, v4, v3
	v_trunc_f32_e32 v2, v2
	s_mov_b32 s28, 0x2f800000
	v_mul_f32_e64 v3, |v2|, s28
	v_floor_f32_e32 v3, v3
	s_mov_b32 s28, 0xcf800000
	v_fma_f32 v4, v3, s28, |v2|
	v_cvt_u32_f32_e32 v4, v4
	v_cvt_u32_f32_e32 v3, v3
	v_ashrrev_i32_e32 v5, 31, v2
	v_xor_b32_e32 v2, v4, v5
	v_xor_b32_e32 v3, v3, v5
	v_sub_co_u32_e32 v2, vcc, v2, v5
	v_subb_co_u32_e32 v3, vcc, v3, v5, vcc
.LBB78_420:
	s_or_b64 exec, exec, s[2:3]
.LBB78_421:
	s_mov_b64 s[2:3], -1
.LBB78_422:
	s_mov_b64 s[28:29], 0
.LBB78_423:
	s_and_b64 vcc, exec, s[28:29]
	s_cbranch_vccz .LBB78_454
; %bb.424:
	s_cmp_gt_i32 s34, 22
	s_cbranch_scc0 .LBB78_434
; %bb.425:
	s_cmp_lt_i32 s34, 24
	s_cbranch_scc1 .LBB78_435
; %bb.426:
	s_cmp_gt_i32 s34, 24
	s_cbranch_scc0 .LBB78_436
; %bb.427:
	global_load_ubyte v4, v[0:1], off
	s_movk_i32 s2, 0x7f
	s_mov_b64 s[28:29], 0
	s_waitcnt vmcnt(0)
	v_cmp_lt_i16_e32 vcc, s2, v4
	s_and_saveexec_b64 s[2:3], vcc
	s_xor_b64 s[2:3], exec, s[2:3]
; %bb.428:
	s_movk_i32 s28, 0x80
	v_cmp_ne_u16_e32 vcc, s28, v4
	s_and_b64 s[28:29], vcc, exec
; %bb.429:
	s_andn2_saveexec_b64 s[2:3], s[2:3]
; %bb.430:
	v_cmp_ne_u16_e32 vcc, 0, v4
	s_andn2_b64 s[28:29], s[28:29], exec
	s_and_b64 s[36:37], vcc, exec
	s_or_b64 s[28:29], s[28:29], s[36:37]
; %bb.431:
	s_or_b64 exec, exec, s[2:3]
	v_mov_b32_e32 v2, 0
	v_mov_b32_e32 v3, 0
	s_and_saveexec_b64 s[2:3], s[28:29]
	s_cbranch_execz .LBB78_433
; %bb.432:
	v_and_b32_e32 v3, 0xffff, v4
	v_lshlrev_b32_e32 v2, 24, v4
	v_and_b32_e32 v4, 3, v3
	v_ffbh_u32_e32 v6, v4
	v_min_u32_e32 v6, 32, v6
	v_subrev_u32_e32 v7, 29, v6
	v_bfe_u32 v5, v3, 2, 5
	v_lshlrev_b32_e32 v3, v7, v3
	v_sub_u32_e32 v6, 30, v6
	v_and_b32_e32 v3, 3, v3
	v_cmp_eq_u32_e32 vcc, 0, v5
	v_cndmask_b32_e32 v5, v5, v6, vcc
	v_cndmask_b32_e32 v3, v4, v3, vcc
	v_mov_b32_e32 v4, 0x37800000
	v_lshlrev_b32_e32 v3, 21, v3
	v_and_b32_e32 v2, 0x80000000, v2
	v_lshl_add_u32 v4, v5, 23, v4
	v_or3_b32 v2, v2, v4, v3
	v_trunc_f32_e32 v2, v2
	s_mov_b32 s28, 0x2f800000
	v_mul_f32_e64 v3, |v2|, s28
	v_floor_f32_e32 v3, v3
	s_mov_b32 s28, 0xcf800000
	v_fma_f32 v4, v3, s28, |v2|
	v_cvt_u32_f32_e32 v4, v4
	v_cvt_u32_f32_e32 v3, v3
	v_ashrrev_i32_e32 v5, 31, v2
	v_xor_b32_e32 v2, v4, v5
	v_xor_b32_e32 v3, v3, v5
	v_sub_co_u32_e32 v2, vcc, v2, v5
	v_subb_co_u32_e32 v3, vcc, v3, v5, vcc
.LBB78_433:
	s_or_b64 exec, exec, s[2:3]
	s_mov_b64 s[2:3], 0
	s_branch .LBB78_437
.LBB78_434:
	s_mov_b64 s[28:29], -1
                                        ; implicit-def: $vgpr2_vgpr3
	s_branch .LBB78_443
.LBB78_435:
	s_mov_b64 s[2:3], -1
                                        ; implicit-def: $vgpr2_vgpr3
	s_branch .LBB78_440
.LBB78_436:
	s_mov_b64 s[2:3], -1
                                        ; implicit-def: $vgpr2_vgpr3
.LBB78_437:
	s_and_b64 vcc, exec, s[2:3]
	s_cbranch_vccz .LBB78_439
; %bb.438:
	global_load_ubyte v2, v[0:1], off
	s_mov_b32 s2, 0x7f800000
	s_brev_b32 s3, 1
	s_mov_b32 s28, 0x2f800000
	s_mov_b32 s29, 0xcf800000
	s_waitcnt vmcnt(0)
	v_lshlrev_b32_e32 v2, 24, v2
	v_and_b32_e32 v3, 0x7f000000, v2
	v_ffbh_u32_e32 v4, v3
	v_min_u32_e32 v4, 32, v4
	v_sub_u32_e64 v4, v4, 4 clamp
	v_lshlrev_b32_e32 v6, v4, v3
	v_lshlrev_b32_e32 v4, 23, v4
	v_lshrrev_b32_e32 v6, 4, v6
	v_add_u32_e32 v5, 0x1000000, v3
	v_sub_u32_e32 v4, v6, v4
	v_ashrrev_i32_e32 v5, 8, v5
	v_add_u32_e32 v4, 0x3c000000, v4
	v_and_or_b32 v4, v5, s2, v4
	v_cmp_ne_u32_e32 vcc, 0, v3
	v_cndmask_b32_e32 v3, 0, v4, vcc
	v_and_or_b32 v2, v2, s3, v3
	v_trunc_f32_e32 v2, v2
	v_mul_f32_e64 v3, |v2|, s28
	v_floor_f32_e32 v3, v3
	v_fma_f32 v4, v3, s29, |v2|
	v_cvt_u32_f32_e32 v4, v4
	v_cvt_u32_f32_e32 v3, v3
	v_ashrrev_i32_e32 v5, 31, v2
	v_xor_b32_e32 v2, v4, v5
	v_xor_b32_e32 v3, v3, v5
	v_sub_co_u32_e32 v2, vcc, v2, v5
	v_subb_co_u32_e32 v3, vcc, v3, v5, vcc
.LBB78_439:
	s_mov_b64 s[2:3], 0
.LBB78_440:
	s_andn2_b64 vcc, exec, s[2:3]
	s_cbranch_vccnz .LBB78_442
; %bb.441:
	global_load_ubyte v2, v[0:1], off
	s_movk_i32 s2, 0x7f00
	s_brev_b32 s3, 16
	s_brev_b32 s28, 1
	s_mov_b32 s29, 0x2f800000
	s_mov_b32 s35, 0xcf800000
	s_waitcnt vmcnt(0)
	v_lshlrev_b16_e32 v3, 8, v2
	v_lshlrev_b32_e32 v2, 25, v2
	v_lshrrev_b32_e32 v4, 4, v2
	v_and_or_b32 v5, v3, s2, 0.5
	v_or_b32_e32 v4, 0x70000000, v4
	v_add_f32_e32 v5, -0.5, v5
	v_mul_f32_e32 v4, 0x7800000, v4
	v_cmp_gt_u32_e32 vcc, s3, v2
	v_bfe_i32 v3, v3, 0, 16
	v_cndmask_b32_e32 v2, v4, v5, vcc
	v_and_or_b32 v2, v3, s28, v2
	v_trunc_f32_e32 v2, v2
	v_mul_f32_e64 v3, |v2|, s29
	v_floor_f32_e32 v3, v3
	v_fma_f32 v4, v3, s35, |v2|
	v_cvt_u32_f32_e32 v4, v4
	v_cvt_u32_f32_e32 v3, v3
	v_ashrrev_i32_e32 v5, 31, v2
	v_xor_b32_e32 v2, v4, v5
	v_xor_b32_e32 v3, v3, v5
	v_sub_co_u32_e32 v2, vcc, v2, v5
	v_subb_co_u32_e32 v3, vcc, v3, v5, vcc
.LBB78_442:
	s_mov_b64 s[28:29], 0
	s_mov_b64 s[2:3], -1
.LBB78_443:
	s_andn2_b64 vcc, exec, s[28:29]
	s_cbranch_vccnz .LBB78_454
; %bb.444:
	s_cmp_gt_i32 s34, 14
	s_cbranch_scc0 .LBB78_447
; %bb.445:
	s_cmp_eq_u32 s34, 15
	s_cbranch_scc0 .LBB78_448
; %bb.446:
	global_load_ushort v2, v[0:1], off
	s_mov_b32 s2, 0x2f800000
	s_mov_b32 s3, 0xcf800000
	s_mov_b64 s[26:27], 0
	s_waitcnt vmcnt(0)
	v_lshlrev_b32_e32 v2, 16, v2
	v_trunc_f32_e32 v2, v2
	v_mul_f32_e64 v3, |v2|, s2
	v_floor_f32_e32 v3, v3
	v_fma_f32 v4, v3, s3, |v2|
	v_cvt_u32_f32_e32 v4, v4
	v_cvt_u32_f32_e32 v3, v3
	v_ashrrev_i32_e32 v5, 31, v2
	s_mov_b64 s[2:3], -1
	v_xor_b32_e32 v2, v4, v5
	v_xor_b32_e32 v3, v3, v5
	v_sub_co_u32_e32 v2, vcc, v2, v5
	v_subb_co_u32_e32 v3, vcc, v3, v5, vcc
	s_branch .LBB78_449
.LBB78_447:
	s_mov_b64 s[28:29], -1
                                        ; implicit-def: $vgpr2_vgpr3
	s_branch .LBB78_450
.LBB78_448:
	s_mov_b64 s[26:27], -1
                                        ; implicit-def: $vgpr2_vgpr3
.LBB78_449:
	s_mov_b64 s[28:29], 0
.LBB78_450:
	s_and_b64 vcc, exec, s[28:29]
	s_cbranch_vccz .LBB78_454
; %bb.451:
	s_cmp_eq_u32 s34, 11
	s_cbranch_scc0 .LBB78_453
; %bb.452:
	global_load_ubyte v2, v[0:1], off
	s_mov_b32 s26, 0
	s_mov_b64 s[2:3], -1
	s_waitcnt vmcnt(1)
	v_mov_b32_e32 v3, s26
	s_mov_b64 s[26:27], 0
	s_waitcnt vmcnt(0)
	v_cmp_ne_u16_e32 vcc, 0, v2
	v_cndmask_b32_e64 v2, 0, 1, vcc
	s_branch .LBB78_454
.LBB78_453:
	s_mov_b64 s[26:27], -1
                                        ; implicit-def: $vgpr2_vgpr3
.LBB78_454:
	s_branch .LBB78_261
.LBB78_455:
	s_cmp_lt_i32 s34, 5
	s_cbranch_scc1 .LBB78_460
; %bb.456:
	s_cmp_lt_i32 s34, 8
	s_cbranch_scc1 .LBB78_461
; %bb.457:
	;; [unrolled: 3-line block ×3, first 2 shown]
	s_cmp_gt_i32 s34, 9
	s_cbranch_scc0 .LBB78_463
; %bb.459:
	global_load_dwordx2 v[2:3], v[0:1], off
	s_movk_i32 s2, 0xffe0
	s_waitcnt vmcnt(0)
	v_trunc_f64_e32 v[2:3], v[2:3]
	v_ldexp_f64 v[4:5], v[2:3], s2
	s_mov_b32 s2, 0
	s_mov_b32 s3, 0xc1f00000
	v_floor_f64_e32 v[4:5], v[4:5]
	v_fma_f64 v[6:7], v[4:5], s[2:3], v[2:3]
	v_cvt_i32_f64_e32 v3, v[4:5]
	s_mov_b64 s[2:3], 0
	v_cvt_u32_f64_e32 v2, v[6:7]
	s_branch .LBB78_464
.LBB78_460:
	s_mov_b64 s[2:3], -1
                                        ; implicit-def: $vgpr2_vgpr3
	s_branch .LBB78_482
.LBB78_461:
	s_mov_b64 s[2:3], -1
                                        ; implicit-def: $vgpr2_vgpr3
	s_branch .LBB78_470
.LBB78_462:
	s_mov_b64 s[2:3], -1
                                        ; implicit-def: $vgpr2_vgpr3
	s_branch .LBB78_467
.LBB78_463:
	s_mov_b64 s[2:3], -1
                                        ; implicit-def: $vgpr2_vgpr3
.LBB78_464:
	s_andn2_b64 vcc, exec, s[2:3]
	s_cbranch_vccnz .LBB78_466
; %bb.465:
	global_load_dword v2, v[0:1], off
	s_mov_b32 s2, 0x2f800000
	s_mov_b32 s3, 0xcf800000
	s_waitcnt vmcnt(0)
	v_trunc_f32_e32 v2, v2
	v_mul_f32_e64 v3, |v2|, s2
	v_floor_f32_e32 v3, v3
	v_cvt_u32_f32_e32 v4, v3
	v_fma_f32 v3, v3, s3, |v2|
	v_cvt_u32_f32_e32 v3, v3
	v_ashrrev_i32_e32 v5, 31, v2
	v_xor_b32_e32 v4, v4, v5
	v_xor_b32_e32 v2, v3, v5
	v_sub_co_u32_e32 v2, vcc, v2, v5
	v_subb_co_u32_e32 v3, vcc, v4, v5, vcc
.LBB78_466:
	s_mov_b64 s[2:3], 0
.LBB78_467:
	s_andn2_b64 vcc, exec, s[2:3]
	s_cbranch_vccnz .LBB78_469
; %bb.468:
	global_load_dword v2, v[0:1], off
	s_waitcnt vmcnt(0)
	v_cvt_f32_f16_e32 v2, v2
	v_cvt_i32_f32_e32 v2, v2
	v_ashrrev_i32_e32 v3, 31, v2
.LBB78_469:
	s_mov_b64 s[2:3], 0
.LBB78_470:
	s_andn2_b64 vcc, exec, s[2:3]
	s_cbranch_vccnz .LBB78_481
; %bb.471:
	s_cmp_lt_i32 s34, 6
	s_cbranch_scc1 .LBB78_474
; %bb.472:
	s_cmp_gt_i32 s34, 6
	s_cbranch_scc0 .LBB78_475
; %bb.473:
	global_load_dwordx2 v[2:3], v[0:1], off
	s_movk_i32 s2, 0xffe0
	s_waitcnt vmcnt(0)
	v_trunc_f64_e32 v[2:3], v[2:3]
	v_ldexp_f64 v[4:5], v[2:3], s2
	s_mov_b32 s2, 0
	s_mov_b32 s3, 0xc1f00000
	v_floor_f64_e32 v[4:5], v[4:5]
	v_fma_f64 v[6:7], v[4:5], s[2:3], v[2:3]
	v_cvt_i32_f64_e32 v3, v[4:5]
	s_mov_b64 s[2:3], 0
	v_cvt_u32_f64_e32 v2, v[6:7]
	s_branch .LBB78_476
.LBB78_474:
	s_mov_b64 s[2:3], -1
                                        ; implicit-def: $vgpr2_vgpr3
	s_branch .LBB78_479
.LBB78_475:
	s_mov_b64 s[2:3], -1
                                        ; implicit-def: $vgpr2_vgpr3
.LBB78_476:
	s_andn2_b64 vcc, exec, s[2:3]
	s_cbranch_vccnz .LBB78_478
; %bb.477:
	global_load_dword v2, v[0:1], off
	s_mov_b32 s2, 0x2f800000
	s_mov_b32 s3, 0xcf800000
	s_waitcnt vmcnt(0)
	v_trunc_f32_e32 v2, v2
	v_mul_f32_e64 v3, |v2|, s2
	v_floor_f32_e32 v3, v3
	v_cvt_u32_f32_e32 v4, v3
	v_fma_f32 v3, v3, s3, |v2|
	v_cvt_u32_f32_e32 v3, v3
	v_ashrrev_i32_e32 v5, 31, v2
	v_xor_b32_e32 v4, v4, v5
	v_xor_b32_e32 v2, v3, v5
	v_sub_co_u32_e32 v2, vcc, v2, v5
	v_subb_co_u32_e32 v3, vcc, v4, v5, vcc
.LBB78_478:
	s_mov_b64 s[2:3], 0
.LBB78_479:
	s_andn2_b64 vcc, exec, s[2:3]
	s_cbranch_vccnz .LBB78_481
; %bb.480:
	global_load_ushort v2, v[0:1], off
	s_waitcnt vmcnt(0)
	v_cvt_f32_f16_e32 v2, v2
	v_cvt_i32_f32_e32 v2, v2
	v_ashrrev_i32_e32 v3, 31, v2
.LBB78_481:
	s_mov_b64 s[2:3], 0
.LBB78_482:
	s_andn2_b64 vcc, exec, s[2:3]
	s_cbranch_vccnz .LBB78_502
; %bb.483:
	s_cmp_lt_i32 s34, 2
	s_cbranch_scc1 .LBB78_487
; %bb.484:
	s_cmp_lt_i32 s34, 3
	s_cbranch_scc1 .LBB78_488
; %bb.485:
	s_cmp_gt_i32 s34, 3
	s_cbranch_scc0 .LBB78_489
; %bb.486:
	global_load_dwordx2 v[2:3], v[0:1], off
	s_mov_b64 s[2:3], 0
	s_branch .LBB78_490
.LBB78_487:
	s_mov_b64 s[2:3], -1
                                        ; implicit-def: $vgpr2_vgpr3
	s_branch .LBB78_496
.LBB78_488:
	s_mov_b64 s[2:3], -1
                                        ; implicit-def: $vgpr2_vgpr3
	s_branch .LBB78_493
.LBB78_489:
	s_mov_b64 s[2:3], -1
                                        ; implicit-def: $vgpr2_vgpr3
.LBB78_490:
	s_andn2_b64 vcc, exec, s[2:3]
	s_cbranch_vccnz .LBB78_492
; %bb.491:
	global_load_dword v2, v[0:1], off
	s_waitcnt vmcnt(0)
	v_ashrrev_i32_e32 v3, 31, v2
.LBB78_492:
	s_mov_b64 s[2:3], 0
.LBB78_493:
	s_andn2_b64 vcc, exec, s[2:3]
	s_cbranch_vccnz .LBB78_495
; %bb.494:
	global_load_ushort v2, v[0:1], off
	s_waitcnt vmcnt(0)
	v_bfe_i32 v2, v2, 0, 16
	v_ashrrev_i32_e32 v3, 31, v2
.LBB78_495:
	s_mov_b64 s[2:3], 0
.LBB78_496:
	s_andn2_b64 vcc, exec, s[2:3]
	s_cbranch_vccnz .LBB78_502
; %bb.497:
	s_cmp_gt_i32 s34, 0
	s_cbranch_scc0 .LBB78_499
; %bb.498:
	global_load_sbyte v2, v[0:1], off
	s_mov_b64 s[2:3], 0
	s_waitcnt vmcnt(0)
	v_bfe_i32 v2, v2, 0, 16
	v_ashrrev_i32_e32 v3, 31, v2
	s_branch .LBB78_500
.LBB78_499:
	s_mov_b64 s[2:3], -1
                                        ; implicit-def: $vgpr2_vgpr3
.LBB78_500:
	s_andn2_b64 vcc, exec, s[2:3]
	s_cbranch_vccnz .LBB78_502
; %bb.501:
	global_load_ubyte v0, v[0:1], off
	s_mov_b32 s2, 0
	s_waitcnt vmcnt(1)
	v_mov_b32_e32 v3, s2
	s_waitcnt vmcnt(0)
	v_and_b32_e32 v2, 0xffff, v0
.LBB78_502:
	s_branch .LBB78_262
.LBB78_503:
	s_mov_b64 s[34:35], 0
                                        ; implicit-def: $vgpr10
	s_mov_b64 s[2:3], s[20:21]
.LBB78_504:
	s_andn2_b64 s[28:29], s[20:21], exec
	s_and_b64 s[2:3], s[2:3], exec
	s_or_b64 s[28:29], s[28:29], s[2:3]
	s_andn2_b64 s[2:3], s[22:23], exec
	s_and_b64 s[26:27], s[26:27], exec
	s_or_b64 s[26:27], s[2:3], s[26:27]
	s_orn2_b64 s[2:3], s[34:35], exec
.LBB78_505:
	s_or_b64 exec, exec, s[30:31]
	s_mov_b64 s[36:37], 0
	s_mov_b64 s[34:35], 0
	;; [unrolled: 1-line block ×3, first 2 shown]
                                        ; implicit-def: $vgpr0_vgpr1
                                        ; implicit-def: $vgpr4_vgpr5
	s_and_saveexec_b64 s[30:31], s[2:3]
	s_cbranch_execz .LBB78_842
; %bb.506:
	v_cmp_gt_i32_e32 vcc, s46, v10
	s_mov_b64 s[42:43], -1
	s_mov_b64 s[2:3], s[26:27]
	s_mov_b64 s[38:39], s[28:29]
	s_and_saveexec_b64 s[34:35], vcc
	s_cbranch_execz .LBB78_760
; %bb.507:
	v_mul_lo_u32 v0, v10, s17
	v_mov_b32_e32 v1, s11
	s_and_b32 s40, 0xffff, s50
	s_cmp_lt_i32 s40, 11
	s_waitcnt vmcnt(0)
	v_ashrrev_i32_e32 v2, 31, v0
	v_add_co_u32_e32 v0, vcc, s10, v0
	v_addc_co_u32_e32 v1, vcc, v1, v2, vcc
	s_cbranch_scc1 .LBB78_514
; %bb.508:
	s_cmp_gt_i32 s40, 25
	s_cbranch_scc0 .LBB78_515
; %bb.509:
	s_cmp_gt_i32 s40, 28
	s_cbranch_scc0 .LBB78_516
	;; [unrolled: 3-line block ×4, first 2 shown]
; %bb.512:
	s_cmp_eq_u32 s40, 46
	s_mov_b64 s[38:39], 0
	s_cbranch_scc0 .LBB78_523
; %bb.513:
	global_load_dword v2, v[0:1], off
	s_mov_b32 s2, 0x2f800000
	s_mov_b32 s3, 0xcf800000
	s_waitcnt vmcnt(0)
	v_lshlrev_b32_e32 v2, 16, v2
	v_trunc_f32_e32 v2, v2
	v_mul_f32_e64 v3, |v2|, s2
	v_floor_f32_e32 v3, v3
	v_fma_f32 v4, v3, s3, |v2|
	v_cvt_u32_f32_e32 v4, v4
	v_cvt_u32_f32_e32 v3, v3
	v_ashrrev_i32_e32 v5, 31, v2
	s_mov_b64 s[2:3], -1
	v_xor_b32_e32 v2, v4, v5
	v_xor_b32_e32 v3, v3, v5
	v_sub_co_u32_e32 v2, vcc, v2, v5
	v_subb_co_u32_e32 v3, vcc, v3, v5, vcc
	s_branch .LBB78_524
.LBB78_514:
	s_mov_b64 s[38:39], -1
	s_mov_b64 s[2:3], 0
                                        ; implicit-def: $vgpr2_vgpr3
	s_mov_b64 s[36:37], s[26:27]
	s_branch .LBB78_585
.LBB78_515:
	s_mov_b64 s[38:39], -1
	s_mov_b64 s[2:3], 0
	s_mov_b64 s[36:37], s[26:27]
                                        ; implicit-def: $vgpr2_vgpr3
	s_branch .LBB78_553
.LBB78_516:
	s_mov_b64 s[38:39], -1
	s_mov_b64 s[2:3], 0
	s_mov_b64 s[36:37], s[26:27]
                                        ; implicit-def: $vgpr2_vgpr3
	s_branch .LBB78_534
.LBB78_517:
	s_mov_b64 s[38:39], -1
	s_mov_b64 s[2:3], 0
	s_mov_b64 s[36:37], s[26:27]
                                        ; implicit-def: $vgpr2_vgpr3
	s_branch .LBB78_529
.LBB78_518:
	s_andn2_saveexec_b64 s[36:37], s[36:37]
	s_cbranch_execz .LBB78_307
.LBB78_519:
	s_mov_b32 s40, 0x46000000
	v_add_f32_e64 v5, |v4|, s40
	v_and_b32_e32 v5, 0xff, v5
	v_cmp_ne_u32_e32 vcc, 0, v5
	s_andn2_b64 s[34:35], s[34:35], exec
	s_and_b64 s[40:41], vcc, exec
	s_or_b64 s[34:35], s[34:35], s[40:41]
	s_or_b64 exec, exec, s[36:37]
	v_mov_b32_e32 v6, 0
	s_and_saveexec_b64 s[36:37], s[34:35]
	s_cbranch_execnz .LBB78_308
	s_branch .LBB78_309
.LBB78_520:
	s_mov_b64 s[38:39], -1
	s_mov_b64 s[2:3], 0
	s_mov_b64 s[36:37], s[26:27]
                                        ; implicit-def: $vgpr2_vgpr3
	s_branch .LBB78_524
.LBB78_521:
	s_andn2_saveexec_b64 s[36:37], s[36:37]
	s_cbranch_execz .LBB78_320
.LBB78_522:
	s_mov_b32 s40, 0x42800000
	v_add_f32_e64 v5, |v4|, s40
	v_and_b32_e32 v5, 0xff, v5
	v_cmp_ne_u32_e32 vcc, 0, v5
	s_andn2_b64 s[34:35], s[34:35], exec
	s_and_b64 s[40:41], vcc, exec
	s_or_b64 s[34:35], s[34:35], s[40:41]
	s_or_b64 exec, exec, s[36:37]
	v_mov_b32_e32 v6, 0
	s_and_saveexec_b64 s[36:37], s[34:35]
	s_cbranch_execnz .LBB78_321
	s_branch .LBB78_322
.LBB78_523:
	s_mov_b64 s[36:37], -1
                                        ; implicit-def: $vgpr2_vgpr3
	s_mov_b64 s[2:3], 0
.LBB78_524:
	s_and_b64 vcc, exec, s[38:39]
	s_cbranch_vccz .LBB78_528
; %bb.525:
	s_cmp_eq_u32 s40, 44
	s_cbranch_scc0 .LBB78_527
; %bb.526:
	global_load_ubyte v2, v[0:1], off
	s_mov_b32 s2, 0x2f800000
	s_mov_b32 s3, 0xcf800000
	s_mov_b64 s[36:37], 0
	s_waitcnt vmcnt(0)
	v_lshlrev_b32_e32 v3, 23, v2
	v_trunc_f32_e32 v3, v3
	v_mul_f32_e64 v4, |v3|, s2
	v_floor_f32_e32 v4, v4
	v_fma_f32 v5, v4, s3, |v3|
	v_cvt_u32_f32_e32 v5, v5
	v_cvt_u32_f32_e32 v4, v4
	v_ashrrev_i32_e32 v3, 31, v3
	s_mov_b64 s[2:3], -1
	v_xor_b32_e32 v5, v5, v3
	v_xor_b32_e32 v4, v4, v3
	v_sub_co_u32_e32 v5, vcc, v5, v3
	v_subb_co_u32_e32 v3, vcc, v4, v3, vcc
	v_cmp_ne_u32_e32 vcc, 0, v2
	v_cndmask_b32_e32 v3, 0, v3, vcc
	v_cndmask_b32_e32 v2, 0, v5, vcc
	s_branch .LBB78_528
.LBB78_527:
	s_mov_b64 s[36:37], -1
                                        ; implicit-def: $vgpr2_vgpr3
.LBB78_528:
	s_mov_b64 s[38:39], 0
.LBB78_529:
	s_and_b64 vcc, exec, s[38:39]
	s_cbranch_vccz .LBB78_533
; %bb.530:
	s_cmp_eq_u32 s40, 29
	s_cbranch_scc0 .LBB78_532
; %bb.531:
	global_load_dwordx2 v[2:3], v[0:1], off
	s_mov_b64 s[2:3], -1
	s_mov_b64 s[36:37], 0
	s_branch .LBB78_533
.LBB78_532:
	s_mov_b64 s[36:37], -1
                                        ; implicit-def: $vgpr2_vgpr3
.LBB78_533:
	s_mov_b64 s[38:39], 0
.LBB78_534:
	s_and_b64 vcc, exec, s[38:39]
	s_cbranch_vccz .LBB78_552
; %bb.535:
	s_cmp_lt_i32 s40, 27
	s_cbranch_scc1 .LBB78_538
; %bb.536:
	s_cmp_gt_i32 s40, 27
	s_cbranch_scc0 .LBB78_539
; %bb.537:
	global_load_dword v2, v[0:1], off
	s_waitcnt vmcnt(1)
	v_mov_b32_e32 v3, 0
	s_mov_b64 s[2:3], 0
	s_branch .LBB78_540
.LBB78_538:
	s_mov_b64 s[2:3], -1
                                        ; implicit-def: $vgpr2_vgpr3
	s_branch .LBB78_543
.LBB78_539:
	s_mov_b64 s[2:3], -1
                                        ; implicit-def: $vgpr2_vgpr3
.LBB78_540:
	s_andn2_b64 vcc, exec, s[2:3]
	s_cbranch_vccnz .LBB78_542
; %bb.541:
	global_load_ushort v2, v[0:1], off
	s_mov_b32 s2, 0
	s_waitcnt vmcnt(1)
	v_mov_b32_e32 v3, s2
	s_waitcnt vmcnt(0)
	v_and_b32_e32 v2, 0xffff, v2
.LBB78_542:
	s_mov_b64 s[2:3], 0
.LBB78_543:
	s_andn2_b64 vcc, exec, s[2:3]
	s_cbranch_vccnz .LBB78_551
; %bb.544:
	global_load_ubyte v4, v[0:1], off
	s_movk_i32 s2, 0x7f
	s_mov_b64 s[38:39], 0
	s_waitcnt vmcnt(0)
	v_cmp_lt_i16_e32 vcc, s2, v4
	s_and_saveexec_b64 s[2:3], vcc
	s_xor_b64 s[2:3], exec, s[2:3]
; %bb.545:
	s_movk_i32 s38, 0x80
	v_cmp_ne_u16_e32 vcc, s38, v4
	s_and_b64 s[38:39], vcc, exec
; %bb.546:
	s_andn2_saveexec_b64 s[2:3], s[2:3]
; %bb.547:
	v_cmp_ne_u16_e32 vcc, 0, v4
	s_andn2_b64 s[38:39], s[38:39], exec
	s_and_b64 s[42:43], vcc, exec
	s_or_b64 s[38:39], s[38:39], s[42:43]
; %bb.548:
	s_or_b64 exec, exec, s[2:3]
	v_mov_b32_e32 v2, 0
	v_mov_b32_e32 v3, 0
	s_and_saveexec_b64 s[2:3], s[38:39]
	s_cbranch_execz .LBB78_550
; %bb.549:
	v_and_b32_e32 v3, 0xffff, v4
	v_lshlrev_b32_e32 v2, 24, v4
	v_and_b32_e32 v4, 7, v3
	v_ffbh_u32_e32 v6, v4
	v_min_u32_e32 v6, 32, v6
	v_subrev_u32_e32 v7, 28, v6
	v_bfe_u32 v5, v3, 3, 4
	v_lshlrev_b32_e32 v3, v7, v3
	v_sub_u32_e32 v6, 29, v6
	v_and_b32_e32 v3, 7, v3
	v_cmp_eq_u32_e32 vcc, 0, v5
	v_cndmask_b32_e32 v5, v5, v6, vcc
	v_cndmask_b32_e32 v3, v4, v3, vcc
	v_mov_b32_e32 v4, 0x3b800000
	v_lshlrev_b32_e32 v3, 20, v3
	v_and_b32_e32 v2, 0x80000000, v2
	v_lshl_add_u32 v4, v5, 23, v4
	v_or3_b32 v2, v2, v4, v3
	v_trunc_f32_e32 v2, v2
	s_mov_b32 s38, 0x2f800000
	v_mul_f32_e64 v3, |v2|, s38
	v_floor_f32_e32 v3, v3
	s_mov_b32 s38, 0xcf800000
	v_fma_f32 v4, v3, s38, |v2|
	v_cvt_u32_f32_e32 v4, v4
	v_cvt_u32_f32_e32 v3, v3
	v_ashrrev_i32_e32 v5, 31, v2
	v_xor_b32_e32 v2, v4, v5
	v_xor_b32_e32 v3, v3, v5
	v_sub_co_u32_e32 v2, vcc, v2, v5
	v_subb_co_u32_e32 v3, vcc, v3, v5, vcc
.LBB78_550:
	s_or_b64 exec, exec, s[2:3]
.LBB78_551:
	s_mov_b64 s[2:3], -1
.LBB78_552:
	s_mov_b64 s[38:39], 0
.LBB78_553:
	s_and_b64 vcc, exec, s[38:39]
	s_cbranch_vccz .LBB78_584
; %bb.554:
	s_cmp_gt_i32 s40, 22
	s_cbranch_scc0 .LBB78_564
; %bb.555:
	s_cmp_lt_i32 s40, 24
	s_cbranch_scc1 .LBB78_565
; %bb.556:
	s_cmp_gt_i32 s40, 24
	s_cbranch_scc0 .LBB78_566
; %bb.557:
	global_load_ubyte v4, v[0:1], off
	s_movk_i32 s2, 0x7f
	s_mov_b64 s[38:39], 0
	s_waitcnt vmcnt(0)
	v_cmp_lt_i16_e32 vcc, s2, v4
	s_and_saveexec_b64 s[2:3], vcc
	s_xor_b64 s[2:3], exec, s[2:3]
; %bb.558:
	s_movk_i32 s38, 0x80
	v_cmp_ne_u16_e32 vcc, s38, v4
	s_and_b64 s[38:39], vcc, exec
; %bb.559:
	s_andn2_saveexec_b64 s[2:3], s[2:3]
; %bb.560:
	v_cmp_ne_u16_e32 vcc, 0, v4
	s_andn2_b64 s[38:39], s[38:39], exec
	s_and_b64 s[42:43], vcc, exec
	s_or_b64 s[38:39], s[38:39], s[42:43]
; %bb.561:
	s_or_b64 exec, exec, s[2:3]
	v_mov_b32_e32 v2, 0
	v_mov_b32_e32 v3, 0
	s_and_saveexec_b64 s[2:3], s[38:39]
	s_cbranch_execz .LBB78_563
; %bb.562:
	v_and_b32_e32 v3, 0xffff, v4
	v_lshlrev_b32_e32 v2, 24, v4
	v_and_b32_e32 v4, 3, v3
	v_ffbh_u32_e32 v6, v4
	v_min_u32_e32 v6, 32, v6
	v_subrev_u32_e32 v7, 29, v6
	v_bfe_u32 v5, v3, 2, 5
	v_lshlrev_b32_e32 v3, v7, v3
	v_sub_u32_e32 v6, 30, v6
	v_and_b32_e32 v3, 3, v3
	v_cmp_eq_u32_e32 vcc, 0, v5
	v_cndmask_b32_e32 v5, v5, v6, vcc
	v_cndmask_b32_e32 v3, v4, v3, vcc
	v_mov_b32_e32 v4, 0x37800000
	v_lshlrev_b32_e32 v3, 21, v3
	v_and_b32_e32 v2, 0x80000000, v2
	v_lshl_add_u32 v4, v5, 23, v4
	v_or3_b32 v2, v2, v4, v3
	v_trunc_f32_e32 v2, v2
	s_mov_b32 s38, 0x2f800000
	v_mul_f32_e64 v3, |v2|, s38
	v_floor_f32_e32 v3, v3
	s_mov_b32 s38, 0xcf800000
	v_fma_f32 v4, v3, s38, |v2|
	v_cvt_u32_f32_e32 v4, v4
	v_cvt_u32_f32_e32 v3, v3
	v_ashrrev_i32_e32 v5, 31, v2
	v_xor_b32_e32 v2, v4, v5
	v_xor_b32_e32 v3, v3, v5
	v_sub_co_u32_e32 v2, vcc, v2, v5
	v_subb_co_u32_e32 v3, vcc, v3, v5, vcc
.LBB78_563:
	s_or_b64 exec, exec, s[2:3]
	s_mov_b64 s[2:3], 0
	s_branch .LBB78_567
.LBB78_564:
	s_mov_b64 s[38:39], -1
                                        ; implicit-def: $vgpr2_vgpr3
	s_branch .LBB78_573
.LBB78_565:
	s_mov_b64 s[2:3], -1
                                        ; implicit-def: $vgpr2_vgpr3
	s_branch .LBB78_570
.LBB78_566:
	s_mov_b64 s[2:3], -1
                                        ; implicit-def: $vgpr2_vgpr3
.LBB78_567:
	s_and_b64 vcc, exec, s[2:3]
	s_cbranch_vccz .LBB78_569
; %bb.568:
	global_load_ubyte v2, v[0:1], off
	s_mov_b32 s2, 0x7f800000
	s_brev_b32 s3, 1
	s_mov_b32 s38, 0x2f800000
	s_mov_b32 s39, 0xcf800000
	s_waitcnt vmcnt(0)
	v_lshlrev_b32_e32 v2, 24, v2
	v_and_b32_e32 v3, 0x7f000000, v2
	v_ffbh_u32_e32 v4, v3
	v_min_u32_e32 v4, 32, v4
	v_sub_u32_e64 v4, v4, 4 clamp
	v_lshlrev_b32_e32 v6, v4, v3
	v_lshlrev_b32_e32 v4, 23, v4
	v_lshrrev_b32_e32 v6, 4, v6
	v_add_u32_e32 v5, 0x1000000, v3
	v_sub_u32_e32 v4, v6, v4
	v_ashrrev_i32_e32 v5, 8, v5
	v_add_u32_e32 v4, 0x3c000000, v4
	v_and_or_b32 v4, v5, s2, v4
	v_cmp_ne_u32_e32 vcc, 0, v3
	v_cndmask_b32_e32 v3, 0, v4, vcc
	v_and_or_b32 v2, v2, s3, v3
	v_trunc_f32_e32 v2, v2
	v_mul_f32_e64 v3, |v2|, s38
	v_floor_f32_e32 v3, v3
	v_fma_f32 v4, v3, s39, |v2|
	v_cvt_u32_f32_e32 v4, v4
	v_cvt_u32_f32_e32 v3, v3
	v_ashrrev_i32_e32 v5, 31, v2
	v_xor_b32_e32 v2, v4, v5
	v_xor_b32_e32 v3, v3, v5
	v_sub_co_u32_e32 v2, vcc, v2, v5
	v_subb_co_u32_e32 v3, vcc, v3, v5, vcc
.LBB78_569:
	s_mov_b64 s[2:3], 0
.LBB78_570:
	s_andn2_b64 vcc, exec, s[2:3]
	s_cbranch_vccnz .LBB78_572
; %bb.571:
	global_load_ubyte v2, v[0:1], off
	s_movk_i32 s2, 0x7f00
	s_brev_b32 s3, 16
	s_brev_b32 s38, 1
	s_mov_b32 s39, 0x2f800000
	s_mov_b32 s41, 0xcf800000
	s_waitcnt vmcnt(0)
	v_lshlrev_b16_e32 v3, 8, v2
	v_lshlrev_b32_e32 v2, 25, v2
	v_lshrrev_b32_e32 v4, 4, v2
	v_and_or_b32 v5, v3, s2, 0.5
	v_or_b32_e32 v4, 0x70000000, v4
	v_add_f32_e32 v5, -0.5, v5
	v_mul_f32_e32 v4, 0x7800000, v4
	v_cmp_gt_u32_e32 vcc, s3, v2
	v_bfe_i32 v3, v3, 0, 16
	v_cndmask_b32_e32 v2, v4, v5, vcc
	v_and_or_b32 v2, v3, s38, v2
	v_trunc_f32_e32 v2, v2
	v_mul_f32_e64 v3, |v2|, s39
	v_floor_f32_e32 v3, v3
	v_fma_f32 v4, v3, s41, |v2|
	v_cvt_u32_f32_e32 v4, v4
	v_cvt_u32_f32_e32 v3, v3
	v_ashrrev_i32_e32 v5, 31, v2
	v_xor_b32_e32 v2, v4, v5
	v_xor_b32_e32 v3, v3, v5
	v_sub_co_u32_e32 v2, vcc, v2, v5
	v_subb_co_u32_e32 v3, vcc, v3, v5, vcc
.LBB78_572:
	s_mov_b64 s[38:39], 0
	s_mov_b64 s[2:3], -1
.LBB78_573:
	s_andn2_b64 vcc, exec, s[38:39]
	s_cbranch_vccnz .LBB78_584
; %bb.574:
	s_cmp_gt_i32 s40, 14
	s_cbranch_scc0 .LBB78_577
; %bb.575:
	s_cmp_eq_u32 s40, 15
	s_cbranch_scc0 .LBB78_578
; %bb.576:
	global_load_ushort v2, v[0:1], off
	s_mov_b32 s2, 0x2f800000
	s_mov_b32 s3, 0xcf800000
	s_mov_b64 s[36:37], 0
	s_waitcnt vmcnt(0)
	v_lshlrev_b32_e32 v2, 16, v2
	v_trunc_f32_e32 v2, v2
	v_mul_f32_e64 v3, |v2|, s2
	v_floor_f32_e32 v3, v3
	v_fma_f32 v4, v3, s3, |v2|
	v_cvt_u32_f32_e32 v4, v4
	v_cvt_u32_f32_e32 v3, v3
	v_ashrrev_i32_e32 v5, 31, v2
	s_mov_b64 s[2:3], -1
	v_xor_b32_e32 v2, v4, v5
	v_xor_b32_e32 v3, v3, v5
	v_sub_co_u32_e32 v2, vcc, v2, v5
	v_subb_co_u32_e32 v3, vcc, v3, v5, vcc
	s_branch .LBB78_579
.LBB78_577:
	s_mov_b64 s[38:39], -1
                                        ; implicit-def: $vgpr2_vgpr3
	s_branch .LBB78_580
.LBB78_578:
	s_mov_b64 s[36:37], -1
                                        ; implicit-def: $vgpr2_vgpr3
.LBB78_579:
	s_mov_b64 s[38:39], 0
.LBB78_580:
	s_and_b64 vcc, exec, s[38:39]
	s_cbranch_vccz .LBB78_584
; %bb.581:
	s_cmp_eq_u32 s40, 11
	s_cbranch_scc0 .LBB78_583
; %bb.582:
	global_load_ubyte v2, v[0:1], off
	s_mov_b32 s36, 0
	s_mov_b64 s[2:3], -1
	s_waitcnt vmcnt(1)
	v_mov_b32_e32 v3, s36
	s_mov_b64 s[36:37], 0
	s_waitcnt vmcnt(0)
	v_cmp_ne_u16_e32 vcc, 0, v2
	v_cndmask_b32_e64 v2, 0, 1, vcc
	s_branch .LBB78_584
.LBB78_583:
	s_mov_b64 s[36:37], -1
                                        ; implicit-def: $vgpr2_vgpr3
.LBB78_584:
	s_mov_b64 s[38:39], 0
.LBB78_585:
	s_and_b64 vcc, exec, s[38:39]
	s_cbranch_vccz .LBB78_634
; %bb.586:
	s_cmp_lt_i32 s40, 5
	s_cbranch_scc1 .LBB78_591
; %bb.587:
	s_cmp_lt_i32 s40, 8
	s_cbranch_scc1 .LBB78_592
	;; [unrolled: 3-line block ×3, first 2 shown]
; %bb.589:
	s_cmp_gt_i32 s40, 9
	s_cbranch_scc0 .LBB78_594
; %bb.590:
	global_load_dwordx2 v[2:3], v[0:1], off
	s_movk_i32 s2, 0xffe0
	s_waitcnt vmcnt(0)
	v_trunc_f64_e32 v[2:3], v[2:3]
	v_ldexp_f64 v[4:5], v[2:3], s2
	s_mov_b32 s2, 0
	s_mov_b32 s3, 0xc1f00000
	v_floor_f64_e32 v[4:5], v[4:5]
	v_fma_f64 v[6:7], v[4:5], s[2:3], v[2:3]
	v_cvt_i32_f64_e32 v3, v[4:5]
	s_mov_b64 s[2:3], 0
	v_cvt_u32_f64_e32 v2, v[6:7]
	s_branch .LBB78_595
.LBB78_591:
	s_mov_b64 s[2:3], -1
                                        ; implicit-def: $vgpr2_vgpr3
	s_branch .LBB78_613
.LBB78_592:
	s_mov_b64 s[2:3], -1
                                        ; implicit-def: $vgpr2_vgpr3
	s_branch .LBB78_601
.LBB78_593:
	s_mov_b64 s[2:3], -1
                                        ; implicit-def: $vgpr2_vgpr3
	s_branch .LBB78_598
.LBB78_594:
	s_mov_b64 s[2:3], -1
                                        ; implicit-def: $vgpr2_vgpr3
.LBB78_595:
	s_andn2_b64 vcc, exec, s[2:3]
	s_cbranch_vccnz .LBB78_597
; %bb.596:
	global_load_dword v2, v[0:1], off
	s_mov_b32 s2, 0x2f800000
	s_mov_b32 s3, 0xcf800000
	s_waitcnt vmcnt(0)
	v_trunc_f32_e32 v2, v2
	v_mul_f32_e64 v3, |v2|, s2
	v_floor_f32_e32 v3, v3
	v_cvt_u32_f32_e32 v4, v3
	v_fma_f32 v3, v3, s3, |v2|
	v_cvt_u32_f32_e32 v3, v3
	v_ashrrev_i32_e32 v5, 31, v2
	v_xor_b32_e32 v4, v4, v5
	v_xor_b32_e32 v2, v3, v5
	v_sub_co_u32_e32 v2, vcc, v2, v5
	v_subb_co_u32_e32 v3, vcc, v4, v5, vcc
.LBB78_597:
	s_mov_b64 s[2:3], 0
.LBB78_598:
	s_andn2_b64 vcc, exec, s[2:3]
	s_cbranch_vccnz .LBB78_600
; %bb.599:
	global_load_dword v2, v[0:1], off
	s_waitcnt vmcnt(0)
	v_cvt_f32_f16_e32 v2, v2
	v_cvt_i32_f32_e32 v2, v2
	v_ashrrev_i32_e32 v3, 31, v2
.LBB78_600:
	s_mov_b64 s[2:3], 0
.LBB78_601:
	s_andn2_b64 vcc, exec, s[2:3]
	s_cbranch_vccnz .LBB78_612
; %bb.602:
	s_cmp_lt_i32 s40, 6
	s_cbranch_scc1 .LBB78_605
; %bb.603:
	s_cmp_gt_i32 s40, 6
	s_cbranch_scc0 .LBB78_606
; %bb.604:
	global_load_dwordx2 v[2:3], v[0:1], off
	s_movk_i32 s2, 0xffe0
	s_waitcnt vmcnt(0)
	v_trunc_f64_e32 v[2:3], v[2:3]
	v_ldexp_f64 v[4:5], v[2:3], s2
	s_mov_b32 s2, 0
	s_mov_b32 s3, 0xc1f00000
	v_floor_f64_e32 v[4:5], v[4:5]
	v_fma_f64 v[6:7], v[4:5], s[2:3], v[2:3]
	v_cvt_i32_f64_e32 v3, v[4:5]
	s_mov_b64 s[2:3], 0
	v_cvt_u32_f64_e32 v2, v[6:7]
	s_branch .LBB78_607
.LBB78_605:
	s_mov_b64 s[2:3], -1
                                        ; implicit-def: $vgpr2_vgpr3
	s_branch .LBB78_610
.LBB78_606:
	s_mov_b64 s[2:3], -1
                                        ; implicit-def: $vgpr2_vgpr3
.LBB78_607:
	s_andn2_b64 vcc, exec, s[2:3]
	s_cbranch_vccnz .LBB78_609
; %bb.608:
	global_load_dword v2, v[0:1], off
	s_mov_b32 s2, 0x2f800000
	s_mov_b32 s3, 0xcf800000
	s_waitcnt vmcnt(0)
	v_trunc_f32_e32 v2, v2
	v_mul_f32_e64 v3, |v2|, s2
	v_floor_f32_e32 v3, v3
	v_cvt_u32_f32_e32 v4, v3
	v_fma_f32 v3, v3, s3, |v2|
	v_cvt_u32_f32_e32 v3, v3
	v_ashrrev_i32_e32 v5, 31, v2
	v_xor_b32_e32 v4, v4, v5
	v_xor_b32_e32 v2, v3, v5
	v_sub_co_u32_e32 v2, vcc, v2, v5
	v_subb_co_u32_e32 v3, vcc, v4, v5, vcc
.LBB78_609:
	s_mov_b64 s[2:3], 0
.LBB78_610:
	s_andn2_b64 vcc, exec, s[2:3]
	s_cbranch_vccnz .LBB78_612
; %bb.611:
	global_load_ushort v2, v[0:1], off
	s_waitcnt vmcnt(0)
	v_cvt_f32_f16_e32 v2, v2
	v_cvt_i32_f32_e32 v2, v2
	v_ashrrev_i32_e32 v3, 31, v2
.LBB78_612:
	s_mov_b64 s[2:3], 0
.LBB78_613:
	s_andn2_b64 vcc, exec, s[2:3]
	s_cbranch_vccnz .LBB78_633
; %bb.614:
	s_cmp_lt_i32 s40, 2
	s_cbranch_scc1 .LBB78_618
; %bb.615:
	s_cmp_lt_i32 s40, 3
	s_cbranch_scc1 .LBB78_619
; %bb.616:
	s_cmp_gt_i32 s40, 3
	s_cbranch_scc0 .LBB78_620
; %bb.617:
	global_load_dwordx2 v[2:3], v[0:1], off
	s_mov_b64 s[2:3], 0
	s_branch .LBB78_621
.LBB78_618:
	s_mov_b64 s[2:3], -1
                                        ; implicit-def: $vgpr2_vgpr3
	s_branch .LBB78_627
.LBB78_619:
	s_mov_b64 s[2:3], -1
                                        ; implicit-def: $vgpr2_vgpr3
	s_branch .LBB78_624
.LBB78_620:
	s_mov_b64 s[2:3], -1
                                        ; implicit-def: $vgpr2_vgpr3
.LBB78_621:
	s_andn2_b64 vcc, exec, s[2:3]
	s_cbranch_vccnz .LBB78_623
; %bb.622:
	global_load_dword v2, v[0:1], off
	s_waitcnt vmcnt(0)
	v_ashrrev_i32_e32 v3, 31, v2
.LBB78_623:
	s_mov_b64 s[2:3], 0
.LBB78_624:
	s_andn2_b64 vcc, exec, s[2:3]
	s_cbranch_vccnz .LBB78_626
; %bb.625:
	global_load_ushort v2, v[0:1], off
	s_waitcnt vmcnt(0)
	v_bfe_i32 v2, v2, 0, 16
	v_ashrrev_i32_e32 v3, 31, v2
.LBB78_626:
	s_mov_b64 s[2:3], 0
.LBB78_627:
	s_andn2_b64 vcc, exec, s[2:3]
	s_cbranch_vccnz .LBB78_633
; %bb.628:
	s_cmp_gt_i32 s40, 0
	s_cbranch_scc0 .LBB78_630
; %bb.629:
	global_load_sbyte v2, v[0:1], off
	s_mov_b64 s[2:3], 0
	s_waitcnt vmcnt(0)
	v_bfe_i32 v2, v2, 0, 16
	v_ashrrev_i32_e32 v3, 31, v2
	s_branch .LBB78_631
.LBB78_630:
	s_mov_b64 s[2:3], -1
                                        ; implicit-def: $vgpr2_vgpr3
.LBB78_631:
	s_andn2_b64 vcc, exec, s[2:3]
	s_cbranch_vccnz .LBB78_633
; %bb.632:
	global_load_ubyte v0, v[0:1], off
	s_mov_b32 s2, 0
	s_waitcnt vmcnt(1)
	v_mov_b32_e32 v3, s2
	s_waitcnt vmcnt(0)
	v_and_b32_e32 v2, 0xffff, v0
.LBB78_633:
	s_mov_b64 s[2:3], -1
.LBB78_634:
	s_andn2_b64 vcc, exec, s[2:3]
	s_cbranch_vccnz .LBB78_642
; %bb.635:
	v_mul_lo_u32 v4, v10, s16
	v_mov_b32_e32 v0, s15
	s_waitcnt vmcnt(0)
	v_cndmask_b32_e64 v1, v0, v3, s[0:1]
	v_mov_b32_e32 v0, s14
	v_cndmask_b32_e64 v0, v0, v2, s[0:1]
	v_ashrrev_i32_e32 v3, 31, v4
	v_mov_b32_e32 v5, s9
	s_and_b32 s44, s33, 0xff
	v_add_co_u32_e32 v2, vcc, s8, v4
	s_cmp_lt_i32 s44, 11
	v_addc_co_u32_e32 v3, vcc, v5, v3, vcc
	s_cbranch_scc1 .LBB78_643
; %bb.636:
	s_and_b32 s45, 0xffff, s44
	s_cmp_gt_i32 s45, 25
	s_cbranch_scc0 .LBB78_644
; %bb.637:
	s_cmp_gt_i32 s45, 28
	s_cbranch_scc0 .LBB78_645
; %bb.638:
	;; [unrolled: 3-line block ×4, first 2 shown]
	s_mov_b64 s[40:41], 0
	s_mov_b64 s[2:3], -1
	s_cmp_eq_u32 s45, 46
	s_mov_b64 s[38:39], 0
	s_cbranch_scc0 .LBB78_648
; %bb.641:
	v_xor_b32_e32 v5, v0, v1
	v_ffbh_i32_e32 v4, v1
	v_ashrrev_i32_e32 v5, 31, v5
	v_add_u32_e32 v4, -1, v4
	v_add_u32_e32 v5, 32, v5
	v_min_u32_e32 v6, v4, v5
	v_lshlrev_b64 v[4:5], v6, v[0:1]
	s_movk_i32 s2, 0x7fff
	v_min_u32_e32 v4, 1, v4
	v_or_b32_e32 v4, v5, v4
	v_cvt_f32_i32_e32 v4, v4
	v_sub_u32_e32 v5, 32, v6
	s_mov_b64 s[38:39], -1
	v_ldexp_f32 v4, v4, v5
	v_bfe_u32 v5, v4, 16, 1
	v_add3_u32 v4, v4, v5, s2
	v_lshrrev_b32_e32 v4, 16, v4
	global_store_dword v[2:3], v4, off
	s_mov_b64 s[2:3], 0
	s_branch .LBB78_648
.LBB78_642:
	s_mov_b64 s[40:41], 0
                                        ; implicit-def: $vgpr10
	s_mov_b64 s[2:3], s[28:29]
	s_branch .LBB78_759
.LBB78_643:
	s_mov_b64 s[40:41], -1
	s_mov_b64 s[38:39], 0
	s_mov_b64 s[2:3], s[28:29]
	s_branch .LBB78_717
.LBB78_644:
	s_mov_b64 s[40:41], -1
	s_mov_b64 s[38:39], 0
	s_mov_b64 s[2:3], s[28:29]
	s_branch .LBB78_675
.LBB78_645:
	s_mov_b64 s[40:41], -1
	s_mov_b64 s[38:39], 0
	s_mov_b64 s[2:3], s[28:29]
	s_branch .LBB78_658
.LBB78_646:
	s_mov_b64 s[40:41], -1
	s_mov_b64 s[38:39], 0
	s_mov_b64 s[2:3], s[28:29]
	s_branch .LBB78_654
.LBB78_647:
	s_mov_b64 s[40:41], -1
	s_mov_b64 s[38:39], 0
	s_mov_b64 s[2:3], s[28:29]
.LBB78_648:
	s_and_b64 vcc, exec, s[40:41]
	s_cbranch_vccz .LBB78_653
; %bb.649:
	s_cmp_eq_u32 s45, 44
	s_mov_b64 s[2:3], -1
	s_cbranch_scc0 .LBB78_653
; %bb.650:
	v_xor_b32_e32 v5, v0, v1
	v_ffbh_i32_e32 v4, v1
	v_ashrrev_i32_e32 v5, 31, v5
	v_add_u32_e32 v4, -1, v4
	v_add_u32_e32 v5, 32, v5
	v_min_u32_e32 v6, v4, v5
	v_lshlrev_b64 v[4:5], v6, v[0:1]
	s_movk_i32 s2, 0xff
	v_min_u32_e32 v4, 1, v4
	v_or_b32_e32 v4, v5, v4
	v_cvt_f32_i32_e32 v4, v4
	v_sub_u32_e32 v5, 32, v6
	v_mov_b32_e32 v6, 0xff
	v_ldexp_f32 v4, v4, v5
	v_bfe_u32 v5, v4, 23, 8
	v_cmp_ne_u32_e32 vcc, s2, v5
	s_and_saveexec_b64 s[38:39], vcc
; %bb.651:
	s_mov_b32 s2, 0x3fffff
	v_lshrrev_b32_e32 v6, 23, v4
	v_and_b32_e32 v7, 0x400000, v4
	v_and_or_b32 v4, v4, s2, v5
	v_cmp_ne_u32_e32 vcc, 0, v7
	v_cmp_ne_u32_e64 s[2:3], 0, v4
	s_and_b64 s[2:3], vcc, s[2:3]
	v_cndmask_b32_e64 v4, 0, 1, s[2:3]
	v_add_u32_e32 v6, v6, v4
; %bb.652:
	s_or_b64 exec, exec, s[38:39]
	s_mov_b64 s[38:39], -1
	s_mov_b64 s[2:3], 0
	global_store_byte v[2:3], v6, off
.LBB78_653:
	s_mov_b64 s[40:41], 0
.LBB78_654:
	s_and_b64 vcc, exec, s[40:41]
	s_cbranch_vccz .LBB78_657
; %bb.655:
	s_cmp_eq_u32 s45, 29
	s_mov_b64 s[2:3], -1
	s_cbranch_scc0 .LBB78_657
; %bb.656:
	global_store_dwordx2 v[2:3], v[0:1], off
	s_mov_b64 s[38:39], -1
	s_mov_b64 s[2:3], 0
.LBB78_657:
	s_mov_b64 s[40:41], 0
.LBB78_658:
	s_and_b64 vcc, exec, s[40:41]
	s_cbranch_vccz .LBB78_674
; %bb.659:
	s_cmp_lt_i32 s45, 27
	s_mov_b64 s[38:39], -1
	s_cbranch_scc1 .LBB78_665
; %bb.660:
	s_cmp_gt_i32 s45, 27
	s_cbranch_scc0 .LBB78_662
; %bb.661:
	s_mov_b64 s[38:39], 0
	global_store_dword v[2:3], v0, off
.LBB78_662:
	s_andn2_b64 vcc, exec, s[38:39]
	s_cbranch_vccnz .LBB78_664
; %bb.663:
	global_store_short v[2:3], v0, off
.LBB78_664:
	s_mov_b64 s[38:39], 0
.LBB78_665:
	s_andn2_b64 vcc, exec, s[38:39]
	s_cbranch_vccnz .LBB78_673
; %bb.666:
	v_xor_b32_e32 v5, v0, v1
	v_ffbh_i32_e32 v4, v1
	v_ashrrev_i32_e32 v5, 31, v5
	v_add_u32_e32 v4, -1, v4
	v_add_u32_e32 v5, 32, v5
	v_min_u32_e32 v6, v4, v5
	v_lshlrev_b64 v[4:5], v6, v[0:1]
	s_mov_b32 s38, 0x43800000
	v_min_u32_e32 v4, 1, v4
	v_or_b32_e32 v4, v5, v4
	v_cvt_f32_i32_e32 v4, v4
	v_sub_u32_e32 v5, 32, v6
	v_mov_b32_e32 v6, 0x80
	v_ldexp_f32 v4, v4, v5
	v_and_b32_e32 v5, 0x7fffffff, v4
	v_cmp_gt_u32_e32 vcc, s38, v5
	s_and_saveexec_b64 s[38:39], vcc
	s_cbranch_execz .LBB78_672
; %bb.667:
	s_mov_b32 s40, 0x3bffffff
	v_cmp_lt_u32_e32 vcc, s40, v5
	s_mov_b64 s[40:41], 0
                                        ; implicit-def: $vgpr5
	s_and_saveexec_b64 s[42:43], vcc
	s_xor_b64 s[42:43], exec, s[42:43]
	s_cbranch_execz .LBB78_773
; %bb.668:
	v_bfe_u32 v5, v4, 20, 1
	s_mov_b32 s47, 0x487ffff
	v_add3_u32 v5, v4, v5, s47
	s_mov_b64 s[40:41], exec
	v_lshrrev_b32_e32 v5, 20, v5
	s_andn2_saveexec_b64 s[42:43], s[42:43]
	s_cbranch_execnz .LBB78_774
.LBB78_669:
	s_or_b64 exec, exec, s[42:43]
	v_mov_b32_e32 v6, 0
	s_and_saveexec_b64 s[42:43], s[40:41]
.LBB78_670:
	v_lshrrev_b32_e32 v4, 24, v4
	s_movk_i32 s40, 0x80
	v_and_or_b32 v6, v4, s40, v5
.LBB78_671:
	s_or_b64 exec, exec, s[42:43]
.LBB78_672:
	s_or_b64 exec, exec, s[38:39]
	global_store_byte v[2:3], v6, off
.LBB78_673:
	s_mov_b64 s[38:39], -1
.LBB78_674:
	s_mov_b64 s[40:41], 0
.LBB78_675:
	s_and_b64 vcc, exec, s[40:41]
	s_cbranch_vccz .LBB78_716
; %bb.676:
	s_cmp_gt_i32 s45, 22
	s_mov_b64 s[40:41], -1
	s_cbranch_scc0 .LBB78_708
; %bb.677:
	s_cmp_lt_i32 s45, 24
	s_mov_b64 s[38:39], -1
	s_cbranch_scc1 .LBB78_697
; %bb.678:
	s_cmp_gt_i32 s45, 24
	s_cbranch_scc0 .LBB78_686
; %bb.679:
	v_xor_b32_e32 v5, v0, v1
	v_ffbh_i32_e32 v4, v1
	v_ashrrev_i32_e32 v5, 31, v5
	v_add_u32_e32 v4, -1, v4
	v_add_u32_e32 v5, 32, v5
	v_min_u32_e32 v6, v4, v5
	v_lshlrev_b64 v[4:5], v6, v[0:1]
	s_mov_b32 s38, 0x47800000
	v_min_u32_e32 v4, 1, v4
	v_or_b32_e32 v4, v5, v4
	v_cvt_f32_i32_e32 v4, v4
	v_sub_u32_e32 v5, 32, v6
	v_mov_b32_e32 v6, 0x80
	v_ldexp_f32 v4, v4, v5
	v_and_b32_e32 v5, 0x7fffffff, v4
	v_cmp_gt_u32_e32 vcc, s38, v5
	s_and_saveexec_b64 s[38:39], vcc
	s_cbranch_execz .LBB78_685
; %bb.680:
	s_mov_b32 s40, 0x37ffffff
	v_cmp_lt_u32_e32 vcc, s40, v5
	s_mov_b64 s[40:41], 0
                                        ; implicit-def: $vgpr5
	s_and_saveexec_b64 s[42:43], vcc
	s_xor_b64 s[42:43], exec, s[42:43]
	s_cbranch_execz .LBB78_776
; %bb.681:
	v_bfe_u32 v5, v4, 21, 1
	s_mov_b32 s47, 0x88fffff
	v_add3_u32 v5, v4, v5, s47
	s_mov_b64 s[40:41], exec
	v_lshrrev_b32_e32 v5, 21, v5
	s_andn2_saveexec_b64 s[42:43], s[42:43]
	s_cbranch_execnz .LBB78_777
.LBB78_682:
	s_or_b64 exec, exec, s[42:43]
	v_mov_b32_e32 v6, 0
	s_and_saveexec_b64 s[42:43], s[40:41]
.LBB78_683:
	v_lshrrev_b32_e32 v4, 24, v4
	s_movk_i32 s40, 0x80
	v_and_or_b32 v6, v4, s40, v5
.LBB78_684:
	s_or_b64 exec, exec, s[42:43]
.LBB78_685:
	s_or_b64 exec, exec, s[38:39]
	s_mov_b64 s[38:39], 0
	global_store_byte v[2:3], v6, off
.LBB78_686:
	s_and_b64 vcc, exec, s[38:39]
	s_cbranch_vccz .LBB78_696
; %bb.687:
	v_xor_b32_e32 v5, v0, v1
	v_ffbh_i32_e32 v4, v1
	v_ashrrev_i32_e32 v5, 31, v5
	v_add_u32_e32 v4, -1, v4
	v_add_u32_e32 v5, 32, v5
	v_min_u32_e32 v6, v4, v5
	v_lshlrev_b64 v[4:5], v6, v[0:1]
	s_mov_b32 s38, 0x43f00000
	v_min_u32_e32 v4, 1, v4
	v_or_b32_e32 v4, v5, v4
	v_cvt_f32_i32_e32 v4, v4
	v_sub_u32_e32 v5, 32, v6
	v_ldexp_f32 v4, v4, v5
	v_and_b32_e32 v6, 0x7fffffff, v4
	v_cmp_gt_u32_e32 vcc, s38, v6
                                        ; implicit-def: $vgpr5
	s_and_saveexec_b64 s[38:39], vcc
	s_xor_b64 s[38:39], exec, s[38:39]
	s_cbranch_execz .LBB78_693
; %bb.688:
	s_mov_b32 s40, 0x3c7fffff
	v_cmp_lt_u32_e32 vcc, s40, v6
                                        ; implicit-def: $vgpr5
	s_and_saveexec_b64 s[40:41], vcc
	s_xor_b64 s[40:41], exec, s[40:41]
; %bb.689:
	v_bfe_u32 v5, v4, 20, 1
	s_mov_b32 s42, 0x407ffff
	v_add3_u32 v5, v4, v5, s42
	v_lshrrev_b32_e32 v6, 20, v5
	v_and_b32_e32 v5, 0xff00000, v5
	s_mov_b32 s42, 0x7f00000
	v_mov_b32_e32 v7, 0x7e
	v_cmp_ne_u32_e32 vcc, s42, v5
	v_cndmask_b32_e32 v5, v7, v6, vcc
; %bb.690:
	s_andn2_saveexec_b64 s[40:41], s[40:41]
; %bb.691:
	s_mov_b32 s42, 0x46800000
	v_add_f32_e64 v5, |v4|, s42
; %bb.692:
	s_or_b64 exec, exec, s[40:41]
                                        ; implicit-def: $vgpr6
.LBB78_693:
	s_andn2_saveexec_b64 s[38:39], s[38:39]
; %bb.694:
	s_mov_b32 s40, 0x7f800000
	v_mov_b32_e32 v5, 0x7e
	v_mov_b32_e32 v7, 0x7f
	v_cmp_lt_u32_e32 vcc, s40, v6
	v_cndmask_b32_e32 v5, v5, v7, vcc
; %bb.695:
	s_or_b64 exec, exec, s[38:39]
	v_lshrrev_b32_e32 v4, 24, v4
	s_movk_i32 s38, 0x80
	v_and_or_b32 v4, v4, s38, v5
	global_store_byte v[2:3], v4, off
.LBB78_696:
	s_mov_b64 s[38:39], 0
.LBB78_697:
	s_andn2_b64 vcc, exec, s[38:39]
	s_cbranch_vccnz .LBB78_707
; %bb.698:
	v_xor_b32_e32 v5, v0, v1
	v_ffbh_i32_e32 v4, v1
	v_ashrrev_i32_e32 v5, 31, v5
	v_add_u32_e32 v4, -1, v4
	v_add_u32_e32 v5, 32, v5
	v_min_u32_e32 v6, v4, v5
	v_lshlrev_b64 v[4:5], v6, v[0:1]
	s_mov_b32 s38, 0x47800000
	v_min_u32_e32 v4, 1, v4
	v_or_b32_e32 v4, v5, v4
	v_cvt_f32_i32_e32 v4, v4
	v_sub_u32_e32 v5, 32, v6
	v_ldexp_f32 v4, v4, v5
	v_and_b32_e32 v6, 0x7fffffff, v4
	v_cmp_gt_u32_e32 vcc, s38, v6
                                        ; implicit-def: $vgpr5
	s_and_saveexec_b64 s[38:39], vcc
	s_xor_b64 s[38:39], exec, s[38:39]
	s_cbranch_execz .LBB78_704
; %bb.699:
	s_mov_b32 s40, 0x387fffff
	v_cmp_lt_u32_e32 vcc, s40, v6
                                        ; implicit-def: $vgpr5
	s_and_saveexec_b64 s[40:41], vcc
	s_xor_b64 s[40:41], exec, s[40:41]
; %bb.700:
	v_bfe_u32 v5, v4, 21, 1
	s_mov_b32 s42, 0x80fffff
	v_add3_u32 v5, v4, v5, s42
	v_lshrrev_b32_e32 v5, 21, v5
; %bb.701:
	s_andn2_saveexec_b64 s[40:41], s[40:41]
; %bb.702:
	s_mov_b32 s42, 0x43000000
	v_add_f32_e64 v5, |v4|, s42
; %bb.703:
	s_or_b64 exec, exec, s[40:41]
                                        ; implicit-def: $vgpr6
.LBB78_704:
	s_andn2_saveexec_b64 s[38:39], s[38:39]
; %bb.705:
	s_mov_b32 s40, 0x7f800000
	v_mov_b32_e32 v5, 0x7c
	v_mov_b32_e32 v7, 0x7f
	v_cmp_lt_u32_e32 vcc, s40, v6
	v_cndmask_b32_e32 v5, v5, v7, vcc
; %bb.706:
	s_or_b64 exec, exec, s[38:39]
	v_lshrrev_b32_e32 v4, 24, v4
	s_movk_i32 s38, 0x80
	v_and_or_b32 v4, v4, s38, v5
	global_store_byte v[2:3], v4, off
.LBB78_707:
	s_mov_b64 s[40:41], 0
	s_mov_b64 s[38:39], -1
.LBB78_708:
	s_andn2_b64 vcc, exec, s[40:41]
	s_cbranch_vccnz .LBB78_716
; %bb.709:
	s_cmp_gt_i32 s45, 14
	s_mov_b64 s[40:41], -1
	s_cbranch_scc0 .LBB78_713
; %bb.710:
	s_cmp_eq_u32 s45, 15
	s_mov_b64 s[2:3], -1
	s_cbranch_scc0 .LBB78_712
; %bb.711:
	v_xor_b32_e32 v5, v0, v1
	v_ffbh_i32_e32 v4, v1
	v_ashrrev_i32_e32 v5, 31, v5
	v_add_u32_e32 v4, -1, v4
	v_add_u32_e32 v5, 32, v5
	v_min_u32_e32 v6, v4, v5
	v_lshlrev_b64 v[4:5], v6, v[0:1]
	s_movk_i32 s2, 0x7fff
	v_min_u32_e32 v4, 1, v4
	v_or_b32_e32 v4, v5, v4
	v_cvt_f32_i32_e32 v4, v4
	v_sub_u32_e32 v5, 32, v6
	s_mov_b64 s[38:39], -1
	v_ldexp_f32 v4, v4, v5
	v_bfe_u32 v5, v4, 16, 1
	v_add3_u32 v4, v4, v5, s2
	global_store_short_d16_hi v[2:3], v4, off
	s_mov_b64 s[2:3], 0
.LBB78_712:
	s_mov_b64 s[40:41], 0
.LBB78_713:
	s_and_b64 vcc, exec, s[40:41]
	s_cbranch_vccz .LBB78_716
; %bb.714:
	s_cmp_eq_u32 s45, 11
	s_mov_b64 s[2:3], -1
	s_cbranch_scc0 .LBB78_716
; %bb.715:
	v_cmp_ne_u64_e32 vcc, 0, v[0:1]
	s_mov_b64 s[2:3], 0
	v_cndmask_b32_e64 v4, 0, 1, vcc
	s_mov_b64 s[38:39], -1
	global_store_byte v[2:3], v4, off
.LBB78_716:
	s_mov_b64 s[40:41], 0
.LBB78_717:
	s_and_b64 vcc, exec, s[40:41]
	s_cbranch_vccz .LBB78_756
; %bb.718:
	s_and_b32 s40, 0xffff, s44
	s_cmp_lt_i32 s40, 5
	s_mov_b64 s[38:39], -1
	s_cbranch_scc1 .LBB78_739
; %bb.719:
	s_cmp_lt_i32 s40, 8
	s_cbranch_scc1 .LBB78_729
; %bb.720:
	s_cmp_lt_i32 s40, 9
	s_cbranch_scc1 .LBB78_726
; %bb.721:
	s_cmp_gt_i32 s40, 9
	s_cbranch_scc0 .LBB78_723
; %bb.722:
	v_cvt_f64_i32_e32 v[4:5], v1
	v_cvt_f64_u32_e32 v[6:7], v0
	s_mov_b64 s[38:39], 0
	v_ldexp_f64 v[4:5], v[4:5], 32
	v_add_f64 v[4:5], v[4:5], v[6:7]
	v_mov_b32_e32 v6, 0
	v_mov_b32_e32 v7, v6
	global_store_dwordx4 v[2:3], v[4:7], off
.LBB78_723:
	s_andn2_b64 vcc, exec, s[38:39]
	s_cbranch_vccnz .LBB78_725
; %bb.724:
	v_xor_b32_e32 v5, v0, v1
	v_ffbh_i32_e32 v4, v1
	v_ashrrev_i32_e32 v5, 31, v5
	v_add_u32_e32 v4, -1, v4
	v_add_u32_e32 v5, 32, v5
	v_min_u32_e32 v6, v4, v5
	v_lshlrev_b64 v[4:5], v6, v[0:1]
	v_min_u32_e32 v4, 1, v4
	v_or_b32_e32 v4, v5, v4
	v_cvt_f32_i32_e32 v4, v4
	v_sub_u32_e32 v5, 32, v6
	v_ldexp_f32 v4, v4, v5
	v_mov_b32_e32 v5, 0
	global_store_dwordx2 v[2:3], v[4:5], off
.LBB78_725:
	s_mov_b64 s[38:39], 0
.LBB78_726:
	s_andn2_b64 vcc, exec, s[38:39]
	s_cbranch_vccnz .LBB78_728
; %bb.727:
	v_xor_b32_e32 v5, v0, v1
	v_ffbh_i32_e32 v4, v1
	v_ashrrev_i32_e32 v5, 31, v5
	v_add_u32_e32 v4, -1, v4
	v_add_u32_e32 v5, 32, v5
	v_min_u32_e32 v6, v4, v5
	v_lshlrev_b64 v[4:5], v6, v[0:1]
	v_min_u32_e32 v4, 1, v4
	v_or_b32_e32 v4, v5, v4
	v_cvt_f32_i32_e32 v4, v4
	v_sub_u32_e32 v5, 32, v6
	v_ldexp_f32 v4, v4, v5
	v_cvt_f16_f32_e32 v4, v4
	global_store_dword v[2:3], v4, off
.LBB78_728:
	s_mov_b64 s[38:39], 0
.LBB78_729:
	s_andn2_b64 vcc, exec, s[38:39]
	s_cbranch_vccnz .LBB78_738
; %bb.730:
	s_cmp_lt_i32 s40, 6
	s_mov_b64 s[38:39], -1
	s_cbranch_scc1 .LBB78_736
; %bb.731:
	s_cmp_gt_i32 s40, 6
	s_cbranch_scc0 .LBB78_733
; %bb.732:
	v_cvt_f64_i32_e32 v[4:5], v1
	v_cvt_f64_u32_e32 v[6:7], v0
	s_mov_b64 s[38:39], 0
	v_ldexp_f64 v[4:5], v[4:5], 32
	v_add_f64 v[4:5], v[4:5], v[6:7]
	global_store_dwordx2 v[2:3], v[4:5], off
.LBB78_733:
	s_andn2_b64 vcc, exec, s[38:39]
	s_cbranch_vccnz .LBB78_735
; %bb.734:
	v_xor_b32_e32 v5, v0, v1
	v_ffbh_i32_e32 v4, v1
	v_ashrrev_i32_e32 v5, 31, v5
	v_add_u32_e32 v4, -1, v4
	v_add_u32_e32 v5, 32, v5
	v_min_u32_e32 v6, v4, v5
	v_lshlrev_b64 v[4:5], v6, v[0:1]
	v_min_u32_e32 v4, 1, v4
	v_or_b32_e32 v4, v5, v4
	v_cvt_f32_i32_e32 v4, v4
	v_sub_u32_e32 v5, 32, v6
	v_ldexp_f32 v4, v4, v5
	global_store_dword v[2:3], v4, off
.LBB78_735:
	s_mov_b64 s[38:39], 0
.LBB78_736:
	s_andn2_b64 vcc, exec, s[38:39]
	s_cbranch_vccnz .LBB78_738
; %bb.737:
	v_xor_b32_e32 v5, v0, v1
	v_ffbh_i32_e32 v4, v1
	v_ashrrev_i32_e32 v5, 31, v5
	v_add_u32_e32 v4, -1, v4
	v_add_u32_e32 v5, 32, v5
	v_min_u32_e32 v6, v4, v5
	v_lshlrev_b64 v[4:5], v6, v[0:1]
	v_min_u32_e32 v4, 1, v4
	v_or_b32_e32 v4, v5, v4
	v_cvt_f32_i32_e32 v4, v4
	v_sub_u32_e32 v5, 32, v6
	v_ldexp_f32 v4, v4, v5
	v_cvt_f16_f32_e32 v4, v4
	global_store_short v[2:3], v4, off
.LBB78_738:
	s_mov_b64 s[38:39], 0
.LBB78_739:
	s_andn2_b64 vcc, exec, s[38:39]
	s_cbranch_vccnz .LBB78_755
; %bb.740:
	s_cmp_lt_i32 s40, 2
	s_mov_b64 s[38:39], -1
	s_cbranch_scc1 .LBB78_750
; %bb.741:
	s_cmp_lt_i32 s40, 3
	s_cbranch_scc1 .LBB78_747
; %bb.742:
	s_cmp_gt_i32 s40, 3
	s_cbranch_scc0 .LBB78_744
; %bb.743:
	s_mov_b64 s[38:39], 0
	global_store_dwordx2 v[2:3], v[0:1], off
.LBB78_744:
	s_andn2_b64 vcc, exec, s[38:39]
	s_cbranch_vccnz .LBB78_746
; %bb.745:
	global_store_dword v[2:3], v0, off
.LBB78_746:
	s_mov_b64 s[38:39], 0
.LBB78_747:
	s_andn2_b64 vcc, exec, s[38:39]
	s_cbranch_vccnz .LBB78_749
; %bb.748:
	global_store_short v[2:3], v0, off
.LBB78_749:
	s_mov_b64 s[38:39], 0
.LBB78_750:
	s_andn2_b64 vcc, exec, s[38:39]
	s_cbranch_vccnz .LBB78_755
; %bb.751:
	s_cmp_gt_i32 s40, 0
	s_mov_b64 s[38:39], -1
	s_cbranch_scc0 .LBB78_753
; %bb.752:
	s_mov_b64 s[38:39], 0
	global_store_byte v[2:3], v0, off
.LBB78_753:
	s_andn2_b64 vcc, exec, s[38:39]
	s_cbranch_vccnz .LBB78_755
; %bb.754:
	global_store_byte v[2:3], v0, off
.LBB78_755:
	s_mov_b64 s[38:39], -1
.LBB78_756:
	s_andn2_b64 vcc, exec, s[38:39]
	s_cbranch_vccnz .LBB78_758
; %bb.757:
	v_add_u32_e32 v10, 0x80, v10
	s_mov_b64 s[40:41], -1
	s_branch .LBB78_759
.LBB78_758:
	s_mov_b64 s[40:41], 0
                                        ; implicit-def: $vgpr10
.LBB78_759:
	s_andn2_b64 s[38:39], s[28:29], exec
	s_and_b64 s[2:3], s[2:3], exec
	s_or_b64 s[38:39], s[38:39], s[2:3]
	s_andn2_b64 s[2:3], s[26:27], exec
	s_and_b64 s[36:37], s[36:37], exec
	s_or_b64 s[2:3], s[2:3], s[36:37]
	s_orn2_b64 s[42:43], s[40:41], exec
.LBB78_760:
	s_or_b64 exec, exec, s[34:35]
	s_mov_b64 s[36:37], 0
	s_mov_b64 s[40:41], 0
	s_mov_b64 s[44:45], 0
                                        ; implicit-def: $vgpr0_vgpr1
                                        ; implicit-def: $vgpr4_vgpr5
	s_and_saveexec_b64 s[34:35], s[42:43]
	s_cbranch_execz .LBB78_841
; %bb.761:
	v_cmp_gt_i32_e32 vcc, s46, v10
	s_mov_b64 s[42:43], 0
	s_mov_b64 s[46:47], s[2:3]
	;; [unrolled: 1-line block ×3, first 2 shown]
                                        ; implicit-def: $vgpr0_vgpr1
                                        ; implicit-def: $vgpr4_vgpr5
	s_and_saveexec_b64 s[36:37], vcc
	s_cbranch_execz .LBB78_840
; %bb.762:
	v_mul_lo_u32 v0, v10, s17
	v_mov_b32_e32 v1, s11
	s_and_b32 s48, 0xffff, s50
	s_cmp_lt_i32 s48, 11
	s_waitcnt vmcnt(0)
	v_ashrrev_i32_e32 v2, 31, v0
	v_add_co_u32_e32 v0, vcc, s10, v0
	v_addc_co_u32_e32 v1, vcc, v1, v2, vcc
	s_cbranch_scc1 .LBB78_769
; %bb.763:
	s_cmp_gt_i32 s48, 25
	s_cbranch_scc0 .LBB78_770
; %bb.764:
	s_cmp_gt_i32 s48, 28
	s_cbranch_scc0 .LBB78_771
	;; [unrolled: 3-line block ×4, first 2 shown]
; %bb.767:
	s_cmp_eq_u32 s48, 46
	s_mov_b64 s[46:47], 0
	s_cbranch_scc0 .LBB78_778
; %bb.768:
	global_load_dword v2, v[0:1], off
	s_mov_b32 s40, 0x2f800000
	s_mov_b32 s41, 0xcf800000
	s_mov_b64 s[44:45], -1
	s_waitcnt vmcnt(0)
	v_lshlrev_b32_e32 v2, 16, v2
	v_trunc_f32_e32 v2, v2
	v_mul_f32_e64 v3, |v2|, s40
	v_floor_f32_e32 v3, v3
	v_fma_f32 v4, v3, s41, |v2|
	v_cvt_u32_f32_e32 v4, v4
	v_cvt_u32_f32_e32 v3, v3
	v_ashrrev_i32_e32 v2, 31, v2
	s_mov_b64 s[40:41], 0
	v_xor_b32_e32 v4, v4, v2
	v_xor_b32_e32 v3, v3, v2
	v_sub_co_u32_e32 v4, vcc, v4, v2
	v_subb_co_u32_e32 v5, vcc, v3, v2, vcc
	s_branch .LBB78_780
.LBB78_769:
	s_mov_b64 s[46:47], -1
                                        ; implicit-def: $vgpr4_vgpr5
	s_mov_b64 s[40:41], s[2:3]
	s_branch .LBB78_839
.LBB78_770:
	s_mov_b64 s[46:47], -1
	s_mov_b64 s[40:41], s[2:3]
                                        ; implicit-def: $vgpr4_vgpr5
	s_branch .LBB78_809
.LBB78_771:
	s_mov_b64 s[46:47], -1
	s_mov_b64 s[40:41], s[2:3]
                                        ; implicit-def: $vgpr4_vgpr5
	s_branch .LBB78_790
.LBB78_772:
	s_mov_b64 s[46:47], -1
	s_mov_b64 s[40:41], s[2:3]
                                        ; implicit-def: $vgpr4_vgpr5
	s_branch .LBB78_785
.LBB78_773:
	s_andn2_saveexec_b64 s[42:43], s[42:43]
	s_cbranch_execz .LBB78_669
.LBB78_774:
	s_mov_b32 s47, 0x46000000
	v_add_f32_e64 v5, |v4|, s47
	v_and_b32_e32 v5, 0xff, v5
	v_cmp_ne_u32_e32 vcc, 0, v5
	s_andn2_b64 s[40:41], s[40:41], exec
	s_and_b64 s[48:49], vcc, exec
	s_or_b64 s[40:41], s[40:41], s[48:49]
	s_or_b64 exec, exec, s[42:43]
	v_mov_b32_e32 v6, 0
	s_and_saveexec_b64 s[42:43], s[40:41]
	s_cbranch_execnz .LBB78_670
	s_branch .LBB78_671
.LBB78_775:
	s_mov_b64 s[46:47], -1
	s_mov_b64 s[40:41], s[2:3]
	s_branch .LBB78_779
.LBB78_776:
	s_andn2_saveexec_b64 s[42:43], s[42:43]
	s_cbranch_execz .LBB78_682
.LBB78_777:
	s_mov_b32 s47, 0x42800000
	v_add_f32_e64 v5, |v4|, s47
	v_and_b32_e32 v5, 0xff, v5
	v_cmp_ne_u32_e32 vcc, 0, v5
	s_andn2_b64 s[40:41], s[40:41], exec
	s_and_b64 s[48:49], vcc, exec
	s_or_b64 s[40:41], s[40:41], s[48:49]
	s_or_b64 exec, exec, s[42:43]
	v_mov_b32_e32 v6, 0
	s_and_saveexec_b64 s[42:43], s[40:41]
	s_cbranch_execnz .LBB78_683
	s_branch .LBB78_684
.LBB78_778:
	s_mov_b64 s[40:41], -1
.LBB78_779:
                                        ; implicit-def: $vgpr4_vgpr5
.LBB78_780:
	s_and_b64 vcc, exec, s[46:47]
	s_cbranch_vccz .LBB78_784
; %bb.781:
	s_cmp_eq_u32 s48, 44
	s_cbranch_scc0 .LBB78_783
; %bb.782:
	global_load_ubyte v2, v[0:1], off
	s_mov_b32 s40, 0x2f800000
	s_mov_b32 s41, 0xcf800000
	s_mov_b64 s[44:45], -1
	s_waitcnt vmcnt(0)
	v_lshlrev_b32_e32 v3, 23, v2
	v_trunc_f32_e32 v3, v3
	v_mul_f32_e64 v4, |v3|, s40
	v_floor_f32_e32 v4, v4
	v_fma_f32 v5, v4, s41, |v3|
	v_cvt_u32_f32_e32 v5, v5
	v_cvt_u32_f32_e32 v4, v4
	v_ashrrev_i32_e32 v3, 31, v3
	s_mov_b64 s[40:41], 0
	v_xor_b32_e32 v5, v5, v3
	v_xor_b32_e32 v4, v4, v3
	v_sub_co_u32_e32 v6, vcc, v5, v3
	v_subb_co_u32_e32 v3, vcc, v4, v3, vcc
	v_cmp_ne_u32_e32 vcc, 0, v2
	v_cndmask_b32_e32 v5, 0, v3, vcc
	v_cndmask_b32_e32 v4, 0, v6, vcc
	s_branch .LBB78_784
.LBB78_783:
	s_mov_b64 s[40:41], -1
                                        ; implicit-def: $vgpr4_vgpr5
.LBB78_784:
	s_mov_b64 s[46:47], 0
.LBB78_785:
	s_and_b64 vcc, exec, s[46:47]
	s_cbranch_vccz .LBB78_789
; %bb.786:
	s_cmp_eq_u32 s48, 29
	s_cbranch_scc0 .LBB78_788
; %bb.787:
	global_load_dwordx2 v[4:5], v[0:1], off
	s_mov_b64 s[40:41], 0
	s_mov_b64 s[44:45], -1
	s_branch .LBB78_789
.LBB78_788:
	s_mov_b64 s[40:41], -1
                                        ; implicit-def: $vgpr4_vgpr5
.LBB78_789:
	s_mov_b64 s[46:47], 0
.LBB78_790:
	s_and_b64 vcc, exec, s[46:47]
	s_cbranch_vccz .LBB78_808
; %bb.791:
	s_cmp_lt_i32 s48, 27
	s_cbranch_scc1 .LBB78_794
; %bb.792:
	s_cmp_gt_i32 s48, 27
	s_cbranch_scc0 .LBB78_795
; %bb.793:
	global_load_dword v4, v[0:1], off
	s_waitcnt vmcnt(1)
	v_mov_b32_e32 v5, 0
	s_mov_b64 s[44:45], 0
	s_branch .LBB78_796
.LBB78_794:
	s_mov_b64 s[44:45], -1
                                        ; implicit-def: $vgpr4_vgpr5
	s_branch .LBB78_799
.LBB78_795:
	s_mov_b64 s[44:45], -1
                                        ; implicit-def: $vgpr4_vgpr5
.LBB78_796:
	s_andn2_b64 vcc, exec, s[44:45]
	s_cbranch_vccnz .LBB78_798
; %bb.797:
	global_load_ushort v2, v[0:1], off
	s_mov_b32 s44, 0
	s_waitcnt vmcnt(1)
	v_mov_b32_e32 v5, s44
	s_waitcnt vmcnt(0)
	v_and_b32_e32 v4, 0xffff, v2
.LBB78_798:
	s_mov_b64 s[44:45], 0
.LBB78_799:
	s_andn2_b64 vcc, exec, s[44:45]
	s_cbranch_vccnz .LBB78_807
; %bb.800:
	global_load_ubyte v2, v[0:1], off
	s_movk_i32 s44, 0x7f
	s_mov_b64 s[46:47], 0
	s_waitcnt vmcnt(0)
	v_cmp_lt_i16_e32 vcc, s44, v2
	s_and_saveexec_b64 s[44:45], vcc
	s_xor_b64 s[44:45], exec, s[44:45]
; %bb.801:
	s_movk_i32 s46, 0x80
	v_cmp_ne_u16_e32 vcc, s46, v2
	s_and_b64 s[46:47], vcc, exec
; %bb.802:
	s_andn2_saveexec_b64 s[44:45], s[44:45]
; %bb.803:
	v_cmp_ne_u16_e32 vcc, 0, v2
	s_andn2_b64 s[46:47], s[46:47], exec
	s_and_b64 s[52:53], vcc, exec
	s_or_b64 s[46:47], s[46:47], s[52:53]
; %bb.804:
	s_or_b64 exec, exec, s[44:45]
	v_mov_b32_e32 v4, 0
	v_mov_b32_e32 v5, 0
	s_and_saveexec_b64 s[44:45], s[46:47]
	s_cbranch_execz .LBB78_806
; %bb.805:
	v_lshlrev_b32_e32 v3, 24, v2
	v_and_b32_e32 v2, 0xffff, v2
	v_and_b32_e32 v4, 7, v2
	v_ffbh_u32_e32 v6, v4
	v_min_u32_e32 v6, 32, v6
	v_subrev_u32_e32 v7, 28, v6
	v_bfe_u32 v5, v2, 3, 4
	v_lshlrev_b32_e32 v2, v7, v2
	v_sub_u32_e32 v6, 29, v6
	v_and_b32_e32 v2, 7, v2
	v_cmp_eq_u32_e32 vcc, 0, v5
	v_cndmask_b32_e32 v5, v5, v6, vcc
	v_cndmask_b32_e32 v2, v4, v2, vcc
	v_mov_b32_e32 v4, 0x3b800000
	v_lshlrev_b32_e32 v2, 20, v2
	v_and_b32_e32 v3, 0x80000000, v3
	v_lshl_add_u32 v4, v5, 23, v4
	v_or3_b32 v2, v3, v4, v2
	v_trunc_f32_e32 v2, v2
	s_mov_b32 s46, 0x2f800000
	v_mul_f32_e64 v3, |v2|, s46
	v_floor_f32_e32 v3, v3
	s_mov_b32 s46, 0xcf800000
	v_fma_f32 v4, v3, s46, |v2|
	v_cvt_u32_f32_e32 v4, v4
	v_cvt_u32_f32_e32 v3, v3
	v_ashrrev_i32_e32 v2, 31, v2
	v_xor_b32_e32 v4, v4, v2
	v_xor_b32_e32 v3, v3, v2
	v_sub_co_u32_e32 v4, vcc, v4, v2
	v_subb_co_u32_e32 v5, vcc, v3, v2, vcc
.LBB78_806:
	s_or_b64 exec, exec, s[44:45]
.LBB78_807:
	s_mov_b64 s[44:45], -1
.LBB78_808:
	s_mov_b64 s[46:47], 0
.LBB78_809:
	s_and_b64 vcc, exec, s[46:47]
	s_cbranch_vccz .LBB78_838
; %bb.810:
	s_cmp_gt_i32 s48, 22
	s_cbranch_scc0 .LBB78_820
; %bb.811:
	s_cmp_lt_i32 s48, 24
	s_cbranch_scc1 .LBB78_821
; %bb.812:
	s_cmp_gt_i32 s48, 24
	s_cbranch_scc0 .LBB78_822
; %bb.813:
	global_load_ubyte v2, v[0:1], off
	s_movk_i32 s42, 0x7f
	s_mov_b64 s[44:45], 0
	s_waitcnt vmcnt(0)
	v_cmp_lt_i16_e32 vcc, s42, v2
	s_and_saveexec_b64 s[42:43], vcc
	s_xor_b64 s[42:43], exec, s[42:43]
; %bb.814:
	s_movk_i32 s44, 0x80
	v_cmp_ne_u16_e32 vcc, s44, v2
	s_and_b64 s[44:45], vcc, exec
; %bb.815:
	s_andn2_saveexec_b64 s[42:43], s[42:43]
; %bb.816:
	v_cmp_ne_u16_e32 vcc, 0, v2
	s_andn2_b64 s[44:45], s[44:45], exec
	s_and_b64 s[46:47], vcc, exec
	s_or_b64 s[44:45], s[44:45], s[46:47]
; %bb.817:
	s_or_b64 exec, exec, s[42:43]
	v_mov_b32_e32 v4, 0
	v_mov_b32_e32 v5, 0
	s_and_saveexec_b64 s[42:43], s[44:45]
	s_cbranch_execz .LBB78_819
; %bb.818:
	v_lshlrev_b32_e32 v3, 24, v2
	v_and_b32_e32 v2, 0xffff, v2
	v_and_b32_e32 v4, 3, v2
	v_ffbh_u32_e32 v6, v4
	v_min_u32_e32 v6, 32, v6
	v_subrev_u32_e32 v7, 29, v6
	v_bfe_u32 v5, v2, 2, 5
	v_lshlrev_b32_e32 v2, v7, v2
	v_sub_u32_e32 v6, 30, v6
	v_and_b32_e32 v2, 3, v2
	v_cmp_eq_u32_e32 vcc, 0, v5
	v_cndmask_b32_e32 v5, v5, v6, vcc
	v_cndmask_b32_e32 v2, v4, v2, vcc
	v_mov_b32_e32 v4, 0x37800000
	v_lshlrev_b32_e32 v2, 21, v2
	v_and_b32_e32 v3, 0x80000000, v3
	v_lshl_add_u32 v4, v5, 23, v4
	v_or3_b32 v2, v3, v4, v2
	v_trunc_f32_e32 v2, v2
	s_mov_b32 s44, 0x2f800000
	v_mul_f32_e64 v3, |v2|, s44
	v_floor_f32_e32 v3, v3
	s_mov_b32 s44, 0xcf800000
	v_fma_f32 v4, v3, s44, |v2|
	v_cvt_u32_f32_e32 v4, v4
	v_cvt_u32_f32_e32 v3, v3
	v_ashrrev_i32_e32 v2, 31, v2
	v_xor_b32_e32 v4, v4, v2
	v_xor_b32_e32 v3, v3, v2
	v_sub_co_u32_e32 v4, vcc, v4, v2
	v_subb_co_u32_e32 v5, vcc, v3, v2, vcc
.LBB78_819:
	s_or_b64 exec, exec, s[42:43]
	s_mov_b64 s[42:43], 0
	s_branch .LBB78_823
.LBB78_820:
	s_mov_b64 s[42:43], -1
                                        ; implicit-def: $vgpr4_vgpr5
	s_branch .LBB78_829
.LBB78_821:
	s_mov_b64 s[42:43], -1
                                        ; implicit-def: $vgpr4_vgpr5
	s_branch .LBB78_826
.LBB78_822:
	s_mov_b64 s[42:43], -1
                                        ; implicit-def: $vgpr4_vgpr5
.LBB78_823:
	s_and_b64 vcc, exec, s[42:43]
	s_cbranch_vccz .LBB78_825
; %bb.824:
	global_load_ubyte v2, v[0:1], off
	s_mov_b32 s42, 0x7f800000
	s_brev_b32 s43, 1
	s_mov_b32 s44, 0x2f800000
	s_mov_b32 s45, 0xcf800000
	s_waitcnt vmcnt(0)
	v_lshlrev_b32_e32 v2, 24, v2
	v_and_b32_e32 v3, 0x7f000000, v2
	v_ffbh_u32_e32 v4, v3
	v_min_u32_e32 v4, 32, v4
	v_sub_u32_e64 v4, v4, 4 clamp
	v_lshlrev_b32_e32 v6, v4, v3
	v_lshlrev_b32_e32 v4, 23, v4
	v_lshrrev_b32_e32 v6, 4, v6
	v_add_u32_e32 v5, 0x1000000, v3
	v_sub_u32_e32 v4, v6, v4
	v_ashrrev_i32_e32 v5, 8, v5
	v_add_u32_e32 v4, 0x3c000000, v4
	v_and_or_b32 v4, v5, s42, v4
	v_cmp_ne_u32_e32 vcc, 0, v3
	v_cndmask_b32_e32 v3, 0, v4, vcc
	v_and_or_b32 v2, v2, s43, v3
	v_trunc_f32_e32 v2, v2
	v_mul_f32_e64 v3, |v2|, s44
	v_floor_f32_e32 v3, v3
	v_fma_f32 v4, v3, s45, |v2|
	v_cvt_u32_f32_e32 v4, v4
	v_cvt_u32_f32_e32 v3, v3
	v_ashrrev_i32_e32 v2, 31, v2
	v_xor_b32_e32 v4, v4, v2
	v_xor_b32_e32 v3, v3, v2
	v_sub_co_u32_e32 v4, vcc, v4, v2
	v_subb_co_u32_e32 v5, vcc, v3, v2, vcc
.LBB78_825:
	s_mov_b64 s[42:43], 0
.LBB78_826:
	s_andn2_b64 vcc, exec, s[42:43]
	s_cbranch_vccnz .LBB78_828
; %bb.827:
	global_load_ubyte v2, v[0:1], off
	s_movk_i32 s42, 0x7f00
	s_brev_b32 s43, 16
	s_brev_b32 s44, 1
	s_mov_b32 s45, 0x2f800000
	s_mov_b32 s46, 0xcf800000
	s_waitcnt vmcnt(0)
	v_lshlrev_b16_e32 v3, 8, v2
	v_lshlrev_b32_e32 v2, 25, v2
	v_lshrrev_b32_e32 v4, 4, v2
	v_and_or_b32 v5, v3, s42, 0.5
	v_or_b32_e32 v4, 0x70000000, v4
	v_add_f32_e32 v5, -0.5, v5
	v_mul_f32_e32 v4, 0x7800000, v4
	v_cmp_gt_u32_e32 vcc, s43, v2
	v_bfe_i32 v3, v3, 0, 16
	v_cndmask_b32_e32 v2, v4, v5, vcc
	v_and_or_b32 v2, v3, s44, v2
	v_trunc_f32_e32 v2, v2
	v_mul_f32_e64 v3, |v2|, s45
	v_floor_f32_e32 v3, v3
	v_fma_f32 v4, v3, s46, |v2|
	v_cvt_u32_f32_e32 v4, v4
	v_cvt_u32_f32_e32 v3, v3
	v_ashrrev_i32_e32 v2, 31, v2
	v_xor_b32_e32 v4, v4, v2
	v_xor_b32_e32 v3, v3, v2
	v_sub_co_u32_e32 v4, vcc, v4, v2
	v_subb_co_u32_e32 v5, vcc, v3, v2, vcc
.LBB78_828:
	s_mov_b64 s[42:43], 0
	s_mov_b64 s[44:45], -1
.LBB78_829:
	s_andn2_b64 vcc, exec, s[42:43]
	s_mov_b64 s[42:43], 0
	s_cbranch_vccnz .LBB78_838
; %bb.830:
	s_cmp_gt_i32 s48, 14
	s_cbranch_scc0 .LBB78_833
; %bb.831:
	s_cmp_eq_u32 s48, 15
	s_cbranch_scc0 .LBB78_834
; %bb.832:
	global_load_ushort v2, v[0:1], off
	s_mov_b32 s40, 0x2f800000
	s_mov_b32 s41, 0xcf800000
	s_mov_b64 s[44:45], -1
	s_waitcnt vmcnt(0)
	v_lshlrev_b32_e32 v2, 16, v2
	v_trunc_f32_e32 v2, v2
	v_mul_f32_e64 v3, |v2|, s40
	v_floor_f32_e32 v3, v3
	v_fma_f32 v4, v3, s41, |v2|
	v_cvt_u32_f32_e32 v4, v4
	v_cvt_u32_f32_e32 v3, v3
	v_ashrrev_i32_e32 v2, 31, v2
	s_mov_b64 s[40:41], 0
	v_xor_b32_e32 v4, v4, v2
	v_xor_b32_e32 v3, v3, v2
	v_sub_co_u32_e32 v4, vcc, v4, v2
	v_subb_co_u32_e32 v5, vcc, v3, v2, vcc
	s_branch .LBB78_835
.LBB78_833:
	s_mov_b64 s[46:47], -1
                                        ; implicit-def: $vgpr4_vgpr5
	s_branch .LBB78_836
.LBB78_834:
	s_mov_b64 s[40:41], -1
                                        ; implicit-def: $vgpr4_vgpr5
.LBB78_835:
	s_mov_b64 s[46:47], 0
.LBB78_836:
	s_and_b64 vcc, exec, s[46:47]
	s_cbranch_vccz .LBB78_838
; %bb.837:
	s_cmp_lg_u32 s48, 11
	s_cselect_b64 s[46:47], -1, 0
	s_andn2_b64 s[40:41], s[40:41], exec
	s_and_b64 s[46:47], s[46:47], exec
	s_mov_b64 s[42:43], -1
	s_or_b64 s[40:41], s[40:41], s[46:47]
.LBB78_838:
	s_mov_b64 s[46:47], 0
.LBB78_839:
	s_and_b64 s[48:49], s[46:47], exec
	s_andn2_b64 s[46:47], s[2:3], exec
	s_and_b64 s[40:41], s[40:41], exec
	s_and_b64 s[44:45], s[44:45], exec
	;; [unrolled: 1-line block ×3, first 2 shown]
	s_or_b64 s[46:47], s[46:47], s[40:41]
.LBB78_840:
	s_or_b64 exec, exec, s[36:37]
	s_and_b64 s[36:37], s[42:43], exec
	s_andn2_b64 s[2:3], s[2:3], exec
	s_and_b64 s[42:43], s[46:47], exec
	s_and_b64 s[44:45], s[44:45], exec
	;; [unrolled: 1-line block ×3, first 2 shown]
	s_or_b64 s[2:3], s[2:3], s[42:43]
.LBB78_841:
	s_or_b64 exec, exec, s[34:35]
	s_andn2_b64 s[28:29], s[28:29], exec
	s_and_b64 s[34:35], s[38:39], exec
	s_andn2_b64 s[26:27], s[26:27], exec
	s_and_b64 s[2:3], s[2:3], exec
	s_or_b64 s[28:29], s[28:29], s[34:35]
	s_and_b64 s[38:39], s[44:45], exec
	s_and_b64 s[34:35], s[40:41], exec
	;; [unrolled: 1-line block ×3, first 2 shown]
	s_or_b64 s[26:27], s[26:27], s[2:3]
.LBB78_842:
	s_or_b64 exec, exec, s[30:31]
	s_andn2_b64 s[2:3], s[20:21], exec
	s_and_b64 s[20:21], s[28:29], exec
	s_or_b64 s[20:21], s[2:3], s[20:21]
	s_andn2_b64 s[2:3], s[22:23], exec
	s_and_b64 s[22:23], s[26:27], exec
	s_and_b64 s[30:31], s[38:39], exec
	;; [unrolled: 1-line block ×4, first 2 shown]
	s_or_b64 s[22:23], s[2:3], s[22:23]
	s_or_b64 exec, exec, s[24:25]
	s_mov_b64 s[2:3], 0
	s_and_saveexec_b64 s[24:25], s[22:23]
	s_cbranch_execz .LBB78_258
.LBB78_843:
	s_mov_b64 s[2:3], exec
	s_andn2_b64 s[28:29], s[28:29], exec
	s_trap 2
	s_or_b64 exec, exec, s[24:25]
	s_and_saveexec_b64 s[22:23], s[28:29]
	s_xor_b64 s[22:23], exec, s[22:23]
	s_cbranch_execnz .LBB78_259
.LBB78_844:
	s_or_b64 exec, exec, s[22:23]
	s_and_saveexec_b64 s[22:23], s[34:35]
	s_cbranch_execz .LBB78_890
.LBB78_845:
	s_sext_i32_i16 s24, s50
	s_cmp_lt_i32 s24, 5
	s_cbranch_scc1 .LBB78_850
; %bb.846:
	s_cmp_lt_i32 s24, 8
	s_cbranch_scc1 .LBB78_851
; %bb.847:
	;; [unrolled: 3-line block ×3, first 2 shown]
	s_cmp_gt_i32 s24, 9
	s_cbranch_scc0 .LBB78_853
; %bb.849:
	global_load_dwordx2 v[2:3], v[0:1], off
	s_movk_i32 s24, 0xffe0
	s_waitcnt vmcnt(0)
	v_trunc_f64_e32 v[2:3], v[2:3]
	v_ldexp_f64 v[4:5], v[2:3], s24
	s_mov_b32 s24, 0
	s_mov_b32 s25, 0xc1f00000
	v_floor_f64_e32 v[4:5], v[4:5]
	v_fma_f64 v[2:3], v[4:5], s[24:25], v[2:3]
	v_cvt_i32_f64_e32 v5, v[4:5]
	s_mov_b64 s[24:25], 0
	v_cvt_u32_f64_e32 v4, v[2:3]
	s_branch .LBB78_854
.LBB78_850:
                                        ; implicit-def: $vgpr4_vgpr5
	s_branch .LBB78_871
.LBB78_851:
                                        ; implicit-def: $vgpr4_vgpr5
	s_branch .LBB78_860
.LBB78_852:
	s_mov_b64 s[24:25], -1
                                        ; implicit-def: $vgpr4_vgpr5
	s_branch .LBB78_857
.LBB78_853:
	s_mov_b64 s[24:25], -1
                                        ; implicit-def: $vgpr4_vgpr5
.LBB78_854:
	s_andn2_b64 vcc, exec, s[24:25]
	s_cbranch_vccnz .LBB78_856
; %bb.855:
	global_load_dword v2, v[0:1], off
	s_mov_b32 s24, 0x2f800000
	s_mov_b32 s25, 0xcf800000
	s_waitcnt vmcnt(0)
	v_trunc_f32_e32 v2, v2
	v_mul_f32_e64 v3, |v2|, s24
	v_floor_f32_e32 v3, v3
	v_cvt_u32_f32_e32 v4, v3
	v_fma_f32 v3, v3, s25, |v2|
	v_cvt_u32_f32_e32 v3, v3
	v_ashrrev_i32_e32 v2, 31, v2
	v_xor_b32_e32 v5, v4, v2
	v_xor_b32_e32 v3, v3, v2
	v_sub_co_u32_e32 v4, vcc, v3, v2
	v_subb_co_u32_e32 v5, vcc, v5, v2, vcc
.LBB78_856:
	s_mov_b64 s[24:25], 0
.LBB78_857:
	s_andn2_b64 vcc, exec, s[24:25]
	s_cbranch_vccnz .LBB78_859
; %bb.858:
	global_load_dword v2, v[0:1], off
	s_waitcnt vmcnt(0)
	v_cvt_f32_f16_e32 v2, v2
	v_cvt_i32_f32_e32 v4, v2
	v_ashrrev_i32_e32 v5, 31, v4
.LBB78_859:
	s_cbranch_execnz .LBB78_870
.LBB78_860:
	s_sext_i32_i16 s24, s50
	s_cmp_lt_i32 s24, 6
	s_cbranch_scc1 .LBB78_863
; %bb.861:
	s_cmp_gt_i32 s24, 6
	s_cbranch_scc0 .LBB78_864
; %bb.862:
	global_load_dwordx2 v[2:3], v[0:1], off
	s_movk_i32 s24, 0xffe0
	s_waitcnt vmcnt(0)
	v_trunc_f64_e32 v[2:3], v[2:3]
	v_ldexp_f64 v[4:5], v[2:3], s24
	s_mov_b32 s24, 0
	s_mov_b32 s25, 0xc1f00000
	v_floor_f64_e32 v[4:5], v[4:5]
	v_fma_f64 v[2:3], v[4:5], s[24:25], v[2:3]
	v_cvt_i32_f64_e32 v5, v[4:5]
	s_mov_b64 s[24:25], 0
	v_cvt_u32_f64_e32 v4, v[2:3]
	s_branch .LBB78_865
.LBB78_863:
	s_mov_b64 s[24:25], -1
                                        ; implicit-def: $vgpr4_vgpr5
	s_branch .LBB78_868
.LBB78_864:
	s_mov_b64 s[24:25], -1
                                        ; implicit-def: $vgpr4_vgpr5
.LBB78_865:
	s_andn2_b64 vcc, exec, s[24:25]
	s_cbranch_vccnz .LBB78_867
; %bb.866:
	global_load_dword v2, v[0:1], off
	s_mov_b32 s24, 0x2f800000
	s_mov_b32 s25, 0xcf800000
	s_waitcnt vmcnt(0)
	v_trunc_f32_e32 v2, v2
	v_mul_f32_e64 v3, |v2|, s24
	v_floor_f32_e32 v3, v3
	v_cvt_u32_f32_e32 v4, v3
	v_fma_f32 v3, v3, s25, |v2|
	v_cvt_u32_f32_e32 v3, v3
	v_ashrrev_i32_e32 v2, 31, v2
	v_xor_b32_e32 v5, v4, v2
	v_xor_b32_e32 v3, v3, v2
	v_sub_co_u32_e32 v4, vcc, v3, v2
	v_subb_co_u32_e32 v5, vcc, v5, v2, vcc
.LBB78_867:
	s_mov_b64 s[24:25], 0
.LBB78_868:
	s_andn2_b64 vcc, exec, s[24:25]
	s_cbranch_vccnz .LBB78_870
; %bb.869:
	global_load_ushort v2, v[0:1], off
	s_waitcnt vmcnt(0)
	v_cvt_f32_f16_e32 v2, v2
	v_cvt_i32_f32_e32 v4, v2
	v_ashrrev_i32_e32 v5, 31, v4
.LBB78_870:
	s_cbranch_execnz .LBB78_889
.LBB78_871:
	s_sext_i32_i16 s24, s50
	s_cmp_lt_i32 s24, 2
	s_cbranch_scc1 .LBB78_875
; %bb.872:
	s_cmp_lt_i32 s24, 3
	s_cbranch_scc1 .LBB78_876
; %bb.873:
	s_cmp_gt_i32 s24, 3
	s_cbranch_scc0 .LBB78_877
; %bb.874:
	global_load_dwordx2 v[4:5], v[0:1], off
	s_mov_b64 s[24:25], 0
	s_branch .LBB78_878
.LBB78_875:
                                        ; implicit-def: $vgpr4_vgpr5
	s_branch .LBB78_884
.LBB78_876:
	s_mov_b64 s[24:25], -1
                                        ; implicit-def: $vgpr4_vgpr5
	s_branch .LBB78_881
.LBB78_877:
	s_mov_b64 s[24:25], -1
                                        ; implicit-def: $vgpr4_vgpr5
.LBB78_878:
	s_andn2_b64 vcc, exec, s[24:25]
	s_cbranch_vccnz .LBB78_880
; %bb.879:
	global_load_dword v4, v[0:1], off
	s_waitcnt vmcnt(0)
	v_ashrrev_i32_e32 v5, 31, v4
.LBB78_880:
	s_mov_b64 s[24:25], 0
.LBB78_881:
	s_andn2_b64 vcc, exec, s[24:25]
	s_cbranch_vccnz .LBB78_883
; %bb.882:
	global_load_ushort v2, v[0:1], off
	s_waitcnt vmcnt(0)
	v_bfe_i32 v4, v2, 0, 16
	v_ashrrev_i32_e32 v5, 31, v4
.LBB78_883:
	s_cbranch_execnz .LBB78_889
.LBB78_884:
	s_sext_i32_i16 s24, s50
	s_cmp_gt_i32 s24, 0
	s_cbranch_scc0 .LBB78_886
; %bb.885:
	global_load_sbyte v2, v[0:1], off
	s_mov_b64 s[24:25], 0
	s_waitcnt vmcnt(0)
	v_bfe_i32 v4, v2, 0, 16
	v_ashrrev_i32_e32 v5, 31, v4
	s_branch .LBB78_887
.LBB78_886:
	s_mov_b64 s[24:25], -1
                                        ; implicit-def: $vgpr4_vgpr5
.LBB78_887:
	s_andn2_b64 vcc, exec, s[24:25]
	s_cbranch_vccnz .LBB78_889
; %bb.888:
	global_load_ubyte v0, v[0:1], off
	s_mov_b32 s24, 0
	s_waitcnt vmcnt(1)
	v_mov_b32_e32 v5, s24
	s_waitcnt vmcnt(0)
	v_and_b32_e32 v4, 0xffff, v0
.LBB78_889:
	s_or_b64 s[30:31], s[30:31], exec
.LBB78_890:
	s_or_b64 exec, exec, s[22:23]
	s_mov_b64 s[26:27], 0
	s_mov_b64 s[24:25], 0
                                        ; implicit-def: $sgpr34
                                        ; implicit-def: $vgpr2_vgpr3
                                        ; implicit-def: $vgpr0_vgpr1
	s_and_saveexec_b64 s[22:23], s[30:31]
	s_cbranch_execz .LBB78_898
; %bb.891:
	s_waitcnt vmcnt(0)
	v_mul_lo_u32 v2, v10, s16
	v_mov_b32_e32 v0, s15
	v_cndmask_b32_e64 v1, v0, v5, s[0:1]
	v_mov_b32_e32 v0, s14
	v_cndmask_b32_e64 v0, v0, v4, s[0:1]
	v_ashrrev_i32_e32 v3, 31, v2
	v_mov_b32_e32 v4, s9
	s_and_b32 s34, s33, 0xff
	v_add_co_u32_e32 v2, vcc, s8, v2
	s_cmp_lt_i32 s34, 11
	v_addc_co_u32_e32 v3, vcc, v4, v3, vcc
	s_cbranch_scc1 .LBB78_901
; %bb.892:
	s_and_b32 s35, 0xffff, s34
	s_mov_b64 s[26:27], -1
	s_cmp_gt_i32 s35, 25
	s_mov_b64 s[0:1], s[20:21]
	s_cbranch_scc0 .LBB78_929
; %bb.893:
	s_mov_b64 s[24:25], -1
	s_cmp_gt_i32 s35, 28
	s_mov_b64 s[0:1], s[20:21]
	s_cbranch_scc0 .LBB78_913
; %bb.894:
	s_cmp_gt_i32 s35, 43
	s_mov_b64 s[0:1], s[20:21]
	s_cbranch_scc0 .LBB78_909
; %bb.895:
	s_cmp_gt_i32 s35, 45
	s_mov_b64 s[0:1], s[20:21]
	s_cbranch_scc0 .LBB78_903
; %bb.896:
	s_cmp_eq_u32 s35, 46
	s_mov_b64 s[0:1], -1
	s_cbranch_scc0 .LBB78_902
; %bb.897:
	v_xor_b32_e32 v5, v0, v1
	v_ffbh_i32_e32 v4, v1
	v_ashrrev_i32_e32 v5, 31, v5
	v_add_u32_e32 v4, -1, v4
	v_add_u32_e32 v5, 32, v5
	v_min_u32_e32 v6, v4, v5
	v_lshlrev_b64 v[4:5], v6, v[0:1]
	s_movk_i32 s0, 0x7fff
	v_min_u32_e32 v4, 1, v4
	v_or_b32_e32 v4, v5, v4
	v_cvt_f32_i32_e32 v4, v4
	v_sub_u32_e32 v5, 32, v6
	s_mov_b64 s[24:25], 0
	v_ldexp_f32 v4, v4, v5
	v_bfe_u32 v5, v4, 16, 1
	v_add3_u32 v4, v4, v5, s0
	v_lshrrev_b32_e32 v4, 16, v4
	global_store_dword v[2:3], v4, off
	s_mov_b64 s[0:1], 0
	s_branch .LBB78_903
.LBB78_898:
	s_or_b64 exec, exec, s[22:23]
	s_and_saveexec_b64 s[0:1], s[20:21]
	s_cbranch_execnz .LBB78_971
.LBB78_899:
	s_or_b64 exec, exec, s[0:1]
	s_and_saveexec_b64 s[0:1], s[26:27]
	s_xor_b64 s[0:1], exec, s[0:1]
	s_cbranch_execz .LBB78_972
.LBB78_900:
	v_cmp_ne_u64_e32 vcc, 0, v[0:1]
	s_waitcnt vmcnt(0)
	v_cndmask_b32_e64 v4, 0, 1, vcc
	global_store_byte v[2:3], v4, off
	s_or_b64 exec, exec, s[0:1]
	s_and_saveexec_b64 s[0:1], s[24:25]
	s_xor_b64 s[0:1], exec, s[0:1]
	s_cbranch_execz .LBB78_1010
	s_branch .LBB78_973
.LBB78_901:
	s_mov_b64 s[24:25], -1
	s_mov_b64 s[0:1], s[20:21]
	s_branch .LBB78_970
.LBB78_902:
	s_mov_b64 s[24:25], 0
.LBB78_903:
	s_and_b64 vcc, exec, s[24:25]
	s_cbranch_vccz .LBB78_908
; %bb.904:
	s_cmp_eq_u32 s35, 44
	s_mov_b64 s[0:1], -1
	s_cbranch_scc0 .LBB78_908
; %bb.905:
	v_xor_b32_e32 v5, v0, v1
	v_ffbh_i32_e32 v4, v1
	v_ashrrev_i32_e32 v5, 31, v5
	v_add_u32_e32 v4, -1, v4
	v_add_u32_e32 v5, 32, v5
	v_min_u32_e32 v6, v4, v5
	v_lshlrev_b64 v[4:5], v6, v[0:1]
	s_movk_i32 s0, 0xff
	v_min_u32_e32 v4, 1, v4
	v_or_b32_e32 v4, v5, v4
	v_cvt_f32_i32_e32 v4, v4
	v_sub_u32_e32 v5, 32, v6
	v_mov_b32_e32 v6, 0xff
	v_ldexp_f32 v4, v4, v5
	v_bfe_u32 v5, v4, 23, 8
	v_cmp_ne_u32_e32 vcc, s0, v5
	s_and_saveexec_b64 s[24:25], vcc
; %bb.906:
	s_mov_b32 s0, 0x3fffff
	v_lshrrev_b32_e32 v6, 23, v4
	v_and_b32_e32 v7, 0x400000, v4
	v_and_or_b32 v4, v4, s0, v5
	v_cmp_ne_u32_e32 vcc, 0, v7
	v_cmp_ne_u32_e64 s[0:1], 0, v4
	s_and_b64 s[0:1], vcc, s[0:1]
	v_cndmask_b32_e64 v4, 0, 1, s[0:1]
	v_add_u32_e32 v6, v6, v4
; %bb.907:
	s_or_b64 exec, exec, s[24:25]
	s_mov_b64 s[0:1], 0
	global_store_byte v[2:3], v6, off
.LBB78_908:
	s_mov_b64 s[24:25], 0
.LBB78_909:
	s_and_b64 vcc, exec, s[24:25]
	s_cbranch_vccz .LBB78_912
; %bb.910:
	s_cmp_eq_u32 s35, 29
	s_mov_b64 s[0:1], -1
	s_cbranch_scc0 .LBB78_912
; %bb.911:
	global_store_dwordx2 v[2:3], v[0:1], off
	s_mov_b64 s[0:1], 0
.LBB78_912:
	s_mov_b64 s[24:25], 0
.LBB78_913:
	s_and_b64 vcc, exec, s[24:25]
	s_cbranch_vccz .LBB78_928
; %bb.914:
	s_cmp_lt_i32 s35, 27
	s_mov_b64 s[24:25], -1
	s_cbranch_scc1 .LBB78_920
; %bb.915:
	s_cmp_gt_i32 s35, 27
	s_cbranch_scc0 .LBB78_917
; %bb.916:
	s_mov_b64 s[24:25], 0
	global_store_dword v[2:3], v0, off
.LBB78_917:
	s_andn2_b64 vcc, exec, s[24:25]
	s_cbranch_vccnz .LBB78_919
; %bb.918:
	global_store_short v[2:3], v0, off
.LBB78_919:
	s_mov_b64 s[24:25], 0
.LBB78_920:
	s_andn2_b64 vcc, exec, s[24:25]
	s_cbranch_vccnz .LBB78_928
; %bb.921:
	v_xor_b32_e32 v5, v0, v1
	v_ffbh_i32_e32 v4, v1
	v_ashrrev_i32_e32 v5, 31, v5
	v_add_u32_e32 v4, -1, v4
	v_add_u32_e32 v5, 32, v5
	v_min_u32_e32 v6, v4, v5
	v_lshlrev_b64 v[4:5], v6, v[0:1]
	s_mov_b32 s24, 0x43800000
	v_min_u32_e32 v4, 1, v4
	v_or_b32_e32 v4, v5, v4
	v_cvt_f32_i32_e32 v4, v4
	v_sub_u32_e32 v5, 32, v6
	v_mov_b32_e32 v6, 0x80
	v_ldexp_f32 v4, v4, v5
	v_and_b32_e32 v5, 0x7fffffff, v4
	v_cmp_gt_u32_e32 vcc, s24, v5
	s_and_saveexec_b64 s[24:25], vcc
	s_cbranch_execz .LBB78_927
; %bb.922:
	s_mov_b32 s26, 0x3bffffff
	v_cmp_lt_u32_e32 vcc, s26, v5
	s_mov_b64 s[26:27], 0
                                        ; implicit-def: $vgpr5
	s_and_saveexec_b64 s[28:29], vcc
	s_xor_b64 s[28:29], exec, s[28:29]
	s_cbranch_execz .LBB78_1025
; %bb.923:
	v_bfe_u32 v5, v4, 20, 1
	s_mov_b32 s30, 0x487ffff
	v_add3_u32 v5, v4, v5, s30
	s_mov_b64 s[26:27], exec
	v_lshrrev_b32_e32 v5, 20, v5
	s_andn2_saveexec_b64 s[28:29], s[28:29]
	s_cbranch_execnz .LBB78_1026
.LBB78_924:
	s_or_b64 exec, exec, s[28:29]
	v_mov_b32_e32 v6, 0
	s_and_saveexec_b64 s[28:29], s[26:27]
.LBB78_925:
	v_lshrrev_b32_e32 v4, 24, v4
	s_movk_i32 s26, 0x80
	v_and_or_b32 v6, v4, s26, v5
.LBB78_926:
	s_or_b64 exec, exec, s[28:29]
.LBB78_927:
	s_or_b64 exec, exec, s[24:25]
	global_store_byte v[2:3], v6, off
.LBB78_928:
	s_mov_b64 s[26:27], 0
.LBB78_929:
	s_mov_b64 s[24:25], 0
	s_and_b64 vcc, exec, s[26:27]
	s_cbranch_vccz .LBB78_969
; %bb.930:
	s_cmp_gt_i32 s35, 22
	s_mov_b64 s[26:27], -1
	s_cbranch_scc0 .LBB78_962
; %bb.931:
	s_cmp_lt_i32 s35, 24
	s_cbranch_scc1 .LBB78_951
; %bb.932:
	s_cmp_gt_i32 s35, 24
	s_cbranch_scc0 .LBB78_940
; %bb.933:
	v_xor_b32_e32 v5, v0, v1
	v_ffbh_i32_e32 v4, v1
	v_ashrrev_i32_e32 v5, 31, v5
	v_add_u32_e32 v4, -1, v4
	v_add_u32_e32 v5, 32, v5
	v_min_u32_e32 v6, v4, v5
	v_lshlrev_b64 v[4:5], v6, v[0:1]
	s_mov_b32 s26, 0x47800000
	v_min_u32_e32 v4, 1, v4
	v_or_b32_e32 v4, v5, v4
	v_cvt_f32_i32_e32 v4, v4
	v_sub_u32_e32 v5, 32, v6
	v_mov_b32_e32 v6, 0x80
	v_ldexp_f32 v4, v4, v5
	v_and_b32_e32 v5, 0x7fffffff, v4
	v_cmp_gt_u32_e32 vcc, s26, v5
	s_and_saveexec_b64 s[26:27], vcc
	s_cbranch_execz .LBB78_939
; %bb.934:
	s_mov_b32 s28, 0x37ffffff
	v_cmp_lt_u32_e32 vcc, s28, v5
	s_mov_b64 s[28:29], 0
                                        ; implicit-def: $vgpr5
	s_and_saveexec_b64 s[30:31], vcc
	s_xor_b64 s[30:31], exec, s[30:31]
	s_cbranch_execz .LBB78_1146
; %bb.935:
	v_bfe_u32 v5, v4, 21, 1
	s_mov_b32 s36, 0x88fffff
	v_add3_u32 v5, v4, v5, s36
	s_mov_b64 s[28:29], exec
	v_lshrrev_b32_e32 v5, 21, v5
	s_andn2_saveexec_b64 s[30:31], s[30:31]
	s_cbranch_execnz .LBB78_1147
.LBB78_936:
	s_or_b64 exec, exec, s[30:31]
	v_mov_b32_e32 v6, 0
	s_and_saveexec_b64 s[30:31], s[28:29]
.LBB78_937:
	v_lshrrev_b32_e32 v4, 24, v4
	s_movk_i32 s28, 0x80
	v_and_or_b32 v6, v4, s28, v5
.LBB78_938:
	s_or_b64 exec, exec, s[30:31]
.LBB78_939:
	s_or_b64 exec, exec, s[26:27]
	s_mov_b64 s[26:27], 0
	global_store_byte v[2:3], v6, off
.LBB78_940:
	s_and_b64 vcc, exec, s[26:27]
	s_cbranch_vccz .LBB78_950
; %bb.941:
	v_xor_b32_e32 v5, v0, v1
	v_ffbh_i32_e32 v4, v1
	v_ashrrev_i32_e32 v5, 31, v5
	v_add_u32_e32 v4, -1, v4
	v_add_u32_e32 v5, 32, v5
	v_min_u32_e32 v6, v4, v5
	v_lshlrev_b64 v[4:5], v6, v[0:1]
	s_mov_b32 s26, 0x43f00000
	v_min_u32_e32 v4, 1, v4
	v_or_b32_e32 v4, v5, v4
	v_cvt_f32_i32_e32 v4, v4
	v_sub_u32_e32 v5, 32, v6
	v_ldexp_f32 v4, v4, v5
	v_and_b32_e32 v6, 0x7fffffff, v4
	v_cmp_gt_u32_e32 vcc, s26, v6
                                        ; implicit-def: $vgpr5
	s_and_saveexec_b64 s[26:27], vcc
	s_xor_b64 s[26:27], exec, s[26:27]
	s_cbranch_execz .LBB78_947
; %bb.942:
	s_mov_b32 s28, 0x3c7fffff
	v_cmp_lt_u32_e32 vcc, s28, v6
                                        ; implicit-def: $vgpr5
	s_and_saveexec_b64 s[28:29], vcc
	s_xor_b64 s[28:29], exec, s[28:29]
; %bb.943:
	v_bfe_u32 v5, v4, 20, 1
	s_mov_b32 s30, 0x407ffff
	v_add3_u32 v5, v4, v5, s30
	v_lshrrev_b32_e32 v6, 20, v5
	v_and_b32_e32 v5, 0xff00000, v5
	s_mov_b32 s30, 0x7f00000
	v_mov_b32_e32 v7, 0x7e
	v_cmp_ne_u32_e32 vcc, s30, v5
	v_cndmask_b32_e32 v5, v7, v6, vcc
; %bb.944:
	s_andn2_saveexec_b64 s[28:29], s[28:29]
; %bb.945:
	s_mov_b32 s30, 0x46800000
	v_add_f32_e64 v5, |v4|, s30
; %bb.946:
	s_or_b64 exec, exec, s[28:29]
                                        ; implicit-def: $vgpr6
.LBB78_947:
	s_andn2_saveexec_b64 s[26:27], s[26:27]
; %bb.948:
	s_mov_b32 s28, 0x7f800000
	v_mov_b32_e32 v5, 0x7e
	v_mov_b32_e32 v7, 0x7f
	v_cmp_lt_u32_e32 vcc, s28, v6
	v_cndmask_b32_e32 v5, v5, v7, vcc
; %bb.949:
	s_or_b64 exec, exec, s[26:27]
	v_lshrrev_b32_e32 v4, 24, v4
	s_movk_i32 s26, 0x80
	v_and_or_b32 v4, v4, s26, v5
	global_store_byte v[2:3], v4, off
.LBB78_950:
	s_mov_b64 s[26:27], 0
.LBB78_951:
	s_andn2_b64 vcc, exec, s[26:27]
	s_cbranch_vccnz .LBB78_961
; %bb.952:
	v_xor_b32_e32 v5, v0, v1
	v_ffbh_i32_e32 v4, v1
	v_ashrrev_i32_e32 v5, 31, v5
	v_add_u32_e32 v4, -1, v4
	v_add_u32_e32 v5, 32, v5
	v_min_u32_e32 v6, v4, v5
	v_lshlrev_b64 v[4:5], v6, v[0:1]
	s_mov_b32 s26, 0x47800000
	v_min_u32_e32 v4, 1, v4
	v_or_b32_e32 v4, v5, v4
	v_cvt_f32_i32_e32 v4, v4
	v_sub_u32_e32 v5, 32, v6
	v_ldexp_f32 v4, v4, v5
	v_and_b32_e32 v6, 0x7fffffff, v4
	v_cmp_gt_u32_e32 vcc, s26, v6
                                        ; implicit-def: $vgpr5
	s_and_saveexec_b64 s[26:27], vcc
	s_xor_b64 s[26:27], exec, s[26:27]
	s_cbranch_execz .LBB78_958
; %bb.953:
	s_mov_b32 s28, 0x387fffff
	v_cmp_lt_u32_e32 vcc, s28, v6
                                        ; implicit-def: $vgpr5
	s_and_saveexec_b64 s[28:29], vcc
	s_xor_b64 s[28:29], exec, s[28:29]
; %bb.954:
	v_bfe_u32 v5, v4, 21, 1
	s_mov_b32 s30, 0x80fffff
	v_add3_u32 v5, v4, v5, s30
	v_lshrrev_b32_e32 v5, 21, v5
; %bb.955:
	s_andn2_saveexec_b64 s[28:29], s[28:29]
; %bb.956:
	s_mov_b32 s30, 0x43000000
	v_add_f32_e64 v5, |v4|, s30
; %bb.957:
	s_or_b64 exec, exec, s[28:29]
                                        ; implicit-def: $vgpr6
.LBB78_958:
	s_andn2_saveexec_b64 s[26:27], s[26:27]
; %bb.959:
	s_mov_b32 s28, 0x7f800000
	v_mov_b32_e32 v5, 0x7c
	v_mov_b32_e32 v7, 0x7f
	v_cmp_lt_u32_e32 vcc, s28, v6
	v_cndmask_b32_e32 v5, v5, v7, vcc
; %bb.960:
	s_or_b64 exec, exec, s[26:27]
	v_lshrrev_b32_e32 v4, 24, v4
	s_movk_i32 s26, 0x80
	v_and_or_b32 v4, v4, s26, v5
	global_store_byte v[2:3], v4, off
.LBB78_961:
	s_mov_b64 s[26:27], 0
.LBB78_962:
	s_andn2_b64 vcc, exec, s[26:27]
	s_mov_b64 s[26:27], 0
	s_cbranch_vccnz .LBB78_970
; %bb.963:
	s_cmp_gt_i32 s35, 14
	s_mov_b64 s[28:29], -1
	s_cbranch_scc0 .LBB78_967
; %bb.964:
	s_cmp_eq_u32 s35, 15
	s_mov_b64 s[0:1], -1
	s_cbranch_scc0 .LBB78_966
; %bb.965:
	v_xor_b32_e32 v5, v0, v1
	v_ffbh_i32_e32 v4, v1
	v_ashrrev_i32_e32 v5, 31, v5
	v_add_u32_e32 v4, -1, v4
	v_add_u32_e32 v5, 32, v5
	v_min_u32_e32 v6, v4, v5
	v_lshlrev_b64 v[4:5], v6, v[0:1]
	s_movk_i32 s0, 0x7fff
	v_min_u32_e32 v4, 1, v4
	v_or_b32_e32 v4, v5, v4
	v_cvt_f32_i32_e32 v4, v4
	v_sub_u32_e32 v5, 32, v6
	v_ldexp_f32 v4, v4, v5
	v_bfe_u32 v5, v4, 16, 1
	v_add3_u32 v4, v4, v5, s0
	global_store_short_d16_hi v[2:3], v4, off
	s_mov_b64 s[0:1], 0
.LBB78_966:
	s_mov_b64 s[28:29], 0
.LBB78_967:
	s_and_b64 vcc, exec, s[28:29]
	s_cbranch_vccz .LBB78_970
; %bb.968:
	s_cmp_lg_u32 s35, 11
	s_cselect_b64 s[28:29], -1, 0
	s_andn2_b64 s[0:1], s[0:1], exec
	s_and_b64 s[28:29], s[28:29], exec
	s_mov_b64 s[26:27], -1
	s_or_b64 s[0:1], s[0:1], s[28:29]
	s_branch .LBB78_970
.LBB78_969:
	s_mov_b64 s[26:27], 0
.LBB78_970:
	s_andn2_b64 s[20:21], s[20:21], exec
	s_and_b64 s[0:1], s[0:1], exec
	s_and_b64 s[24:25], s[24:25], exec
	;; [unrolled: 1-line block ×3, first 2 shown]
	s_or_b64 s[20:21], s[20:21], s[0:1]
	s_or_b64 exec, exec, s[22:23]
	s_and_saveexec_b64 s[0:1], s[20:21]
	s_cbranch_execz .LBB78_899
.LBB78_971:
	s_or_b64 s[2:3], s[2:3], exec
	s_andn2_b64 s[26:27], s[26:27], exec
	s_trap 2
	s_or_b64 exec, exec, s[0:1]
	s_and_saveexec_b64 s[0:1], s[26:27]
	s_xor_b64 s[0:1], exec, s[0:1]
	s_cbranch_execnz .LBB78_900
.LBB78_972:
	s_or_b64 exec, exec, s[0:1]
	s_and_saveexec_b64 s[0:1], s[24:25]
	s_xor_b64 s[0:1], exec, s[0:1]
	s_cbranch_execz .LBB78_1010
.LBB78_973:
	s_sext_i32_i16 s22, s34
	s_cmp_lt_i32 s22, 5
	s_mov_b64 s[20:21], -1
	s_cbranch_scc1 .LBB78_994
; %bb.974:
	s_cmp_lt_i32 s22, 8
	s_cbranch_scc1 .LBB78_984
; %bb.975:
	s_cmp_lt_i32 s22, 9
	s_cbranch_scc1 .LBB78_981
; %bb.976:
	s_cmp_gt_i32 s22, 9
	s_cbranch_scc0 .LBB78_978
; %bb.977:
	s_waitcnt vmcnt(0)
	v_cvt_f64_i32_e32 v[4:5], v1
	v_cvt_f64_u32_e32 v[6:7], v0
	s_mov_b64 s[20:21], 0
	v_ldexp_f64 v[4:5], v[4:5], 32
	v_add_f64 v[4:5], v[4:5], v[6:7]
	v_mov_b32_e32 v6, 0
	v_mov_b32_e32 v7, v6
	global_store_dwordx4 v[2:3], v[4:7], off
.LBB78_978:
	s_andn2_b64 vcc, exec, s[20:21]
	s_cbranch_vccnz .LBB78_980
; %bb.979:
	s_waitcnt vmcnt(0)
	v_xor_b32_e32 v5, v0, v1
	v_ffbh_i32_e32 v4, v1
	v_ashrrev_i32_e32 v5, 31, v5
	v_add_u32_e32 v4, -1, v4
	v_add_u32_e32 v5, 32, v5
	v_min_u32_e32 v6, v4, v5
	v_lshlrev_b64 v[4:5], v6, v[0:1]
	v_min_u32_e32 v4, 1, v4
	v_or_b32_e32 v4, v5, v4
	v_cvt_f32_i32_e32 v4, v4
	v_sub_u32_e32 v5, 32, v6
	v_ldexp_f32 v4, v4, v5
	v_mov_b32_e32 v5, 0
	global_store_dwordx2 v[2:3], v[4:5], off
.LBB78_980:
	s_mov_b64 s[20:21], 0
.LBB78_981:
	s_andn2_b64 vcc, exec, s[20:21]
	s_cbranch_vccnz .LBB78_983
; %bb.982:
	s_waitcnt vmcnt(0)
	v_xor_b32_e32 v5, v0, v1
	v_ffbh_i32_e32 v4, v1
	v_ashrrev_i32_e32 v5, 31, v5
	v_add_u32_e32 v4, -1, v4
	v_add_u32_e32 v5, 32, v5
	v_min_u32_e32 v6, v4, v5
	v_lshlrev_b64 v[4:5], v6, v[0:1]
	v_min_u32_e32 v4, 1, v4
	v_or_b32_e32 v4, v5, v4
	v_cvt_f32_i32_e32 v4, v4
	v_sub_u32_e32 v5, 32, v6
	v_ldexp_f32 v4, v4, v5
	v_cvt_f16_f32_e32 v4, v4
	global_store_dword v[2:3], v4, off
.LBB78_983:
	s_mov_b64 s[20:21], 0
.LBB78_984:
	s_andn2_b64 vcc, exec, s[20:21]
	s_cbranch_vccnz .LBB78_993
; %bb.985:
	s_sext_i32_i16 s22, s34
	s_cmp_lt_i32 s22, 6
	s_mov_b64 s[20:21], -1
	s_cbranch_scc1 .LBB78_991
; %bb.986:
	s_cmp_gt_i32 s22, 6
	s_cbranch_scc0 .LBB78_988
; %bb.987:
	s_waitcnt vmcnt(0)
	v_cvt_f64_i32_e32 v[4:5], v1
	v_cvt_f64_u32_e32 v[6:7], v0
	s_mov_b64 s[20:21], 0
	v_ldexp_f64 v[4:5], v[4:5], 32
	v_add_f64 v[4:5], v[4:5], v[6:7]
	global_store_dwordx2 v[2:3], v[4:5], off
.LBB78_988:
	s_andn2_b64 vcc, exec, s[20:21]
	s_cbranch_vccnz .LBB78_990
; %bb.989:
	s_waitcnt vmcnt(0)
	v_xor_b32_e32 v5, v0, v1
	v_ffbh_i32_e32 v4, v1
	v_ashrrev_i32_e32 v5, 31, v5
	v_add_u32_e32 v4, -1, v4
	v_add_u32_e32 v5, 32, v5
	v_min_u32_e32 v6, v4, v5
	v_lshlrev_b64 v[4:5], v6, v[0:1]
	v_min_u32_e32 v4, 1, v4
	v_or_b32_e32 v4, v5, v4
	v_cvt_f32_i32_e32 v4, v4
	v_sub_u32_e32 v5, 32, v6
	v_ldexp_f32 v4, v4, v5
	global_store_dword v[2:3], v4, off
.LBB78_990:
	s_mov_b64 s[20:21], 0
.LBB78_991:
	s_andn2_b64 vcc, exec, s[20:21]
	s_cbranch_vccnz .LBB78_993
; %bb.992:
	s_waitcnt vmcnt(0)
	v_xor_b32_e32 v5, v0, v1
	v_ffbh_i32_e32 v4, v1
	v_ashrrev_i32_e32 v5, 31, v5
	v_add_u32_e32 v4, -1, v4
	v_add_u32_e32 v5, 32, v5
	v_min_u32_e32 v6, v4, v5
	v_lshlrev_b64 v[4:5], v6, v[0:1]
	v_min_u32_e32 v4, 1, v4
	v_or_b32_e32 v4, v5, v4
	v_cvt_f32_i32_e32 v4, v4
	v_sub_u32_e32 v5, 32, v6
	v_ldexp_f32 v4, v4, v5
	v_cvt_f16_f32_e32 v4, v4
	global_store_short v[2:3], v4, off
.LBB78_993:
	s_mov_b64 s[20:21], 0
.LBB78_994:
	s_andn2_b64 vcc, exec, s[20:21]
	s_cbranch_vccnz .LBB78_1010
; %bb.995:
	s_sext_i32_i16 s22, s34
	s_cmp_lt_i32 s22, 2
	s_mov_b64 s[20:21], -1
	s_cbranch_scc1 .LBB78_1005
; %bb.996:
	s_cmp_lt_i32 s22, 3
	s_cbranch_scc1 .LBB78_1002
; %bb.997:
	s_cmp_gt_i32 s22, 3
	s_cbranch_scc0 .LBB78_999
; %bb.998:
	s_mov_b64 s[20:21], 0
	s_waitcnt vmcnt(0)
	global_store_dwordx2 v[2:3], v[0:1], off
.LBB78_999:
	s_andn2_b64 vcc, exec, s[20:21]
	s_cbranch_vccnz .LBB78_1001
; %bb.1000:
	s_waitcnt vmcnt(0)
	global_store_dword v[2:3], v0, off
.LBB78_1001:
	s_mov_b64 s[20:21], 0
.LBB78_1002:
	s_andn2_b64 vcc, exec, s[20:21]
	s_cbranch_vccnz .LBB78_1004
; %bb.1003:
	s_waitcnt vmcnt(0)
	global_store_short v[2:3], v0, off
.LBB78_1004:
	s_mov_b64 s[20:21], 0
.LBB78_1005:
	s_andn2_b64 vcc, exec, s[20:21]
	s_cbranch_vccnz .LBB78_1010
; %bb.1006:
	s_sext_i32_i16 s20, s34
	s_cmp_gt_i32 s20, 0
	s_mov_b64 s[20:21], -1
	s_cbranch_scc0 .LBB78_1008
; %bb.1007:
	s_mov_b64 s[20:21], 0
	s_waitcnt vmcnt(0)
	global_store_byte v[2:3], v0, off
.LBB78_1008:
	s_andn2_b64 vcc, exec, s[20:21]
	s_cbranch_vccnz .LBB78_1010
; %bb.1009:
	s_waitcnt vmcnt(0)
	global_store_byte v[2:3], v0, off
.LBB78_1010:
	s_or_b64 exec, exec, s[0:1]
	s_and_b64 s[20:21], s[2:3], exec
                                        ; implicit-def: $vgpr10
.LBB78_1011:
	s_or_saveexec_b64 s[6:7], s[6:7]
	s_mov_b64 s[0:1], 0
                                        ; implicit-def: $sgpr24
                                        ; implicit-def: $vgpr2_vgpr3
                                        ; implicit-def: $vgpr0_vgpr1
	s_xor_b64 exec, exec, s[6:7]
	s_cbranch_execz .LBB78_1943
; %bb.1012:
	s_waitcnt vmcnt(0)
	v_mul_lo_u32 v4, s17, v10
	v_mov_b32_e32 v0, s11
	s_and_b32 s26, 0xffff, s50
	s_cmp_lt_i32 s26, 11
	v_ashrrev_i32_e32 v1, 31, v4
	v_add_co_u32_e32 v2, vcc, s10, v4
	v_addc_co_u32_e32 v3, vcc, v0, v1, vcc
	s_cbranch_scc1 .LBB78_1019
; %bb.1013:
	s_cmp_gt_i32 s26, 25
	s_mov_b64 s[2:3], 0
	s_cbranch_scc0 .LBB78_1021
; %bb.1014:
	s_cmp_gt_i32 s26, 28
	s_cbranch_scc0 .LBB78_1022
; %bb.1015:
	s_cmp_gt_i32 s26, 43
	;; [unrolled: 3-line block ×3, first 2 shown]
	s_cbranch_scc0 .LBB78_1024
; %bb.1017:
	s_cmp_eq_u32 s26, 46
	s_mov_b64 s[22:23], 0
	s_cbranch_scc0 .LBB78_1027
; %bb.1018:
	global_load_dword v0, v[2:3], off
	s_mov_b32 s0, 0x2f800000
	s_mov_b32 s1, 0xcf800000
	s_mov_b64 s[4:5], -1
	s_waitcnt vmcnt(0)
	v_lshlrev_b32_e32 v0, 16, v0
	v_trunc_f32_e32 v0, v0
	v_mul_f32_e64 v1, |v0|, s0
	v_floor_f32_e32 v1, v1
	v_fma_f32 v5, v1, s1, |v0|
	v_cvt_u32_f32_e32 v5, v5
	v_cvt_u32_f32_e32 v1, v1
	v_ashrrev_i32_e32 v6, 31, v0
	s_mov_b64 s[0:1], 0
	v_xor_b32_e32 v0, v5, v6
	v_xor_b32_e32 v1, v1, v6
	v_sub_co_u32_e32 v0, vcc, v0, v6
	v_subb_co_u32_e32 v1, vcc, v1, v6, vcc
	s_branch .LBB78_1029
.LBB78_1019:
                                        ; implicit-def: $vgpr0_vgpr1
	s_mov_b64 s[22:23], s[20:21]
	s_cbranch_execnz .LBB78_1087
.LBB78_1020:
	s_andn2_b64 vcc, exec, s[4:5]
	s_cbranch_vccz .LBB78_1132
	s_branch .LBB78_1941
.LBB78_1021:
                                        ; implicit-def: $vgpr0_vgpr1
	s_cbranch_execnz .LBB78_1056
	s_branch .LBB78_1083
.LBB78_1022:
                                        ; implicit-def: $vgpr0_vgpr1
	s_cbranch_execz .LBB78_1055
	s_branch .LBB78_1038
.LBB78_1023:
                                        ; implicit-def: $vgpr0_vgpr1
	s_cbranch_execnz .LBB78_1034
	s_branch .LBB78_1037
.LBB78_1024:
	s_mov_b64 s[22:23], -1
	s_branch .LBB78_1028
.LBB78_1025:
	s_andn2_saveexec_b64 s[28:29], s[28:29]
	s_cbranch_execz .LBB78_924
.LBB78_1026:
	s_mov_b32 s30, 0x46000000
	v_add_f32_e64 v5, |v4|, s30
	v_and_b32_e32 v5, 0xff, v5
	v_cmp_ne_u32_e32 vcc, 0, v5
	s_andn2_b64 s[26:27], s[26:27], exec
	s_and_b64 s[30:31], vcc, exec
	s_or_b64 s[26:27], s[26:27], s[30:31]
	s_or_b64 exec, exec, s[28:29]
	v_mov_b32_e32 v6, 0
	s_and_saveexec_b64 s[28:29], s[26:27]
	s_cbranch_execnz .LBB78_925
	s_branch .LBB78_926
.LBB78_1027:
	s_mov_b64 s[0:1], -1
.LBB78_1028:
                                        ; implicit-def: $vgpr0_vgpr1
.LBB78_1029:
	s_and_b64 vcc, exec, s[22:23]
	s_cbranch_vccz .LBB78_1032
; %bb.1030:
	s_cmp_eq_u32 s26, 44
	s_cbranch_scc0 .LBB78_1033
; %bb.1031:
	global_load_ubyte v0, v[2:3], off
	s_mov_b32 s0, 0x2f800000
	s_mov_b32 s1, 0xcf800000
	s_mov_b64 s[4:5], -1
	s_waitcnt vmcnt(0)
	v_lshlrev_b32_e32 v1, 23, v0
	v_trunc_f32_e32 v1, v1
	v_mul_f32_e64 v5, |v1|, s0
	v_floor_f32_e32 v5, v5
	v_fma_f32 v6, v5, s1, |v1|
	v_cvt_u32_f32_e32 v6, v6
	v_cvt_u32_f32_e32 v5, v5
	v_ashrrev_i32_e32 v1, 31, v1
	s_mov_b64 s[0:1], 0
	v_xor_b32_e32 v6, v6, v1
	v_xor_b32_e32 v5, v5, v1
	v_sub_co_u32_e32 v6, vcc, v6, v1
	v_subb_co_u32_e32 v1, vcc, v5, v1, vcc
	v_cmp_ne_u32_e32 vcc, 0, v0
	v_cndmask_b32_e32 v1, 0, v1, vcc
	v_cndmask_b32_e32 v0, 0, v6, vcc
.LBB78_1032:
	s_branch .LBB78_1037
.LBB78_1033:
	s_mov_b64 s[0:1], -1
                                        ; implicit-def: $vgpr0_vgpr1
	s_branch .LBB78_1037
.LBB78_1034:
	s_cmp_eq_u32 s26, 29
	s_cbranch_scc0 .LBB78_1036
; %bb.1035:
	global_load_dwordx2 v[0:1], v[2:3], off
	s_mov_b64 s[0:1], 0
	s_mov_b64 s[4:5], -1
	s_branch .LBB78_1037
.LBB78_1036:
	s_mov_b64 s[0:1], -1
                                        ; implicit-def: $vgpr0_vgpr1
.LBB78_1037:
	s_branch .LBB78_1055
.LBB78_1038:
	s_cmp_lt_i32 s26, 27
	s_cbranch_scc1 .LBB78_1041
; %bb.1039:
	s_cmp_gt_i32 s26, 27
	s_cbranch_scc0 .LBB78_1042
; %bb.1040:
	global_load_dword v0, v[2:3], off
	s_waitcnt vmcnt(1)
	v_mov_b32_e32 v1, 0
	s_mov_b64 s[4:5], 0
	s_branch .LBB78_1043
.LBB78_1041:
	s_mov_b64 s[4:5], -1
                                        ; implicit-def: $vgpr0_vgpr1
	s_branch .LBB78_1046
.LBB78_1042:
	s_mov_b64 s[4:5], -1
                                        ; implicit-def: $vgpr0_vgpr1
.LBB78_1043:
	s_andn2_b64 vcc, exec, s[4:5]
	s_cbranch_vccnz .LBB78_1045
; %bb.1044:
	global_load_ushort v0, v[2:3], off
	s_mov_b32 s4, 0
	s_waitcnt vmcnt(1)
	v_mov_b32_e32 v1, s4
	s_waitcnt vmcnt(0)
	v_and_b32_e32 v0, 0xffff, v0
.LBB78_1045:
	s_mov_b64 s[4:5], 0
.LBB78_1046:
	s_andn2_b64 vcc, exec, s[4:5]
	s_cbranch_vccnz .LBB78_1054
; %bb.1047:
	global_load_ubyte v5, v[2:3], off
	s_movk_i32 s4, 0x7f
	s_mov_b64 s[22:23], 0
	s_waitcnt vmcnt(0)
	v_cmp_lt_i16_e32 vcc, s4, v5
	s_and_saveexec_b64 s[4:5], vcc
	s_xor_b64 s[4:5], exec, s[4:5]
; %bb.1048:
	s_movk_i32 s22, 0x80
	v_cmp_ne_u16_e32 vcc, s22, v5
	s_and_b64 s[22:23], vcc, exec
; %bb.1049:
	s_andn2_saveexec_b64 s[4:5], s[4:5]
; %bb.1050:
	v_cmp_ne_u16_e32 vcc, 0, v5
	s_andn2_b64 s[22:23], s[22:23], exec
	s_and_b64 s[24:25], vcc, exec
	s_or_b64 s[22:23], s[22:23], s[24:25]
; %bb.1051:
	s_or_b64 exec, exec, s[4:5]
	v_mov_b32_e32 v0, 0
	v_mov_b32_e32 v1, 0
	s_and_saveexec_b64 s[4:5], s[22:23]
	s_cbranch_execz .LBB78_1053
; %bb.1052:
	v_and_b32_e32 v1, 0xffff, v5
	v_lshlrev_b32_e32 v0, 24, v5
	v_and_b32_e32 v5, 7, v1
	v_ffbh_u32_e32 v7, v5
	v_min_u32_e32 v7, 32, v7
	v_subrev_u32_e32 v8, 28, v7
	v_bfe_u32 v6, v1, 3, 4
	v_lshlrev_b32_e32 v1, v8, v1
	v_sub_u32_e32 v7, 29, v7
	v_and_b32_e32 v1, 7, v1
	v_cmp_eq_u32_e32 vcc, 0, v6
	v_cndmask_b32_e32 v6, v6, v7, vcc
	v_cndmask_b32_e32 v1, v5, v1, vcc
	v_mov_b32_e32 v5, 0x3b800000
	v_lshlrev_b32_e32 v1, 20, v1
	v_and_b32_e32 v0, 0x80000000, v0
	v_lshl_add_u32 v5, v6, 23, v5
	v_or3_b32 v0, v0, v5, v1
	v_trunc_f32_e32 v0, v0
	s_mov_b32 s22, 0x2f800000
	v_mul_f32_e64 v1, |v0|, s22
	v_floor_f32_e32 v1, v1
	s_mov_b32 s22, 0xcf800000
	v_fma_f32 v5, v1, s22, |v0|
	v_cvt_u32_f32_e32 v5, v5
	v_cvt_u32_f32_e32 v1, v1
	v_ashrrev_i32_e32 v6, 31, v0
	v_xor_b32_e32 v0, v5, v6
	v_xor_b32_e32 v1, v1, v6
	v_sub_co_u32_e32 v0, vcc, v0, v6
	v_subb_co_u32_e32 v1, vcc, v1, v6, vcc
.LBB78_1053:
	s_or_b64 exec, exec, s[4:5]
.LBB78_1054:
	s_mov_b64 s[4:5], -1
.LBB78_1055:
	s_branch .LBB78_1083
.LBB78_1056:
	s_cmp_gt_i32 s26, 22
	s_cbranch_scc0 .LBB78_1066
; %bb.1057:
	s_cmp_lt_i32 s26, 24
	s_cbranch_scc1 .LBB78_1067
; %bb.1058:
	s_cmp_gt_i32 s26, 24
	s_cbranch_scc0 .LBB78_1068
; %bb.1059:
	global_load_ubyte v5, v[2:3], off
	s_movk_i32 s2, 0x7f
	s_mov_b64 s[4:5], 0
	s_waitcnt vmcnt(0)
	v_cmp_lt_i16_e32 vcc, s2, v5
	s_and_saveexec_b64 s[2:3], vcc
	s_xor_b64 s[2:3], exec, s[2:3]
; %bb.1060:
	s_movk_i32 s4, 0x80
	v_cmp_ne_u16_e32 vcc, s4, v5
	s_and_b64 s[4:5], vcc, exec
; %bb.1061:
	s_andn2_saveexec_b64 s[2:3], s[2:3]
; %bb.1062:
	v_cmp_ne_u16_e32 vcc, 0, v5
	s_andn2_b64 s[4:5], s[4:5], exec
	s_and_b64 s[22:23], vcc, exec
	s_or_b64 s[4:5], s[4:5], s[22:23]
; %bb.1063:
	s_or_b64 exec, exec, s[2:3]
	v_mov_b32_e32 v0, 0
	v_mov_b32_e32 v1, 0
	s_and_saveexec_b64 s[2:3], s[4:5]
	s_cbranch_execz .LBB78_1065
; %bb.1064:
	v_and_b32_e32 v1, 0xffff, v5
	v_lshlrev_b32_e32 v0, 24, v5
	v_and_b32_e32 v5, 3, v1
	v_ffbh_u32_e32 v7, v5
	v_min_u32_e32 v7, 32, v7
	v_subrev_u32_e32 v8, 29, v7
	v_bfe_u32 v6, v1, 2, 5
	v_lshlrev_b32_e32 v1, v8, v1
	v_sub_u32_e32 v7, 30, v7
	v_and_b32_e32 v1, 3, v1
	v_cmp_eq_u32_e32 vcc, 0, v6
	v_cndmask_b32_e32 v6, v6, v7, vcc
	v_cndmask_b32_e32 v1, v5, v1, vcc
	v_mov_b32_e32 v5, 0x37800000
	v_lshlrev_b32_e32 v1, 21, v1
	v_and_b32_e32 v0, 0x80000000, v0
	v_lshl_add_u32 v5, v6, 23, v5
	v_or3_b32 v0, v0, v5, v1
	v_trunc_f32_e32 v0, v0
	s_mov_b32 s4, 0x2f800000
	v_mul_f32_e64 v1, |v0|, s4
	v_floor_f32_e32 v1, v1
	s_mov_b32 s4, 0xcf800000
	v_fma_f32 v5, v1, s4, |v0|
	v_cvt_u32_f32_e32 v5, v5
	v_cvt_u32_f32_e32 v1, v1
	v_ashrrev_i32_e32 v6, 31, v0
	v_xor_b32_e32 v0, v5, v6
	v_xor_b32_e32 v1, v1, v6
	v_sub_co_u32_e32 v0, vcc, v0, v6
	v_subb_co_u32_e32 v1, vcc, v1, v6, vcc
.LBB78_1065:
	s_or_b64 exec, exec, s[2:3]
	s_mov_b64 s[2:3], 0
	s_branch .LBB78_1069
.LBB78_1066:
                                        ; implicit-def: $vgpr0_vgpr1
	s_mov_b64 s[2:3], 0
	s_branch .LBB78_1075
.LBB78_1067:
	s_mov_b64 s[2:3], -1
                                        ; implicit-def: $vgpr0_vgpr1
	s_branch .LBB78_1072
.LBB78_1068:
	s_mov_b64 s[2:3], -1
                                        ; implicit-def: $vgpr0_vgpr1
.LBB78_1069:
	s_and_b64 vcc, exec, s[2:3]
	s_cbranch_vccz .LBB78_1071
; %bb.1070:
	global_load_ubyte v0, v[2:3], off
	s_mov_b32 s2, 0x7f800000
	s_brev_b32 s3, 1
	s_mov_b32 s4, 0x2f800000
	s_mov_b32 s5, 0xcf800000
	s_waitcnt vmcnt(0)
	v_lshlrev_b32_e32 v0, 24, v0
	v_and_b32_e32 v1, 0x7f000000, v0
	v_ffbh_u32_e32 v5, v1
	v_min_u32_e32 v5, 32, v5
	v_sub_u32_e64 v5, v5, 4 clamp
	v_lshlrev_b32_e32 v7, v5, v1
	v_lshlrev_b32_e32 v5, 23, v5
	v_lshrrev_b32_e32 v7, 4, v7
	v_add_u32_e32 v6, 0x1000000, v1
	v_sub_u32_e32 v5, v7, v5
	v_ashrrev_i32_e32 v6, 8, v6
	v_add_u32_e32 v5, 0x3c000000, v5
	v_and_or_b32 v5, v6, s2, v5
	v_cmp_ne_u32_e32 vcc, 0, v1
	v_cndmask_b32_e32 v1, 0, v5, vcc
	v_and_or_b32 v0, v0, s3, v1
	v_trunc_f32_e32 v0, v0
	v_mul_f32_e64 v1, |v0|, s4
	v_floor_f32_e32 v1, v1
	v_fma_f32 v5, v1, s5, |v0|
	v_cvt_u32_f32_e32 v5, v5
	v_cvt_u32_f32_e32 v1, v1
	v_ashrrev_i32_e32 v6, 31, v0
	v_xor_b32_e32 v0, v5, v6
	v_xor_b32_e32 v1, v1, v6
	v_sub_co_u32_e32 v0, vcc, v0, v6
	v_subb_co_u32_e32 v1, vcc, v1, v6, vcc
.LBB78_1071:
	s_mov_b64 s[2:3], 0
.LBB78_1072:
	s_andn2_b64 vcc, exec, s[2:3]
	s_cbranch_vccnz .LBB78_1074
; %bb.1073:
	global_load_ubyte v0, v[2:3], off
	s_movk_i32 s2, 0x7f00
	s_brev_b32 s3, 16
	s_brev_b32 s4, 1
	s_mov_b32 s5, 0x2f800000
	s_mov_b32 s22, 0xcf800000
	s_waitcnt vmcnt(0)
	v_lshlrev_b16_e32 v1, 8, v0
	v_lshlrev_b32_e32 v0, 25, v0
	v_lshrrev_b32_e32 v5, 4, v0
	v_and_or_b32 v6, v1, s2, 0.5
	v_or_b32_e32 v5, 0x70000000, v5
	v_add_f32_e32 v6, -0.5, v6
	v_mul_f32_e32 v5, 0x7800000, v5
	v_cmp_gt_u32_e32 vcc, s3, v0
	v_bfe_i32 v1, v1, 0, 16
	v_cndmask_b32_e32 v0, v5, v6, vcc
	v_and_or_b32 v0, v1, s4, v0
	v_trunc_f32_e32 v0, v0
	v_mul_f32_e64 v1, |v0|, s5
	v_floor_f32_e32 v1, v1
	v_fma_f32 v5, v1, s22, |v0|
	v_cvt_u32_f32_e32 v5, v5
	v_cvt_u32_f32_e32 v1, v1
	v_ashrrev_i32_e32 v6, 31, v0
	v_xor_b32_e32 v0, v5, v6
	v_xor_b32_e32 v1, v1, v6
	v_sub_co_u32_e32 v0, vcc, v0, v6
	v_subb_co_u32_e32 v1, vcc, v1, v6, vcc
.LBB78_1074:
	s_mov_b64 s[4:5], -1
	s_mov_b64 s[2:3], 0
	s_cbranch_execnz .LBB78_1083
.LBB78_1075:
	s_cmp_gt_i32 s26, 14
	s_cbranch_scc0 .LBB78_1078
; %bb.1076:
	s_cmp_eq_u32 s26, 15
	s_cbranch_scc0 .LBB78_1079
; %bb.1077:
	global_load_ushort v0, v[2:3], off
	s_mov_b32 s0, 0x2f800000
	s_mov_b32 s1, 0xcf800000
	s_mov_b64 s[4:5], -1
	s_waitcnt vmcnt(0)
	v_lshlrev_b32_e32 v0, 16, v0
	v_trunc_f32_e32 v0, v0
	v_mul_f32_e64 v1, |v0|, s0
	v_floor_f32_e32 v1, v1
	v_fma_f32 v5, v1, s1, |v0|
	v_cvt_u32_f32_e32 v5, v5
	v_cvt_u32_f32_e32 v1, v1
	v_ashrrev_i32_e32 v6, 31, v0
	s_mov_b64 s[0:1], 0
	v_xor_b32_e32 v0, v5, v6
	v_xor_b32_e32 v1, v1, v6
	v_sub_co_u32_e32 v0, vcc, v0, v6
	v_subb_co_u32_e32 v1, vcc, v1, v6, vcc
	s_branch .LBB78_1080
.LBB78_1078:
	s_mov_b64 s[22:23], -1
                                        ; implicit-def: $vgpr0_vgpr1
	s_branch .LBB78_1081
.LBB78_1079:
	s_mov_b64 s[0:1], -1
                                        ; implicit-def: $vgpr0_vgpr1
.LBB78_1080:
	s_mov_b64 s[22:23], 0
.LBB78_1081:
	s_and_b64 vcc, exec, s[22:23]
	s_cbranch_vccz .LBB78_1083
; %bb.1082:
	s_cmp_lg_u32 s26, 11
	s_mov_b64 s[2:3], -1
	s_cselect_b64 s[0:1], -1, 0
.LBB78_1083:
	s_and_b64 vcc, exec, s[0:1]
	s_mov_b64 s[22:23], s[20:21]
	s_cbranch_vccnz .LBB78_1144
; %bb.1084:
	s_andn2_b64 vcc, exec, s[2:3]
	s_cbranch_vccnz .LBB78_1086
.LBB78_1085:
	global_load_ubyte v0, v[2:3], off
	s_mov_b32 s0, 0
	s_waitcnt vmcnt(1)
	v_mov_b32_e32 v1, s0
	s_mov_b64 s[4:5], -1
	s_waitcnt vmcnt(0)
	v_cmp_ne_u16_e32 vcc, 0, v0
	v_cndmask_b32_e64 v0, 0, 1, vcc
.LBB78_1086:
	s_branch .LBB78_1020
.LBB78_1087:
	s_cmp_lt_i32 s26, 5
	s_cbranch_scc1 .LBB78_1092
; %bb.1088:
	s_cmp_lt_i32 s26, 8
	s_cbranch_scc1 .LBB78_1093
; %bb.1089:
	;; [unrolled: 3-line block ×3, first 2 shown]
	s_cmp_gt_i32 s26, 9
	s_cbranch_scc0 .LBB78_1095
; %bb.1091:
	global_load_dwordx2 v[0:1], v[2:3], off
	s_movk_i32 s0, 0xffe0
	s_waitcnt vmcnt(0)
	v_trunc_f64_e32 v[0:1], v[0:1]
	v_ldexp_f64 v[5:6], v[0:1], s0
	s_mov_b32 s0, 0
	s_mov_b32 s1, 0xc1f00000
	v_floor_f64_e32 v[5:6], v[5:6]
	v_fma_f64 v[7:8], v[5:6], s[0:1], v[0:1]
	v_cvt_i32_f64_e32 v1, v[5:6]
	s_mov_b64 s[0:1], 0
	v_cvt_u32_f64_e32 v0, v[7:8]
	s_branch .LBB78_1096
.LBB78_1092:
                                        ; implicit-def: $vgpr0_vgpr1
	s_branch .LBB78_1113
.LBB78_1093:
                                        ; implicit-def: $vgpr0_vgpr1
	s_branch .LBB78_1102
.LBB78_1094:
	s_mov_b64 s[0:1], -1
                                        ; implicit-def: $vgpr0_vgpr1
	s_branch .LBB78_1099
.LBB78_1095:
	s_mov_b64 s[0:1], -1
                                        ; implicit-def: $vgpr0_vgpr1
.LBB78_1096:
	s_andn2_b64 vcc, exec, s[0:1]
	s_cbranch_vccnz .LBB78_1098
; %bb.1097:
	global_load_dword v0, v[2:3], off
	s_mov_b32 s0, 0x2f800000
	s_mov_b32 s1, 0xcf800000
	s_waitcnt vmcnt(0)
	v_trunc_f32_e32 v0, v0
	v_mul_f32_e64 v1, |v0|, s0
	v_floor_f32_e32 v1, v1
	v_cvt_u32_f32_e32 v5, v1
	v_fma_f32 v1, v1, s1, |v0|
	v_cvt_u32_f32_e32 v1, v1
	v_ashrrev_i32_e32 v6, 31, v0
	v_xor_b32_e32 v5, v5, v6
	v_xor_b32_e32 v0, v1, v6
	v_sub_co_u32_e32 v0, vcc, v0, v6
	v_subb_co_u32_e32 v1, vcc, v5, v6, vcc
.LBB78_1098:
	s_mov_b64 s[0:1], 0
.LBB78_1099:
	s_andn2_b64 vcc, exec, s[0:1]
	s_cbranch_vccnz .LBB78_1101
; %bb.1100:
	global_load_dword v0, v[2:3], off
	s_waitcnt vmcnt(0)
	v_cvt_f32_f16_e32 v0, v0
	v_cvt_i32_f32_e32 v0, v0
	v_ashrrev_i32_e32 v1, 31, v0
.LBB78_1101:
	s_cbranch_execnz .LBB78_1112
.LBB78_1102:
	s_cmp_lt_i32 s26, 6
	s_cbranch_scc1 .LBB78_1105
; %bb.1103:
	s_cmp_gt_i32 s26, 6
	s_cbranch_scc0 .LBB78_1106
; %bb.1104:
	global_load_dwordx2 v[0:1], v[2:3], off
	s_movk_i32 s0, 0xffe0
	s_waitcnt vmcnt(0)
	v_trunc_f64_e32 v[0:1], v[0:1]
	v_ldexp_f64 v[5:6], v[0:1], s0
	s_mov_b32 s0, 0
	s_mov_b32 s1, 0xc1f00000
	v_floor_f64_e32 v[5:6], v[5:6]
	v_fma_f64 v[7:8], v[5:6], s[0:1], v[0:1]
	v_cvt_i32_f64_e32 v1, v[5:6]
	s_mov_b64 s[0:1], 0
	v_cvt_u32_f64_e32 v0, v[7:8]
	s_branch .LBB78_1107
.LBB78_1105:
	s_mov_b64 s[0:1], -1
                                        ; implicit-def: $vgpr0_vgpr1
	s_branch .LBB78_1110
.LBB78_1106:
	s_mov_b64 s[0:1], -1
                                        ; implicit-def: $vgpr0_vgpr1
.LBB78_1107:
	s_andn2_b64 vcc, exec, s[0:1]
	s_cbranch_vccnz .LBB78_1109
; %bb.1108:
	global_load_dword v0, v[2:3], off
	s_mov_b32 s0, 0x2f800000
	s_mov_b32 s1, 0xcf800000
	s_waitcnt vmcnt(0)
	v_trunc_f32_e32 v0, v0
	v_mul_f32_e64 v1, |v0|, s0
	v_floor_f32_e32 v1, v1
	v_cvt_u32_f32_e32 v5, v1
	v_fma_f32 v1, v1, s1, |v0|
	v_cvt_u32_f32_e32 v1, v1
	v_ashrrev_i32_e32 v6, 31, v0
	v_xor_b32_e32 v5, v5, v6
	v_xor_b32_e32 v0, v1, v6
	v_sub_co_u32_e32 v0, vcc, v0, v6
	v_subb_co_u32_e32 v1, vcc, v5, v6, vcc
.LBB78_1109:
	s_mov_b64 s[0:1], 0
.LBB78_1110:
	s_andn2_b64 vcc, exec, s[0:1]
	s_cbranch_vccnz .LBB78_1112
; %bb.1111:
	global_load_ushort v0, v[2:3], off
	s_waitcnt vmcnt(0)
	v_cvt_f32_f16_e32 v0, v0
	v_cvt_i32_f32_e32 v0, v0
	v_ashrrev_i32_e32 v1, 31, v0
.LBB78_1112:
	s_cbranch_execnz .LBB78_1131
.LBB78_1113:
	s_cmp_lt_i32 s26, 2
	s_cbranch_scc1 .LBB78_1117
; %bb.1114:
	s_cmp_lt_i32 s26, 3
	s_cbranch_scc1 .LBB78_1118
; %bb.1115:
	s_cmp_gt_i32 s26, 3
	s_cbranch_scc0 .LBB78_1119
; %bb.1116:
	global_load_dwordx2 v[0:1], v[2:3], off
	s_mov_b64 s[0:1], 0
	s_branch .LBB78_1120
.LBB78_1117:
                                        ; implicit-def: $vgpr0_vgpr1
	s_branch .LBB78_1126
.LBB78_1118:
	s_mov_b64 s[0:1], -1
                                        ; implicit-def: $vgpr0_vgpr1
	s_branch .LBB78_1123
.LBB78_1119:
	s_mov_b64 s[0:1], -1
                                        ; implicit-def: $vgpr0_vgpr1
.LBB78_1120:
	s_andn2_b64 vcc, exec, s[0:1]
	s_cbranch_vccnz .LBB78_1122
; %bb.1121:
	global_load_dword v0, v[2:3], off
	s_waitcnt vmcnt(0)
	v_ashrrev_i32_e32 v1, 31, v0
.LBB78_1122:
	s_mov_b64 s[0:1], 0
.LBB78_1123:
	s_andn2_b64 vcc, exec, s[0:1]
	s_cbranch_vccnz .LBB78_1125
; %bb.1124:
	global_load_ushort v0, v[2:3], off
	s_waitcnt vmcnt(0)
	v_bfe_i32 v0, v0, 0, 16
	v_ashrrev_i32_e32 v1, 31, v0
.LBB78_1125:
	s_cbranch_execnz .LBB78_1131
.LBB78_1126:
	s_cmp_gt_i32 s26, 0
	s_cbranch_scc0 .LBB78_1128
; %bb.1127:
	global_load_sbyte v0, v[2:3], off
	s_mov_b64 s[0:1], 0
	s_waitcnt vmcnt(0)
	v_bfe_i32 v0, v0, 0, 16
	v_ashrrev_i32_e32 v1, 31, v0
	s_branch .LBB78_1129
.LBB78_1128:
	s_mov_b64 s[0:1], -1
                                        ; implicit-def: $vgpr0_vgpr1
.LBB78_1129:
	s_andn2_b64 vcc, exec, s[0:1]
	s_cbranch_vccnz .LBB78_1131
; %bb.1130:
	global_load_ubyte v0, v[2:3], off
	s_mov_b32 s0, 0
	s_waitcnt vmcnt(1)
	v_mov_b32_e32 v1, s0
	s_waitcnt vmcnt(0)
	v_and_b32_e32 v0, 0xffff, v0
.LBB78_1131:
.LBB78_1132:
	s_lshl_b32 s17, s17, 7
	v_add_u32_e32 v6, s17, v4
	v_ashrrev_i32_e32 v2, 31, v6
	v_mov_b32_e32 v3, s11
	v_add_co_u32_e32 v4, vcc, s10, v6
	s_cmp_lt_i32 s26, 11
	v_addc_co_u32_e32 v5, vcc, v3, v2, vcc
	s_cbranch_scc1 .LBB78_1139
; %bb.1133:
	s_cmp_gt_i32 s26, 25
	s_mov_b64 s[2:3], 0
	s_cbranch_scc0 .LBB78_1141
; %bb.1134:
	s_cmp_gt_i32 s26, 28
	s_cbranch_scc0 .LBB78_1142
; %bb.1135:
	s_cmp_gt_i32 s26, 43
	s_cbranch_scc0 .LBB78_1143
; %bb.1136:
	s_cmp_gt_i32 s26, 45
	s_cbranch_scc0 .LBB78_1145
; %bb.1137:
	s_cmp_eq_u32 s26, 46
	s_mov_b64 s[24:25], 0
	s_cbranch_scc0 .LBB78_1148
; %bb.1138:
	global_load_dword v2, v[4:5], off
	s_mov_b32 s0, 0x2f800000
	s_mov_b32 s1, 0xcf800000
	s_mov_b64 s[4:5], -1
	s_waitcnt vmcnt(0)
	v_lshlrev_b32_e32 v2, 16, v2
	v_trunc_f32_e32 v2, v2
	v_mul_f32_e64 v3, |v2|, s0
	v_floor_f32_e32 v3, v3
	v_fma_f32 v7, v3, s1, |v2|
	v_cvt_u32_f32_e32 v7, v7
	v_cvt_u32_f32_e32 v3, v3
	v_ashrrev_i32_e32 v8, 31, v2
	s_mov_b64 s[0:1], 0
	v_xor_b32_e32 v2, v7, v8
	v_xor_b32_e32 v3, v3, v8
	v_sub_co_u32_e32 v2, vcc, v2, v8
	v_subb_co_u32_e32 v3, vcc, v3, v8, vcc
	s_branch .LBB78_1149
.LBB78_1139:
	s_mov_b64 s[4:5], 0
                                        ; implicit-def: $vgpr2_vgpr3
	s_cbranch_execnz .LBB78_1210
.LBB78_1140:
	s_andn2_b64 vcc, exec, s[4:5]
	s_cbranch_vccnz .LBB78_1941
	s_branch .LBB78_1257
.LBB78_1141:
	s_mov_b64 s[4:5], 0
	s_mov_b64 s[0:1], 0
                                        ; implicit-def: $vgpr2_vgpr3
	s_cbranch_execnz .LBB78_1178
	s_branch .LBB78_1206
.LBB78_1142:
	s_mov_b64 s[24:25], -1
	s_mov_b64 s[4:5], 0
	s_mov_b64 s[0:1], 0
                                        ; implicit-def: $vgpr2_vgpr3
	s_branch .LBB78_1159
.LBB78_1143:
	s_mov_b64 s[24:25], -1
	s_mov_b64 s[4:5], 0
	s_mov_b64 s[0:1], 0
                                        ; implicit-def: $vgpr2_vgpr3
	s_branch .LBB78_1154
.LBB78_1144:
	s_or_b64 s[22:23], s[20:21], exec
	s_trap 2
	s_cbranch_execz .LBB78_1085
	s_branch .LBB78_1086
.LBB78_1145:
	s_mov_b64 s[24:25], -1
	s_mov_b64 s[4:5], 0
	s_mov_b64 s[0:1], 0
                                        ; implicit-def: $vgpr2_vgpr3
	s_branch .LBB78_1149
.LBB78_1146:
	s_andn2_saveexec_b64 s[30:31], s[30:31]
	s_cbranch_execz .LBB78_936
.LBB78_1147:
	s_mov_b32 s36, 0x42800000
	v_add_f32_e64 v5, |v4|, s36
	v_and_b32_e32 v5, 0xff, v5
	v_cmp_ne_u32_e32 vcc, 0, v5
	s_andn2_b64 s[28:29], s[28:29], exec
	s_and_b64 s[36:37], vcc, exec
	s_or_b64 s[28:29], s[28:29], s[36:37]
	s_or_b64 exec, exec, s[30:31]
	v_mov_b32_e32 v6, 0
	s_and_saveexec_b64 s[30:31], s[28:29]
	s_cbranch_execnz .LBB78_937
	s_branch .LBB78_938
.LBB78_1148:
	s_mov_b64 s[0:1], -1
                                        ; implicit-def: $vgpr2_vgpr3
	s_mov_b64 s[4:5], 0
.LBB78_1149:
	s_and_b64 vcc, exec, s[24:25]
	s_cbranch_vccz .LBB78_1153
; %bb.1150:
	s_cmp_eq_u32 s26, 44
	s_cbranch_scc0 .LBB78_1152
; %bb.1151:
	global_load_ubyte v2, v[4:5], off
	s_mov_b32 s0, 0x2f800000
	s_mov_b32 s1, 0xcf800000
	s_mov_b64 s[4:5], -1
	s_waitcnt vmcnt(0)
	v_lshlrev_b32_e32 v3, 23, v2
	v_trunc_f32_e32 v3, v3
	v_mul_f32_e64 v7, |v3|, s0
	v_floor_f32_e32 v7, v7
	v_fma_f32 v8, v7, s1, |v3|
	v_cvt_u32_f32_e32 v8, v8
	v_cvt_u32_f32_e32 v7, v7
	v_ashrrev_i32_e32 v3, 31, v3
	s_mov_b64 s[0:1], 0
	v_xor_b32_e32 v8, v8, v3
	v_xor_b32_e32 v7, v7, v3
	v_sub_co_u32_e32 v8, vcc, v8, v3
	v_subb_co_u32_e32 v3, vcc, v7, v3, vcc
	v_cmp_ne_u32_e32 vcc, 0, v2
	v_cndmask_b32_e32 v3, 0, v3, vcc
	v_cndmask_b32_e32 v2, 0, v8, vcc
	s_branch .LBB78_1153
.LBB78_1152:
	s_mov_b64 s[0:1], -1
                                        ; implicit-def: $vgpr2_vgpr3
.LBB78_1153:
	s_mov_b64 s[24:25], 0
.LBB78_1154:
	s_and_b64 vcc, exec, s[24:25]
	s_cbranch_vccz .LBB78_1158
; %bb.1155:
	s_cmp_eq_u32 s26, 29
	s_cbranch_scc0 .LBB78_1157
; %bb.1156:
	global_load_dwordx2 v[2:3], v[4:5], off
	s_mov_b64 s[0:1], 0
	s_mov_b64 s[4:5], -1
	s_branch .LBB78_1158
.LBB78_1157:
	s_mov_b64 s[0:1], -1
                                        ; implicit-def: $vgpr2_vgpr3
.LBB78_1158:
	s_mov_b64 s[24:25], 0
.LBB78_1159:
	s_and_b64 vcc, exec, s[24:25]
	s_cbranch_vccz .LBB78_1177
; %bb.1160:
	s_cmp_lt_i32 s26, 27
	s_cbranch_scc1 .LBB78_1163
; %bb.1161:
	s_cmp_gt_i32 s26, 27
	s_cbranch_scc0 .LBB78_1164
; %bb.1162:
	global_load_dword v2, v[4:5], off
	s_waitcnt vmcnt(1)
	v_mov_b32_e32 v3, 0
	s_mov_b64 s[4:5], 0
	s_branch .LBB78_1165
.LBB78_1163:
	s_mov_b64 s[4:5], -1
                                        ; implicit-def: $vgpr2_vgpr3
	s_branch .LBB78_1168
.LBB78_1164:
	s_mov_b64 s[4:5], -1
                                        ; implicit-def: $vgpr2_vgpr3
.LBB78_1165:
	s_andn2_b64 vcc, exec, s[4:5]
	s_cbranch_vccnz .LBB78_1167
; %bb.1166:
	global_load_ushort v2, v[4:5], off
	s_mov_b32 s4, 0
	s_waitcnt vmcnt(1)
	v_mov_b32_e32 v3, s4
	s_waitcnt vmcnt(0)
	v_and_b32_e32 v2, 0xffff, v2
.LBB78_1167:
	s_mov_b64 s[4:5], 0
.LBB78_1168:
	s_andn2_b64 vcc, exec, s[4:5]
	s_cbranch_vccnz .LBB78_1176
; %bb.1169:
	global_load_ubyte v7, v[4:5], off
	s_movk_i32 s4, 0x7f
	s_mov_b64 s[24:25], 0
	s_waitcnt vmcnt(0)
	v_cmp_lt_i16_e32 vcc, s4, v7
	s_and_saveexec_b64 s[4:5], vcc
	s_xor_b64 s[4:5], exec, s[4:5]
; %bb.1170:
	s_movk_i32 s24, 0x80
	v_cmp_ne_u16_e32 vcc, s24, v7
	s_and_b64 s[24:25], vcc, exec
; %bb.1171:
	s_andn2_saveexec_b64 s[4:5], s[4:5]
; %bb.1172:
	v_cmp_ne_u16_e32 vcc, 0, v7
	s_andn2_b64 s[24:25], s[24:25], exec
	s_and_b64 s[28:29], vcc, exec
	s_or_b64 s[24:25], s[24:25], s[28:29]
; %bb.1173:
	s_or_b64 exec, exec, s[4:5]
	v_mov_b32_e32 v2, 0
	v_mov_b32_e32 v3, 0
	s_and_saveexec_b64 s[4:5], s[24:25]
	s_cbranch_execz .LBB78_1175
; %bb.1174:
	v_and_b32_e32 v3, 0xffff, v7
	v_lshlrev_b32_e32 v2, 24, v7
	v_and_b32_e32 v7, 7, v3
	v_ffbh_u32_e32 v9, v7
	v_min_u32_e32 v9, 32, v9
	v_subrev_u32_e32 v11, 28, v9
	v_bfe_u32 v8, v3, 3, 4
	v_lshlrev_b32_e32 v3, v11, v3
	v_sub_u32_e32 v9, 29, v9
	v_and_b32_e32 v3, 7, v3
	v_cmp_eq_u32_e32 vcc, 0, v8
	v_cndmask_b32_e32 v8, v8, v9, vcc
	v_cndmask_b32_e32 v3, v7, v3, vcc
	v_mov_b32_e32 v7, 0x3b800000
	v_lshlrev_b32_e32 v3, 20, v3
	v_and_b32_e32 v2, 0x80000000, v2
	v_lshl_add_u32 v7, v8, 23, v7
	v_or3_b32 v2, v2, v7, v3
	v_trunc_f32_e32 v2, v2
	s_mov_b32 s24, 0x2f800000
	v_mul_f32_e64 v3, |v2|, s24
	v_floor_f32_e32 v3, v3
	s_mov_b32 s24, 0xcf800000
	v_fma_f32 v7, v3, s24, |v2|
	v_cvt_u32_f32_e32 v7, v7
	v_cvt_u32_f32_e32 v3, v3
	v_ashrrev_i32_e32 v8, 31, v2
	v_xor_b32_e32 v2, v7, v8
	v_xor_b32_e32 v3, v3, v8
	v_sub_co_u32_e32 v2, vcc, v2, v8
	v_subb_co_u32_e32 v3, vcc, v3, v8, vcc
.LBB78_1175:
	s_or_b64 exec, exec, s[4:5]
.LBB78_1176:
	s_mov_b64 s[4:5], -1
.LBB78_1177:
	s_branch .LBB78_1206
.LBB78_1178:
	s_cmp_gt_i32 s26, 22
	s_cbranch_scc0 .LBB78_1188
; %bb.1179:
	s_cmp_lt_i32 s26, 24
	s_cbranch_scc1 .LBB78_1189
; %bb.1180:
	s_cmp_gt_i32 s26, 24
	s_cbranch_scc0 .LBB78_1190
; %bb.1181:
	global_load_ubyte v7, v[4:5], off
	s_movk_i32 s2, 0x7f
	s_mov_b64 s[4:5], 0
	s_waitcnt vmcnt(0)
	v_cmp_lt_i16_e32 vcc, s2, v7
	s_and_saveexec_b64 s[2:3], vcc
	s_xor_b64 s[2:3], exec, s[2:3]
; %bb.1182:
	s_movk_i32 s4, 0x80
	v_cmp_ne_u16_e32 vcc, s4, v7
	s_and_b64 s[4:5], vcc, exec
; %bb.1183:
	s_andn2_saveexec_b64 s[2:3], s[2:3]
; %bb.1184:
	v_cmp_ne_u16_e32 vcc, 0, v7
	s_andn2_b64 s[4:5], s[4:5], exec
	s_and_b64 s[24:25], vcc, exec
	s_or_b64 s[4:5], s[4:5], s[24:25]
; %bb.1185:
	s_or_b64 exec, exec, s[2:3]
	v_mov_b32_e32 v2, 0
	v_mov_b32_e32 v3, 0
	s_and_saveexec_b64 s[2:3], s[4:5]
	s_cbranch_execz .LBB78_1187
; %bb.1186:
	v_and_b32_e32 v3, 0xffff, v7
	v_lshlrev_b32_e32 v2, 24, v7
	v_and_b32_e32 v7, 3, v3
	v_ffbh_u32_e32 v9, v7
	v_min_u32_e32 v9, 32, v9
	v_subrev_u32_e32 v11, 29, v9
	v_bfe_u32 v8, v3, 2, 5
	v_lshlrev_b32_e32 v3, v11, v3
	v_sub_u32_e32 v9, 30, v9
	v_and_b32_e32 v3, 3, v3
	v_cmp_eq_u32_e32 vcc, 0, v8
	v_cndmask_b32_e32 v8, v8, v9, vcc
	v_cndmask_b32_e32 v3, v7, v3, vcc
	v_mov_b32_e32 v7, 0x37800000
	v_lshlrev_b32_e32 v3, 21, v3
	v_and_b32_e32 v2, 0x80000000, v2
	v_lshl_add_u32 v7, v8, 23, v7
	v_or3_b32 v2, v2, v7, v3
	v_trunc_f32_e32 v2, v2
	s_mov_b32 s4, 0x2f800000
	v_mul_f32_e64 v3, |v2|, s4
	v_floor_f32_e32 v3, v3
	s_mov_b32 s4, 0xcf800000
	v_fma_f32 v7, v3, s4, |v2|
	v_cvt_u32_f32_e32 v7, v7
	v_cvt_u32_f32_e32 v3, v3
	v_ashrrev_i32_e32 v8, 31, v2
	v_xor_b32_e32 v2, v7, v8
	v_xor_b32_e32 v3, v3, v8
	v_sub_co_u32_e32 v2, vcc, v2, v8
	v_subb_co_u32_e32 v3, vcc, v3, v8, vcc
.LBB78_1187:
	s_or_b64 exec, exec, s[2:3]
	s_mov_b64 s[2:3], 0
	s_branch .LBB78_1191
.LBB78_1188:
	s_mov_b64 s[2:3], -1
                                        ; implicit-def: $vgpr2_vgpr3
	s_branch .LBB78_1197
.LBB78_1189:
	s_mov_b64 s[2:3], -1
                                        ; implicit-def: $vgpr2_vgpr3
	s_branch .LBB78_1194
.LBB78_1190:
	s_mov_b64 s[2:3], -1
                                        ; implicit-def: $vgpr2_vgpr3
.LBB78_1191:
	s_and_b64 vcc, exec, s[2:3]
	s_cbranch_vccz .LBB78_1193
; %bb.1192:
	global_load_ubyte v2, v[4:5], off
	s_mov_b32 s2, 0x7f800000
	s_brev_b32 s3, 1
	s_mov_b32 s4, 0x2f800000
	s_mov_b32 s5, 0xcf800000
	s_waitcnt vmcnt(0)
	v_lshlrev_b32_e32 v2, 24, v2
	v_and_b32_e32 v3, 0x7f000000, v2
	v_ffbh_u32_e32 v7, v3
	v_min_u32_e32 v7, 32, v7
	v_sub_u32_e64 v7, v7, 4 clamp
	v_lshlrev_b32_e32 v9, v7, v3
	v_lshlrev_b32_e32 v7, 23, v7
	v_lshrrev_b32_e32 v9, 4, v9
	v_add_u32_e32 v8, 0x1000000, v3
	v_sub_u32_e32 v7, v9, v7
	v_ashrrev_i32_e32 v8, 8, v8
	v_add_u32_e32 v7, 0x3c000000, v7
	v_and_or_b32 v7, v8, s2, v7
	v_cmp_ne_u32_e32 vcc, 0, v3
	v_cndmask_b32_e32 v3, 0, v7, vcc
	v_and_or_b32 v2, v2, s3, v3
	v_trunc_f32_e32 v2, v2
	v_mul_f32_e64 v3, |v2|, s4
	v_floor_f32_e32 v3, v3
	v_fma_f32 v7, v3, s5, |v2|
	v_cvt_u32_f32_e32 v7, v7
	v_cvt_u32_f32_e32 v3, v3
	v_ashrrev_i32_e32 v8, 31, v2
	v_xor_b32_e32 v2, v7, v8
	v_xor_b32_e32 v3, v3, v8
	v_sub_co_u32_e32 v2, vcc, v2, v8
	v_subb_co_u32_e32 v3, vcc, v3, v8, vcc
.LBB78_1193:
	s_mov_b64 s[2:3], 0
.LBB78_1194:
	s_andn2_b64 vcc, exec, s[2:3]
	s_cbranch_vccnz .LBB78_1196
; %bb.1195:
	global_load_ubyte v2, v[4:5], off
	s_movk_i32 s2, 0x7f00
	s_brev_b32 s3, 16
	s_brev_b32 s4, 1
	s_mov_b32 s5, 0x2f800000
	s_mov_b32 s24, 0xcf800000
	s_waitcnt vmcnt(0)
	v_lshlrev_b16_e32 v3, 8, v2
	v_lshlrev_b32_e32 v2, 25, v2
	v_lshrrev_b32_e32 v7, 4, v2
	v_and_or_b32 v8, v3, s2, 0.5
	v_or_b32_e32 v7, 0x70000000, v7
	v_add_f32_e32 v8, -0.5, v8
	v_mul_f32_e32 v7, 0x7800000, v7
	v_cmp_gt_u32_e32 vcc, s3, v2
	v_bfe_i32 v3, v3, 0, 16
	v_cndmask_b32_e32 v2, v7, v8, vcc
	v_and_or_b32 v2, v3, s4, v2
	v_trunc_f32_e32 v2, v2
	v_mul_f32_e64 v3, |v2|, s5
	v_floor_f32_e32 v3, v3
	v_fma_f32 v7, v3, s24, |v2|
	v_cvt_u32_f32_e32 v7, v7
	v_cvt_u32_f32_e32 v3, v3
	v_ashrrev_i32_e32 v8, 31, v2
	v_xor_b32_e32 v2, v7, v8
	v_xor_b32_e32 v3, v3, v8
	v_sub_co_u32_e32 v2, vcc, v2, v8
	v_subb_co_u32_e32 v3, vcc, v3, v8, vcc
.LBB78_1196:
	s_mov_b64 s[2:3], 0
	s_mov_b64 s[4:5], -1
.LBB78_1197:
	s_andn2_b64 vcc, exec, s[2:3]
	s_mov_b64 s[2:3], 0
	s_cbranch_vccnz .LBB78_1206
; %bb.1198:
	s_cmp_gt_i32 s26, 14
	s_cbranch_scc0 .LBB78_1201
; %bb.1199:
	s_cmp_eq_u32 s26, 15
	s_cbranch_scc0 .LBB78_1202
; %bb.1200:
	global_load_ushort v2, v[4:5], off
	s_mov_b32 s0, 0x2f800000
	s_mov_b32 s1, 0xcf800000
	s_mov_b64 s[4:5], -1
	s_waitcnt vmcnt(0)
	v_lshlrev_b32_e32 v2, 16, v2
	v_trunc_f32_e32 v2, v2
	v_mul_f32_e64 v3, |v2|, s0
	v_floor_f32_e32 v3, v3
	v_fma_f32 v7, v3, s1, |v2|
	v_cvt_u32_f32_e32 v7, v7
	v_cvt_u32_f32_e32 v3, v3
	v_ashrrev_i32_e32 v8, 31, v2
	s_mov_b64 s[0:1], 0
	v_xor_b32_e32 v2, v7, v8
	v_xor_b32_e32 v3, v3, v8
	v_sub_co_u32_e32 v2, vcc, v2, v8
	v_subb_co_u32_e32 v3, vcc, v3, v8, vcc
	s_branch .LBB78_1203
.LBB78_1201:
	s_mov_b64 s[24:25], -1
                                        ; implicit-def: $vgpr2_vgpr3
	s_branch .LBB78_1204
.LBB78_1202:
	s_mov_b64 s[0:1], -1
                                        ; implicit-def: $vgpr2_vgpr3
.LBB78_1203:
	s_mov_b64 s[24:25], 0
.LBB78_1204:
	s_and_b64 vcc, exec, s[24:25]
	s_cbranch_vccz .LBB78_1206
; %bb.1205:
	s_cmp_lg_u32 s26, 11
	s_mov_b64 s[2:3], -1
	s_cselect_b64 s[0:1], -1, 0
.LBB78_1206:
	s_and_b64 vcc, exec, s[0:1]
	s_cbranch_vccnz .LBB78_1269
; %bb.1207:
	s_andn2_b64 vcc, exec, s[2:3]
	s_cbranch_vccnz .LBB78_1209
.LBB78_1208:
	global_load_ubyte v2, v[4:5], off
	s_mov_b32 s0, 0
	s_waitcnt vmcnt(1)
	v_mov_b32_e32 v3, s0
	s_mov_b64 s[4:5], -1
	s_waitcnt vmcnt(0)
	v_cmp_ne_u16_e32 vcc, 0, v2
	v_cndmask_b32_e64 v2, 0, 1, vcc
.LBB78_1209:
	s_branch .LBB78_1140
.LBB78_1210:
	s_cmp_lt_i32 s26, 5
	s_cbranch_scc1 .LBB78_1215
; %bb.1211:
	s_cmp_lt_i32 s26, 8
	s_cbranch_scc1 .LBB78_1216
; %bb.1212:
	;; [unrolled: 3-line block ×3, first 2 shown]
	s_cmp_gt_i32 s26, 9
	s_cbranch_scc0 .LBB78_1218
; %bb.1214:
	global_load_dwordx2 v[2:3], v[4:5], off
	s_movk_i32 s0, 0xffe0
	s_waitcnt vmcnt(0)
	v_trunc_f64_e32 v[2:3], v[2:3]
	v_ldexp_f64 v[7:8], v[2:3], s0
	s_mov_b32 s0, 0
	s_mov_b32 s1, 0xc1f00000
	v_floor_f64_e32 v[7:8], v[7:8]
	v_fma_f64 v[11:12], v[7:8], s[0:1], v[2:3]
	v_cvt_i32_f64_e32 v3, v[7:8]
	s_mov_b64 s[0:1], 0
	v_cvt_u32_f64_e32 v2, v[11:12]
	s_branch .LBB78_1219
.LBB78_1215:
                                        ; implicit-def: $vgpr2_vgpr3
	s_branch .LBB78_1237
.LBB78_1216:
	s_mov_b64 s[0:1], -1
                                        ; implicit-def: $vgpr2_vgpr3
	s_branch .LBB78_1225
.LBB78_1217:
	s_mov_b64 s[0:1], -1
                                        ; implicit-def: $vgpr2_vgpr3
	s_branch .LBB78_1222
.LBB78_1218:
	s_mov_b64 s[0:1], -1
                                        ; implicit-def: $vgpr2_vgpr3
.LBB78_1219:
	s_andn2_b64 vcc, exec, s[0:1]
	s_cbranch_vccnz .LBB78_1221
; %bb.1220:
	global_load_dword v2, v[4:5], off
	s_mov_b32 s0, 0x2f800000
	s_mov_b32 s1, 0xcf800000
	s_waitcnt vmcnt(0)
	v_trunc_f32_e32 v2, v2
	v_mul_f32_e64 v3, |v2|, s0
	v_floor_f32_e32 v3, v3
	v_cvt_u32_f32_e32 v7, v3
	v_fma_f32 v3, v3, s1, |v2|
	v_cvt_u32_f32_e32 v3, v3
	v_ashrrev_i32_e32 v8, 31, v2
	v_xor_b32_e32 v7, v7, v8
	v_xor_b32_e32 v2, v3, v8
	v_sub_co_u32_e32 v2, vcc, v2, v8
	v_subb_co_u32_e32 v3, vcc, v7, v8, vcc
.LBB78_1221:
	s_mov_b64 s[0:1], 0
.LBB78_1222:
	s_andn2_b64 vcc, exec, s[0:1]
	s_cbranch_vccnz .LBB78_1224
; %bb.1223:
	global_load_dword v2, v[4:5], off
	s_waitcnt vmcnt(0)
	v_cvt_f32_f16_e32 v2, v2
	v_cvt_i32_f32_e32 v2, v2
	v_ashrrev_i32_e32 v3, 31, v2
.LBB78_1224:
	s_mov_b64 s[0:1], 0
.LBB78_1225:
	s_andn2_b64 vcc, exec, s[0:1]
	s_cbranch_vccnz .LBB78_1236
; %bb.1226:
	s_cmp_lt_i32 s26, 6
	s_cbranch_scc1 .LBB78_1229
; %bb.1227:
	s_cmp_gt_i32 s26, 6
	s_cbranch_scc0 .LBB78_1230
; %bb.1228:
	global_load_dwordx2 v[2:3], v[4:5], off
	s_movk_i32 s0, 0xffe0
	s_waitcnt vmcnt(0)
	v_trunc_f64_e32 v[2:3], v[2:3]
	v_ldexp_f64 v[7:8], v[2:3], s0
	s_mov_b32 s0, 0
	s_mov_b32 s1, 0xc1f00000
	v_floor_f64_e32 v[7:8], v[7:8]
	v_fma_f64 v[11:12], v[7:8], s[0:1], v[2:3]
	v_cvt_i32_f64_e32 v3, v[7:8]
	s_mov_b64 s[0:1], 0
	v_cvt_u32_f64_e32 v2, v[11:12]
	s_branch .LBB78_1231
.LBB78_1229:
	s_mov_b64 s[0:1], -1
                                        ; implicit-def: $vgpr2_vgpr3
	s_branch .LBB78_1234
.LBB78_1230:
	s_mov_b64 s[0:1], -1
                                        ; implicit-def: $vgpr2_vgpr3
.LBB78_1231:
	s_andn2_b64 vcc, exec, s[0:1]
	s_cbranch_vccnz .LBB78_1233
; %bb.1232:
	global_load_dword v2, v[4:5], off
	s_mov_b32 s0, 0x2f800000
	s_mov_b32 s1, 0xcf800000
	s_waitcnt vmcnt(0)
	v_trunc_f32_e32 v2, v2
	v_mul_f32_e64 v3, |v2|, s0
	v_floor_f32_e32 v3, v3
	v_cvt_u32_f32_e32 v7, v3
	v_fma_f32 v3, v3, s1, |v2|
	v_cvt_u32_f32_e32 v3, v3
	v_ashrrev_i32_e32 v8, 31, v2
	v_xor_b32_e32 v7, v7, v8
	v_xor_b32_e32 v2, v3, v8
	v_sub_co_u32_e32 v2, vcc, v2, v8
	v_subb_co_u32_e32 v3, vcc, v7, v8, vcc
.LBB78_1233:
	s_mov_b64 s[0:1], 0
.LBB78_1234:
	s_andn2_b64 vcc, exec, s[0:1]
	s_cbranch_vccnz .LBB78_1236
; %bb.1235:
	global_load_ushort v2, v[4:5], off
	s_waitcnt vmcnt(0)
	v_cvt_f32_f16_e32 v2, v2
	v_cvt_i32_f32_e32 v2, v2
	v_ashrrev_i32_e32 v3, 31, v2
.LBB78_1236:
	s_cbranch_execnz .LBB78_1256
.LBB78_1237:
	s_cmp_lt_i32 s26, 2
	s_cbranch_scc1 .LBB78_1241
; %bb.1238:
	s_cmp_lt_i32 s26, 3
	s_cbranch_scc1 .LBB78_1242
; %bb.1239:
	s_cmp_gt_i32 s26, 3
	s_cbranch_scc0 .LBB78_1243
; %bb.1240:
	global_load_dwordx2 v[2:3], v[4:5], off
	s_mov_b64 s[0:1], 0
	s_branch .LBB78_1244
.LBB78_1241:
	s_mov_b64 s[0:1], -1
                                        ; implicit-def: $vgpr2_vgpr3
	s_branch .LBB78_1250
.LBB78_1242:
	s_mov_b64 s[0:1], -1
                                        ; implicit-def: $vgpr2_vgpr3
	s_branch .LBB78_1247
.LBB78_1243:
	s_mov_b64 s[0:1], -1
                                        ; implicit-def: $vgpr2_vgpr3
.LBB78_1244:
	s_andn2_b64 vcc, exec, s[0:1]
	s_cbranch_vccnz .LBB78_1246
; %bb.1245:
	global_load_dword v2, v[4:5], off
	s_waitcnt vmcnt(0)
	v_ashrrev_i32_e32 v3, 31, v2
.LBB78_1246:
	s_mov_b64 s[0:1], 0
.LBB78_1247:
	s_andn2_b64 vcc, exec, s[0:1]
	s_cbranch_vccnz .LBB78_1249
; %bb.1248:
	global_load_ushort v2, v[4:5], off
	s_waitcnt vmcnt(0)
	v_bfe_i32 v2, v2, 0, 16
	v_ashrrev_i32_e32 v3, 31, v2
.LBB78_1249:
	s_mov_b64 s[0:1], 0
.LBB78_1250:
	s_andn2_b64 vcc, exec, s[0:1]
	s_cbranch_vccnz .LBB78_1256
; %bb.1251:
	s_cmp_gt_i32 s26, 0
	s_cbranch_scc0 .LBB78_1253
; %bb.1252:
	global_load_sbyte v2, v[4:5], off
	s_mov_b64 s[0:1], 0
	s_waitcnt vmcnt(0)
	v_bfe_i32 v2, v2, 0, 16
	v_ashrrev_i32_e32 v3, 31, v2
	s_branch .LBB78_1254
.LBB78_1253:
	s_mov_b64 s[0:1], -1
                                        ; implicit-def: $vgpr2_vgpr3
.LBB78_1254:
	s_andn2_b64 vcc, exec, s[0:1]
	s_cbranch_vccnz .LBB78_1256
; %bb.1255:
	global_load_ubyte v2, v[4:5], off
	s_mov_b32 s0, 0
	s_waitcnt vmcnt(1)
	v_mov_b32_e32 v3, s0
	s_waitcnt vmcnt(0)
	v_and_b32_e32 v2, 0xffff, v2
.LBB78_1256:
.LBB78_1257:
	v_add_u32_e32 v8, s17, v6
	v_ashrrev_i32_e32 v4, 31, v8
	v_mov_b32_e32 v5, s11
	v_add_co_u32_e32 v6, vcc, s10, v8
	s_cmp_lt_i32 s26, 11
	v_addc_co_u32_e32 v7, vcc, v5, v4, vcc
	s_cbranch_scc1 .LBB78_1264
; %bb.1258:
	s_cmp_gt_i32 s26, 25
	s_mov_b64 s[2:3], 0
	s_cbranch_scc0 .LBB78_1266
; %bb.1259:
	s_cmp_gt_i32 s26, 28
	s_cbranch_scc0 .LBB78_1267
; %bb.1260:
	s_cmp_gt_i32 s26, 43
	;; [unrolled: 3-line block ×3, first 2 shown]
	s_cbranch_scc0 .LBB78_1270
; %bb.1262:
	s_cmp_eq_u32 s26, 46
	s_mov_b64 s[24:25], 0
	s_cbranch_scc0 .LBB78_1271
; %bb.1263:
	global_load_dword v4, v[6:7], off
	s_mov_b32 s0, 0x2f800000
	s_mov_b32 s1, 0xcf800000
	s_mov_b64 s[4:5], -1
	s_waitcnt vmcnt(0)
	v_lshlrev_b32_e32 v4, 16, v4
	v_trunc_f32_e32 v4, v4
	v_mul_f32_e64 v5, |v4|, s0
	v_floor_f32_e32 v5, v5
	v_fma_f32 v9, v5, s1, |v4|
	v_cvt_u32_f32_e32 v9, v9
	v_cvt_u32_f32_e32 v5, v5
	v_ashrrev_i32_e32 v11, 31, v4
	s_mov_b64 s[0:1], 0
	v_xor_b32_e32 v4, v9, v11
	v_xor_b32_e32 v5, v5, v11
	v_sub_co_u32_e32 v4, vcc, v4, v11
	v_subb_co_u32_e32 v5, vcc, v5, v11, vcc
	s_branch .LBB78_1272
.LBB78_1264:
	s_mov_b64 s[4:5], 0
                                        ; implicit-def: $vgpr4_vgpr5
	s_cbranch_execnz .LBB78_1334
.LBB78_1265:
	s_andn2_b64 vcc, exec, s[4:5]
	s_cbranch_vccnz .LBB78_1941
	s_branch .LBB78_1382
.LBB78_1266:
	s_mov_b64 s[24:25], -1
	s_mov_b64 s[4:5], 0
	s_mov_b64 s[0:1], 0
                                        ; implicit-def: $vgpr4_vgpr5
	s_branch .LBB78_1301
.LBB78_1267:
	s_mov_b64 s[24:25], -1
	s_mov_b64 s[4:5], 0
	s_mov_b64 s[0:1], 0
                                        ; implicit-def: $vgpr4_vgpr5
	s_branch .LBB78_1282
.LBB78_1268:
	s_mov_b64 s[24:25], -1
	s_mov_b64 s[4:5], 0
	s_mov_b64 s[0:1], 0
                                        ; implicit-def: $vgpr4_vgpr5
	s_branch .LBB78_1277
.LBB78_1269:
	s_trap 2
	s_or_b64 s[22:23], s[22:23], exec
	s_cbranch_execz .LBB78_1208
	s_branch .LBB78_1209
.LBB78_1270:
	s_mov_b64 s[24:25], -1
	s_mov_b64 s[4:5], 0
	s_mov_b64 s[0:1], 0
                                        ; implicit-def: $vgpr4_vgpr5
	s_branch .LBB78_1272
.LBB78_1271:
	s_mov_b64 s[0:1], -1
                                        ; implicit-def: $vgpr4_vgpr5
	s_mov_b64 s[4:5], 0
.LBB78_1272:
	s_and_b64 vcc, exec, s[24:25]
	s_cbranch_vccz .LBB78_1276
; %bb.1273:
	s_cmp_eq_u32 s26, 44
	s_cbranch_scc0 .LBB78_1275
; %bb.1274:
	global_load_ubyte v4, v[6:7], off
	s_mov_b32 s0, 0x2f800000
	s_mov_b32 s1, 0xcf800000
	s_mov_b64 s[4:5], -1
	s_waitcnt vmcnt(0)
	v_lshlrev_b32_e32 v5, 23, v4
	v_trunc_f32_e32 v5, v5
	v_mul_f32_e64 v9, |v5|, s0
	v_floor_f32_e32 v9, v9
	v_fma_f32 v11, v9, s1, |v5|
	v_cvt_u32_f32_e32 v11, v11
	v_cvt_u32_f32_e32 v9, v9
	v_ashrrev_i32_e32 v5, 31, v5
	s_mov_b64 s[0:1], 0
	v_xor_b32_e32 v11, v11, v5
	v_xor_b32_e32 v9, v9, v5
	v_sub_co_u32_e32 v11, vcc, v11, v5
	v_subb_co_u32_e32 v5, vcc, v9, v5, vcc
	v_cmp_ne_u32_e32 vcc, 0, v4
	v_cndmask_b32_e32 v5, 0, v5, vcc
	v_cndmask_b32_e32 v4, 0, v11, vcc
	s_branch .LBB78_1276
.LBB78_1275:
	s_mov_b64 s[0:1], -1
                                        ; implicit-def: $vgpr4_vgpr5
.LBB78_1276:
	s_mov_b64 s[24:25], 0
.LBB78_1277:
	s_and_b64 vcc, exec, s[24:25]
	s_cbranch_vccz .LBB78_1281
; %bb.1278:
	s_cmp_eq_u32 s26, 29
	s_cbranch_scc0 .LBB78_1280
; %bb.1279:
	global_load_dwordx2 v[4:5], v[6:7], off
	s_mov_b64 s[0:1], 0
	s_mov_b64 s[4:5], -1
	s_branch .LBB78_1281
.LBB78_1280:
	s_mov_b64 s[0:1], -1
                                        ; implicit-def: $vgpr4_vgpr5
.LBB78_1281:
	s_mov_b64 s[24:25], 0
.LBB78_1282:
	s_and_b64 vcc, exec, s[24:25]
	s_cbranch_vccz .LBB78_1300
; %bb.1283:
	s_cmp_lt_i32 s26, 27
	s_cbranch_scc1 .LBB78_1286
; %bb.1284:
	s_cmp_gt_i32 s26, 27
	s_cbranch_scc0 .LBB78_1287
; %bb.1285:
	global_load_dword v4, v[6:7], off
	s_waitcnt vmcnt(1)
	v_mov_b32_e32 v5, 0
	s_mov_b64 s[4:5], 0
	s_branch .LBB78_1288
.LBB78_1286:
	s_mov_b64 s[4:5], -1
                                        ; implicit-def: $vgpr4_vgpr5
	s_branch .LBB78_1291
.LBB78_1287:
	s_mov_b64 s[4:5], -1
                                        ; implicit-def: $vgpr4_vgpr5
.LBB78_1288:
	s_andn2_b64 vcc, exec, s[4:5]
	s_cbranch_vccnz .LBB78_1290
; %bb.1289:
	global_load_ushort v4, v[6:7], off
	s_mov_b32 s4, 0
	s_waitcnt vmcnt(1)
	v_mov_b32_e32 v5, s4
	s_waitcnt vmcnt(0)
	v_and_b32_e32 v4, 0xffff, v4
.LBB78_1290:
	s_mov_b64 s[4:5], 0
.LBB78_1291:
	s_andn2_b64 vcc, exec, s[4:5]
	s_cbranch_vccnz .LBB78_1299
; %bb.1292:
	global_load_ubyte v9, v[6:7], off
	s_movk_i32 s4, 0x7f
	s_mov_b64 s[24:25], 0
	s_waitcnt vmcnt(0)
	v_cmp_lt_i16_e32 vcc, s4, v9
	s_and_saveexec_b64 s[4:5], vcc
	s_xor_b64 s[4:5], exec, s[4:5]
; %bb.1293:
	s_movk_i32 s24, 0x80
	v_cmp_ne_u16_e32 vcc, s24, v9
	s_and_b64 s[24:25], vcc, exec
; %bb.1294:
	s_andn2_saveexec_b64 s[4:5], s[4:5]
; %bb.1295:
	v_cmp_ne_u16_e32 vcc, 0, v9
	s_andn2_b64 s[24:25], s[24:25], exec
	s_and_b64 s[28:29], vcc, exec
	s_or_b64 s[24:25], s[24:25], s[28:29]
; %bb.1296:
	s_or_b64 exec, exec, s[4:5]
	v_mov_b32_e32 v4, 0
	v_mov_b32_e32 v5, 0
	s_and_saveexec_b64 s[4:5], s[24:25]
	s_cbranch_execz .LBB78_1298
; %bb.1297:
	v_and_b32_e32 v5, 0xffff, v9
	v_lshlrev_b32_e32 v4, 24, v9
	v_and_b32_e32 v9, 7, v5
	v_ffbh_u32_e32 v12, v9
	v_min_u32_e32 v12, 32, v12
	v_subrev_u32_e32 v13, 28, v12
	v_bfe_u32 v11, v5, 3, 4
	v_lshlrev_b32_e32 v5, v13, v5
	v_sub_u32_e32 v12, 29, v12
	v_and_b32_e32 v5, 7, v5
	v_cmp_eq_u32_e32 vcc, 0, v11
	v_cndmask_b32_e32 v11, v11, v12, vcc
	v_cndmask_b32_e32 v5, v9, v5, vcc
	v_mov_b32_e32 v9, 0x3b800000
	v_lshlrev_b32_e32 v5, 20, v5
	v_and_b32_e32 v4, 0x80000000, v4
	v_lshl_add_u32 v9, v11, 23, v9
	v_or3_b32 v4, v4, v9, v5
	v_trunc_f32_e32 v4, v4
	s_mov_b32 s24, 0x2f800000
	v_mul_f32_e64 v5, |v4|, s24
	v_floor_f32_e32 v5, v5
	s_mov_b32 s24, 0xcf800000
	v_fma_f32 v9, v5, s24, |v4|
	v_cvt_u32_f32_e32 v9, v9
	v_cvt_u32_f32_e32 v5, v5
	v_ashrrev_i32_e32 v11, 31, v4
	v_xor_b32_e32 v4, v9, v11
	v_xor_b32_e32 v5, v5, v11
	v_sub_co_u32_e32 v4, vcc, v4, v11
	v_subb_co_u32_e32 v5, vcc, v5, v11, vcc
.LBB78_1298:
	s_or_b64 exec, exec, s[4:5]
.LBB78_1299:
	s_mov_b64 s[4:5], -1
.LBB78_1300:
	s_mov_b64 s[24:25], 0
.LBB78_1301:
	s_and_b64 vcc, exec, s[24:25]
	s_cbranch_vccz .LBB78_1330
; %bb.1302:
	s_cmp_gt_i32 s26, 22
	s_cbranch_scc0 .LBB78_1312
; %bb.1303:
	s_cmp_lt_i32 s26, 24
	s_cbranch_scc1 .LBB78_1313
; %bb.1304:
	s_cmp_gt_i32 s26, 24
	s_cbranch_scc0 .LBB78_1314
; %bb.1305:
	global_load_ubyte v9, v[6:7], off
	s_movk_i32 s2, 0x7f
	s_mov_b64 s[4:5], 0
	s_waitcnt vmcnt(0)
	v_cmp_lt_i16_e32 vcc, s2, v9
	s_and_saveexec_b64 s[2:3], vcc
	s_xor_b64 s[2:3], exec, s[2:3]
; %bb.1306:
	s_movk_i32 s4, 0x80
	v_cmp_ne_u16_e32 vcc, s4, v9
	s_and_b64 s[4:5], vcc, exec
; %bb.1307:
	s_andn2_saveexec_b64 s[2:3], s[2:3]
; %bb.1308:
	v_cmp_ne_u16_e32 vcc, 0, v9
	s_andn2_b64 s[4:5], s[4:5], exec
	s_and_b64 s[24:25], vcc, exec
	s_or_b64 s[4:5], s[4:5], s[24:25]
; %bb.1309:
	s_or_b64 exec, exec, s[2:3]
	v_mov_b32_e32 v4, 0
	v_mov_b32_e32 v5, 0
	s_and_saveexec_b64 s[2:3], s[4:5]
	s_cbranch_execz .LBB78_1311
; %bb.1310:
	v_and_b32_e32 v5, 0xffff, v9
	v_lshlrev_b32_e32 v4, 24, v9
	v_and_b32_e32 v9, 3, v5
	v_ffbh_u32_e32 v12, v9
	v_min_u32_e32 v12, 32, v12
	v_subrev_u32_e32 v13, 29, v12
	v_bfe_u32 v11, v5, 2, 5
	v_lshlrev_b32_e32 v5, v13, v5
	v_sub_u32_e32 v12, 30, v12
	v_and_b32_e32 v5, 3, v5
	v_cmp_eq_u32_e32 vcc, 0, v11
	v_cndmask_b32_e32 v11, v11, v12, vcc
	v_cndmask_b32_e32 v5, v9, v5, vcc
	v_mov_b32_e32 v9, 0x37800000
	v_lshlrev_b32_e32 v5, 21, v5
	v_and_b32_e32 v4, 0x80000000, v4
	v_lshl_add_u32 v9, v11, 23, v9
	v_or3_b32 v4, v4, v9, v5
	v_trunc_f32_e32 v4, v4
	s_mov_b32 s4, 0x2f800000
	v_mul_f32_e64 v5, |v4|, s4
	v_floor_f32_e32 v5, v5
	s_mov_b32 s4, 0xcf800000
	v_fma_f32 v9, v5, s4, |v4|
	v_cvt_u32_f32_e32 v9, v9
	v_cvt_u32_f32_e32 v5, v5
	v_ashrrev_i32_e32 v11, 31, v4
	v_xor_b32_e32 v4, v9, v11
	v_xor_b32_e32 v5, v5, v11
	v_sub_co_u32_e32 v4, vcc, v4, v11
	v_subb_co_u32_e32 v5, vcc, v5, v11, vcc
.LBB78_1311:
	s_or_b64 exec, exec, s[2:3]
	s_mov_b64 s[2:3], 0
	s_branch .LBB78_1315
.LBB78_1312:
	s_mov_b64 s[2:3], -1
                                        ; implicit-def: $vgpr4_vgpr5
	s_branch .LBB78_1321
.LBB78_1313:
	s_mov_b64 s[2:3], -1
                                        ; implicit-def: $vgpr4_vgpr5
	s_branch .LBB78_1318
.LBB78_1314:
	s_mov_b64 s[2:3], -1
                                        ; implicit-def: $vgpr4_vgpr5
.LBB78_1315:
	s_and_b64 vcc, exec, s[2:3]
	s_cbranch_vccz .LBB78_1317
; %bb.1316:
	global_load_ubyte v4, v[6:7], off
	s_mov_b32 s2, 0x7f800000
	s_brev_b32 s3, 1
	s_mov_b32 s4, 0x2f800000
	s_mov_b32 s5, 0xcf800000
	s_waitcnt vmcnt(0)
	v_lshlrev_b32_e32 v4, 24, v4
	v_and_b32_e32 v5, 0x7f000000, v4
	v_ffbh_u32_e32 v9, v5
	v_min_u32_e32 v9, 32, v9
	v_sub_u32_e64 v9, v9, 4 clamp
	v_lshlrev_b32_e32 v12, v9, v5
	v_lshlrev_b32_e32 v9, 23, v9
	v_lshrrev_b32_e32 v12, 4, v12
	v_add_u32_e32 v11, 0x1000000, v5
	v_sub_u32_e32 v9, v12, v9
	v_ashrrev_i32_e32 v11, 8, v11
	v_add_u32_e32 v9, 0x3c000000, v9
	v_and_or_b32 v9, v11, s2, v9
	v_cmp_ne_u32_e32 vcc, 0, v5
	v_cndmask_b32_e32 v5, 0, v9, vcc
	v_and_or_b32 v4, v4, s3, v5
	v_trunc_f32_e32 v4, v4
	v_mul_f32_e64 v5, |v4|, s4
	v_floor_f32_e32 v5, v5
	v_fma_f32 v9, v5, s5, |v4|
	v_cvt_u32_f32_e32 v9, v9
	v_cvt_u32_f32_e32 v5, v5
	v_ashrrev_i32_e32 v11, 31, v4
	v_xor_b32_e32 v4, v9, v11
	v_xor_b32_e32 v5, v5, v11
	v_sub_co_u32_e32 v4, vcc, v4, v11
	v_subb_co_u32_e32 v5, vcc, v5, v11, vcc
.LBB78_1317:
	s_mov_b64 s[2:3], 0
.LBB78_1318:
	s_andn2_b64 vcc, exec, s[2:3]
	s_cbranch_vccnz .LBB78_1320
; %bb.1319:
	global_load_ubyte v4, v[6:7], off
	s_movk_i32 s2, 0x7f00
	s_brev_b32 s3, 16
	s_brev_b32 s4, 1
	s_mov_b32 s5, 0x2f800000
	s_mov_b32 s24, 0xcf800000
	s_waitcnt vmcnt(0)
	v_lshlrev_b16_e32 v5, 8, v4
	v_lshlrev_b32_e32 v4, 25, v4
	v_lshrrev_b32_e32 v9, 4, v4
	v_and_or_b32 v11, v5, s2, 0.5
	v_or_b32_e32 v9, 0x70000000, v9
	v_add_f32_e32 v11, -0.5, v11
	v_mul_f32_e32 v9, 0x7800000, v9
	v_cmp_gt_u32_e32 vcc, s3, v4
	v_bfe_i32 v5, v5, 0, 16
	v_cndmask_b32_e32 v4, v9, v11, vcc
	v_and_or_b32 v4, v5, s4, v4
	v_trunc_f32_e32 v4, v4
	v_mul_f32_e64 v5, |v4|, s5
	v_floor_f32_e32 v5, v5
	v_fma_f32 v9, v5, s24, |v4|
	v_cvt_u32_f32_e32 v9, v9
	v_cvt_u32_f32_e32 v5, v5
	v_ashrrev_i32_e32 v11, 31, v4
	v_xor_b32_e32 v4, v9, v11
	v_xor_b32_e32 v5, v5, v11
	v_sub_co_u32_e32 v4, vcc, v4, v11
	v_subb_co_u32_e32 v5, vcc, v5, v11, vcc
.LBB78_1320:
	s_mov_b64 s[2:3], 0
	s_mov_b64 s[4:5], -1
.LBB78_1321:
	s_andn2_b64 vcc, exec, s[2:3]
	s_mov_b64 s[2:3], 0
	s_cbranch_vccnz .LBB78_1330
; %bb.1322:
	s_cmp_gt_i32 s26, 14
	s_cbranch_scc0 .LBB78_1325
; %bb.1323:
	s_cmp_eq_u32 s26, 15
	s_cbranch_scc0 .LBB78_1326
; %bb.1324:
	global_load_ushort v4, v[6:7], off
	s_mov_b32 s0, 0x2f800000
	s_mov_b32 s1, 0xcf800000
	s_mov_b64 s[4:5], -1
	s_waitcnt vmcnt(0)
	v_lshlrev_b32_e32 v4, 16, v4
	v_trunc_f32_e32 v4, v4
	v_mul_f32_e64 v5, |v4|, s0
	v_floor_f32_e32 v5, v5
	v_fma_f32 v9, v5, s1, |v4|
	v_cvt_u32_f32_e32 v9, v9
	v_cvt_u32_f32_e32 v5, v5
	v_ashrrev_i32_e32 v11, 31, v4
	s_mov_b64 s[0:1], 0
	v_xor_b32_e32 v4, v9, v11
	v_xor_b32_e32 v5, v5, v11
	v_sub_co_u32_e32 v4, vcc, v4, v11
	v_subb_co_u32_e32 v5, vcc, v5, v11, vcc
	s_branch .LBB78_1327
.LBB78_1325:
	s_mov_b64 s[24:25], -1
                                        ; implicit-def: $vgpr4_vgpr5
	s_branch .LBB78_1328
.LBB78_1326:
	s_mov_b64 s[0:1], -1
                                        ; implicit-def: $vgpr4_vgpr5
.LBB78_1327:
	s_mov_b64 s[24:25], 0
.LBB78_1328:
	s_and_b64 vcc, exec, s[24:25]
	s_cbranch_vccz .LBB78_1330
; %bb.1329:
	s_cmp_lg_u32 s26, 11
	s_mov_b64 s[2:3], -1
	s_cselect_b64 s[0:1], -1, 0
.LBB78_1330:
	s_and_b64 vcc, exec, s[0:1]
	s_cbranch_vccnz .LBB78_1393
; %bb.1331:
	s_andn2_b64 vcc, exec, s[2:3]
	s_cbranch_vccnz .LBB78_1333
.LBB78_1332:
	global_load_ubyte v4, v[6:7], off
	s_mov_b32 s0, 0
	s_waitcnt vmcnt(1)
	v_mov_b32_e32 v5, s0
	s_mov_b64 s[4:5], -1
	s_waitcnt vmcnt(0)
	v_cmp_ne_u16_e32 vcc, 0, v4
	v_cndmask_b32_e64 v4, 0, 1, vcc
.LBB78_1333:
	s_branch .LBB78_1265
.LBB78_1334:
	s_cmp_lt_i32 s26, 5
	s_cbranch_scc1 .LBB78_1339
; %bb.1335:
	s_cmp_lt_i32 s26, 8
	s_cbranch_scc1 .LBB78_1340
; %bb.1336:
	;; [unrolled: 3-line block ×3, first 2 shown]
	s_cmp_gt_i32 s26, 9
	s_cbranch_scc0 .LBB78_1342
; %bb.1338:
	global_load_dwordx2 v[4:5], v[6:7], off
	s_movk_i32 s0, 0xffe0
	s_waitcnt vmcnt(0)
	v_trunc_f64_e32 v[4:5], v[4:5]
	v_ldexp_f64 v[11:12], v[4:5], s0
	s_mov_b32 s0, 0
	s_mov_b32 s1, 0xc1f00000
	v_floor_f64_e32 v[11:12], v[11:12]
	v_fma_f64 v[13:14], v[11:12], s[0:1], v[4:5]
	v_cvt_i32_f64_e32 v5, v[11:12]
	s_mov_b64 s[0:1], 0
	v_cvt_u32_f64_e32 v4, v[13:14]
	s_branch .LBB78_1343
.LBB78_1339:
	s_mov_b64 s[0:1], -1
                                        ; implicit-def: $vgpr4_vgpr5
	s_branch .LBB78_1361
.LBB78_1340:
	s_mov_b64 s[0:1], -1
                                        ; implicit-def: $vgpr4_vgpr5
	s_branch .LBB78_1349
.LBB78_1341:
	s_mov_b64 s[0:1], -1
                                        ; implicit-def: $vgpr4_vgpr5
	s_branch .LBB78_1346
.LBB78_1342:
	s_mov_b64 s[0:1], -1
                                        ; implicit-def: $vgpr4_vgpr5
.LBB78_1343:
	s_andn2_b64 vcc, exec, s[0:1]
	s_cbranch_vccnz .LBB78_1345
; %bb.1344:
	global_load_dword v4, v[6:7], off
	s_mov_b32 s0, 0x2f800000
	s_mov_b32 s1, 0xcf800000
	s_waitcnt vmcnt(0)
	v_trunc_f32_e32 v4, v4
	v_mul_f32_e64 v5, |v4|, s0
	v_floor_f32_e32 v5, v5
	v_cvt_u32_f32_e32 v9, v5
	v_fma_f32 v5, v5, s1, |v4|
	v_cvt_u32_f32_e32 v5, v5
	v_ashrrev_i32_e32 v11, 31, v4
	v_xor_b32_e32 v9, v9, v11
	v_xor_b32_e32 v4, v5, v11
	v_sub_co_u32_e32 v4, vcc, v4, v11
	v_subb_co_u32_e32 v5, vcc, v9, v11, vcc
.LBB78_1345:
	s_mov_b64 s[0:1], 0
.LBB78_1346:
	s_andn2_b64 vcc, exec, s[0:1]
	s_cbranch_vccnz .LBB78_1348
; %bb.1347:
	global_load_dword v4, v[6:7], off
	s_waitcnt vmcnt(0)
	v_cvt_f32_f16_e32 v4, v4
	v_cvt_i32_f32_e32 v4, v4
	v_ashrrev_i32_e32 v5, 31, v4
.LBB78_1348:
	s_mov_b64 s[0:1], 0
.LBB78_1349:
	s_andn2_b64 vcc, exec, s[0:1]
	s_cbranch_vccnz .LBB78_1360
; %bb.1350:
	s_cmp_lt_i32 s26, 6
	s_cbranch_scc1 .LBB78_1353
; %bb.1351:
	s_cmp_gt_i32 s26, 6
	s_cbranch_scc0 .LBB78_1354
; %bb.1352:
	global_load_dwordx2 v[4:5], v[6:7], off
	s_movk_i32 s0, 0xffe0
	s_waitcnt vmcnt(0)
	v_trunc_f64_e32 v[4:5], v[4:5]
	v_ldexp_f64 v[11:12], v[4:5], s0
	s_mov_b32 s0, 0
	s_mov_b32 s1, 0xc1f00000
	v_floor_f64_e32 v[11:12], v[11:12]
	v_fma_f64 v[13:14], v[11:12], s[0:1], v[4:5]
	v_cvt_i32_f64_e32 v5, v[11:12]
	s_mov_b64 s[0:1], 0
	v_cvt_u32_f64_e32 v4, v[13:14]
	s_branch .LBB78_1355
.LBB78_1353:
	s_mov_b64 s[0:1], -1
                                        ; implicit-def: $vgpr4_vgpr5
	s_branch .LBB78_1358
.LBB78_1354:
	s_mov_b64 s[0:1], -1
                                        ; implicit-def: $vgpr4_vgpr5
.LBB78_1355:
	s_andn2_b64 vcc, exec, s[0:1]
	s_cbranch_vccnz .LBB78_1357
; %bb.1356:
	global_load_dword v4, v[6:7], off
	s_mov_b32 s0, 0x2f800000
	s_mov_b32 s1, 0xcf800000
	s_waitcnt vmcnt(0)
	v_trunc_f32_e32 v4, v4
	v_mul_f32_e64 v5, |v4|, s0
	v_floor_f32_e32 v5, v5
	v_cvt_u32_f32_e32 v9, v5
	v_fma_f32 v5, v5, s1, |v4|
	v_cvt_u32_f32_e32 v5, v5
	v_ashrrev_i32_e32 v11, 31, v4
	v_xor_b32_e32 v9, v9, v11
	v_xor_b32_e32 v4, v5, v11
	v_sub_co_u32_e32 v4, vcc, v4, v11
	v_subb_co_u32_e32 v5, vcc, v9, v11, vcc
.LBB78_1357:
	s_mov_b64 s[0:1], 0
.LBB78_1358:
	s_andn2_b64 vcc, exec, s[0:1]
	s_cbranch_vccnz .LBB78_1360
; %bb.1359:
	global_load_ushort v4, v[6:7], off
	s_waitcnt vmcnt(0)
	v_cvt_f32_f16_e32 v4, v4
	v_cvt_i32_f32_e32 v4, v4
	v_ashrrev_i32_e32 v5, 31, v4
.LBB78_1360:
	s_mov_b64 s[0:1], 0
.LBB78_1361:
	s_andn2_b64 vcc, exec, s[0:1]
	s_cbranch_vccnz .LBB78_1381
; %bb.1362:
	s_cmp_lt_i32 s26, 2
	s_cbranch_scc1 .LBB78_1366
; %bb.1363:
	s_cmp_lt_i32 s26, 3
	s_cbranch_scc1 .LBB78_1367
; %bb.1364:
	s_cmp_gt_i32 s26, 3
	s_cbranch_scc0 .LBB78_1368
; %bb.1365:
	global_load_dwordx2 v[4:5], v[6:7], off
	s_mov_b64 s[0:1], 0
	s_branch .LBB78_1369
.LBB78_1366:
	s_mov_b64 s[0:1], -1
                                        ; implicit-def: $vgpr4_vgpr5
	s_branch .LBB78_1375
.LBB78_1367:
	s_mov_b64 s[0:1], -1
                                        ; implicit-def: $vgpr4_vgpr5
	s_branch .LBB78_1372
.LBB78_1368:
	s_mov_b64 s[0:1], -1
                                        ; implicit-def: $vgpr4_vgpr5
.LBB78_1369:
	s_andn2_b64 vcc, exec, s[0:1]
	s_cbranch_vccnz .LBB78_1371
; %bb.1370:
	global_load_dword v4, v[6:7], off
	s_waitcnt vmcnt(0)
	v_ashrrev_i32_e32 v5, 31, v4
.LBB78_1371:
	s_mov_b64 s[0:1], 0
.LBB78_1372:
	s_andn2_b64 vcc, exec, s[0:1]
	s_cbranch_vccnz .LBB78_1374
; %bb.1373:
	global_load_ushort v4, v[6:7], off
	s_waitcnt vmcnt(0)
	v_bfe_i32 v4, v4, 0, 16
	v_ashrrev_i32_e32 v5, 31, v4
.LBB78_1374:
	s_mov_b64 s[0:1], 0
.LBB78_1375:
	s_andn2_b64 vcc, exec, s[0:1]
	s_cbranch_vccnz .LBB78_1381
; %bb.1376:
	s_cmp_gt_i32 s26, 0
	s_cbranch_scc0 .LBB78_1378
; %bb.1377:
	global_load_sbyte v4, v[6:7], off
	s_mov_b64 s[0:1], 0
	s_waitcnt vmcnt(0)
	v_bfe_i32 v4, v4, 0, 16
	v_ashrrev_i32_e32 v5, 31, v4
	s_branch .LBB78_1379
.LBB78_1378:
	s_mov_b64 s[0:1], -1
                                        ; implicit-def: $vgpr4_vgpr5
.LBB78_1379:
	s_andn2_b64 vcc, exec, s[0:1]
	s_cbranch_vccnz .LBB78_1381
; %bb.1380:
	global_load_ubyte v4, v[6:7], off
	s_mov_b32 s0, 0
	s_waitcnt vmcnt(1)
	v_mov_b32_e32 v5, s0
	s_waitcnt vmcnt(0)
	v_and_b32_e32 v4, 0xffff, v4
.LBB78_1381:
.LBB78_1382:
	v_add_u32_e32 v6, s17, v8
	v_ashrrev_i32_e32 v7, 31, v6
	v_mov_b32_e32 v9, s11
	v_add_co_u32_e32 v8, vcc, s10, v6
	s_cmp_lt_i32 s26, 11
	v_addc_co_u32_e32 v9, vcc, v9, v7, vcc
	s_cbranch_scc1 .LBB78_1389
; %bb.1383:
	s_cmp_gt_i32 s26, 25
	s_mov_b64 s[2:3], 0
	s_cbranch_scc0 .LBB78_1390
; %bb.1384:
	s_cmp_gt_i32 s26, 28
	s_cbranch_scc0 .LBB78_1391
; %bb.1385:
	s_cmp_gt_i32 s26, 43
	s_cbranch_scc0 .LBB78_1392
; %bb.1386:
	s_cmp_gt_i32 s26, 45
	s_cbranch_scc0 .LBB78_1394
; %bb.1387:
	s_cmp_eq_u32 s26, 46
	s_mov_b64 s[10:11], 0
	s_cbranch_scc0 .LBB78_1395
; %bb.1388:
	global_load_dword v6, v[8:9], off
	s_mov_b32 s0, 0x2f800000
	s_mov_b32 s1, 0xcf800000
	s_mov_b64 s[4:5], -1
	s_waitcnt vmcnt(0)
	v_lshlrev_b32_e32 v6, 16, v6
	v_trunc_f32_e32 v6, v6
	v_mul_f32_e64 v7, |v6|, s0
	v_floor_f32_e32 v7, v7
	v_fma_f32 v11, v7, s1, |v6|
	v_cvt_u32_f32_e32 v11, v11
	v_cvt_u32_f32_e32 v7, v7
	v_ashrrev_i32_e32 v12, 31, v6
	s_mov_b64 s[0:1], 0
	v_xor_b32_e32 v6, v11, v12
	v_xor_b32_e32 v7, v7, v12
	v_sub_co_u32_e32 v6, vcc, v6, v12
	v_subb_co_u32_e32 v7, vcc, v7, v12, vcc
	s_branch .LBB78_1396
.LBB78_1389:
	s_mov_b64 s[0:1], -1
	s_mov_b64 s[4:5], 0
                                        ; implicit-def: $vgpr6_vgpr7
	s_branch .LBB78_1458
.LBB78_1390:
	s_mov_b64 s[10:11], -1
	s_mov_b64 s[4:5], 0
	s_mov_b64 s[0:1], 0
                                        ; implicit-def: $vgpr6_vgpr7
	s_branch .LBB78_1425
.LBB78_1391:
	s_mov_b64 s[10:11], -1
	s_mov_b64 s[4:5], 0
	s_mov_b64 s[0:1], 0
                                        ; implicit-def: $vgpr6_vgpr7
	s_branch .LBB78_1406
.LBB78_1392:
	s_mov_b64 s[10:11], -1
	s_mov_b64 s[4:5], 0
	s_mov_b64 s[0:1], 0
                                        ; implicit-def: $vgpr6_vgpr7
	s_branch .LBB78_1401
.LBB78_1393:
	s_trap 2
	s_or_b64 s[22:23], s[22:23], exec
	s_cbranch_execz .LBB78_1332
	s_branch .LBB78_1333
.LBB78_1394:
	s_mov_b64 s[10:11], -1
	s_mov_b64 s[4:5], 0
	s_mov_b64 s[0:1], 0
                                        ; implicit-def: $vgpr6_vgpr7
	s_branch .LBB78_1396
.LBB78_1395:
	s_mov_b64 s[0:1], -1
                                        ; implicit-def: $vgpr6_vgpr7
	s_mov_b64 s[4:5], 0
.LBB78_1396:
	s_and_b64 vcc, exec, s[10:11]
	s_cbranch_vccz .LBB78_1400
; %bb.1397:
	s_cmp_eq_u32 s26, 44
	s_cbranch_scc0 .LBB78_1399
; %bb.1398:
	global_load_ubyte v6, v[8:9], off
	s_mov_b32 s0, 0x2f800000
	s_mov_b32 s1, 0xcf800000
	s_mov_b64 s[4:5], -1
	s_waitcnt vmcnt(0)
	v_lshlrev_b32_e32 v7, 23, v6
	v_trunc_f32_e32 v7, v7
	v_mul_f32_e64 v11, |v7|, s0
	v_floor_f32_e32 v11, v11
	v_fma_f32 v12, v11, s1, |v7|
	v_cvt_u32_f32_e32 v12, v12
	v_cvt_u32_f32_e32 v11, v11
	v_ashrrev_i32_e32 v7, 31, v7
	s_mov_b64 s[0:1], 0
	v_xor_b32_e32 v12, v12, v7
	v_xor_b32_e32 v11, v11, v7
	v_sub_co_u32_e32 v12, vcc, v12, v7
	v_subb_co_u32_e32 v7, vcc, v11, v7, vcc
	v_cmp_ne_u32_e32 vcc, 0, v6
	v_cndmask_b32_e32 v7, 0, v7, vcc
	v_cndmask_b32_e32 v6, 0, v12, vcc
	s_branch .LBB78_1400
.LBB78_1399:
	s_mov_b64 s[0:1], -1
                                        ; implicit-def: $vgpr6_vgpr7
.LBB78_1400:
	s_mov_b64 s[10:11], 0
.LBB78_1401:
	s_and_b64 vcc, exec, s[10:11]
	s_cbranch_vccz .LBB78_1405
; %bb.1402:
	s_cmp_eq_u32 s26, 29
	s_cbranch_scc0 .LBB78_1404
; %bb.1403:
	global_load_dwordx2 v[6:7], v[8:9], off
	s_mov_b64 s[0:1], 0
	s_mov_b64 s[4:5], -1
	s_branch .LBB78_1405
.LBB78_1404:
	s_mov_b64 s[0:1], -1
                                        ; implicit-def: $vgpr6_vgpr7
.LBB78_1405:
	s_mov_b64 s[10:11], 0
.LBB78_1406:
	s_and_b64 vcc, exec, s[10:11]
	s_cbranch_vccz .LBB78_1424
; %bb.1407:
	s_cmp_lt_i32 s26, 27
	s_cbranch_scc1 .LBB78_1410
; %bb.1408:
	s_cmp_gt_i32 s26, 27
	s_cbranch_scc0 .LBB78_1411
; %bb.1409:
	global_load_dword v6, v[8:9], off
	s_waitcnt vmcnt(1)
	v_mov_b32_e32 v7, 0
	s_mov_b64 s[4:5], 0
	s_branch .LBB78_1412
.LBB78_1410:
	s_mov_b64 s[4:5], -1
                                        ; implicit-def: $vgpr6_vgpr7
	s_branch .LBB78_1415
.LBB78_1411:
	s_mov_b64 s[4:5], -1
                                        ; implicit-def: $vgpr6_vgpr7
.LBB78_1412:
	s_andn2_b64 vcc, exec, s[4:5]
	s_cbranch_vccnz .LBB78_1414
; %bb.1413:
	global_load_ushort v6, v[8:9], off
	s_mov_b32 s4, 0
	s_waitcnt vmcnt(1)
	v_mov_b32_e32 v7, s4
	s_waitcnt vmcnt(0)
	v_and_b32_e32 v6, 0xffff, v6
.LBB78_1414:
	s_mov_b64 s[4:5], 0
.LBB78_1415:
	s_andn2_b64 vcc, exec, s[4:5]
	s_cbranch_vccnz .LBB78_1423
; %bb.1416:
	global_load_ubyte v11, v[8:9], off
	s_movk_i32 s4, 0x7f
	s_mov_b64 s[10:11], 0
	s_waitcnt vmcnt(0)
	v_cmp_lt_i16_e32 vcc, s4, v11
	s_and_saveexec_b64 s[4:5], vcc
	s_xor_b64 s[4:5], exec, s[4:5]
; %bb.1417:
	s_movk_i32 s10, 0x80
	v_cmp_ne_u16_e32 vcc, s10, v11
	s_and_b64 s[10:11], vcc, exec
; %bb.1418:
	s_andn2_saveexec_b64 s[4:5], s[4:5]
; %bb.1419:
	v_cmp_ne_u16_e32 vcc, 0, v11
	s_andn2_b64 s[10:11], s[10:11], exec
	s_and_b64 s[24:25], vcc, exec
	s_or_b64 s[10:11], s[10:11], s[24:25]
; %bb.1420:
	s_or_b64 exec, exec, s[4:5]
	v_mov_b32_e32 v6, 0
	v_mov_b32_e32 v7, 0
	s_and_saveexec_b64 s[4:5], s[10:11]
	s_cbranch_execz .LBB78_1422
; %bb.1421:
	v_and_b32_e32 v7, 0xffff, v11
	v_lshlrev_b32_e32 v6, 24, v11
	v_and_b32_e32 v11, 7, v7
	v_ffbh_u32_e32 v13, v11
	v_min_u32_e32 v13, 32, v13
	v_subrev_u32_e32 v14, 28, v13
	v_bfe_u32 v12, v7, 3, 4
	v_lshlrev_b32_e32 v7, v14, v7
	v_sub_u32_e32 v13, 29, v13
	v_and_b32_e32 v7, 7, v7
	v_cmp_eq_u32_e32 vcc, 0, v12
	v_cndmask_b32_e32 v12, v12, v13, vcc
	v_cndmask_b32_e32 v7, v11, v7, vcc
	v_mov_b32_e32 v11, 0x3b800000
	v_lshlrev_b32_e32 v7, 20, v7
	v_and_b32_e32 v6, 0x80000000, v6
	v_lshl_add_u32 v11, v12, 23, v11
	v_or3_b32 v6, v6, v11, v7
	v_trunc_f32_e32 v6, v6
	s_mov_b32 s10, 0x2f800000
	v_mul_f32_e64 v7, |v6|, s10
	v_floor_f32_e32 v7, v7
	s_mov_b32 s10, 0xcf800000
	v_fma_f32 v11, v7, s10, |v6|
	v_cvt_u32_f32_e32 v11, v11
	v_cvt_u32_f32_e32 v7, v7
	v_ashrrev_i32_e32 v12, 31, v6
	v_xor_b32_e32 v6, v11, v12
	v_xor_b32_e32 v7, v7, v12
	v_sub_co_u32_e32 v6, vcc, v6, v12
	v_subb_co_u32_e32 v7, vcc, v7, v12, vcc
.LBB78_1422:
	s_or_b64 exec, exec, s[4:5]
.LBB78_1423:
	s_mov_b64 s[4:5], -1
.LBB78_1424:
	s_mov_b64 s[10:11], 0
.LBB78_1425:
	s_and_b64 vcc, exec, s[10:11]
	s_cbranch_vccz .LBB78_1454
; %bb.1426:
	s_cmp_gt_i32 s26, 22
	s_cbranch_scc0 .LBB78_1436
; %bb.1427:
	s_cmp_lt_i32 s26, 24
	s_cbranch_scc1 .LBB78_1437
; %bb.1428:
	s_cmp_gt_i32 s26, 24
	s_cbranch_scc0 .LBB78_1438
; %bb.1429:
	global_load_ubyte v11, v[8:9], off
	s_movk_i32 s2, 0x7f
	s_mov_b64 s[4:5], 0
	s_waitcnt vmcnt(0)
	v_cmp_lt_i16_e32 vcc, s2, v11
	s_and_saveexec_b64 s[2:3], vcc
	s_xor_b64 s[2:3], exec, s[2:3]
; %bb.1430:
	s_movk_i32 s4, 0x80
	v_cmp_ne_u16_e32 vcc, s4, v11
	s_and_b64 s[4:5], vcc, exec
; %bb.1431:
	s_andn2_saveexec_b64 s[2:3], s[2:3]
; %bb.1432:
	v_cmp_ne_u16_e32 vcc, 0, v11
	s_andn2_b64 s[4:5], s[4:5], exec
	s_and_b64 s[10:11], vcc, exec
	s_or_b64 s[4:5], s[4:5], s[10:11]
; %bb.1433:
	s_or_b64 exec, exec, s[2:3]
	v_mov_b32_e32 v6, 0
	v_mov_b32_e32 v7, 0
	s_and_saveexec_b64 s[2:3], s[4:5]
	s_cbranch_execz .LBB78_1435
; %bb.1434:
	v_and_b32_e32 v7, 0xffff, v11
	v_lshlrev_b32_e32 v6, 24, v11
	v_and_b32_e32 v11, 3, v7
	v_ffbh_u32_e32 v13, v11
	v_min_u32_e32 v13, 32, v13
	v_subrev_u32_e32 v14, 29, v13
	v_bfe_u32 v12, v7, 2, 5
	v_lshlrev_b32_e32 v7, v14, v7
	v_sub_u32_e32 v13, 30, v13
	v_and_b32_e32 v7, 3, v7
	v_cmp_eq_u32_e32 vcc, 0, v12
	v_cndmask_b32_e32 v12, v12, v13, vcc
	v_cndmask_b32_e32 v7, v11, v7, vcc
	v_mov_b32_e32 v11, 0x37800000
	v_lshlrev_b32_e32 v7, 21, v7
	v_and_b32_e32 v6, 0x80000000, v6
	v_lshl_add_u32 v11, v12, 23, v11
	v_or3_b32 v6, v6, v11, v7
	v_trunc_f32_e32 v6, v6
	s_mov_b32 s4, 0x2f800000
	v_mul_f32_e64 v7, |v6|, s4
	v_floor_f32_e32 v7, v7
	s_mov_b32 s4, 0xcf800000
	v_fma_f32 v11, v7, s4, |v6|
	v_cvt_u32_f32_e32 v11, v11
	v_cvt_u32_f32_e32 v7, v7
	v_ashrrev_i32_e32 v12, 31, v6
	v_xor_b32_e32 v6, v11, v12
	v_xor_b32_e32 v7, v7, v12
	v_sub_co_u32_e32 v6, vcc, v6, v12
	v_subb_co_u32_e32 v7, vcc, v7, v12, vcc
.LBB78_1435:
	s_or_b64 exec, exec, s[2:3]
	s_mov_b64 s[2:3], 0
	s_branch .LBB78_1439
.LBB78_1436:
	s_mov_b64 s[2:3], -1
                                        ; implicit-def: $vgpr6_vgpr7
	s_branch .LBB78_1445
.LBB78_1437:
	s_mov_b64 s[2:3], -1
                                        ; implicit-def: $vgpr6_vgpr7
	s_branch .LBB78_1442
.LBB78_1438:
	s_mov_b64 s[2:3], -1
                                        ; implicit-def: $vgpr6_vgpr7
.LBB78_1439:
	s_and_b64 vcc, exec, s[2:3]
	s_cbranch_vccz .LBB78_1441
; %bb.1440:
	global_load_ubyte v6, v[8:9], off
	s_mov_b32 s2, 0x7f800000
	s_brev_b32 s3, 1
	s_mov_b32 s4, 0x2f800000
	s_mov_b32 s5, 0xcf800000
	s_waitcnt vmcnt(0)
	v_lshlrev_b32_e32 v6, 24, v6
	v_and_b32_e32 v7, 0x7f000000, v6
	v_ffbh_u32_e32 v11, v7
	v_min_u32_e32 v11, 32, v11
	v_sub_u32_e64 v11, v11, 4 clamp
	v_lshlrev_b32_e32 v13, v11, v7
	v_lshlrev_b32_e32 v11, 23, v11
	v_lshrrev_b32_e32 v13, 4, v13
	v_add_u32_e32 v12, 0x1000000, v7
	v_sub_u32_e32 v11, v13, v11
	v_ashrrev_i32_e32 v12, 8, v12
	v_add_u32_e32 v11, 0x3c000000, v11
	v_and_or_b32 v11, v12, s2, v11
	v_cmp_ne_u32_e32 vcc, 0, v7
	v_cndmask_b32_e32 v7, 0, v11, vcc
	v_and_or_b32 v6, v6, s3, v7
	v_trunc_f32_e32 v6, v6
	v_mul_f32_e64 v7, |v6|, s4
	v_floor_f32_e32 v7, v7
	v_fma_f32 v11, v7, s5, |v6|
	v_cvt_u32_f32_e32 v11, v11
	v_cvt_u32_f32_e32 v7, v7
	v_ashrrev_i32_e32 v12, 31, v6
	v_xor_b32_e32 v6, v11, v12
	v_xor_b32_e32 v7, v7, v12
	v_sub_co_u32_e32 v6, vcc, v6, v12
	v_subb_co_u32_e32 v7, vcc, v7, v12, vcc
.LBB78_1441:
	s_mov_b64 s[2:3], 0
.LBB78_1442:
	s_andn2_b64 vcc, exec, s[2:3]
	s_cbranch_vccnz .LBB78_1444
; %bb.1443:
	global_load_ubyte v6, v[8:9], off
	s_movk_i32 s2, 0x7f00
	s_brev_b32 s3, 16
	s_brev_b32 s4, 1
	s_mov_b32 s5, 0x2f800000
	s_mov_b32 s10, 0xcf800000
	s_waitcnt vmcnt(0)
	v_lshlrev_b16_e32 v7, 8, v6
	v_lshlrev_b32_e32 v6, 25, v6
	v_lshrrev_b32_e32 v11, 4, v6
	v_and_or_b32 v12, v7, s2, 0.5
	v_or_b32_e32 v11, 0x70000000, v11
	v_add_f32_e32 v12, -0.5, v12
	v_mul_f32_e32 v11, 0x7800000, v11
	v_cmp_gt_u32_e32 vcc, s3, v6
	v_bfe_i32 v7, v7, 0, 16
	v_cndmask_b32_e32 v6, v11, v12, vcc
	v_and_or_b32 v6, v7, s4, v6
	v_trunc_f32_e32 v6, v6
	v_mul_f32_e64 v7, |v6|, s5
	v_floor_f32_e32 v7, v7
	v_fma_f32 v11, v7, s10, |v6|
	v_cvt_u32_f32_e32 v11, v11
	v_cvt_u32_f32_e32 v7, v7
	v_ashrrev_i32_e32 v12, 31, v6
	v_xor_b32_e32 v6, v11, v12
	v_xor_b32_e32 v7, v7, v12
	v_sub_co_u32_e32 v6, vcc, v6, v12
	v_subb_co_u32_e32 v7, vcc, v7, v12, vcc
.LBB78_1444:
	s_mov_b64 s[2:3], 0
	s_mov_b64 s[4:5], -1
.LBB78_1445:
	s_andn2_b64 vcc, exec, s[2:3]
	s_mov_b64 s[2:3], 0
	s_cbranch_vccnz .LBB78_1454
; %bb.1446:
	s_cmp_gt_i32 s26, 14
	s_cbranch_scc0 .LBB78_1449
; %bb.1447:
	s_cmp_eq_u32 s26, 15
	s_cbranch_scc0 .LBB78_1450
; %bb.1448:
	global_load_ushort v6, v[8:9], off
	s_mov_b32 s0, 0x2f800000
	s_mov_b32 s1, 0xcf800000
	s_mov_b64 s[4:5], -1
	s_waitcnt vmcnt(0)
	v_lshlrev_b32_e32 v6, 16, v6
	v_trunc_f32_e32 v6, v6
	v_mul_f32_e64 v7, |v6|, s0
	v_floor_f32_e32 v7, v7
	v_fma_f32 v11, v7, s1, |v6|
	v_cvt_u32_f32_e32 v11, v11
	v_cvt_u32_f32_e32 v7, v7
	v_ashrrev_i32_e32 v12, 31, v6
	s_mov_b64 s[0:1], 0
	v_xor_b32_e32 v6, v11, v12
	v_xor_b32_e32 v7, v7, v12
	v_sub_co_u32_e32 v6, vcc, v6, v12
	v_subb_co_u32_e32 v7, vcc, v7, v12, vcc
	s_branch .LBB78_1451
.LBB78_1449:
	s_mov_b64 s[10:11], -1
                                        ; implicit-def: $vgpr6_vgpr7
	s_branch .LBB78_1452
.LBB78_1450:
	s_mov_b64 s[0:1], -1
                                        ; implicit-def: $vgpr6_vgpr7
.LBB78_1451:
	s_mov_b64 s[10:11], 0
.LBB78_1452:
	s_and_b64 vcc, exec, s[10:11]
	s_cbranch_vccz .LBB78_1454
; %bb.1453:
	s_cmp_lg_u32 s26, 11
	s_mov_b64 s[2:3], -1
	s_cselect_b64 s[0:1], -1, 0
.LBB78_1454:
	s_and_b64 vcc, exec, s[0:1]
	s_cbranch_vccnz .LBB78_1987
; %bb.1455:
	s_andn2_b64 vcc, exec, s[2:3]
	s_cbranch_vccnz .LBB78_1457
.LBB78_1456:
	global_load_ubyte v6, v[8:9], off
	s_mov_b32 s0, 0
	s_waitcnt vmcnt(1)
	v_mov_b32_e32 v7, s0
	s_mov_b64 s[4:5], -1
	s_waitcnt vmcnt(0)
	v_cmp_ne_u16_e32 vcc, 0, v6
	v_cndmask_b32_e64 v6, 0, 1, vcc
.LBB78_1457:
	s_mov_b64 s[0:1], 0
.LBB78_1458:
	s_and_b64 vcc, exec, s[0:1]
	s_cbranch_vccz .LBB78_1507
; %bb.1459:
	s_cmp_lt_i32 s26, 5
	s_cbranch_scc1 .LBB78_1464
; %bb.1460:
	s_cmp_lt_i32 s26, 8
	s_cbranch_scc1 .LBB78_1465
	;; [unrolled: 3-line block ×3, first 2 shown]
; %bb.1462:
	s_cmp_gt_i32 s26, 9
	s_cbranch_scc0 .LBB78_1467
; %bb.1463:
	global_load_dwordx2 v[6:7], v[8:9], off
	s_movk_i32 s0, 0xffe0
	s_waitcnt vmcnt(0)
	v_trunc_f64_e32 v[6:7], v[6:7]
	v_ldexp_f64 v[11:12], v[6:7], s0
	s_mov_b32 s0, 0
	s_mov_b32 s1, 0xc1f00000
	v_floor_f64_e32 v[11:12], v[11:12]
	v_fma_f64 v[13:14], v[11:12], s[0:1], v[6:7]
	v_cvt_i32_f64_e32 v7, v[11:12]
	s_mov_b64 s[0:1], 0
	v_cvt_u32_f64_e32 v6, v[13:14]
	s_branch .LBB78_1468
.LBB78_1464:
	s_mov_b64 s[0:1], -1
                                        ; implicit-def: $vgpr6_vgpr7
	s_branch .LBB78_1486
.LBB78_1465:
	s_mov_b64 s[0:1], -1
                                        ; implicit-def: $vgpr6_vgpr7
	s_branch .LBB78_1474
.LBB78_1466:
	s_mov_b64 s[0:1], -1
                                        ; implicit-def: $vgpr6_vgpr7
	s_branch .LBB78_1471
.LBB78_1467:
	s_mov_b64 s[0:1], -1
                                        ; implicit-def: $vgpr6_vgpr7
.LBB78_1468:
	s_andn2_b64 vcc, exec, s[0:1]
	s_cbranch_vccnz .LBB78_1470
; %bb.1469:
	global_load_dword v6, v[8:9], off
	s_mov_b32 s0, 0x2f800000
	s_mov_b32 s1, 0xcf800000
	s_waitcnt vmcnt(0)
	v_trunc_f32_e32 v6, v6
	v_mul_f32_e64 v7, |v6|, s0
	v_floor_f32_e32 v7, v7
	v_cvt_u32_f32_e32 v11, v7
	v_fma_f32 v7, v7, s1, |v6|
	v_cvt_u32_f32_e32 v7, v7
	v_ashrrev_i32_e32 v12, 31, v6
	v_xor_b32_e32 v11, v11, v12
	v_xor_b32_e32 v6, v7, v12
	v_sub_co_u32_e32 v6, vcc, v6, v12
	v_subb_co_u32_e32 v7, vcc, v11, v12, vcc
.LBB78_1470:
	s_mov_b64 s[0:1], 0
.LBB78_1471:
	s_andn2_b64 vcc, exec, s[0:1]
	s_cbranch_vccnz .LBB78_1473
; %bb.1472:
	global_load_dword v6, v[8:9], off
	s_waitcnt vmcnt(0)
	v_cvt_f32_f16_e32 v6, v6
	v_cvt_i32_f32_e32 v6, v6
	v_ashrrev_i32_e32 v7, 31, v6
.LBB78_1473:
	s_mov_b64 s[0:1], 0
.LBB78_1474:
	s_andn2_b64 vcc, exec, s[0:1]
	s_cbranch_vccnz .LBB78_1485
; %bb.1475:
	s_cmp_lt_i32 s26, 6
	s_cbranch_scc1 .LBB78_1478
; %bb.1476:
	s_cmp_gt_i32 s26, 6
	s_cbranch_scc0 .LBB78_1479
; %bb.1477:
	global_load_dwordx2 v[6:7], v[8:9], off
	s_movk_i32 s0, 0xffe0
	s_waitcnt vmcnt(0)
	v_trunc_f64_e32 v[6:7], v[6:7]
	v_ldexp_f64 v[11:12], v[6:7], s0
	s_mov_b32 s0, 0
	s_mov_b32 s1, 0xc1f00000
	v_floor_f64_e32 v[11:12], v[11:12]
	v_fma_f64 v[13:14], v[11:12], s[0:1], v[6:7]
	v_cvt_i32_f64_e32 v7, v[11:12]
	s_mov_b64 s[0:1], 0
	v_cvt_u32_f64_e32 v6, v[13:14]
	s_branch .LBB78_1480
.LBB78_1478:
	s_mov_b64 s[0:1], -1
                                        ; implicit-def: $vgpr6_vgpr7
	s_branch .LBB78_1483
.LBB78_1479:
	s_mov_b64 s[0:1], -1
                                        ; implicit-def: $vgpr6_vgpr7
.LBB78_1480:
	s_andn2_b64 vcc, exec, s[0:1]
	s_cbranch_vccnz .LBB78_1482
; %bb.1481:
	global_load_dword v6, v[8:9], off
	s_mov_b32 s0, 0x2f800000
	s_mov_b32 s1, 0xcf800000
	s_waitcnt vmcnt(0)
	v_trunc_f32_e32 v6, v6
	v_mul_f32_e64 v7, |v6|, s0
	v_floor_f32_e32 v7, v7
	v_cvt_u32_f32_e32 v11, v7
	v_fma_f32 v7, v7, s1, |v6|
	v_cvt_u32_f32_e32 v7, v7
	v_ashrrev_i32_e32 v12, 31, v6
	v_xor_b32_e32 v11, v11, v12
	v_xor_b32_e32 v6, v7, v12
	v_sub_co_u32_e32 v6, vcc, v6, v12
	v_subb_co_u32_e32 v7, vcc, v11, v12, vcc
.LBB78_1482:
	s_mov_b64 s[0:1], 0
.LBB78_1483:
	s_andn2_b64 vcc, exec, s[0:1]
	s_cbranch_vccnz .LBB78_1485
; %bb.1484:
	global_load_ushort v6, v[8:9], off
	s_waitcnt vmcnt(0)
	v_cvt_f32_f16_e32 v6, v6
	v_cvt_i32_f32_e32 v6, v6
	v_ashrrev_i32_e32 v7, 31, v6
.LBB78_1485:
	s_mov_b64 s[0:1], 0
.LBB78_1486:
	s_andn2_b64 vcc, exec, s[0:1]
	s_cbranch_vccnz .LBB78_1506
; %bb.1487:
	s_cmp_lt_i32 s26, 2
	s_cbranch_scc1 .LBB78_1491
; %bb.1488:
	s_cmp_lt_i32 s26, 3
	s_cbranch_scc1 .LBB78_1492
; %bb.1489:
	s_cmp_gt_i32 s26, 3
	s_cbranch_scc0 .LBB78_1493
; %bb.1490:
	global_load_dwordx2 v[6:7], v[8:9], off
	s_mov_b64 s[0:1], 0
	s_branch .LBB78_1494
.LBB78_1491:
	s_mov_b64 s[0:1], -1
                                        ; implicit-def: $vgpr6_vgpr7
	s_branch .LBB78_1500
.LBB78_1492:
	s_mov_b64 s[0:1], -1
                                        ; implicit-def: $vgpr6_vgpr7
	s_branch .LBB78_1497
.LBB78_1493:
	s_mov_b64 s[0:1], -1
                                        ; implicit-def: $vgpr6_vgpr7
.LBB78_1494:
	s_andn2_b64 vcc, exec, s[0:1]
	s_cbranch_vccnz .LBB78_1496
; %bb.1495:
	global_load_dword v6, v[8:9], off
	s_waitcnt vmcnt(0)
	v_ashrrev_i32_e32 v7, 31, v6
.LBB78_1496:
	s_mov_b64 s[0:1], 0
.LBB78_1497:
	s_andn2_b64 vcc, exec, s[0:1]
	s_cbranch_vccnz .LBB78_1499
; %bb.1498:
	global_load_ushort v6, v[8:9], off
	s_waitcnt vmcnt(0)
	v_bfe_i32 v6, v6, 0, 16
	v_ashrrev_i32_e32 v7, 31, v6
.LBB78_1499:
	s_mov_b64 s[0:1], 0
.LBB78_1500:
	s_andn2_b64 vcc, exec, s[0:1]
	s_cbranch_vccnz .LBB78_1506
; %bb.1501:
	s_cmp_gt_i32 s26, 0
	s_cbranch_scc0 .LBB78_1503
; %bb.1502:
	global_load_sbyte v6, v[8:9], off
	s_mov_b64 s[0:1], 0
	s_waitcnt vmcnt(0)
	v_bfe_i32 v6, v6, 0, 16
	v_ashrrev_i32_e32 v7, 31, v6
	s_branch .LBB78_1504
.LBB78_1503:
	s_mov_b64 s[0:1], -1
                                        ; implicit-def: $vgpr6_vgpr7
.LBB78_1504:
	s_andn2_b64 vcc, exec, s[0:1]
	s_cbranch_vccnz .LBB78_1506
; %bb.1505:
	global_load_ubyte v6, v[8:9], off
	s_mov_b32 s0, 0
	s_waitcnt vmcnt(1)
	v_mov_b32_e32 v7, s0
	s_waitcnt vmcnt(0)
	v_and_b32_e32 v6, 0xffff, v6
.LBB78_1506:
	s_mov_b64 s[4:5], -1
.LBB78_1507:
	s_andn2_b64 vcc, exec, s[4:5]
	s_cbranch_vccnz .LBB78_1941
; %bb.1508:
	v_mov_b32_e32 v8, s12
	v_mul_lo_u32 v10, s16, v10
	v_mov_b32_e32 v9, s13
	v_cmp_gt_i64_e64 s[0:1], s[18:19], v[8:9]
	v_mov_b32_e32 v11, s15
	v_mov_b32_e32 v8, s14
	s_waitcnt vmcnt(0)
	v_cndmask_b32_e64 v1, v11, v1, s[0:1]
	v_cndmask_b32_e64 v0, v8, v0, s[0:1]
	v_ashrrev_i32_e32 v9, 31, v10
	v_mov_b32_e32 v11, s9
	s_and_b32 s24, s33, 0xff
	v_add_co_u32_e32 v8, vcc, s8, v10
	s_cmp_lt_i32 s24, 11
	v_addc_co_u32_e32 v9, vcc, v11, v9, vcc
	s_cbranch_scc1 .LBB78_1586
; %bb.1509:
	s_and_b32 s17, 0xffff, s24
	s_mov_b64 s[12:13], -1
	s_mov_b64 s[4:5], 0
	s_cmp_gt_i32 s17, 25
	s_mov_b64 s[10:11], 0
	s_mov_b64 s[2:3], 0
	s_cbranch_scc0 .LBB78_1542
; %bb.1510:
	s_cmp_gt_i32 s17, 28
	s_cbranch_scc0 .LBB78_1525
; %bb.1511:
	s_cmp_gt_i32 s17, 43
	;; [unrolled: 3-line block ×3, first 2 shown]
	s_cbranch_scc0 .LBB78_1515
; %bb.1513:
	s_mov_b64 s[2:3], -1
	s_mov_b64 s[12:13], 0
	s_cmp_eq_u32 s17, 46
	s_cbranch_scc0 .LBB78_1515
; %bb.1514:
	v_xor_b32_e32 v12, v0, v1
	v_ffbh_i32_e32 v11, v1
	v_ashrrev_i32_e32 v12, 31, v12
	v_add_u32_e32 v11, -1, v11
	v_add_u32_e32 v12, 32, v12
	v_min_u32_e32 v13, v11, v12
	v_lshlrev_b64 v[11:12], v13, v[0:1]
	s_movk_i32 s2, 0x7fff
	v_min_u32_e32 v11, 1, v11
	v_or_b32_e32 v11, v12, v11
	v_cvt_f32_i32_e32 v11, v11
	v_sub_u32_e32 v12, 32, v13
	s_mov_b64 s[10:11], -1
	v_ldexp_f32 v11, v11, v12
	v_bfe_u32 v12, v11, 16, 1
	v_add3_u32 v11, v11, v12, s2
	v_lshrrev_b32_e32 v11, 16, v11
	global_store_dword v[8:9], v11, off
	s_mov_b64 s[2:3], 0
.LBB78_1515:
	s_and_b64 vcc, exec, s[12:13]
	s_cbranch_vccz .LBB78_1520
; %bb.1516:
	s_cmp_eq_u32 s17, 44
	s_mov_b64 s[2:3], -1
	s_cbranch_scc0 .LBB78_1520
; %bb.1517:
	v_xor_b32_e32 v12, v0, v1
	v_ffbh_i32_e32 v11, v1
	v_ashrrev_i32_e32 v12, 31, v12
	v_add_u32_e32 v11, -1, v11
	v_add_u32_e32 v12, 32, v12
	v_min_u32_e32 v13, v11, v12
	v_lshlrev_b64 v[11:12], v13, v[0:1]
	s_movk_i32 s2, 0xff
	v_min_u32_e32 v11, 1, v11
	v_or_b32_e32 v11, v12, v11
	v_cvt_f32_i32_e32 v11, v11
	v_sub_u32_e32 v12, 32, v13
	v_mov_b32_e32 v13, 0xff
	v_ldexp_f32 v11, v11, v12
	v_bfe_u32 v12, v11, 23, 8
	v_cmp_ne_u32_e32 vcc, s2, v12
	s_and_saveexec_b64 s[10:11], vcc
; %bb.1518:
	s_mov_b32 s2, 0x3fffff
	v_lshrrev_b32_e32 v13, 23, v11
	v_and_b32_e32 v14, 0x400000, v11
	v_and_or_b32 v11, v11, s2, v12
	v_cmp_ne_u32_e32 vcc, 0, v14
	v_cmp_ne_u32_e64 s[2:3], 0, v11
	s_and_b64 s[2:3], vcc, s[2:3]
	v_cndmask_b32_e64 v11, 0, 1, s[2:3]
	v_add_u32_e32 v13, v13, v11
; %bb.1519:
	s_or_b64 exec, exec, s[10:11]
	s_mov_b64 s[2:3], 0
	s_mov_b64 s[10:11], -1
	global_store_byte v[8:9], v13, off
.LBB78_1520:
	s_mov_b64 s[12:13], 0
.LBB78_1521:
	s_and_b64 vcc, exec, s[12:13]
	s_cbranch_vccz .LBB78_1524
; %bb.1522:
	s_cmp_eq_u32 s17, 29
	s_mov_b64 s[2:3], -1
	s_cbranch_scc0 .LBB78_1524
; %bb.1523:
	global_store_dwordx2 v[8:9], v[0:1], off
	s_mov_b64 s[2:3], 0
	s_mov_b64 s[10:11], -1
.LBB78_1524:
	s_mov_b64 s[12:13], 0
.LBB78_1525:
	s_and_b64 vcc, exec, s[12:13]
	s_cbranch_vccz .LBB78_1541
; %bb.1526:
	s_cmp_lt_i32 s17, 27
	s_mov_b64 s[10:11], -1
	s_cbranch_scc1 .LBB78_1532
; %bb.1527:
	s_cmp_gt_i32 s17, 27
	s_cbranch_scc0 .LBB78_1529
; %bb.1528:
	s_mov_b64 s[10:11], 0
	global_store_dword v[8:9], v0, off
.LBB78_1529:
	s_andn2_b64 vcc, exec, s[10:11]
	s_cbranch_vccnz .LBB78_1531
; %bb.1530:
	global_store_short v[8:9], v0, off
.LBB78_1531:
	s_mov_b64 s[10:11], 0
.LBB78_1532:
	s_andn2_b64 vcc, exec, s[10:11]
	s_cbranch_vccnz .LBB78_1540
; %bb.1533:
	v_xor_b32_e32 v12, v0, v1
	v_ffbh_i32_e32 v11, v1
	v_ashrrev_i32_e32 v12, 31, v12
	v_add_u32_e32 v11, -1, v11
	v_add_u32_e32 v12, 32, v12
	v_min_u32_e32 v13, v11, v12
	v_lshlrev_b64 v[11:12], v13, v[0:1]
	s_mov_b32 s10, 0x43800000
	v_min_u32_e32 v11, 1, v11
	v_or_b32_e32 v11, v12, v11
	v_cvt_f32_i32_e32 v11, v11
	v_sub_u32_e32 v12, 32, v13
	v_mov_b32_e32 v13, 0x80
	v_ldexp_f32 v11, v11, v12
	v_and_b32_e32 v12, 0x7fffffff, v11
	v_cmp_gt_u32_e32 vcc, s10, v12
	s_and_saveexec_b64 s[10:11], vcc
	s_cbranch_execz .LBB78_1539
; %bb.1534:
	s_mov_b32 s12, 0x3bffffff
	v_cmp_lt_u32_e32 vcc, s12, v12
	s_mov_b64 s[12:13], 0
                                        ; implicit-def: $vgpr12
	s_and_saveexec_b64 s[18:19], vcc
	s_xor_b64 s[18:19], exec, s[18:19]
	s_cbranch_execz .LBB78_1988
; %bb.1535:
	v_bfe_u32 v12, v11, 20, 1
	s_mov_b32 s25, 0x487ffff
	v_add3_u32 v12, v11, v12, s25
	s_mov_b64 s[12:13], exec
	v_lshrrev_b32_e32 v12, 20, v12
	s_andn2_saveexec_b64 s[18:19], s[18:19]
	s_cbranch_execnz .LBB78_1989
.LBB78_1536:
	s_or_b64 exec, exec, s[18:19]
	v_mov_b32_e32 v13, 0
	s_and_saveexec_b64 s[18:19], s[12:13]
.LBB78_1537:
	v_lshrrev_b32_e32 v11, 24, v11
	s_movk_i32 s12, 0x80
	v_and_or_b32 v13, v11, s12, v12
.LBB78_1538:
	s_or_b64 exec, exec, s[18:19]
.LBB78_1539:
	s_or_b64 exec, exec, s[10:11]
	global_store_byte v[8:9], v13, off
.LBB78_1540:
	s_mov_b64 s[10:11], -1
.LBB78_1541:
	s_mov_b64 s[12:13], 0
.LBB78_1542:
	s_and_b64 vcc, exec, s[12:13]
	s_cbranch_vccz .LBB78_1582
; %bb.1543:
	s_cmp_gt_i32 s17, 22
	s_mov_b64 s[4:5], -1
	s_cbranch_scc0 .LBB78_1575
; %bb.1544:
	s_cmp_lt_i32 s17, 24
	s_cbranch_scc1 .LBB78_1564
; %bb.1545:
	s_cmp_gt_i32 s17, 24
	s_cbranch_scc0 .LBB78_1553
; %bb.1546:
	v_xor_b32_e32 v12, v0, v1
	v_ffbh_i32_e32 v11, v1
	v_ashrrev_i32_e32 v12, 31, v12
	v_add_u32_e32 v11, -1, v11
	v_add_u32_e32 v12, 32, v12
	v_min_u32_e32 v13, v11, v12
	v_lshlrev_b64 v[11:12], v13, v[0:1]
	s_mov_b32 s4, 0x47800000
	v_min_u32_e32 v11, 1, v11
	v_or_b32_e32 v11, v12, v11
	v_cvt_f32_i32_e32 v11, v11
	v_sub_u32_e32 v12, 32, v13
	v_mov_b32_e32 v13, 0x80
	v_ldexp_f32 v11, v11, v12
	v_and_b32_e32 v12, 0x7fffffff, v11
	v_cmp_gt_u32_e32 vcc, s4, v12
	s_and_saveexec_b64 s[4:5], vcc
	s_cbranch_execz .LBB78_1552
; %bb.1547:
	s_mov_b32 s10, 0x37ffffff
	v_cmp_lt_u32_e32 vcc, s10, v12
	s_mov_b64 s[10:11], 0
                                        ; implicit-def: $vgpr12
	s_and_saveexec_b64 s[12:13], vcc
	s_xor_b64 s[12:13], exec, s[12:13]
	s_cbranch_execz .LBB78_1991
; %bb.1548:
	v_bfe_u32 v12, v11, 21, 1
	s_mov_b32 s18, 0x88fffff
	v_add3_u32 v12, v11, v12, s18
	s_mov_b64 s[10:11], exec
	v_lshrrev_b32_e32 v12, 21, v12
	s_andn2_saveexec_b64 s[12:13], s[12:13]
	s_cbranch_execnz .LBB78_1992
.LBB78_1549:
	s_or_b64 exec, exec, s[12:13]
	v_mov_b32_e32 v13, 0
	s_and_saveexec_b64 s[12:13], s[10:11]
.LBB78_1550:
	v_lshrrev_b32_e32 v11, 24, v11
	s_movk_i32 s10, 0x80
	v_and_or_b32 v13, v11, s10, v12
.LBB78_1551:
	s_or_b64 exec, exec, s[12:13]
.LBB78_1552:
	s_or_b64 exec, exec, s[4:5]
	s_mov_b64 s[4:5], 0
	global_store_byte v[8:9], v13, off
.LBB78_1553:
	s_and_b64 vcc, exec, s[4:5]
	s_cbranch_vccz .LBB78_1563
; %bb.1554:
	v_xor_b32_e32 v12, v0, v1
	v_ffbh_i32_e32 v11, v1
	v_ashrrev_i32_e32 v12, 31, v12
	v_add_u32_e32 v11, -1, v11
	v_add_u32_e32 v12, 32, v12
	v_min_u32_e32 v13, v11, v12
	v_lshlrev_b64 v[11:12], v13, v[0:1]
	s_mov_b32 s4, 0x43f00000
	v_min_u32_e32 v11, 1, v11
	v_or_b32_e32 v11, v12, v11
	v_cvt_f32_i32_e32 v11, v11
	v_sub_u32_e32 v12, 32, v13
	v_ldexp_f32 v11, v11, v12
	v_and_b32_e32 v13, 0x7fffffff, v11
	v_cmp_gt_u32_e32 vcc, s4, v13
                                        ; implicit-def: $vgpr12
	s_and_saveexec_b64 s[4:5], vcc
	s_xor_b64 s[4:5], exec, s[4:5]
	s_cbranch_execz .LBB78_1560
; %bb.1555:
	s_mov_b32 s10, 0x3c7fffff
	v_cmp_lt_u32_e32 vcc, s10, v13
                                        ; implicit-def: $vgpr12
	s_and_saveexec_b64 s[10:11], vcc
	s_xor_b64 s[10:11], exec, s[10:11]
; %bb.1556:
	v_bfe_u32 v12, v11, 20, 1
	s_mov_b32 s12, 0x407ffff
	v_add3_u32 v12, v11, v12, s12
	v_lshrrev_b32_e32 v13, 20, v12
	v_and_b32_e32 v12, 0xff00000, v12
	s_mov_b32 s12, 0x7f00000
	v_mov_b32_e32 v14, 0x7e
	v_cmp_ne_u32_e32 vcc, s12, v12
	v_cndmask_b32_e32 v12, v14, v13, vcc
; %bb.1557:
	s_andn2_saveexec_b64 s[10:11], s[10:11]
; %bb.1558:
	s_mov_b32 s12, 0x46800000
	v_add_f32_e64 v12, |v11|, s12
; %bb.1559:
	s_or_b64 exec, exec, s[10:11]
                                        ; implicit-def: $vgpr13
.LBB78_1560:
	s_andn2_saveexec_b64 s[4:5], s[4:5]
; %bb.1561:
	s_mov_b32 s10, 0x7f800000
	v_mov_b32_e32 v12, 0x7e
	v_mov_b32_e32 v14, 0x7f
	v_cmp_lt_u32_e32 vcc, s10, v13
	v_cndmask_b32_e32 v12, v12, v14, vcc
; %bb.1562:
	s_or_b64 exec, exec, s[4:5]
	v_lshrrev_b32_e32 v11, 24, v11
	s_movk_i32 s4, 0x80
	v_and_or_b32 v11, v11, s4, v12
	global_store_byte v[8:9], v11, off
.LBB78_1563:
	s_mov_b64 s[4:5], 0
.LBB78_1564:
	s_andn2_b64 vcc, exec, s[4:5]
	s_cbranch_vccnz .LBB78_1574
; %bb.1565:
	v_xor_b32_e32 v12, v0, v1
	v_ffbh_i32_e32 v11, v1
	v_ashrrev_i32_e32 v12, 31, v12
	v_add_u32_e32 v11, -1, v11
	v_add_u32_e32 v12, 32, v12
	v_min_u32_e32 v13, v11, v12
	v_lshlrev_b64 v[11:12], v13, v[0:1]
	s_mov_b32 s4, 0x47800000
	v_min_u32_e32 v11, 1, v11
	v_or_b32_e32 v11, v12, v11
	v_cvt_f32_i32_e32 v11, v11
	v_sub_u32_e32 v12, 32, v13
	v_ldexp_f32 v11, v11, v12
	v_and_b32_e32 v13, 0x7fffffff, v11
	v_cmp_gt_u32_e32 vcc, s4, v13
                                        ; implicit-def: $vgpr12
	s_and_saveexec_b64 s[4:5], vcc
	s_xor_b64 s[4:5], exec, s[4:5]
	s_cbranch_execz .LBB78_1571
; %bb.1566:
	s_mov_b32 s10, 0x387fffff
	v_cmp_lt_u32_e32 vcc, s10, v13
                                        ; implicit-def: $vgpr12
	s_and_saveexec_b64 s[10:11], vcc
	s_xor_b64 s[10:11], exec, s[10:11]
; %bb.1567:
	v_bfe_u32 v12, v11, 21, 1
	s_mov_b32 s12, 0x80fffff
	v_add3_u32 v12, v11, v12, s12
	v_lshrrev_b32_e32 v12, 21, v12
; %bb.1568:
	s_andn2_saveexec_b64 s[10:11], s[10:11]
; %bb.1569:
	s_mov_b32 s12, 0x43000000
	v_add_f32_e64 v12, |v11|, s12
; %bb.1570:
	s_or_b64 exec, exec, s[10:11]
                                        ; implicit-def: $vgpr13
.LBB78_1571:
	s_andn2_saveexec_b64 s[4:5], s[4:5]
; %bb.1572:
	s_mov_b32 s10, 0x7f800000
	v_mov_b32_e32 v12, 0x7c
	v_mov_b32_e32 v14, 0x7f
	v_cmp_lt_u32_e32 vcc, s10, v13
	v_cndmask_b32_e32 v12, v12, v14, vcc
; %bb.1573:
	s_or_b64 exec, exec, s[4:5]
	v_lshrrev_b32_e32 v11, 24, v11
	s_movk_i32 s4, 0x80
	v_and_or_b32 v11, v11, s4, v12
	global_store_byte v[8:9], v11, off
.LBB78_1574:
	s_mov_b64 s[4:5], 0
	s_mov_b64 s[10:11], -1
.LBB78_1575:
	s_andn2_b64 vcc, exec, s[4:5]
	s_mov_b64 s[4:5], 0
	s_cbranch_vccnz .LBB78_1582
; %bb.1576:
	s_cmp_gt_i32 s17, 14
	s_mov_b64 s[12:13], -1
	s_cbranch_scc0 .LBB78_1580
; %bb.1577:
	s_cmp_eq_u32 s17, 15
	s_mov_b64 s[2:3], -1
	s_cbranch_scc0 .LBB78_1579
; %bb.1578:
	v_xor_b32_e32 v12, v0, v1
	v_ffbh_i32_e32 v11, v1
	v_ashrrev_i32_e32 v12, 31, v12
	v_add_u32_e32 v11, -1, v11
	v_add_u32_e32 v12, 32, v12
	v_min_u32_e32 v13, v11, v12
	v_lshlrev_b64 v[11:12], v13, v[0:1]
	s_movk_i32 s2, 0x7fff
	v_min_u32_e32 v11, 1, v11
	v_or_b32_e32 v11, v12, v11
	v_cvt_f32_i32_e32 v11, v11
	v_sub_u32_e32 v12, 32, v13
	s_mov_b64 s[10:11], -1
	v_ldexp_f32 v11, v11, v12
	v_bfe_u32 v12, v11, 16, 1
	v_add3_u32 v11, v11, v12, s2
	global_store_short_d16_hi v[8:9], v11, off
	s_mov_b64 s[2:3], 0
.LBB78_1579:
	s_mov_b64 s[12:13], 0
.LBB78_1580:
	s_and_b64 vcc, exec, s[12:13]
	s_cbranch_vccz .LBB78_1582
; %bb.1581:
	s_cmp_lg_u32 s17, 11
	s_mov_b64 s[4:5], -1
	s_cselect_b64 s[2:3], -1, 0
.LBB78_1582:
	s_and_b64 vcc, exec, s[2:3]
	s_cbranch_vccnz .LBB78_1990
; %bb.1583:
	s_andn2_b64 vcc, exec, s[4:5]
	s_cbranch_vccnz .LBB78_1585
.LBB78_1584:
	v_cmp_ne_u64_e32 vcc, 0, v[0:1]
	s_mov_b64 s[10:11], -1
	v_cndmask_b32_e64 v11, 0, 1, vcc
	global_store_byte v[8:9], v11, off
.LBB78_1585:
	s_mov_b64 s[2:3], 0
	s_branch .LBB78_1587
.LBB78_1586:
	s_mov_b64 s[2:3], -1
	s_mov_b64 s[10:11], 0
.LBB78_1587:
	s_and_b64 vcc, exec, s[2:3]
	s_cbranch_vccz .LBB78_1626
; %bb.1588:
	s_and_b32 s4, 0xffff, s24
	s_cmp_lt_i32 s4, 5
	s_mov_b64 s[2:3], -1
	s_cbranch_scc1 .LBB78_1609
; %bb.1589:
	s_cmp_lt_i32 s4, 8
	s_cbranch_scc1 .LBB78_1599
; %bb.1590:
	s_cmp_lt_i32 s4, 9
	s_cbranch_scc1 .LBB78_1596
; %bb.1591:
	s_cmp_gt_i32 s4, 9
	s_cbranch_scc0 .LBB78_1593
; %bb.1592:
	v_cvt_f64_i32_e32 v[11:12], v1
	v_cvt_f64_u32_e32 v[13:14], v0
	s_mov_b64 s[2:3], 0
	v_ldexp_f64 v[11:12], v[11:12], 32
	v_add_f64 v[11:12], v[11:12], v[13:14]
	v_mov_b32_e32 v13, 0
	v_mov_b32_e32 v14, v13
	global_store_dwordx4 v[8:9], v[11:14], off
.LBB78_1593:
	s_andn2_b64 vcc, exec, s[2:3]
	s_cbranch_vccnz .LBB78_1595
; %bb.1594:
	v_xor_b32_e32 v12, v0, v1
	v_ffbh_i32_e32 v11, v1
	v_ashrrev_i32_e32 v12, 31, v12
	v_add_u32_e32 v11, -1, v11
	v_add_u32_e32 v12, 32, v12
	v_min_u32_e32 v13, v11, v12
	v_lshlrev_b64 v[11:12], v13, v[0:1]
	v_min_u32_e32 v11, 1, v11
	v_or_b32_e32 v11, v12, v11
	v_cvt_f32_i32_e32 v11, v11
	v_sub_u32_e32 v12, 32, v13
	v_ldexp_f32 v11, v11, v12
	v_mov_b32_e32 v12, 0
	global_store_dwordx2 v[8:9], v[11:12], off
.LBB78_1595:
	s_mov_b64 s[2:3], 0
.LBB78_1596:
	s_andn2_b64 vcc, exec, s[2:3]
	s_cbranch_vccnz .LBB78_1598
; %bb.1597:
	v_xor_b32_e32 v12, v0, v1
	v_ffbh_i32_e32 v11, v1
	v_ashrrev_i32_e32 v12, 31, v12
	v_add_u32_e32 v11, -1, v11
	v_add_u32_e32 v12, 32, v12
	v_min_u32_e32 v13, v11, v12
	v_lshlrev_b64 v[11:12], v13, v[0:1]
	v_min_u32_e32 v11, 1, v11
	v_or_b32_e32 v11, v12, v11
	v_cvt_f32_i32_e32 v11, v11
	v_sub_u32_e32 v12, 32, v13
	v_ldexp_f32 v11, v11, v12
	v_cvt_f16_f32_e32 v11, v11
	global_store_dword v[8:9], v11, off
.LBB78_1598:
	s_mov_b64 s[2:3], 0
.LBB78_1599:
	s_andn2_b64 vcc, exec, s[2:3]
	s_cbranch_vccnz .LBB78_1608
; %bb.1600:
	s_cmp_lt_i32 s4, 6
	s_mov_b64 s[2:3], -1
	s_cbranch_scc1 .LBB78_1606
; %bb.1601:
	s_cmp_gt_i32 s4, 6
	s_cbranch_scc0 .LBB78_1603
; %bb.1602:
	v_cvt_f64_i32_e32 v[11:12], v1
	v_cvt_f64_u32_e32 v[13:14], v0
	s_mov_b64 s[2:3], 0
	v_ldexp_f64 v[11:12], v[11:12], 32
	v_add_f64 v[11:12], v[11:12], v[13:14]
	global_store_dwordx2 v[8:9], v[11:12], off
.LBB78_1603:
	s_andn2_b64 vcc, exec, s[2:3]
	s_cbranch_vccnz .LBB78_1605
; %bb.1604:
	v_xor_b32_e32 v12, v0, v1
	v_ffbh_i32_e32 v11, v1
	v_ashrrev_i32_e32 v12, 31, v12
	v_add_u32_e32 v11, -1, v11
	v_add_u32_e32 v12, 32, v12
	v_min_u32_e32 v13, v11, v12
	v_lshlrev_b64 v[11:12], v13, v[0:1]
	v_min_u32_e32 v11, 1, v11
	v_or_b32_e32 v11, v12, v11
	v_cvt_f32_i32_e32 v11, v11
	v_sub_u32_e32 v12, 32, v13
	v_ldexp_f32 v11, v11, v12
	global_store_dword v[8:9], v11, off
.LBB78_1605:
	s_mov_b64 s[2:3], 0
.LBB78_1606:
	s_andn2_b64 vcc, exec, s[2:3]
	s_cbranch_vccnz .LBB78_1608
; %bb.1607:
	v_xor_b32_e32 v12, v0, v1
	v_ffbh_i32_e32 v11, v1
	v_ashrrev_i32_e32 v12, 31, v12
	v_add_u32_e32 v11, -1, v11
	v_add_u32_e32 v12, 32, v12
	v_min_u32_e32 v13, v11, v12
	v_lshlrev_b64 v[11:12], v13, v[0:1]
	v_min_u32_e32 v11, 1, v11
	v_or_b32_e32 v11, v12, v11
	v_cvt_f32_i32_e32 v11, v11
	v_sub_u32_e32 v12, 32, v13
	v_ldexp_f32 v11, v11, v12
	v_cvt_f16_f32_e32 v11, v11
	global_store_short v[8:9], v11, off
.LBB78_1608:
	s_mov_b64 s[2:3], 0
.LBB78_1609:
	s_andn2_b64 vcc, exec, s[2:3]
	s_cbranch_vccnz .LBB78_1625
; %bb.1610:
	s_cmp_lt_i32 s4, 2
	s_mov_b64 s[2:3], -1
	s_cbranch_scc1 .LBB78_1620
; %bb.1611:
	s_cmp_lt_i32 s4, 3
	s_cbranch_scc1 .LBB78_1617
; %bb.1612:
	s_cmp_gt_i32 s4, 3
	s_cbranch_scc0 .LBB78_1614
; %bb.1613:
	global_store_dwordx2 v[8:9], v[0:1], off
	s_mov_b64 s[2:3], 0
.LBB78_1614:
	s_andn2_b64 vcc, exec, s[2:3]
	s_cbranch_vccnz .LBB78_1616
; %bb.1615:
	global_store_dword v[8:9], v0, off
.LBB78_1616:
	s_mov_b64 s[2:3], 0
.LBB78_1617:
	s_andn2_b64 vcc, exec, s[2:3]
	s_cbranch_vccnz .LBB78_1619
; %bb.1618:
	global_store_short v[8:9], v0, off
.LBB78_1619:
	s_mov_b64 s[2:3], 0
.LBB78_1620:
	s_andn2_b64 vcc, exec, s[2:3]
	s_cbranch_vccnz .LBB78_1625
; %bb.1621:
	s_cmp_gt_i32 s4, 0
	s_mov_b64 s[2:3], -1
	s_cbranch_scc0 .LBB78_1623
; %bb.1622:
	global_store_byte v[8:9], v0, off
	s_mov_b64 s[2:3], 0
.LBB78_1623:
	s_andn2_b64 vcc, exec, s[2:3]
	s_cbranch_vccnz .LBB78_1625
; %bb.1624:
	global_store_byte v[8:9], v0, off
.LBB78_1625:
	s_mov_b64 s[10:11], -1
.LBB78_1626:
	s_andn2_b64 vcc, exec, s[10:11]
	s_cbranch_vccnz .LBB78_1941
; %bb.1627:
	v_mov_b32_e32 v0, s15
	s_lshl_b32 s18, s16, 7
	v_cndmask_b32_e64 v1, v0, v3, s[0:1]
	v_mov_b32_e32 v0, s14
	v_add_u32_e32 v8, s18, v10
	v_cndmask_b32_e64 v0, v0, v2, s[0:1]
	v_ashrrev_i32_e32 v3, 31, v8
	v_mov_b32_e32 v9, s9
	v_add_co_u32_e32 v2, vcc, s8, v8
	s_cmp_lt_i32 s24, 11
	v_addc_co_u32_e32 v3, vcc, v9, v3, vcc
	s_cbranch_scc1 .LBB78_1705
; %bb.1628:
	s_and_b32 s19, 0xffff, s24
	s_mov_b64 s[12:13], -1
	s_mov_b64 s[4:5], 0
	s_cmp_gt_i32 s19, 25
	s_mov_b64 s[10:11], 0
	s_mov_b64 s[2:3], 0
	s_cbranch_scc0 .LBB78_1661
; %bb.1629:
	s_cmp_gt_i32 s19, 28
	s_cbranch_scc0 .LBB78_1644
; %bb.1630:
	s_cmp_gt_i32 s19, 43
	;; [unrolled: 3-line block ×3, first 2 shown]
	s_cbranch_scc0 .LBB78_1634
; %bb.1632:
	s_mov_b64 s[2:3], -1
	s_mov_b64 s[12:13], 0
	s_cmp_eq_u32 s19, 46
	s_cbranch_scc0 .LBB78_1634
; %bb.1633:
	v_xor_b32_e32 v10, v0, v1
	v_ffbh_i32_e32 v9, v1
	v_ashrrev_i32_e32 v10, 31, v10
	v_add_u32_e32 v9, -1, v9
	v_add_u32_e32 v10, 32, v10
	v_min_u32_e32 v11, v9, v10
	v_lshlrev_b64 v[9:10], v11, v[0:1]
	s_movk_i32 s2, 0x7fff
	v_min_u32_e32 v9, 1, v9
	v_or_b32_e32 v9, v10, v9
	v_cvt_f32_i32_e32 v9, v9
	v_sub_u32_e32 v10, 32, v11
	s_mov_b64 s[10:11], -1
	v_ldexp_f32 v9, v9, v10
	v_bfe_u32 v10, v9, 16, 1
	v_add3_u32 v9, v9, v10, s2
	v_lshrrev_b32_e32 v9, 16, v9
	global_store_dword v[2:3], v9, off
	s_mov_b64 s[2:3], 0
.LBB78_1634:
	s_and_b64 vcc, exec, s[12:13]
	s_cbranch_vccz .LBB78_1639
; %bb.1635:
	s_cmp_eq_u32 s19, 44
	s_mov_b64 s[2:3], -1
	s_cbranch_scc0 .LBB78_1639
; %bb.1636:
	v_xor_b32_e32 v10, v0, v1
	v_ffbh_i32_e32 v9, v1
	v_ashrrev_i32_e32 v10, 31, v10
	v_add_u32_e32 v9, -1, v9
	v_add_u32_e32 v10, 32, v10
	v_min_u32_e32 v11, v9, v10
	v_lshlrev_b64 v[9:10], v11, v[0:1]
	s_movk_i32 s2, 0xff
	v_min_u32_e32 v9, 1, v9
	v_or_b32_e32 v9, v10, v9
	v_cvt_f32_i32_e32 v9, v9
	v_sub_u32_e32 v10, 32, v11
	v_mov_b32_e32 v11, 0xff
	v_ldexp_f32 v9, v9, v10
	v_bfe_u32 v10, v9, 23, 8
	v_cmp_ne_u32_e32 vcc, s2, v10
	s_and_saveexec_b64 s[10:11], vcc
; %bb.1637:
	s_mov_b32 s2, 0x3fffff
	v_lshrrev_b32_e32 v11, 23, v9
	v_and_b32_e32 v12, 0x400000, v9
	v_and_or_b32 v9, v9, s2, v10
	v_cmp_ne_u32_e32 vcc, 0, v12
	v_cmp_ne_u32_e64 s[2:3], 0, v9
	s_and_b64 s[2:3], vcc, s[2:3]
	v_cndmask_b32_e64 v9, 0, 1, s[2:3]
	v_add_u32_e32 v11, v11, v9
; %bb.1638:
	s_or_b64 exec, exec, s[10:11]
	s_mov_b64 s[2:3], 0
	s_mov_b64 s[10:11], -1
	global_store_byte v[2:3], v11, off
.LBB78_1639:
	s_mov_b64 s[12:13], 0
.LBB78_1640:
	s_and_b64 vcc, exec, s[12:13]
	s_cbranch_vccz .LBB78_1643
; %bb.1641:
	s_cmp_eq_u32 s19, 29
	s_mov_b64 s[2:3], -1
	s_cbranch_scc0 .LBB78_1643
; %bb.1642:
	global_store_dwordx2 v[2:3], v[0:1], off
	s_mov_b64 s[2:3], 0
	s_mov_b64 s[10:11], -1
.LBB78_1643:
	s_mov_b64 s[12:13], 0
.LBB78_1644:
	s_and_b64 vcc, exec, s[12:13]
	s_cbranch_vccz .LBB78_1660
; %bb.1645:
	s_cmp_lt_i32 s19, 27
	s_mov_b64 s[10:11], -1
	s_cbranch_scc1 .LBB78_1651
; %bb.1646:
	s_cmp_gt_i32 s19, 27
	s_cbranch_scc0 .LBB78_1648
; %bb.1647:
	s_mov_b64 s[10:11], 0
	global_store_dword v[2:3], v0, off
.LBB78_1648:
	s_andn2_b64 vcc, exec, s[10:11]
	s_cbranch_vccnz .LBB78_1650
; %bb.1649:
	global_store_short v[2:3], v0, off
.LBB78_1650:
	s_mov_b64 s[10:11], 0
.LBB78_1651:
	s_andn2_b64 vcc, exec, s[10:11]
	s_cbranch_vccnz .LBB78_1659
; %bb.1652:
	v_xor_b32_e32 v10, v0, v1
	v_ffbh_i32_e32 v9, v1
	v_ashrrev_i32_e32 v10, 31, v10
	v_add_u32_e32 v9, -1, v9
	v_add_u32_e32 v10, 32, v10
	v_min_u32_e32 v11, v9, v10
	v_lshlrev_b64 v[9:10], v11, v[0:1]
	s_mov_b32 s10, 0x43800000
	v_min_u32_e32 v9, 1, v9
	v_or_b32_e32 v9, v10, v9
	v_cvt_f32_i32_e32 v9, v9
	v_sub_u32_e32 v10, 32, v11
	v_mov_b32_e32 v11, 0x80
	v_ldexp_f32 v9, v9, v10
	v_and_b32_e32 v10, 0x7fffffff, v9
	v_cmp_gt_u32_e32 vcc, s10, v10
	s_and_saveexec_b64 s[10:11], vcc
	s_cbranch_execz .LBB78_1658
; %bb.1653:
	s_mov_b32 s12, 0x3bffffff
	v_cmp_lt_u32_e32 vcc, s12, v10
	s_mov_b64 s[12:13], 0
                                        ; implicit-def: $vgpr10
	s_and_saveexec_b64 s[16:17], vcc
	s_xor_b64 s[16:17], exec, s[16:17]
	s_cbranch_execz .LBB78_1993
; %bb.1654:
	v_bfe_u32 v10, v9, 20, 1
	s_mov_b32 s25, 0x487ffff
	v_add3_u32 v10, v9, v10, s25
	s_mov_b64 s[12:13], exec
	v_lshrrev_b32_e32 v10, 20, v10
	s_andn2_saveexec_b64 s[16:17], s[16:17]
	s_cbranch_execnz .LBB78_1994
.LBB78_1655:
	s_or_b64 exec, exec, s[16:17]
	v_mov_b32_e32 v11, 0
	s_and_saveexec_b64 s[16:17], s[12:13]
.LBB78_1656:
	v_lshrrev_b32_e32 v9, 24, v9
	s_movk_i32 s12, 0x80
	v_and_or_b32 v11, v9, s12, v10
.LBB78_1657:
	s_or_b64 exec, exec, s[16:17]
.LBB78_1658:
	s_or_b64 exec, exec, s[10:11]
	global_store_byte v[2:3], v11, off
.LBB78_1659:
	s_mov_b64 s[10:11], -1
.LBB78_1660:
	s_mov_b64 s[12:13], 0
.LBB78_1661:
	s_and_b64 vcc, exec, s[12:13]
	s_cbranch_vccz .LBB78_1701
; %bb.1662:
	s_cmp_gt_i32 s19, 22
	s_mov_b64 s[4:5], -1
	s_cbranch_scc0 .LBB78_1694
; %bb.1663:
	s_cmp_lt_i32 s19, 24
	s_cbranch_scc1 .LBB78_1683
; %bb.1664:
	s_cmp_gt_i32 s19, 24
	s_cbranch_scc0 .LBB78_1672
; %bb.1665:
	v_xor_b32_e32 v10, v0, v1
	v_ffbh_i32_e32 v9, v1
	v_ashrrev_i32_e32 v10, 31, v10
	v_add_u32_e32 v9, -1, v9
	v_add_u32_e32 v10, 32, v10
	v_min_u32_e32 v11, v9, v10
	v_lshlrev_b64 v[9:10], v11, v[0:1]
	s_mov_b32 s4, 0x47800000
	v_min_u32_e32 v9, 1, v9
	v_or_b32_e32 v9, v10, v9
	v_cvt_f32_i32_e32 v9, v9
	v_sub_u32_e32 v10, 32, v11
	v_mov_b32_e32 v11, 0x80
	v_ldexp_f32 v9, v9, v10
	v_and_b32_e32 v10, 0x7fffffff, v9
	v_cmp_gt_u32_e32 vcc, s4, v10
	s_and_saveexec_b64 s[4:5], vcc
	s_cbranch_execz .LBB78_1671
; %bb.1666:
	s_mov_b32 s10, 0x37ffffff
	v_cmp_lt_u32_e32 vcc, s10, v10
	s_mov_b64 s[10:11], 0
                                        ; implicit-def: $vgpr10
	s_and_saveexec_b64 s[12:13], vcc
	s_xor_b64 s[12:13], exec, s[12:13]
	s_cbranch_execz .LBB78_1996
; %bb.1667:
	v_bfe_u32 v10, v9, 21, 1
	s_mov_b32 s16, 0x88fffff
	v_add3_u32 v10, v9, v10, s16
	s_mov_b64 s[10:11], exec
	v_lshrrev_b32_e32 v10, 21, v10
	s_andn2_saveexec_b64 s[12:13], s[12:13]
	s_cbranch_execnz .LBB78_1997
.LBB78_1668:
	s_or_b64 exec, exec, s[12:13]
	v_mov_b32_e32 v11, 0
	s_and_saveexec_b64 s[12:13], s[10:11]
.LBB78_1669:
	v_lshrrev_b32_e32 v9, 24, v9
	s_movk_i32 s10, 0x80
	v_and_or_b32 v11, v9, s10, v10
.LBB78_1670:
	s_or_b64 exec, exec, s[12:13]
.LBB78_1671:
	s_or_b64 exec, exec, s[4:5]
	s_mov_b64 s[4:5], 0
	global_store_byte v[2:3], v11, off
.LBB78_1672:
	s_and_b64 vcc, exec, s[4:5]
	s_cbranch_vccz .LBB78_1682
; %bb.1673:
	v_xor_b32_e32 v10, v0, v1
	v_ffbh_i32_e32 v9, v1
	v_ashrrev_i32_e32 v10, 31, v10
	v_add_u32_e32 v9, -1, v9
	v_add_u32_e32 v10, 32, v10
	v_min_u32_e32 v11, v9, v10
	v_lshlrev_b64 v[9:10], v11, v[0:1]
	s_mov_b32 s4, 0x43f00000
	v_min_u32_e32 v9, 1, v9
	v_or_b32_e32 v9, v10, v9
	v_cvt_f32_i32_e32 v9, v9
	v_sub_u32_e32 v10, 32, v11
	v_ldexp_f32 v9, v9, v10
	v_and_b32_e32 v11, 0x7fffffff, v9
	v_cmp_gt_u32_e32 vcc, s4, v11
                                        ; implicit-def: $vgpr10
	s_and_saveexec_b64 s[4:5], vcc
	s_xor_b64 s[4:5], exec, s[4:5]
	s_cbranch_execz .LBB78_1679
; %bb.1674:
	s_mov_b32 s10, 0x3c7fffff
	v_cmp_lt_u32_e32 vcc, s10, v11
                                        ; implicit-def: $vgpr10
	s_and_saveexec_b64 s[10:11], vcc
	s_xor_b64 s[10:11], exec, s[10:11]
; %bb.1675:
	v_bfe_u32 v10, v9, 20, 1
	s_mov_b32 s12, 0x407ffff
	v_add3_u32 v10, v9, v10, s12
	v_lshrrev_b32_e32 v11, 20, v10
	v_and_b32_e32 v10, 0xff00000, v10
	s_mov_b32 s12, 0x7f00000
	v_mov_b32_e32 v12, 0x7e
	v_cmp_ne_u32_e32 vcc, s12, v10
	v_cndmask_b32_e32 v10, v12, v11, vcc
; %bb.1676:
	s_andn2_saveexec_b64 s[10:11], s[10:11]
; %bb.1677:
	s_mov_b32 s12, 0x46800000
	v_add_f32_e64 v10, |v9|, s12
; %bb.1678:
	s_or_b64 exec, exec, s[10:11]
                                        ; implicit-def: $vgpr11
.LBB78_1679:
	s_andn2_saveexec_b64 s[4:5], s[4:5]
; %bb.1680:
	s_mov_b32 s10, 0x7f800000
	v_mov_b32_e32 v10, 0x7e
	v_mov_b32_e32 v12, 0x7f
	v_cmp_lt_u32_e32 vcc, s10, v11
	v_cndmask_b32_e32 v10, v10, v12, vcc
; %bb.1681:
	s_or_b64 exec, exec, s[4:5]
	v_lshrrev_b32_e32 v9, 24, v9
	s_movk_i32 s4, 0x80
	v_and_or_b32 v9, v9, s4, v10
	global_store_byte v[2:3], v9, off
.LBB78_1682:
	s_mov_b64 s[4:5], 0
.LBB78_1683:
	s_andn2_b64 vcc, exec, s[4:5]
	s_cbranch_vccnz .LBB78_1693
; %bb.1684:
	v_xor_b32_e32 v10, v0, v1
	v_ffbh_i32_e32 v9, v1
	v_ashrrev_i32_e32 v10, 31, v10
	v_add_u32_e32 v9, -1, v9
	v_add_u32_e32 v10, 32, v10
	v_min_u32_e32 v11, v9, v10
	v_lshlrev_b64 v[9:10], v11, v[0:1]
	s_mov_b32 s4, 0x47800000
	v_min_u32_e32 v9, 1, v9
	v_or_b32_e32 v9, v10, v9
	v_cvt_f32_i32_e32 v9, v9
	v_sub_u32_e32 v10, 32, v11
	v_ldexp_f32 v9, v9, v10
	v_and_b32_e32 v11, 0x7fffffff, v9
	v_cmp_gt_u32_e32 vcc, s4, v11
                                        ; implicit-def: $vgpr10
	s_and_saveexec_b64 s[4:5], vcc
	s_xor_b64 s[4:5], exec, s[4:5]
	s_cbranch_execz .LBB78_1690
; %bb.1685:
	s_mov_b32 s10, 0x387fffff
	v_cmp_lt_u32_e32 vcc, s10, v11
                                        ; implicit-def: $vgpr10
	s_and_saveexec_b64 s[10:11], vcc
	s_xor_b64 s[10:11], exec, s[10:11]
; %bb.1686:
	v_bfe_u32 v10, v9, 21, 1
	s_mov_b32 s12, 0x80fffff
	v_add3_u32 v10, v9, v10, s12
	v_lshrrev_b32_e32 v10, 21, v10
; %bb.1687:
	s_andn2_saveexec_b64 s[10:11], s[10:11]
; %bb.1688:
	s_mov_b32 s12, 0x43000000
	v_add_f32_e64 v10, |v9|, s12
; %bb.1689:
	s_or_b64 exec, exec, s[10:11]
                                        ; implicit-def: $vgpr11
.LBB78_1690:
	s_andn2_saveexec_b64 s[4:5], s[4:5]
; %bb.1691:
	s_mov_b32 s10, 0x7f800000
	v_mov_b32_e32 v10, 0x7c
	v_mov_b32_e32 v12, 0x7f
	v_cmp_lt_u32_e32 vcc, s10, v11
	v_cndmask_b32_e32 v10, v10, v12, vcc
; %bb.1692:
	s_or_b64 exec, exec, s[4:5]
	v_lshrrev_b32_e32 v9, 24, v9
	s_movk_i32 s4, 0x80
	v_and_or_b32 v9, v9, s4, v10
	global_store_byte v[2:3], v9, off
.LBB78_1693:
	s_mov_b64 s[4:5], 0
	s_mov_b64 s[10:11], -1
.LBB78_1694:
	s_andn2_b64 vcc, exec, s[4:5]
	s_mov_b64 s[4:5], 0
	s_cbranch_vccnz .LBB78_1701
; %bb.1695:
	s_cmp_gt_i32 s19, 14
	s_mov_b64 s[12:13], -1
	s_cbranch_scc0 .LBB78_1699
; %bb.1696:
	s_cmp_eq_u32 s19, 15
	s_mov_b64 s[2:3], -1
	s_cbranch_scc0 .LBB78_1698
; %bb.1697:
	v_xor_b32_e32 v10, v0, v1
	v_ffbh_i32_e32 v9, v1
	v_ashrrev_i32_e32 v10, 31, v10
	v_add_u32_e32 v9, -1, v9
	v_add_u32_e32 v10, 32, v10
	v_min_u32_e32 v11, v9, v10
	v_lshlrev_b64 v[9:10], v11, v[0:1]
	s_movk_i32 s2, 0x7fff
	v_min_u32_e32 v9, 1, v9
	v_or_b32_e32 v9, v10, v9
	v_cvt_f32_i32_e32 v9, v9
	v_sub_u32_e32 v10, 32, v11
	s_mov_b64 s[10:11], -1
	v_ldexp_f32 v9, v9, v10
	v_bfe_u32 v10, v9, 16, 1
	v_add3_u32 v9, v9, v10, s2
	global_store_short_d16_hi v[2:3], v9, off
	s_mov_b64 s[2:3], 0
.LBB78_1698:
	s_mov_b64 s[12:13], 0
.LBB78_1699:
	s_and_b64 vcc, exec, s[12:13]
	s_cbranch_vccz .LBB78_1701
; %bb.1700:
	s_cmp_lg_u32 s19, 11
	s_mov_b64 s[4:5], -1
	s_cselect_b64 s[2:3], -1, 0
.LBB78_1701:
	s_and_b64 vcc, exec, s[2:3]
	s_cbranch_vccnz .LBB78_1995
; %bb.1702:
	s_andn2_b64 vcc, exec, s[4:5]
	s_cbranch_vccnz .LBB78_1704
.LBB78_1703:
	v_cmp_ne_u64_e32 vcc, 0, v[0:1]
	s_mov_b64 s[10:11], -1
	v_cndmask_b32_e64 v9, 0, 1, vcc
	global_store_byte v[2:3], v9, off
.LBB78_1704:
	s_mov_b64 s[2:3], 0
	s_branch .LBB78_1706
.LBB78_1705:
	s_mov_b64 s[2:3], -1
	s_mov_b64 s[10:11], 0
.LBB78_1706:
	s_and_b64 vcc, exec, s[2:3]
	s_cbranch_vccz .LBB78_1745
; %bb.1707:
	s_and_b32 s4, 0xffff, s24
	s_cmp_lt_i32 s4, 5
	s_mov_b64 s[2:3], -1
	s_cbranch_scc1 .LBB78_1728
; %bb.1708:
	s_cmp_lt_i32 s4, 8
	s_cbranch_scc1 .LBB78_1718
; %bb.1709:
	s_cmp_lt_i32 s4, 9
	s_cbranch_scc1 .LBB78_1715
; %bb.1710:
	s_cmp_gt_i32 s4, 9
	s_cbranch_scc0 .LBB78_1712
; %bb.1711:
	v_cvt_f64_i32_e32 v[9:10], v1
	v_cvt_f64_u32_e32 v[11:12], v0
	s_mov_b64 s[2:3], 0
	v_ldexp_f64 v[9:10], v[9:10], 32
	v_add_f64 v[9:10], v[9:10], v[11:12]
	v_mov_b32_e32 v11, 0
	v_mov_b32_e32 v12, v11
	global_store_dwordx4 v[2:3], v[9:12], off
.LBB78_1712:
	s_andn2_b64 vcc, exec, s[2:3]
	s_cbranch_vccnz .LBB78_1714
; %bb.1713:
	v_xor_b32_e32 v10, v0, v1
	v_ffbh_i32_e32 v9, v1
	v_ashrrev_i32_e32 v10, 31, v10
	v_add_u32_e32 v9, -1, v9
	v_add_u32_e32 v10, 32, v10
	v_min_u32_e32 v11, v9, v10
	v_lshlrev_b64 v[9:10], v11, v[0:1]
	v_min_u32_e32 v9, 1, v9
	v_or_b32_e32 v9, v10, v9
	v_cvt_f32_i32_e32 v9, v9
	v_sub_u32_e32 v10, 32, v11
	v_ldexp_f32 v9, v9, v10
	v_mov_b32_e32 v10, 0
	global_store_dwordx2 v[2:3], v[9:10], off
.LBB78_1714:
	s_mov_b64 s[2:3], 0
.LBB78_1715:
	s_andn2_b64 vcc, exec, s[2:3]
	s_cbranch_vccnz .LBB78_1717
; %bb.1716:
	v_xor_b32_e32 v10, v0, v1
	v_ffbh_i32_e32 v9, v1
	v_ashrrev_i32_e32 v10, 31, v10
	v_add_u32_e32 v9, -1, v9
	v_add_u32_e32 v10, 32, v10
	v_min_u32_e32 v11, v9, v10
	v_lshlrev_b64 v[9:10], v11, v[0:1]
	v_min_u32_e32 v9, 1, v9
	v_or_b32_e32 v9, v10, v9
	v_cvt_f32_i32_e32 v9, v9
	v_sub_u32_e32 v10, 32, v11
	v_ldexp_f32 v9, v9, v10
	v_cvt_f16_f32_e32 v9, v9
	global_store_dword v[2:3], v9, off
.LBB78_1717:
	s_mov_b64 s[2:3], 0
.LBB78_1718:
	s_andn2_b64 vcc, exec, s[2:3]
	s_cbranch_vccnz .LBB78_1727
; %bb.1719:
	s_cmp_lt_i32 s4, 6
	s_mov_b64 s[2:3], -1
	s_cbranch_scc1 .LBB78_1725
; %bb.1720:
	s_cmp_gt_i32 s4, 6
	s_cbranch_scc0 .LBB78_1722
; %bb.1721:
	v_cvt_f64_i32_e32 v[9:10], v1
	v_cvt_f64_u32_e32 v[11:12], v0
	s_mov_b64 s[2:3], 0
	v_ldexp_f64 v[9:10], v[9:10], 32
	v_add_f64 v[9:10], v[9:10], v[11:12]
	global_store_dwordx2 v[2:3], v[9:10], off
.LBB78_1722:
	s_andn2_b64 vcc, exec, s[2:3]
	s_cbranch_vccnz .LBB78_1724
; %bb.1723:
	v_xor_b32_e32 v10, v0, v1
	v_ffbh_i32_e32 v9, v1
	v_ashrrev_i32_e32 v10, 31, v10
	v_add_u32_e32 v9, -1, v9
	v_add_u32_e32 v10, 32, v10
	v_min_u32_e32 v11, v9, v10
	v_lshlrev_b64 v[9:10], v11, v[0:1]
	v_min_u32_e32 v9, 1, v9
	v_or_b32_e32 v9, v10, v9
	v_cvt_f32_i32_e32 v9, v9
	v_sub_u32_e32 v10, 32, v11
	v_ldexp_f32 v9, v9, v10
	global_store_dword v[2:3], v9, off
.LBB78_1724:
	s_mov_b64 s[2:3], 0
.LBB78_1725:
	s_andn2_b64 vcc, exec, s[2:3]
	s_cbranch_vccnz .LBB78_1727
; %bb.1726:
	v_xor_b32_e32 v10, v0, v1
	v_ffbh_i32_e32 v9, v1
	v_ashrrev_i32_e32 v10, 31, v10
	v_add_u32_e32 v9, -1, v9
	v_add_u32_e32 v10, 32, v10
	v_min_u32_e32 v11, v9, v10
	v_lshlrev_b64 v[9:10], v11, v[0:1]
	v_min_u32_e32 v9, 1, v9
	v_or_b32_e32 v9, v10, v9
	v_cvt_f32_i32_e32 v9, v9
	v_sub_u32_e32 v10, 32, v11
	v_ldexp_f32 v9, v9, v10
	v_cvt_f16_f32_e32 v9, v9
	global_store_short v[2:3], v9, off
.LBB78_1727:
	s_mov_b64 s[2:3], 0
.LBB78_1728:
	s_andn2_b64 vcc, exec, s[2:3]
	s_cbranch_vccnz .LBB78_1744
; %bb.1729:
	s_cmp_lt_i32 s4, 2
	s_mov_b64 s[2:3], -1
	s_cbranch_scc1 .LBB78_1739
; %bb.1730:
	s_cmp_lt_i32 s4, 3
	s_cbranch_scc1 .LBB78_1736
; %bb.1731:
	s_cmp_gt_i32 s4, 3
	s_cbranch_scc0 .LBB78_1733
; %bb.1732:
	global_store_dwordx2 v[2:3], v[0:1], off
	s_mov_b64 s[2:3], 0
.LBB78_1733:
	s_andn2_b64 vcc, exec, s[2:3]
	s_cbranch_vccnz .LBB78_1735
; %bb.1734:
	global_store_dword v[2:3], v0, off
.LBB78_1735:
	s_mov_b64 s[2:3], 0
.LBB78_1736:
	s_andn2_b64 vcc, exec, s[2:3]
	s_cbranch_vccnz .LBB78_1738
; %bb.1737:
	global_store_short v[2:3], v0, off
.LBB78_1738:
	s_mov_b64 s[2:3], 0
.LBB78_1739:
	s_andn2_b64 vcc, exec, s[2:3]
	s_cbranch_vccnz .LBB78_1744
; %bb.1740:
	s_cmp_gt_i32 s4, 0
	s_mov_b64 s[2:3], -1
	s_cbranch_scc0 .LBB78_1742
; %bb.1741:
	global_store_byte v[2:3], v0, off
	s_mov_b64 s[2:3], 0
.LBB78_1742:
	s_andn2_b64 vcc, exec, s[2:3]
	s_cbranch_vccnz .LBB78_1744
; %bb.1743:
	global_store_byte v[2:3], v0, off
.LBB78_1744:
	s_mov_b64 s[10:11], -1
.LBB78_1745:
	s_andn2_b64 vcc, exec, s[10:11]
	s_cbranch_vccnz .LBB78_1941
; %bb.1746:
	v_mov_b32_e32 v0, s15
	v_cndmask_b32_e64 v1, v0, v5, s[0:1]
	v_mov_b32_e32 v0, s14
	v_cndmask_b32_e64 v0, v0, v4, s[0:1]
	v_add_u32_e32 v4, s18, v8
	v_ashrrev_i32_e32 v3, 31, v4
	v_mov_b32_e32 v5, s9
	v_add_co_u32_e32 v2, vcc, s8, v4
	s_cmp_lt_i32 s24, 11
	v_addc_co_u32_e32 v3, vcc, v5, v3, vcc
	s_cbranch_scc1 .LBB78_1824
; %bb.1747:
	s_and_b32 s19, 0xffff, s24
	s_mov_b64 s[12:13], -1
	s_mov_b64 s[4:5], 0
	s_cmp_gt_i32 s19, 25
	s_mov_b64 s[10:11], 0
	s_mov_b64 s[2:3], 0
	s_cbranch_scc0 .LBB78_1780
; %bb.1748:
	s_cmp_gt_i32 s19, 28
	s_cbranch_scc0 .LBB78_1763
; %bb.1749:
	s_cmp_gt_i32 s19, 43
	;; [unrolled: 3-line block ×3, first 2 shown]
	s_cbranch_scc0 .LBB78_1753
; %bb.1751:
	s_mov_b64 s[2:3], -1
	s_mov_b64 s[12:13], 0
	s_cmp_eq_u32 s19, 46
	s_cbranch_scc0 .LBB78_1753
; %bb.1752:
	v_xor_b32_e32 v8, v0, v1
	v_ffbh_i32_e32 v5, v1
	v_ashrrev_i32_e32 v8, 31, v8
	v_add_u32_e32 v5, -1, v5
	v_add_u32_e32 v8, 32, v8
	v_min_u32_e32 v5, v5, v8
	v_lshlrev_b64 v[8:9], v5, v[0:1]
	v_sub_u32_e32 v5, 32, v5
	v_min_u32_e32 v8, 1, v8
	v_or_b32_e32 v8, v9, v8
	v_cvt_f32_i32_e32 v8, v8
	s_movk_i32 s2, 0x7fff
	s_mov_b64 s[10:11], -1
	v_ldexp_f32 v5, v8, v5
	v_bfe_u32 v8, v5, 16, 1
	v_add3_u32 v5, v5, v8, s2
	v_lshrrev_b32_e32 v5, 16, v5
	global_store_dword v[2:3], v5, off
	s_mov_b64 s[2:3], 0
.LBB78_1753:
	s_and_b64 vcc, exec, s[12:13]
	s_cbranch_vccz .LBB78_1758
; %bb.1754:
	s_cmp_eq_u32 s19, 44
	s_mov_b64 s[2:3], -1
	s_cbranch_scc0 .LBB78_1758
; %bb.1755:
	v_xor_b32_e32 v8, v0, v1
	v_ffbh_i32_e32 v5, v1
	v_ashrrev_i32_e32 v8, 31, v8
	v_add_u32_e32 v5, -1, v5
	v_add_u32_e32 v8, 32, v8
	v_min_u32_e32 v5, v5, v8
	v_lshlrev_b64 v[8:9], v5, v[0:1]
	v_sub_u32_e32 v5, 32, v5
	v_min_u32_e32 v8, 1, v8
	v_or_b32_e32 v8, v9, v8
	v_cvt_f32_i32_e32 v8, v8
	s_movk_i32 s2, 0xff
	v_mov_b32_e32 v9, 0xff
	v_ldexp_f32 v5, v8, v5
	v_bfe_u32 v8, v5, 23, 8
	v_cmp_ne_u32_e32 vcc, s2, v8
	s_and_saveexec_b64 s[10:11], vcc
; %bb.1756:
	s_mov_b32 s2, 0x3fffff
	v_lshrrev_b32_e32 v9, 23, v5
	v_and_b32_e32 v10, 0x400000, v5
	v_and_or_b32 v5, v5, s2, v8
	v_cmp_ne_u32_e32 vcc, 0, v10
	v_cmp_ne_u32_e64 s[2:3], 0, v5
	s_and_b64 s[2:3], vcc, s[2:3]
	v_cndmask_b32_e64 v5, 0, 1, s[2:3]
	v_add_u32_e32 v9, v9, v5
; %bb.1757:
	s_or_b64 exec, exec, s[10:11]
	s_mov_b64 s[2:3], 0
	s_mov_b64 s[10:11], -1
	global_store_byte v[2:3], v9, off
.LBB78_1758:
	s_mov_b64 s[12:13], 0
.LBB78_1759:
	s_and_b64 vcc, exec, s[12:13]
	s_cbranch_vccz .LBB78_1762
; %bb.1760:
	s_cmp_eq_u32 s19, 29
	s_mov_b64 s[2:3], -1
	s_cbranch_scc0 .LBB78_1762
; %bb.1761:
	global_store_dwordx2 v[2:3], v[0:1], off
	s_mov_b64 s[2:3], 0
	s_mov_b64 s[10:11], -1
.LBB78_1762:
	s_mov_b64 s[12:13], 0
.LBB78_1763:
	s_and_b64 vcc, exec, s[12:13]
	s_cbranch_vccz .LBB78_1779
; %bb.1764:
	s_cmp_lt_i32 s19, 27
	s_mov_b64 s[10:11], -1
	s_cbranch_scc1 .LBB78_1770
; %bb.1765:
	s_cmp_gt_i32 s19, 27
	s_cbranch_scc0 .LBB78_1767
; %bb.1766:
	s_mov_b64 s[10:11], 0
	global_store_dword v[2:3], v0, off
.LBB78_1767:
	s_andn2_b64 vcc, exec, s[10:11]
	s_cbranch_vccnz .LBB78_1769
; %bb.1768:
	global_store_short v[2:3], v0, off
.LBB78_1769:
	s_mov_b64 s[10:11], 0
.LBB78_1770:
	s_andn2_b64 vcc, exec, s[10:11]
	s_cbranch_vccnz .LBB78_1778
; %bb.1771:
	v_xor_b32_e32 v8, v0, v1
	v_ffbh_i32_e32 v5, v1
	v_ashrrev_i32_e32 v8, 31, v8
	v_add_u32_e32 v5, -1, v5
	v_add_u32_e32 v8, 32, v8
	v_min_u32_e32 v5, v5, v8
	v_lshlrev_b64 v[8:9], v5, v[0:1]
	v_sub_u32_e32 v5, 32, v5
	v_min_u32_e32 v8, 1, v8
	v_or_b32_e32 v8, v9, v8
	v_cvt_f32_i32_e32 v8, v8
	s_mov_b32 s10, 0x43800000
	v_mov_b32_e32 v9, 0x80
	v_ldexp_f32 v5, v8, v5
	v_and_b32_e32 v8, 0x7fffffff, v5
	v_cmp_gt_u32_e32 vcc, s10, v8
	s_and_saveexec_b64 s[10:11], vcc
	s_cbranch_execz .LBB78_1777
; %bb.1772:
	s_mov_b32 s12, 0x3bffffff
	v_cmp_lt_u32_e32 vcc, s12, v8
	s_mov_b64 s[12:13], 0
                                        ; implicit-def: $vgpr8
	s_and_saveexec_b64 s[16:17], vcc
	s_xor_b64 s[16:17], exec, s[16:17]
	s_cbranch_execz .LBB78_1998
; %bb.1773:
	v_bfe_u32 v8, v5, 20, 1
	s_mov_b32 s25, 0x487ffff
	v_add3_u32 v8, v5, v8, s25
	s_mov_b64 s[12:13], exec
	v_lshrrev_b32_e32 v8, 20, v8
	s_andn2_saveexec_b64 s[16:17], s[16:17]
	s_cbranch_execnz .LBB78_1999
.LBB78_1774:
	s_or_b64 exec, exec, s[16:17]
	v_mov_b32_e32 v9, 0
	s_and_saveexec_b64 s[16:17], s[12:13]
.LBB78_1775:
	v_lshrrev_b32_e32 v5, 24, v5
	s_movk_i32 s12, 0x80
	v_and_or_b32 v9, v5, s12, v8
.LBB78_1776:
	s_or_b64 exec, exec, s[16:17]
.LBB78_1777:
	s_or_b64 exec, exec, s[10:11]
	global_store_byte v[2:3], v9, off
.LBB78_1778:
	s_mov_b64 s[10:11], -1
.LBB78_1779:
	s_mov_b64 s[12:13], 0
.LBB78_1780:
	s_and_b64 vcc, exec, s[12:13]
	s_cbranch_vccz .LBB78_1820
; %bb.1781:
	s_cmp_gt_i32 s19, 22
	s_mov_b64 s[4:5], -1
	s_cbranch_scc0 .LBB78_1813
; %bb.1782:
	s_cmp_lt_i32 s19, 24
	s_cbranch_scc1 .LBB78_1802
; %bb.1783:
	s_cmp_gt_i32 s19, 24
	s_cbranch_scc0 .LBB78_1791
; %bb.1784:
	v_xor_b32_e32 v8, v0, v1
	v_ffbh_i32_e32 v5, v1
	v_ashrrev_i32_e32 v8, 31, v8
	v_add_u32_e32 v5, -1, v5
	v_add_u32_e32 v8, 32, v8
	v_min_u32_e32 v5, v5, v8
	v_lshlrev_b64 v[8:9], v5, v[0:1]
	v_sub_u32_e32 v5, 32, v5
	v_min_u32_e32 v8, 1, v8
	v_or_b32_e32 v8, v9, v8
	v_cvt_f32_i32_e32 v8, v8
	s_mov_b32 s4, 0x47800000
	v_mov_b32_e32 v9, 0x80
	v_ldexp_f32 v5, v8, v5
	v_and_b32_e32 v8, 0x7fffffff, v5
	v_cmp_gt_u32_e32 vcc, s4, v8
	s_and_saveexec_b64 s[4:5], vcc
	s_cbranch_execz .LBB78_1790
; %bb.1785:
	s_mov_b32 s10, 0x37ffffff
	v_cmp_lt_u32_e32 vcc, s10, v8
	s_mov_b64 s[10:11], 0
                                        ; implicit-def: $vgpr8
	s_and_saveexec_b64 s[12:13], vcc
	s_xor_b64 s[12:13], exec, s[12:13]
	s_cbranch_execz .LBB78_2001
; %bb.1786:
	v_bfe_u32 v8, v5, 21, 1
	s_mov_b32 s16, 0x88fffff
	v_add3_u32 v8, v5, v8, s16
	s_mov_b64 s[10:11], exec
	v_lshrrev_b32_e32 v8, 21, v8
	s_andn2_saveexec_b64 s[12:13], s[12:13]
	s_cbranch_execnz .LBB78_2002
.LBB78_1787:
	s_or_b64 exec, exec, s[12:13]
	v_mov_b32_e32 v9, 0
	s_and_saveexec_b64 s[12:13], s[10:11]
.LBB78_1788:
	v_lshrrev_b32_e32 v5, 24, v5
	s_movk_i32 s10, 0x80
	v_and_or_b32 v9, v5, s10, v8
.LBB78_1789:
	s_or_b64 exec, exec, s[12:13]
.LBB78_1790:
	s_or_b64 exec, exec, s[4:5]
	s_mov_b64 s[4:5], 0
	global_store_byte v[2:3], v9, off
.LBB78_1791:
	s_and_b64 vcc, exec, s[4:5]
	s_cbranch_vccz .LBB78_1801
; %bb.1792:
	v_xor_b32_e32 v8, v0, v1
	v_ffbh_i32_e32 v5, v1
	v_ashrrev_i32_e32 v8, 31, v8
	v_add_u32_e32 v5, -1, v5
	v_add_u32_e32 v8, 32, v8
	v_min_u32_e32 v5, v5, v8
	v_lshlrev_b64 v[8:9], v5, v[0:1]
	v_sub_u32_e32 v5, 32, v5
	v_min_u32_e32 v8, 1, v8
	v_or_b32_e32 v8, v9, v8
	v_cvt_f32_i32_e32 v8, v8
	s_mov_b32 s4, 0x43f00000
	v_ldexp_f32 v5, v8, v5
	v_and_b32_e32 v9, 0x7fffffff, v5
	v_cmp_gt_u32_e32 vcc, s4, v9
                                        ; implicit-def: $vgpr8
	s_and_saveexec_b64 s[4:5], vcc
	s_xor_b64 s[4:5], exec, s[4:5]
	s_cbranch_execz .LBB78_1798
; %bb.1793:
	s_mov_b32 s10, 0x3c7fffff
	v_cmp_lt_u32_e32 vcc, s10, v9
                                        ; implicit-def: $vgpr8
	s_and_saveexec_b64 s[10:11], vcc
	s_xor_b64 s[10:11], exec, s[10:11]
; %bb.1794:
	v_bfe_u32 v8, v5, 20, 1
	s_mov_b32 s12, 0x407ffff
	v_add3_u32 v8, v5, v8, s12
	v_lshrrev_b32_e32 v9, 20, v8
	v_and_b32_e32 v8, 0xff00000, v8
	s_mov_b32 s12, 0x7f00000
	v_mov_b32_e32 v10, 0x7e
	v_cmp_ne_u32_e32 vcc, s12, v8
	v_cndmask_b32_e32 v8, v10, v9, vcc
; %bb.1795:
	s_andn2_saveexec_b64 s[10:11], s[10:11]
; %bb.1796:
	s_mov_b32 s12, 0x46800000
	v_add_f32_e64 v8, |v5|, s12
; %bb.1797:
	s_or_b64 exec, exec, s[10:11]
                                        ; implicit-def: $vgpr9
.LBB78_1798:
	s_andn2_saveexec_b64 s[4:5], s[4:5]
; %bb.1799:
	s_mov_b32 s10, 0x7f800000
	v_mov_b32_e32 v8, 0x7e
	v_mov_b32_e32 v10, 0x7f
	v_cmp_lt_u32_e32 vcc, s10, v9
	v_cndmask_b32_e32 v8, v8, v10, vcc
; %bb.1800:
	s_or_b64 exec, exec, s[4:5]
	v_lshrrev_b32_e32 v5, 24, v5
	s_movk_i32 s4, 0x80
	v_and_or_b32 v5, v5, s4, v8
	global_store_byte v[2:3], v5, off
.LBB78_1801:
	s_mov_b64 s[4:5], 0
.LBB78_1802:
	s_andn2_b64 vcc, exec, s[4:5]
	s_cbranch_vccnz .LBB78_1812
; %bb.1803:
	v_xor_b32_e32 v8, v0, v1
	v_ffbh_i32_e32 v5, v1
	v_ashrrev_i32_e32 v8, 31, v8
	v_add_u32_e32 v5, -1, v5
	v_add_u32_e32 v8, 32, v8
	v_min_u32_e32 v5, v5, v8
	v_lshlrev_b64 v[8:9], v5, v[0:1]
	v_sub_u32_e32 v5, 32, v5
	v_min_u32_e32 v8, 1, v8
	v_or_b32_e32 v8, v9, v8
	v_cvt_f32_i32_e32 v8, v8
	s_mov_b32 s4, 0x47800000
	v_ldexp_f32 v5, v8, v5
	v_and_b32_e32 v9, 0x7fffffff, v5
	v_cmp_gt_u32_e32 vcc, s4, v9
                                        ; implicit-def: $vgpr8
	s_and_saveexec_b64 s[4:5], vcc
	s_xor_b64 s[4:5], exec, s[4:5]
	s_cbranch_execz .LBB78_1809
; %bb.1804:
	s_mov_b32 s10, 0x387fffff
	v_cmp_lt_u32_e32 vcc, s10, v9
                                        ; implicit-def: $vgpr8
	s_and_saveexec_b64 s[10:11], vcc
	s_xor_b64 s[10:11], exec, s[10:11]
; %bb.1805:
	v_bfe_u32 v8, v5, 21, 1
	s_mov_b32 s12, 0x80fffff
	v_add3_u32 v8, v5, v8, s12
	v_lshrrev_b32_e32 v8, 21, v8
; %bb.1806:
	s_andn2_saveexec_b64 s[10:11], s[10:11]
; %bb.1807:
	s_mov_b32 s12, 0x43000000
	v_add_f32_e64 v8, |v5|, s12
; %bb.1808:
	s_or_b64 exec, exec, s[10:11]
                                        ; implicit-def: $vgpr9
.LBB78_1809:
	s_andn2_saveexec_b64 s[4:5], s[4:5]
; %bb.1810:
	s_mov_b32 s10, 0x7f800000
	v_mov_b32_e32 v8, 0x7c
	v_mov_b32_e32 v10, 0x7f
	v_cmp_lt_u32_e32 vcc, s10, v9
	v_cndmask_b32_e32 v8, v8, v10, vcc
; %bb.1811:
	s_or_b64 exec, exec, s[4:5]
	v_lshrrev_b32_e32 v5, 24, v5
	s_movk_i32 s4, 0x80
	v_and_or_b32 v5, v5, s4, v8
	global_store_byte v[2:3], v5, off
.LBB78_1812:
	s_mov_b64 s[4:5], 0
	s_mov_b64 s[10:11], -1
.LBB78_1813:
	s_andn2_b64 vcc, exec, s[4:5]
	s_mov_b64 s[4:5], 0
	s_cbranch_vccnz .LBB78_1820
; %bb.1814:
	s_cmp_gt_i32 s19, 14
	s_mov_b64 s[12:13], -1
	s_cbranch_scc0 .LBB78_1818
; %bb.1815:
	s_cmp_eq_u32 s19, 15
	s_mov_b64 s[2:3], -1
	s_cbranch_scc0 .LBB78_1817
; %bb.1816:
	v_xor_b32_e32 v8, v0, v1
	v_ffbh_i32_e32 v5, v1
	v_ashrrev_i32_e32 v8, 31, v8
	v_add_u32_e32 v5, -1, v5
	v_add_u32_e32 v8, 32, v8
	v_min_u32_e32 v5, v5, v8
	v_lshlrev_b64 v[8:9], v5, v[0:1]
	v_sub_u32_e32 v5, 32, v5
	v_min_u32_e32 v8, 1, v8
	v_or_b32_e32 v8, v9, v8
	v_cvt_f32_i32_e32 v8, v8
	s_movk_i32 s2, 0x7fff
	s_mov_b64 s[10:11], -1
	v_ldexp_f32 v5, v8, v5
	v_bfe_u32 v8, v5, 16, 1
	v_add3_u32 v5, v5, v8, s2
	global_store_short_d16_hi v[2:3], v5, off
	s_mov_b64 s[2:3], 0
.LBB78_1817:
	s_mov_b64 s[12:13], 0
.LBB78_1818:
	s_and_b64 vcc, exec, s[12:13]
	s_cbranch_vccz .LBB78_1820
; %bb.1819:
	s_cmp_lg_u32 s19, 11
	s_mov_b64 s[4:5], -1
	s_cselect_b64 s[2:3], -1, 0
.LBB78_1820:
	s_and_b64 vcc, exec, s[2:3]
	s_cbranch_vccnz .LBB78_2000
; %bb.1821:
	s_andn2_b64 vcc, exec, s[4:5]
	s_cbranch_vccnz .LBB78_1823
.LBB78_1822:
	v_cmp_ne_u64_e32 vcc, 0, v[0:1]
	s_mov_b64 s[10:11], -1
	v_cndmask_b32_e64 v5, 0, 1, vcc
	global_store_byte v[2:3], v5, off
.LBB78_1823:
	s_mov_b64 s[2:3], 0
	s_branch .LBB78_1825
.LBB78_1824:
	s_mov_b64 s[2:3], -1
	s_mov_b64 s[10:11], 0
.LBB78_1825:
	s_and_b64 vcc, exec, s[2:3]
	s_cbranch_vccz .LBB78_1864
; %bb.1826:
	s_and_b32 s4, 0xffff, s24
	s_cmp_lt_i32 s4, 5
	s_mov_b64 s[2:3], -1
	s_cbranch_scc1 .LBB78_1847
; %bb.1827:
	s_cmp_lt_i32 s4, 8
	s_cbranch_scc1 .LBB78_1837
; %bb.1828:
	s_cmp_lt_i32 s4, 9
	s_cbranch_scc1 .LBB78_1834
; %bb.1829:
	s_cmp_gt_i32 s4, 9
	s_cbranch_scc0 .LBB78_1831
; %bb.1830:
	v_cvt_f64_i32_e32 v[8:9], v1
	v_cvt_f64_u32_e32 v[10:11], v0
	s_mov_b64 s[2:3], 0
	v_ldexp_f64 v[8:9], v[8:9], 32
	v_add_f64 v[8:9], v[8:9], v[10:11]
	v_mov_b32_e32 v10, 0
	v_mov_b32_e32 v11, v10
	global_store_dwordx4 v[2:3], v[8:11], off
.LBB78_1831:
	s_andn2_b64 vcc, exec, s[2:3]
	s_cbranch_vccnz .LBB78_1833
; %bb.1832:
	v_xor_b32_e32 v8, v0, v1
	v_ffbh_i32_e32 v5, v1
	v_ashrrev_i32_e32 v8, 31, v8
	v_add_u32_e32 v5, -1, v5
	v_add_u32_e32 v8, 32, v8
	v_min_u32_e32 v5, v5, v8
	v_lshlrev_b64 v[8:9], v5, v[0:1]
	v_sub_u32_e32 v5, 32, v5
	v_min_u32_e32 v8, 1, v8
	v_or_b32_e32 v8, v9, v8
	v_cvt_f32_i32_e32 v8, v8
	v_mov_b32_e32 v9, 0
	v_ldexp_f32 v8, v8, v5
	global_store_dwordx2 v[2:3], v[8:9], off
.LBB78_1833:
	s_mov_b64 s[2:3], 0
.LBB78_1834:
	s_andn2_b64 vcc, exec, s[2:3]
	s_cbranch_vccnz .LBB78_1836
; %bb.1835:
	v_xor_b32_e32 v8, v0, v1
	v_ffbh_i32_e32 v5, v1
	v_ashrrev_i32_e32 v8, 31, v8
	v_add_u32_e32 v5, -1, v5
	v_add_u32_e32 v8, 32, v8
	v_min_u32_e32 v5, v5, v8
	v_lshlrev_b64 v[8:9], v5, v[0:1]
	v_sub_u32_e32 v5, 32, v5
	v_min_u32_e32 v8, 1, v8
	v_or_b32_e32 v8, v9, v8
	v_cvt_f32_i32_e32 v8, v8
	v_ldexp_f32 v5, v8, v5
	v_cvt_f16_f32_e32 v5, v5
	global_store_dword v[2:3], v5, off
.LBB78_1836:
	s_mov_b64 s[2:3], 0
.LBB78_1837:
	s_andn2_b64 vcc, exec, s[2:3]
	s_cbranch_vccnz .LBB78_1846
; %bb.1838:
	s_cmp_lt_i32 s4, 6
	s_mov_b64 s[2:3], -1
	s_cbranch_scc1 .LBB78_1844
; %bb.1839:
	s_cmp_gt_i32 s4, 6
	s_cbranch_scc0 .LBB78_1841
; %bb.1840:
	v_cvt_f64_i32_e32 v[8:9], v1
	v_cvt_f64_u32_e32 v[10:11], v0
	s_mov_b64 s[2:3], 0
	v_ldexp_f64 v[8:9], v[8:9], 32
	v_add_f64 v[8:9], v[8:9], v[10:11]
	global_store_dwordx2 v[2:3], v[8:9], off
.LBB78_1841:
	s_andn2_b64 vcc, exec, s[2:3]
	s_cbranch_vccnz .LBB78_1843
; %bb.1842:
	v_xor_b32_e32 v8, v0, v1
	v_ffbh_i32_e32 v5, v1
	v_ashrrev_i32_e32 v8, 31, v8
	v_add_u32_e32 v5, -1, v5
	v_add_u32_e32 v8, 32, v8
	v_min_u32_e32 v5, v5, v8
	v_lshlrev_b64 v[8:9], v5, v[0:1]
	v_sub_u32_e32 v5, 32, v5
	v_min_u32_e32 v8, 1, v8
	v_or_b32_e32 v8, v9, v8
	v_cvt_f32_i32_e32 v8, v8
	v_ldexp_f32 v5, v8, v5
	global_store_dword v[2:3], v5, off
.LBB78_1843:
	s_mov_b64 s[2:3], 0
.LBB78_1844:
	s_andn2_b64 vcc, exec, s[2:3]
	s_cbranch_vccnz .LBB78_1846
; %bb.1845:
	v_xor_b32_e32 v8, v0, v1
	v_ffbh_i32_e32 v5, v1
	v_ashrrev_i32_e32 v8, 31, v8
	v_add_u32_e32 v5, -1, v5
	v_add_u32_e32 v8, 32, v8
	v_min_u32_e32 v5, v5, v8
	v_lshlrev_b64 v[8:9], v5, v[0:1]
	v_sub_u32_e32 v5, 32, v5
	v_min_u32_e32 v8, 1, v8
	v_or_b32_e32 v8, v9, v8
	v_cvt_f32_i32_e32 v8, v8
	v_ldexp_f32 v5, v8, v5
	v_cvt_f16_f32_e32 v5, v5
	global_store_short v[2:3], v5, off
.LBB78_1846:
	s_mov_b64 s[2:3], 0
.LBB78_1847:
	s_andn2_b64 vcc, exec, s[2:3]
	s_cbranch_vccnz .LBB78_1863
; %bb.1848:
	s_cmp_lt_i32 s4, 2
	s_mov_b64 s[2:3], -1
	s_cbranch_scc1 .LBB78_1858
; %bb.1849:
	s_cmp_lt_i32 s4, 3
	s_cbranch_scc1 .LBB78_1855
; %bb.1850:
	s_cmp_gt_i32 s4, 3
	s_cbranch_scc0 .LBB78_1852
; %bb.1851:
	global_store_dwordx2 v[2:3], v[0:1], off
	s_mov_b64 s[2:3], 0
.LBB78_1852:
	s_andn2_b64 vcc, exec, s[2:3]
	s_cbranch_vccnz .LBB78_1854
; %bb.1853:
	global_store_dword v[2:3], v0, off
.LBB78_1854:
	s_mov_b64 s[2:3], 0
.LBB78_1855:
	s_andn2_b64 vcc, exec, s[2:3]
	s_cbranch_vccnz .LBB78_1857
; %bb.1856:
	global_store_short v[2:3], v0, off
.LBB78_1857:
	s_mov_b64 s[2:3], 0
.LBB78_1858:
	s_andn2_b64 vcc, exec, s[2:3]
	s_cbranch_vccnz .LBB78_1863
; %bb.1859:
	s_cmp_gt_i32 s4, 0
	s_mov_b64 s[2:3], -1
	s_cbranch_scc0 .LBB78_1861
; %bb.1860:
	global_store_byte v[2:3], v0, off
	s_mov_b64 s[2:3], 0
.LBB78_1861:
	s_andn2_b64 vcc, exec, s[2:3]
	s_cbranch_vccnz .LBB78_1863
; %bb.1862:
	global_store_byte v[2:3], v0, off
.LBB78_1863:
	s_mov_b64 s[10:11], -1
.LBB78_1864:
	s_andn2_b64 vcc, exec, s[10:11]
	s_cbranch_vccnz .LBB78_1941
; %bb.1865:
	v_mov_b32_e32 v0, s15
	v_add_u32_e32 v2, s18, v4
	v_cndmask_b32_e64 v1, v0, v7, s[0:1]
	v_mov_b32_e32 v0, s14
	v_ashrrev_i32_e32 v3, 31, v2
	v_mov_b32_e32 v4, s9
	v_add_co_u32_e32 v2, vcc, s8, v2
	v_cndmask_b32_e64 v0, v0, v6, s[0:1]
	s_cmp_lt_i32 s24, 11
	v_addc_co_u32_e32 v3, vcc, v4, v3, vcc
	s_cbranch_scc1 .LBB78_1986
; %bb.1866:
	s_and_b32 s12, 0xffff, s24
	s_mov_b64 s[4:5], -1
	s_mov_b64 s[2:3], 0
	s_cmp_gt_i32 s12, 25
	s_mov_b64 s[0:1], 0
	s_cbranch_scc0 .LBB78_1899
; %bb.1867:
	s_cmp_gt_i32 s12, 28
	s_cbranch_scc0 .LBB78_1883
; %bb.1868:
	s_cmp_gt_i32 s12, 43
	;; [unrolled: 3-line block ×3, first 2 shown]
	s_cbranch_scc0 .LBB78_1873
; %bb.1870:
	s_cmp_eq_u32 s12, 46
	s_mov_b64 s[0:1], -1
	s_cbranch_scc0 .LBB78_1872
; %bb.1871:
	v_xor_b32_e32 v5, v0, v1
	v_ffbh_i32_e32 v4, v1
	v_ashrrev_i32_e32 v5, 31, v5
	v_add_u32_e32 v4, -1, v4
	v_add_u32_e32 v5, 32, v5
	v_min_u32_e32 v6, v4, v5
	v_lshlrev_b64 v[4:5], v6, v[0:1]
	s_movk_i32 s0, 0x7fff
	v_min_u32_e32 v4, 1, v4
	v_or_b32_e32 v4, v5, v4
	v_cvt_f32_i32_e32 v4, v4
	v_sub_u32_e32 v5, 32, v6
	v_ldexp_f32 v4, v4, v5
	v_bfe_u32 v5, v4, 16, 1
	v_add3_u32 v4, v4, v5, s0
	v_lshrrev_b32_e32 v4, 16, v4
	global_store_dword v[2:3], v4, off
	s_mov_b64 s[0:1], 0
.LBB78_1872:
	s_mov_b64 s[4:5], 0
.LBB78_1873:
	s_and_b64 vcc, exec, s[4:5]
	s_cbranch_vccz .LBB78_1878
; %bb.1874:
	s_cmp_eq_u32 s12, 44
	s_mov_b64 s[0:1], -1
	s_cbranch_scc0 .LBB78_1878
; %bb.1875:
	v_xor_b32_e32 v5, v0, v1
	v_ffbh_i32_e32 v4, v1
	v_ashrrev_i32_e32 v5, 31, v5
	v_add_u32_e32 v4, -1, v4
	v_add_u32_e32 v5, 32, v5
	v_min_u32_e32 v6, v4, v5
	v_lshlrev_b64 v[4:5], v6, v[0:1]
	s_movk_i32 s0, 0xff
	v_min_u32_e32 v4, 1, v4
	v_or_b32_e32 v4, v5, v4
	v_cvt_f32_i32_e32 v4, v4
	v_sub_u32_e32 v5, 32, v6
	v_mov_b32_e32 v6, 0xff
	v_ldexp_f32 v4, v4, v5
	v_bfe_u32 v5, v4, 23, 8
	v_cmp_ne_u32_e32 vcc, s0, v5
	s_and_saveexec_b64 s[4:5], vcc
; %bb.1876:
	s_mov_b32 s0, 0x3fffff
	v_lshrrev_b32_e32 v6, 23, v4
	v_and_b32_e32 v7, 0x400000, v4
	v_and_or_b32 v4, v4, s0, v5
	v_cmp_ne_u32_e32 vcc, 0, v7
	v_cmp_ne_u32_e64 s[0:1], 0, v4
	s_and_b64 s[0:1], vcc, s[0:1]
	v_cndmask_b32_e64 v4, 0, 1, s[0:1]
	v_add_u32_e32 v6, v6, v4
; %bb.1877:
	s_or_b64 exec, exec, s[4:5]
	s_mov_b64 s[0:1], 0
	global_store_byte v[2:3], v6, off
.LBB78_1878:
	s_mov_b64 s[4:5], 0
.LBB78_1879:
	s_and_b64 vcc, exec, s[4:5]
	s_cbranch_vccz .LBB78_1882
; %bb.1880:
	s_cmp_eq_u32 s12, 29
	s_mov_b64 s[0:1], -1
	s_cbranch_scc0 .LBB78_1882
; %bb.1881:
	global_store_dwordx2 v[2:3], v[0:1], off
	s_mov_b64 s[0:1], 0
.LBB78_1882:
	s_mov_b64 s[4:5], 0
.LBB78_1883:
	s_and_b64 vcc, exec, s[4:5]
	s_cbranch_vccz .LBB78_1898
; %bb.1884:
	s_cmp_lt_i32 s12, 27
	s_mov_b64 s[4:5], -1
	s_cbranch_scc1 .LBB78_1890
; %bb.1885:
	s_cmp_gt_i32 s12, 27
	s_cbranch_scc0 .LBB78_1887
; %bb.1886:
	global_store_dword v[2:3], v0, off
	s_mov_b64 s[4:5], 0
.LBB78_1887:
	s_andn2_b64 vcc, exec, s[4:5]
	s_cbranch_vccnz .LBB78_1889
; %bb.1888:
	global_store_short v[2:3], v0, off
.LBB78_1889:
	s_mov_b64 s[4:5], 0
.LBB78_1890:
	s_andn2_b64 vcc, exec, s[4:5]
	s_cbranch_vccnz .LBB78_1898
; %bb.1891:
	v_xor_b32_e32 v5, v0, v1
	v_ffbh_i32_e32 v4, v1
	v_ashrrev_i32_e32 v5, 31, v5
	v_add_u32_e32 v4, -1, v4
	v_add_u32_e32 v5, 32, v5
	v_min_u32_e32 v6, v4, v5
	v_lshlrev_b64 v[4:5], v6, v[0:1]
	s_mov_b32 s4, 0x43800000
	v_min_u32_e32 v4, 1, v4
	v_or_b32_e32 v4, v5, v4
	v_cvt_f32_i32_e32 v4, v4
	v_sub_u32_e32 v5, 32, v6
	v_mov_b32_e32 v6, 0x80
	v_ldexp_f32 v4, v4, v5
	v_and_b32_e32 v5, 0x7fffffff, v4
	v_cmp_gt_u32_e32 vcc, s4, v5
	s_and_saveexec_b64 s[4:5], vcc
	s_cbranch_execz .LBB78_1897
; %bb.1892:
	s_mov_b32 s8, 0x3bffffff
	v_cmp_lt_u32_e32 vcc, s8, v5
	s_mov_b64 s[8:9], 0
                                        ; implicit-def: $vgpr5
	s_and_saveexec_b64 s[10:11], vcc
	s_xor_b64 s[10:11], exec, s[10:11]
	s_cbranch_execz .LBB78_2003
; %bb.1893:
	v_bfe_u32 v5, v4, 20, 1
	s_mov_b32 s13, 0x487ffff
	v_add3_u32 v5, v4, v5, s13
	s_mov_b64 s[8:9], exec
	v_lshrrev_b32_e32 v5, 20, v5
	s_andn2_saveexec_b64 s[10:11], s[10:11]
	s_cbranch_execnz .LBB78_2004
.LBB78_1894:
	s_or_b64 exec, exec, s[10:11]
	v_mov_b32_e32 v6, 0
	s_and_saveexec_b64 s[10:11], s[8:9]
.LBB78_1895:
	v_lshrrev_b32_e32 v4, 24, v4
	s_movk_i32 s8, 0x80
	v_and_or_b32 v6, v4, s8, v5
.LBB78_1896:
	s_or_b64 exec, exec, s[10:11]
.LBB78_1897:
	s_or_b64 exec, exec, s[4:5]
	global_store_byte v[2:3], v6, off
.LBB78_1898:
	s_mov_b64 s[4:5], 0
.LBB78_1899:
	s_and_b64 vcc, exec, s[4:5]
	s_cbranch_vccz .LBB78_1939
; %bb.1900:
	s_cmp_gt_i32 s12, 22
	s_mov_b64 s[2:3], -1
	s_cbranch_scc0 .LBB78_1932
; %bb.1901:
	s_cmp_lt_i32 s12, 24
	s_cbranch_scc1 .LBB78_1921
; %bb.1902:
	s_cmp_gt_i32 s12, 24
	s_cbranch_scc0 .LBB78_1910
; %bb.1903:
	v_xor_b32_e32 v5, v0, v1
	v_ffbh_i32_e32 v4, v1
	v_ashrrev_i32_e32 v5, 31, v5
	v_add_u32_e32 v4, -1, v4
	v_add_u32_e32 v5, 32, v5
	v_min_u32_e32 v6, v4, v5
	v_lshlrev_b64 v[4:5], v6, v[0:1]
	s_mov_b32 s2, 0x47800000
	v_min_u32_e32 v4, 1, v4
	v_or_b32_e32 v4, v5, v4
	v_cvt_f32_i32_e32 v4, v4
	v_sub_u32_e32 v5, 32, v6
	v_mov_b32_e32 v6, 0x80
	v_ldexp_f32 v4, v4, v5
	v_and_b32_e32 v5, 0x7fffffff, v4
	v_cmp_gt_u32_e32 vcc, s2, v5
	s_and_saveexec_b64 s[2:3], vcc
	s_cbranch_execz .LBB78_1909
; %bb.1904:
	s_mov_b32 s4, 0x37ffffff
	v_cmp_lt_u32_e32 vcc, s4, v5
	s_mov_b64 s[4:5], 0
                                        ; implicit-def: $vgpr5
	s_and_saveexec_b64 s[8:9], vcc
	s_xor_b64 s[8:9], exec, s[8:9]
	s_cbranch_execz .LBB78_2006
; %bb.1905:
	v_bfe_u32 v5, v4, 21, 1
	s_mov_b32 s10, 0x88fffff
	v_add3_u32 v5, v4, v5, s10
	s_mov_b64 s[4:5], exec
	v_lshrrev_b32_e32 v5, 21, v5
	s_andn2_saveexec_b64 s[8:9], s[8:9]
	s_cbranch_execnz .LBB78_2007
.LBB78_1906:
	s_or_b64 exec, exec, s[8:9]
	v_mov_b32_e32 v6, 0
	s_and_saveexec_b64 s[8:9], s[4:5]
.LBB78_1907:
	v_lshrrev_b32_e32 v4, 24, v4
	s_movk_i32 s4, 0x80
	v_and_or_b32 v6, v4, s4, v5
.LBB78_1908:
	s_or_b64 exec, exec, s[8:9]
.LBB78_1909:
	s_or_b64 exec, exec, s[2:3]
	s_mov_b64 s[2:3], 0
	global_store_byte v[2:3], v6, off
.LBB78_1910:
	s_and_b64 vcc, exec, s[2:3]
	s_cbranch_vccz .LBB78_1920
; %bb.1911:
	v_xor_b32_e32 v5, v0, v1
	v_ffbh_i32_e32 v4, v1
	v_ashrrev_i32_e32 v5, 31, v5
	v_add_u32_e32 v4, -1, v4
	v_add_u32_e32 v5, 32, v5
	v_min_u32_e32 v6, v4, v5
	v_lshlrev_b64 v[4:5], v6, v[0:1]
	s_mov_b32 s2, 0x43f00000
	v_min_u32_e32 v4, 1, v4
	v_or_b32_e32 v4, v5, v4
	v_cvt_f32_i32_e32 v4, v4
	v_sub_u32_e32 v5, 32, v6
	v_ldexp_f32 v4, v4, v5
	v_and_b32_e32 v6, 0x7fffffff, v4
	v_cmp_gt_u32_e32 vcc, s2, v6
                                        ; implicit-def: $vgpr5
	s_and_saveexec_b64 s[2:3], vcc
	s_xor_b64 s[2:3], exec, s[2:3]
	s_cbranch_execz .LBB78_1917
; %bb.1912:
	s_mov_b32 s4, 0x3c7fffff
	v_cmp_lt_u32_e32 vcc, s4, v6
                                        ; implicit-def: $vgpr5
	s_and_saveexec_b64 s[4:5], vcc
	s_xor_b64 s[4:5], exec, s[4:5]
; %bb.1913:
	v_bfe_u32 v5, v4, 20, 1
	s_mov_b32 s8, 0x407ffff
	v_add3_u32 v5, v4, v5, s8
	v_lshrrev_b32_e32 v6, 20, v5
	v_and_b32_e32 v5, 0xff00000, v5
	s_mov_b32 s8, 0x7f00000
	v_mov_b32_e32 v7, 0x7e
	v_cmp_ne_u32_e32 vcc, s8, v5
	v_cndmask_b32_e32 v5, v7, v6, vcc
; %bb.1914:
	s_andn2_saveexec_b64 s[4:5], s[4:5]
; %bb.1915:
	s_mov_b32 s8, 0x46800000
	v_add_f32_e64 v5, |v4|, s8
; %bb.1916:
	s_or_b64 exec, exec, s[4:5]
                                        ; implicit-def: $vgpr6
.LBB78_1917:
	s_andn2_saveexec_b64 s[2:3], s[2:3]
; %bb.1918:
	s_mov_b32 s4, 0x7f800000
	v_mov_b32_e32 v5, 0x7e
	v_mov_b32_e32 v7, 0x7f
	v_cmp_lt_u32_e32 vcc, s4, v6
	v_cndmask_b32_e32 v5, v5, v7, vcc
; %bb.1919:
	s_or_b64 exec, exec, s[2:3]
	v_lshrrev_b32_e32 v4, 24, v4
	s_movk_i32 s2, 0x80
	v_and_or_b32 v4, v4, s2, v5
	global_store_byte v[2:3], v4, off
.LBB78_1920:
	s_mov_b64 s[2:3], 0
.LBB78_1921:
	s_andn2_b64 vcc, exec, s[2:3]
	s_cbranch_vccnz .LBB78_1931
; %bb.1922:
	v_xor_b32_e32 v5, v0, v1
	v_ffbh_i32_e32 v4, v1
	v_ashrrev_i32_e32 v5, 31, v5
	v_add_u32_e32 v4, -1, v4
	v_add_u32_e32 v5, 32, v5
	v_min_u32_e32 v6, v4, v5
	v_lshlrev_b64 v[4:5], v6, v[0:1]
	s_mov_b32 s2, 0x47800000
	v_min_u32_e32 v4, 1, v4
	v_or_b32_e32 v4, v5, v4
	v_cvt_f32_i32_e32 v4, v4
	v_sub_u32_e32 v5, 32, v6
	v_ldexp_f32 v4, v4, v5
	v_and_b32_e32 v6, 0x7fffffff, v4
	v_cmp_gt_u32_e32 vcc, s2, v6
                                        ; implicit-def: $vgpr5
	s_and_saveexec_b64 s[2:3], vcc
	s_xor_b64 s[2:3], exec, s[2:3]
	s_cbranch_execz .LBB78_1928
; %bb.1923:
	s_mov_b32 s4, 0x387fffff
	v_cmp_lt_u32_e32 vcc, s4, v6
                                        ; implicit-def: $vgpr5
	s_and_saveexec_b64 s[4:5], vcc
	s_xor_b64 s[4:5], exec, s[4:5]
; %bb.1924:
	v_bfe_u32 v5, v4, 21, 1
	s_mov_b32 s8, 0x80fffff
	v_add3_u32 v5, v4, v5, s8
	v_lshrrev_b32_e32 v5, 21, v5
; %bb.1925:
	s_andn2_saveexec_b64 s[4:5], s[4:5]
; %bb.1926:
	s_mov_b32 s8, 0x43000000
	v_add_f32_e64 v5, |v4|, s8
; %bb.1927:
	s_or_b64 exec, exec, s[4:5]
                                        ; implicit-def: $vgpr6
.LBB78_1928:
	s_andn2_saveexec_b64 s[2:3], s[2:3]
; %bb.1929:
	s_mov_b32 s4, 0x7f800000
	v_mov_b32_e32 v5, 0x7c
	v_mov_b32_e32 v7, 0x7f
	v_cmp_lt_u32_e32 vcc, s4, v6
	v_cndmask_b32_e32 v5, v5, v7, vcc
; %bb.1930:
	s_or_b64 exec, exec, s[2:3]
	v_lshrrev_b32_e32 v4, 24, v4
	s_movk_i32 s2, 0x80
	v_and_or_b32 v4, v4, s2, v5
	global_store_byte v[2:3], v4, off
.LBB78_1931:
	s_mov_b64 s[2:3], 0
.LBB78_1932:
	s_andn2_b64 vcc, exec, s[2:3]
	s_mov_b64 s[2:3], 0
	s_cbranch_vccnz .LBB78_1939
; %bb.1933:
	s_cmp_gt_i32 s12, 14
	s_mov_b64 s[4:5], -1
	s_cbranch_scc0 .LBB78_1937
; %bb.1934:
	s_cmp_eq_u32 s12, 15
	s_mov_b64 s[0:1], -1
	s_cbranch_scc0 .LBB78_1936
; %bb.1935:
	v_xor_b32_e32 v5, v0, v1
	v_ffbh_i32_e32 v4, v1
	v_ashrrev_i32_e32 v5, 31, v5
	v_add_u32_e32 v4, -1, v4
	v_add_u32_e32 v5, 32, v5
	v_min_u32_e32 v6, v4, v5
	v_lshlrev_b64 v[4:5], v6, v[0:1]
	s_movk_i32 s0, 0x7fff
	v_min_u32_e32 v4, 1, v4
	v_or_b32_e32 v4, v5, v4
	v_cvt_f32_i32_e32 v4, v4
	v_sub_u32_e32 v5, 32, v6
	v_ldexp_f32 v4, v4, v5
	v_bfe_u32 v5, v4, 16, 1
	v_add3_u32 v4, v4, v5, s0
	global_store_short_d16_hi v[2:3], v4, off
	s_mov_b64 s[0:1], 0
.LBB78_1936:
	s_mov_b64 s[4:5], 0
.LBB78_1937:
	s_and_b64 vcc, exec, s[4:5]
	s_cbranch_vccz .LBB78_1939
; %bb.1938:
	s_cmp_lg_u32 s12, 11
	s_mov_b64 s[2:3], -1
	s_cselect_b64 s[0:1], -1, 0
.LBB78_1939:
	s_and_b64 vcc, exec, s[0:1]
	s_cbranch_vccnz .LBB78_2005
.LBB78_1940:
	s_mov_b64 s[0:1], 0
	s_branch .LBB78_1942
.LBB78_1941:
	s_mov_b64 s[0:1], 0
	s_mov_b64 s[2:3], 0
                                        ; implicit-def: $sgpr24
                                        ; implicit-def: $vgpr2_vgpr3
                                        ; implicit-def: $vgpr0_vgpr1
.LBB78_1942:
	s_and_b64 s[4:5], s[2:3], exec
	s_andn2_b64 s[2:3], s[20:21], exec
	s_and_b64 s[8:9], s[22:23], exec
	s_and_b64 s[0:1], s[0:1], exec
	s_or_b64 s[20:21], s[2:3], s[8:9]
.LBB78_1943:
	s_or_b64 exec, exec, s[6:7]
	s_and_saveexec_b64 s[2:3], s[20:21]
	s_cbranch_execz .LBB78_1946
; %bb.1944:
	; divergent unreachable
	s_or_b64 exec, exec, s[2:3]
	s_and_saveexec_b64 s[2:3], s[4:5]
	s_xor_b64 s[2:3], exec, s[2:3]
	s_cbranch_execnz .LBB78_1947
.LBB78_1945:
	s_or_b64 exec, exec, s[2:3]
	s_and_saveexec_b64 s[2:3], s[0:1]
	s_cbranch_execnz .LBB78_1948
	s_branch .LBB78_1985
.LBB78_1946:
	s_or_b64 exec, exec, s[2:3]
	s_and_saveexec_b64 s[2:3], s[4:5]
	s_xor_b64 s[2:3], exec, s[2:3]
	s_cbranch_execz .LBB78_1945
.LBB78_1947:
	s_waitcnt vmcnt(0)
	v_cmp_ne_u64_e32 vcc, 0, v[0:1]
	v_cndmask_b32_e64 v4, 0, 1, vcc
	global_store_byte v[2:3], v4, off
	s_or_b64 exec, exec, s[2:3]
	s_and_saveexec_b64 s[2:3], s[0:1]
	s_cbranch_execz .LBB78_1985
.LBB78_1948:
	s_sext_i32_i16 s2, s24
	s_cmp_lt_i32 s2, 5
	s_mov_b64 s[0:1], -1
	s_cbranch_scc1 .LBB78_1969
; %bb.1949:
	s_cmp_lt_i32 s2, 8
	s_cbranch_scc1 .LBB78_1959
; %bb.1950:
	s_cmp_lt_i32 s2, 9
	s_cbranch_scc1 .LBB78_1956
; %bb.1951:
	s_cmp_gt_i32 s2, 9
	s_cbranch_scc0 .LBB78_1953
; %bb.1952:
	s_waitcnt vmcnt(0)
	v_cvt_f64_i32_e32 v[4:5], v1
	v_cvt_f64_u32_e32 v[6:7], v0
	s_mov_b64 s[0:1], 0
	v_ldexp_f64 v[4:5], v[4:5], 32
	v_add_f64 v[4:5], v[4:5], v[6:7]
	v_mov_b32_e32 v6, 0
	v_mov_b32_e32 v7, v6
	global_store_dwordx4 v[2:3], v[4:7], off
.LBB78_1953:
	s_andn2_b64 vcc, exec, s[0:1]
	s_cbranch_vccnz .LBB78_1955
; %bb.1954:
	s_waitcnt vmcnt(0)
	v_xor_b32_e32 v5, v0, v1
	v_ffbh_i32_e32 v4, v1
	v_ashrrev_i32_e32 v5, 31, v5
	v_add_u32_e32 v4, -1, v4
	v_add_u32_e32 v5, 32, v5
	v_min_u32_e32 v6, v4, v5
	v_lshlrev_b64 v[4:5], v6, v[0:1]
	v_min_u32_e32 v4, 1, v4
	v_or_b32_e32 v4, v5, v4
	v_cvt_f32_i32_e32 v4, v4
	v_sub_u32_e32 v5, 32, v6
	v_ldexp_f32 v4, v4, v5
	v_mov_b32_e32 v5, 0
	global_store_dwordx2 v[2:3], v[4:5], off
.LBB78_1955:
	s_mov_b64 s[0:1], 0
.LBB78_1956:
	s_andn2_b64 vcc, exec, s[0:1]
	s_cbranch_vccnz .LBB78_1958
; %bb.1957:
	s_waitcnt vmcnt(0)
	v_xor_b32_e32 v5, v0, v1
	v_ffbh_i32_e32 v4, v1
	v_ashrrev_i32_e32 v5, 31, v5
	v_add_u32_e32 v4, -1, v4
	v_add_u32_e32 v5, 32, v5
	v_min_u32_e32 v6, v4, v5
	v_lshlrev_b64 v[4:5], v6, v[0:1]
	v_min_u32_e32 v4, 1, v4
	v_or_b32_e32 v4, v5, v4
	v_cvt_f32_i32_e32 v4, v4
	v_sub_u32_e32 v5, 32, v6
	v_ldexp_f32 v4, v4, v5
	v_cvt_f16_f32_e32 v4, v4
	global_store_dword v[2:3], v4, off
.LBB78_1958:
	s_mov_b64 s[0:1], 0
.LBB78_1959:
	s_andn2_b64 vcc, exec, s[0:1]
	s_cbranch_vccnz .LBB78_1968
; %bb.1960:
	s_sext_i32_i16 s2, s24
	s_cmp_lt_i32 s2, 6
	s_mov_b64 s[0:1], -1
	s_cbranch_scc1 .LBB78_1966
; %bb.1961:
	s_cmp_gt_i32 s2, 6
	s_cbranch_scc0 .LBB78_1963
; %bb.1962:
	s_waitcnt vmcnt(0)
	v_cvt_f64_i32_e32 v[4:5], v1
	v_cvt_f64_u32_e32 v[6:7], v0
	s_mov_b64 s[0:1], 0
	v_ldexp_f64 v[4:5], v[4:5], 32
	v_add_f64 v[4:5], v[4:5], v[6:7]
	global_store_dwordx2 v[2:3], v[4:5], off
.LBB78_1963:
	s_andn2_b64 vcc, exec, s[0:1]
	s_cbranch_vccnz .LBB78_1965
; %bb.1964:
	s_waitcnt vmcnt(0)
	v_xor_b32_e32 v5, v0, v1
	v_ffbh_i32_e32 v4, v1
	v_ashrrev_i32_e32 v5, 31, v5
	v_add_u32_e32 v4, -1, v4
	v_add_u32_e32 v5, 32, v5
	v_min_u32_e32 v6, v4, v5
	v_lshlrev_b64 v[4:5], v6, v[0:1]
	v_min_u32_e32 v4, 1, v4
	v_or_b32_e32 v4, v5, v4
	v_cvt_f32_i32_e32 v4, v4
	v_sub_u32_e32 v5, 32, v6
	v_ldexp_f32 v4, v4, v5
	global_store_dword v[2:3], v4, off
.LBB78_1965:
	s_mov_b64 s[0:1], 0
.LBB78_1966:
	s_andn2_b64 vcc, exec, s[0:1]
	s_cbranch_vccnz .LBB78_1968
; %bb.1967:
	s_waitcnt vmcnt(0)
	v_xor_b32_e32 v5, v0, v1
	v_ffbh_i32_e32 v4, v1
	v_ashrrev_i32_e32 v5, 31, v5
	v_add_u32_e32 v4, -1, v4
	v_add_u32_e32 v5, 32, v5
	v_min_u32_e32 v6, v4, v5
	v_lshlrev_b64 v[4:5], v6, v[0:1]
	v_min_u32_e32 v4, 1, v4
	v_or_b32_e32 v4, v5, v4
	v_cvt_f32_i32_e32 v4, v4
	v_sub_u32_e32 v5, 32, v6
	v_ldexp_f32 v4, v4, v5
	v_cvt_f16_f32_e32 v4, v4
	global_store_short v[2:3], v4, off
.LBB78_1968:
	s_mov_b64 s[0:1], 0
.LBB78_1969:
	s_andn2_b64 vcc, exec, s[0:1]
	s_cbranch_vccnz .LBB78_1985
; %bb.1970:
	s_sext_i32_i16 s2, s24
	s_cmp_lt_i32 s2, 2
	s_mov_b64 s[0:1], -1
	s_cbranch_scc1 .LBB78_1980
; %bb.1971:
	s_cmp_lt_i32 s2, 3
	s_cbranch_scc1 .LBB78_1977
; %bb.1972:
	s_cmp_gt_i32 s2, 3
	s_cbranch_scc0 .LBB78_1974
; %bb.1973:
	s_waitcnt vmcnt(0)
	global_store_dwordx2 v[2:3], v[0:1], off
	s_mov_b64 s[0:1], 0
.LBB78_1974:
	s_andn2_b64 vcc, exec, s[0:1]
	s_cbranch_vccnz .LBB78_1976
; %bb.1975:
	s_waitcnt vmcnt(0)
	global_store_dword v[2:3], v0, off
.LBB78_1976:
	s_mov_b64 s[0:1], 0
.LBB78_1977:
	s_andn2_b64 vcc, exec, s[0:1]
	s_cbranch_vccnz .LBB78_1979
; %bb.1978:
	s_waitcnt vmcnt(0)
	global_store_short v[2:3], v0, off
.LBB78_1979:
	s_mov_b64 s[0:1], 0
.LBB78_1980:
	s_andn2_b64 vcc, exec, s[0:1]
	s_cbranch_vccnz .LBB78_1985
; %bb.1981:
	s_sext_i32_i16 s0, s24
	s_cmp_gt_i32 s0, 0
	s_mov_b64 s[0:1], -1
	s_cbranch_scc0 .LBB78_1983
; %bb.1982:
	s_waitcnt vmcnt(0)
	global_store_byte v[2:3], v0, off
	s_mov_b64 s[0:1], 0
.LBB78_1983:
	s_andn2_b64 vcc, exec, s[0:1]
	s_cbranch_vccnz .LBB78_1985
; %bb.1984:
	s_waitcnt vmcnt(0)
	global_store_byte v[2:3], v0, off
	s_endpgm
.LBB78_1985:
	s_endpgm
.LBB78_1986:
	s_mov_b64 s[2:3], 0
	s_mov_b64 s[0:1], -1
	s_branch .LBB78_1942
.LBB78_1987:
	s_trap 2
	s_or_b64 s[22:23], s[22:23], exec
	s_cbranch_execz .LBB78_1456
	s_branch .LBB78_1457
.LBB78_1988:
	s_andn2_saveexec_b64 s[18:19], s[18:19]
	s_cbranch_execz .LBB78_1536
.LBB78_1989:
	s_mov_b32 s25, 0x46000000
	v_add_f32_e64 v12, |v11|, s25
	v_and_b32_e32 v12, 0xff, v12
	v_cmp_ne_u32_e32 vcc, 0, v12
	s_andn2_b64 s[12:13], s[12:13], exec
	s_and_b64 s[26:27], vcc, exec
	s_or_b64 s[12:13], s[12:13], s[26:27]
	s_or_b64 exec, exec, s[18:19]
	v_mov_b32_e32 v13, 0
	s_and_saveexec_b64 s[18:19], s[12:13]
	s_cbranch_execnz .LBB78_1537
	s_branch .LBB78_1538
.LBB78_1990:
	s_trap 2
	s_or_b64 s[22:23], s[22:23], exec
	s_cbranch_execz .LBB78_1584
	s_branch .LBB78_1585
.LBB78_1991:
	s_andn2_saveexec_b64 s[12:13], s[12:13]
	s_cbranch_execz .LBB78_1549
.LBB78_1992:
	s_mov_b32 s18, 0x42800000
	v_add_f32_e64 v12, |v11|, s18
	v_and_b32_e32 v12, 0xff, v12
	v_cmp_ne_u32_e32 vcc, 0, v12
	s_andn2_b64 s[10:11], s[10:11], exec
	s_and_b64 s[18:19], vcc, exec
	s_or_b64 s[10:11], s[10:11], s[18:19]
	s_or_b64 exec, exec, s[12:13]
	v_mov_b32_e32 v13, 0
	s_and_saveexec_b64 s[12:13], s[10:11]
	s_cbranch_execnz .LBB78_1550
	s_branch .LBB78_1551
.LBB78_1993:
	s_andn2_saveexec_b64 s[16:17], s[16:17]
	s_cbranch_execz .LBB78_1655
.LBB78_1994:
	s_mov_b32 s25, 0x46000000
	v_add_f32_e64 v10, |v9|, s25
	v_and_b32_e32 v10, 0xff, v10
	v_cmp_ne_u32_e32 vcc, 0, v10
	s_andn2_b64 s[12:13], s[12:13], exec
	s_and_b64 s[26:27], vcc, exec
	s_or_b64 s[12:13], s[12:13], s[26:27]
	s_or_b64 exec, exec, s[16:17]
	v_mov_b32_e32 v11, 0
	s_and_saveexec_b64 s[16:17], s[12:13]
	s_cbranch_execnz .LBB78_1656
	s_branch .LBB78_1657
.LBB78_1995:
	s_trap 2
	s_or_b64 s[22:23], s[22:23], exec
	s_cbranch_execz .LBB78_1703
	s_branch .LBB78_1704
.LBB78_1996:
	s_andn2_saveexec_b64 s[12:13], s[12:13]
	s_cbranch_execz .LBB78_1668
.LBB78_1997:
	s_mov_b32 s16, 0x42800000
	v_add_f32_e64 v10, |v9|, s16
	v_and_b32_e32 v10, 0xff, v10
	v_cmp_ne_u32_e32 vcc, 0, v10
	s_andn2_b64 s[10:11], s[10:11], exec
	s_and_b64 s[16:17], vcc, exec
	s_or_b64 s[10:11], s[10:11], s[16:17]
	s_or_b64 exec, exec, s[12:13]
	v_mov_b32_e32 v11, 0
	s_and_saveexec_b64 s[12:13], s[10:11]
	s_cbranch_execnz .LBB78_1669
	s_branch .LBB78_1670
.LBB78_1998:
	s_andn2_saveexec_b64 s[16:17], s[16:17]
	s_cbranch_execz .LBB78_1774
.LBB78_1999:
	s_mov_b32 s25, 0x46000000
	v_add_f32_e64 v8, |v5|, s25
	v_and_b32_e32 v8, 0xff, v8
	v_cmp_ne_u32_e32 vcc, 0, v8
	s_andn2_b64 s[12:13], s[12:13], exec
	s_and_b64 s[26:27], vcc, exec
	s_or_b64 s[12:13], s[12:13], s[26:27]
	s_or_b64 exec, exec, s[16:17]
	v_mov_b32_e32 v9, 0
	s_and_saveexec_b64 s[16:17], s[12:13]
	s_cbranch_execnz .LBB78_1775
	s_branch .LBB78_1776
.LBB78_2000:
	s_trap 2
	s_or_b64 s[22:23], s[22:23], exec
	s_cbranch_execz .LBB78_1822
	s_branch .LBB78_1823
.LBB78_2001:
	s_andn2_saveexec_b64 s[12:13], s[12:13]
	s_cbranch_execz .LBB78_1787
.LBB78_2002:
	s_mov_b32 s16, 0x42800000
	v_add_f32_e64 v8, |v5|, s16
	v_and_b32_e32 v8, 0xff, v8
	v_cmp_ne_u32_e32 vcc, 0, v8
	s_andn2_b64 s[10:11], s[10:11], exec
	s_and_b64 s[16:17], vcc, exec
	s_or_b64 s[10:11], s[10:11], s[16:17]
	s_or_b64 exec, exec, s[12:13]
	v_mov_b32_e32 v9, 0
	s_and_saveexec_b64 s[12:13], s[10:11]
	s_cbranch_execnz .LBB78_1788
	s_branch .LBB78_1789
.LBB78_2003:
	s_andn2_saveexec_b64 s[10:11], s[10:11]
	s_cbranch_execz .LBB78_1894
.LBB78_2004:
	s_mov_b32 s13, 0x46000000
	v_add_f32_e64 v5, |v4|, s13
	v_and_b32_e32 v5, 0xff, v5
	v_cmp_ne_u32_e32 vcc, 0, v5
	s_andn2_b64 s[8:9], s[8:9], exec
	s_and_b64 s[14:15], vcc, exec
	s_or_b64 s[8:9], s[8:9], s[14:15]
	s_or_b64 exec, exec, s[10:11]
	v_mov_b32_e32 v6, 0
	s_and_saveexec_b64 s[10:11], s[8:9]
	s_cbranch_execnz .LBB78_1895
	s_branch .LBB78_1896
.LBB78_2005:
	s_mov_b64 s[2:3], 0
	s_or_b64 s[22:23], s[22:23], exec
	s_trap 2
	s_branch .LBB78_1940
.LBB78_2006:
	s_andn2_saveexec_b64 s[8:9], s[8:9]
	s_cbranch_execz .LBB78_1906
.LBB78_2007:
	s_mov_b32 s10, 0x42800000
	v_add_f32_e64 v5, |v4|, s10
	v_and_b32_e32 v5, 0xff, v5
	v_cmp_ne_u32_e32 vcc, 0, v5
	s_andn2_b64 s[4:5], s[4:5], exec
	s_and_b64 s[10:11], vcc, exec
	s_or_b64 s[4:5], s[4:5], s[10:11]
	s_or_b64 exec, exec, s[8:9]
	v_mov_b32_e32 v6, 0
	s_and_saveexec_b64 s[8:9], s[4:5]
	s_cbranch_execnz .LBB78_1907
	s_branch .LBB78_1908
	.section	.rodata,"a",@progbits
	.p2align	6, 0x0
	.amdhsa_kernel _ZN2at6native32elementwise_kernel_manual_unrollILi128ELi4EZNS0_15gpu_kernel_implINS0_13AUnaryFunctorIlllZNS0_12_GLOBAL__N_121threshold_kernel_implIlEEvRNS_18TensorIteratorBaseET_S8_EUlllE_EEEEvS7_RKS8_EUlibE_EEviT1_
		.amdhsa_group_segment_fixed_size 0
		.amdhsa_private_segment_fixed_size 0
		.amdhsa_kernarg_size 64
		.amdhsa_user_sgpr_count 6
		.amdhsa_user_sgpr_private_segment_buffer 1
		.amdhsa_user_sgpr_dispatch_ptr 0
		.amdhsa_user_sgpr_queue_ptr 0
		.amdhsa_user_sgpr_kernarg_segment_ptr 1
		.amdhsa_user_sgpr_dispatch_id 0
		.amdhsa_user_sgpr_flat_scratch_init 0
		.amdhsa_user_sgpr_private_segment_size 0
		.amdhsa_uses_dynamic_stack 0
		.amdhsa_system_sgpr_private_segment_wavefront_offset 0
		.amdhsa_system_sgpr_workgroup_id_x 1
		.amdhsa_system_sgpr_workgroup_id_y 0
		.amdhsa_system_sgpr_workgroup_id_z 0
		.amdhsa_system_sgpr_workgroup_info 0
		.amdhsa_system_vgpr_workitem_id 0
		.amdhsa_next_free_vgpr 15
		.amdhsa_next_free_sgpr 54
		.amdhsa_reserve_vcc 1
		.amdhsa_reserve_flat_scratch 0
		.amdhsa_float_round_mode_32 0
		.amdhsa_float_round_mode_16_64 0
		.amdhsa_float_denorm_mode_32 3
		.amdhsa_float_denorm_mode_16_64 3
		.amdhsa_dx10_clamp 1
		.amdhsa_ieee_mode 1
		.amdhsa_fp16_overflow 0
		.amdhsa_exception_fp_ieee_invalid_op 0
		.amdhsa_exception_fp_denorm_src 0
		.amdhsa_exception_fp_ieee_div_zero 0
		.amdhsa_exception_fp_ieee_overflow 0
		.amdhsa_exception_fp_ieee_underflow 0
		.amdhsa_exception_fp_ieee_inexact 0
		.amdhsa_exception_int_div_zero 0
	.end_amdhsa_kernel
	.section	.text._ZN2at6native32elementwise_kernel_manual_unrollILi128ELi4EZNS0_15gpu_kernel_implINS0_13AUnaryFunctorIlllZNS0_12_GLOBAL__N_121threshold_kernel_implIlEEvRNS_18TensorIteratorBaseET_S8_EUlllE_EEEEvS7_RKS8_EUlibE_EEviT1_,"axG",@progbits,_ZN2at6native32elementwise_kernel_manual_unrollILi128ELi4EZNS0_15gpu_kernel_implINS0_13AUnaryFunctorIlllZNS0_12_GLOBAL__N_121threshold_kernel_implIlEEvRNS_18TensorIteratorBaseET_S8_EUlllE_EEEEvS7_RKS8_EUlibE_EEviT1_,comdat
.Lfunc_end78:
	.size	_ZN2at6native32elementwise_kernel_manual_unrollILi128ELi4EZNS0_15gpu_kernel_implINS0_13AUnaryFunctorIlllZNS0_12_GLOBAL__N_121threshold_kernel_implIlEEvRNS_18TensorIteratorBaseET_S8_EUlllE_EEEEvS7_RKS8_EUlibE_EEviT1_, .Lfunc_end78-_ZN2at6native32elementwise_kernel_manual_unrollILi128ELi4EZNS0_15gpu_kernel_implINS0_13AUnaryFunctorIlllZNS0_12_GLOBAL__N_121threshold_kernel_implIlEEvRNS_18TensorIteratorBaseET_S8_EUlllE_EEEEvS7_RKS8_EUlibE_EEviT1_
                                        ; -- End function
	.set _ZN2at6native32elementwise_kernel_manual_unrollILi128ELi4EZNS0_15gpu_kernel_implINS0_13AUnaryFunctorIlllZNS0_12_GLOBAL__N_121threshold_kernel_implIlEEvRNS_18TensorIteratorBaseET_S8_EUlllE_EEEEvS7_RKS8_EUlibE_EEviT1_.num_vgpr, 15
	.set _ZN2at6native32elementwise_kernel_manual_unrollILi128ELi4EZNS0_15gpu_kernel_implINS0_13AUnaryFunctorIlllZNS0_12_GLOBAL__N_121threshold_kernel_implIlEEvRNS_18TensorIteratorBaseET_S8_EUlllE_EEEEvS7_RKS8_EUlibE_EEviT1_.num_agpr, 0
	.set _ZN2at6native32elementwise_kernel_manual_unrollILi128ELi4EZNS0_15gpu_kernel_implINS0_13AUnaryFunctorIlllZNS0_12_GLOBAL__N_121threshold_kernel_implIlEEvRNS_18TensorIteratorBaseET_S8_EUlllE_EEEEvS7_RKS8_EUlibE_EEviT1_.numbered_sgpr, 54
	.set _ZN2at6native32elementwise_kernel_manual_unrollILi128ELi4EZNS0_15gpu_kernel_implINS0_13AUnaryFunctorIlllZNS0_12_GLOBAL__N_121threshold_kernel_implIlEEvRNS_18TensorIteratorBaseET_S8_EUlllE_EEEEvS7_RKS8_EUlibE_EEviT1_.num_named_barrier, 0
	.set _ZN2at6native32elementwise_kernel_manual_unrollILi128ELi4EZNS0_15gpu_kernel_implINS0_13AUnaryFunctorIlllZNS0_12_GLOBAL__N_121threshold_kernel_implIlEEvRNS_18TensorIteratorBaseET_S8_EUlllE_EEEEvS7_RKS8_EUlibE_EEviT1_.private_seg_size, 0
	.set _ZN2at6native32elementwise_kernel_manual_unrollILi128ELi4EZNS0_15gpu_kernel_implINS0_13AUnaryFunctorIlllZNS0_12_GLOBAL__N_121threshold_kernel_implIlEEvRNS_18TensorIteratorBaseET_S8_EUlllE_EEEEvS7_RKS8_EUlibE_EEviT1_.uses_vcc, 1
	.set _ZN2at6native32elementwise_kernel_manual_unrollILi128ELi4EZNS0_15gpu_kernel_implINS0_13AUnaryFunctorIlllZNS0_12_GLOBAL__N_121threshold_kernel_implIlEEvRNS_18TensorIteratorBaseET_S8_EUlllE_EEEEvS7_RKS8_EUlibE_EEviT1_.uses_flat_scratch, 0
	.set _ZN2at6native32elementwise_kernel_manual_unrollILi128ELi4EZNS0_15gpu_kernel_implINS0_13AUnaryFunctorIlllZNS0_12_GLOBAL__N_121threshold_kernel_implIlEEvRNS_18TensorIteratorBaseET_S8_EUlllE_EEEEvS7_RKS8_EUlibE_EEviT1_.has_dyn_sized_stack, 0
	.set _ZN2at6native32elementwise_kernel_manual_unrollILi128ELi4EZNS0_15gpu_kernel_implINS0_13AUnaryFunctorIlllZNS0_12_GLOBAL__N_121threshold_kernel_implIlEEvRNS_18TensorIteratorBaseET_S8_EUlllE_EEEEvS7_RKS8_EUlibE_EEviT1_.has_recursion, 0
	.set _ZN2at6native32elementwise_kernel_manual_unrollILi128ELi4EZNS0_15gpu_kernel_implINS0_13AUnaryFunctorIlllZNS0_12_GLOBAL__N_121threshold_kernel_implIlEEvRNS_18TensorIteratorBaseET_S8_EUlllE_EEEEvS7_RKS8_EUlibE_EEviT1_.has_indirect_call, 0
	.section	.AMDGPU.csdata,"",@progbits
; Kernel info:
; codeLenInByte = 40084
; TotalNumSgprs: 58
; NumVgprs: 15
; ScratchSize: 0
; MemoryBound: 1
; FloatMode: 240
; IeeeMode: 1
; LDSByteSize: 0 bytes/workgroup (compile time only)
; SGPRBlocks: 7
; VGPRBlocks: 3
; NumSGPRsForWavesPerEU: 58
; NumVGPRsForWavesPerEU: 15
; Occupancy: 10
; WaveLimiterHint : 0
; COMPUTE_PGM_RSRC2:SCRATCH_EN: 0
; COMPUTE_PGM_RSRC2:USER_SGPR: 6
; COMPUTE_PGM_RSRC2:TRAP_HANDLER: 0
; COMPUTE_PGM_RSRC2:TGID_X_EN: 1
; COMPUTE_PGM_RSRC2:TGID_Y_EN: 0
; COMPUTE_PGM_RSRC2:TGID_Z_EN: 0
; COMPUTE_PGM_RSRC2:TIDIG_COMP_CNT: 0
	.section	.text._ZN2at6native32elementwise_kernel_manual_unrollILi128ELi4EZNS0_15gpu_kernel_implINS0_13AUnaryFunctorIlllZNS0_12_GLOBAL__N_121threshold_kernel_implIlEEvRNS_18TensorIteratorBaseET_S8_EUlllE_EEEEvS7_RKS8_EUlibE0_EEviT1_,"axG",@progbits,_ZN2at6native32elementwise_kernel_manual_unrollILi128ELi4EZNS0_15gpu_kernel_implINS0_13AUnaryFunctorIlllZNS0_12_GLOBAL__N_121threshold_kernel_implIlEEvRNS_18TensorIteratorBaseET_S8_EUlllE_EEEEvS7_RKS8_EUlibE0_EEviT1_,comdat
	.globl	_ZN2at6native32elementwise_kernel_manual_unrollILi128ELi4EZNS0_15gpu_kernel_implINS0_13AUnaryFunctorIlllZNS0_12_GLOBAL__N_121threshold_kernel_implIlEEvRNS_18TensorIteratorBaseET_S8_EUlllE_EEEEvS7_RKS8_EUlibE0_EEviT1_ ; -- Begin function _ZN2at6native32elementwise_kernel_manual_unrollILi128ELi4EZNS0_15gpu_kernel_implINS0_13AUnaryFunctorIlllZNS0_12_GLOBAL__N_121threshold_kernel_implIlEEvRNS_18TensorIteratorBaseET_S8_EUlllE_EEEEvS7_RKS8_EUlibE0_EEviT1_
	.p2align	8
	.type	_ZN2at6native32elementwise_kernel_manual_unrollILi128ELi4EZNS0_15gpu_kernel_implINS0_13AUnaryFunctorIlllZNS0_12_GLOBAL__N_121threshold_kernel_implIlEEvRNS_18TensorIteratorBaseET_S8_EUlllE_EEEEvS7_RKS8_EUlibE0_EEviT1_,@function
_ZN2at6native32elementwise_kernel_manual_unrollILi128ELi4EZNS0_15gpu_kernel_implINS0_13AUnaryFunctorIlllZNS0_12_GLOBAL__N_121threshold_kernel_implIlEEvRNS_18TensorIteratorBaseET_S8_EUlllE_EEEEvS7_RKS8_EUlibE0_EEviT1_: ; @_ZN2at6native32elementwise_kernel_manual_unrollILi128ELi4EZNS0_15gpu_kernel_implINS0_13AUnaryFunctorIlllZNS0_12_GLOBAL__N_121threshold_kernel_implIlEEvRNS_18TensorIteratorBaseET_S8_EUlllE_EEEEvS7_RKS8_EUlibE0_EEviT1_
; %bb.0:
	s_load_dword s74, s[4:5], 0x0
	s_load_dword s33, s[4:5], 0x8
	s_add_u32 s34, s4, 8
	s_addc_u32 s35, s5, 0
	v_lshl_or_b32 v11, s6, 9, v0
	v_or_b32_e32 v15, 0x180, v11
	s_waitcnt lgkmcnt(0)
	s_add_i32 s76, s33, -1
	s_cmp_gt_u32 s76, 1
	v_cmp_le_i32_e32 vcc, s74, v15
	s_cselect_b64 s[48:49], -1, 0
	s_mov_b64 s[6:7], 0
	s_mov_b64 s[28:29], 0
	s_and_saveexec_b64 s[0:1], vcc
	s_xor_b64 s[50:51], exec, s[0:1]
	s_cbranch_execz .LBB79_1070
; %bb.1:
	s_load_dwordx4 s[40:43], s[34:35], 0x4
	s_load_dwordx2 s[52:53], s[34:35], 0x14
	s_load_dwordx4 s[36:39], s[34:35], 0xc4
	s_load_dwordx8 s[8:15], s[34:35], 0x148
	s_load_dwordx2 s[0:1], s[34:35], 0x168
	s_load_dword s77, s[34:35], 0x170
	s_cmp_lg_u32 s33, 0
	s_cselect_b64 s[58:59], -1, 0
	s_add_u32 s56, s34, 0xc4
	s_addc_u32 s57, s35, 0
	s_min_u32 s79, s76, 15
	s_waitcnt lgkmcnt(0)
	v_mov_b32_e32 v0, s12
	v_mov_b32_e32 v1, s13
	s_cmp_gt_u32 s33, 1
	v_cmp_gt_i64_e64 s[0:1], s[0:1], v[0:1]
	s_cselect_b64 s[54:55], -1, 0
	s_bfe_u32 s78, s77, 0x80008
	v_cmp_gt_i32_e32 vcc, s74, v11
	s_mov_b64 s[2:3], -1
	s_mov_b64 s[66:67], 0
	s_mov_b64 s[60:61], 0
	;; [unrolled: 1-line block ×3, first 2 shown]
	s_and_saveexec_b64 s[62:63], vcc
	s_cbranch_execz .LBB79_262
; %bb.2:
	s_andn2_b64 vcc, exec, s[48:49]
	s_cbranch_vccnz .LBB79_7
; %bb.3:
	s_andn2_b64 vcc, exec, s[58:59]
	s_cbranch_vccnz .LBB79_8
; %bb.4:
	s_add_i32 s61, s79, 1
	s_cmp_eq_u32 s76, 2
	s_cbranch_scc1 .LBB79_9
; %bb.5:
	s_and_b32 s60, s61, 28
	v_mov_b32_e32 v2, 0
	s_mov_b32 s64, 0
	s_mov_b64 s[2:3], s[34:35]
	s_mov_b64 s[12:13], s[56:57]
	v_mov_b32_e32 v0, 0
	v_mov_b32_e32 v1, v11
.LBB79_6:                               ; =>This Inner Loop Header: Depth=1
	s_load_dwordx8 s[24:31], s[2:3], 0x4
	s_load_dwordx4 s[44:47], s[2:3], 0x24
	s_load_dwordx8 s[16:23], s[12:13], 0x0
	s_add_u32 s2, s2, 48
	s_addc_u32 s3, s3, 0
	s_waitcnt lgkmcnt(0)
	v_mul_hi_u32 v3, s25, v1
	s_add_i32 s64, s64, 4
	s_add_u32 s12, s12, 32
	s_addc_u32 s13, s13, 0
	v_add_u32_e32 v3, v1, v3
	v_lshrrev_b32_e32 v3, s26, v3
	v_mul_lo_u32 v4, v3, s24
	v_mul_hi_u32 v5, s28, v3
	s_cmp_lg_u32 s60, s64
	v_sub_u32_e32 v1, v1, v4
	v_add_u32_e32 v4, v3, v5
	v_mul_lo_u32 v5, v1, s16
	v_mul_lo_u32 v6, v1, s17
	v_lshrrev_b32_e32 v1, s29, v4
	v_mul_lo_u32 v4, v1, s27
	v_mul_hi_u32 v7, s31, v1
	v_sub_u32_e32 v3, v3, v4
	v_add_u32_e32 v4, v1, v7
	v_lshrrev_b32_e32 v4, s44, v4
	v_mul_hi_u32 v8, s46, v4
	v_mul_lo_u32 v9, v4, s30
	v_mul_lo_u32 v7, v3, s18
	;; [unrolled: 1-line block ×3, first 2 shown]
	v_sub_u32_e32 v9, v1, v9
	v_add_u32_e32 v1, v4, v8
	v_lshrrev_b32_e32 v1, s47, v1
	v_mul_lo_u32 v8, v1, s45
	v_mul_lo_u32 v10, v9, s20
	;; [unrolled: 1-line block ×3, first 2 shown]
	v_add3_u32 v0, v5, v0, v7
	v_sub_u32_e32 v4, v4, v8
	v_mul_lo_u32 v8, v4, s22
	v_mul_lo_u32 v4, v4, s23
	v_add3_u32 v2, v6, v2, v3
	v_add3_u32 v0, v10, v0, v8
	;; [unrolled: 1-line block ×3, first 2 shown]
	s_cbranch_scc1 .LBB79_6
	s_branch .LBB79_10
.LBB79_7:
                                        ; implicit-def: $vgpr0
                                        ; implicit-def: $vgpr2
	s_andn2_b64 vcc, exec, s[2:3]
	s_cbranch_vccz .LBB79_14
	s_branch .LBB79_16
.LBB79_8:
	v_mov_b32_e32 v0, 0
	v_mov_b32_e32 v2, 0
	s_branch .LBB79_13
.LBB79_9:
	s_mov_b32 s60, 0
	v_mov_b32_e32 v0, 0
	v_mov_b32_e32 v2, 0
	;; [unrolled: 1-line block ×3, first 2 shown]
.LBB79_10:
	s_and_b32 s16, s61, 3
	s_cmp_eq_u32 s16, 0
	s_cbranch_scc1 .LBB79_13
; %bb.11:
	s_lshl_b32 s2, s60, 3
	s_add_u32 s2, s34, s2
	s_addc_u32 s3, s35, 0
	s_add_u32 s2, s2, 0xc4
	s_addc_u32 s3, s3, 0
	s_mul_i32 s12, s60, 12
	s_add_u32 s12, s34, s12
	s_addc_u32 s13, s35, 0
.LBB79_12:                              ; =>This Inner Loop Header: Depth=1
	s_load_dwordx2 s[18:19], s[12:13], 0x4
	s_load_dword s17, s[12:13], 0xc
	s_load_dwordx2 s[20:21], s[2:3], 0x0
	s_add_u32 s12, s12, 12
	s_addc_u32 s13, s13, 0
	s_waitcnt lgkmcnt(0)
	v_mul_hi_u32 v3, s19, v1
	s_add_u32 s2, s2, 8
	s_addc_u32 s3, s3, 0
	s_add_i32 s16, s16, -1
	v_add_u32_e32 v3, v1, v3
	v_lshrrev_b32_e32 v4, s17, v3
	v_mul_lo_u32 v3, v4, s18
	s_cmp_lg_u32 s16, 0
	v_sub_u32_e32 v3, v1, v3
	v_mad_u64_u32 v[0:1], s[18:19], v3, s20, v[0:1]
	v_mad_u64_u32 v[2:3], s[18:19], v3, s21, v[2:3]
	v_mov_b32_e32 v1, v4
	s_cbranch_scc1 .LBB79_12
.LBB79_13:
	s_cbranch_execnz .LBB79_16
.LBB79_14:
	v_mul_hi_u32 v0, s41, v11
	s_andn2_b64 vcc, exec, s[54:55]
	v_add_u32_e32 v0, v11, v0
	v_lshrrev_b32_e32 v1, s42, v0
	v_mul_lo_u32 v0, v1, s40
	v_sub_u32_e32 v2, v11, v0
	v_mul_lo_u32 v0, v2, s36
	v_mul_lo_u32 v2, v2, s37
	s_cbranch_vccnz .LBB79_16
; %bb.15:
	v_mul_hi_u32 v3, s52, v1
	v_add_u32_e32 v3, v1, v3
	v_lshrrev_b32_e32 v3, s53, v3
	v_mul_lo_u32 v3, v3, s43
	v_sub_u32_e32 v3, v1, v3
	v_mad_u64_u32 v[0:1], s[2:3], v3, s38, v[0:1]
	v_mad_u64_u32 v[2:3], s[2:3], v3, s39, v[2:3]
.LBB79_16:
	v_mov_b32_e32 v3, s11
	s_and_b32 s18, 0xffff, s78
	v_add_co_u32_e32 v1, vcc, s10, v2
	s_cmp_lt_i32 s18, 11
	v_addc_co_u32_e32 v2, vcc, 0, v3, vcc
	s_cbranch_scc1 .LBB79_23
; %bb.17:
	s_cmp_gt_i32 s18, 25
	s_cbranch_scc0 .LBB79_32
; %bb.18:
	s_cmp_gt_i32 s18, 28
	s_cbranch_scc0 .LBB79_35
	;; [unrolled: 3-line block ×4, first 2 shown]
; %bb.21:
	s_cmp_eq_u32 s18, 46
	s_mov_b64 s[12:13], 0
	s_cbranch_scc0 .LBB79_41
; %bb.22:
	global_load_dword v3, v[1:2], off
	s_mov_b32 s2, 0x2f800000
	s_mov_b32 s3, 0xcf800000
	s_mov_b64 s[16:17], 0
	s_waitcnt vmcnt(0)
	v_lshlrev_b32_e32 v3, 16, v3
	v_trunc_f32_e32 v3, v3
	v_mul_f32_e64 v4, |v3|, s2
	v_floor_f32_e32 v4, v4
	v_fma_f32 v5, v4, s3, |v3|
	v_cvt_u32_f32_e32 v5, v5
	v_cvt_u32_f32_e32 v4, v4
	v_ashrrev_i32_e32 v6, 31, v3
	s_mov_b64 s[2:3], -1
	v_xor_b32_e32 v3, v5, v6
	v_xor_b32_e32 v4, v4, v6
	v_sub_co_u32_e32 v3, vcc, v3, v6
	v_subb_co_u32_e32 v4, vcc, v4, v6, vcc
	s_branch .LBB79_43
.LBB79_23:
	s_mov_b64 s[16:17], 0
                                        ; implicit-def: $vgpr3_vgpr4
	s_mov_b64 s[2:3], 0
	s_cbranch_execnz .LBB79_212
.LBB79_24:
	s_andn2_b64 vcc, exec, s[2:3]
	s_cbranch_vccnz .LBB79_259
.LBB79_25:
	v_mov_b32_e32 v1, s15
	s_waitcnt vmcnt(0)
	v_cndmask_b32_e64 v2, v1, v4, s[0:1]
	v_mov_b32_e32 v1, s14
	v_cndmask_b32_e64 v1, v1, v3, s[0:1]
	v_mov_b32_e32 v4, s9
	s_and_b32 s22, s77, 0xff
	v_add_co_u32_e32 v3, vcc, s8, v0
	s_cmp_lt_i32 s22, 11
	v_addc_co_u32_e32 v4, vcc, 0, v4, vcc
	s_cbranch_scc1 .LBB79_33
; %bb.26:
	s_and_b32 s23, 0xffff, s22
	s_cmp_gt_i32 s23, 25
	s_cbranch_scc0 .LBB79_36
; %bb.27:
	s_cmp_gt_i32 s23, 28
	s_cbranch_scc0 .LBB79_38
; %bb.28:
	;; [unrolled: 3-line block ×4, first 2 shown]
	s_mov_b64 s[18:19], 0
	s_mov_b64 s[2:3], -1
	s_cmp_eq_u32 s23, 46
	s_mov_b64 s[12:13], 0
	s_cbranch_scc0 .LBB79_47
; %bb.31:
	v_xor_b32_e32 v5, v1, v2
	v_ffbh_i32_e32 v0, v2
	v_ashrrev_i32_e32 v5, 31, v5
	v_add_u32_e32 v0, -1, v0
	v_add_u32_e32 v5, 32, v5
	v_min_u32_e32 v0, v0, v5
	v_lshlrev_b64 v[5:6], v0, v[1:2]
	v_sub_u32_e32 v0, 32, v0
	v_min_u32_e32 v5, 1, v5
	v_or_b32_e32 v5, v6, v5
	v_cvt_f32_i32_e32 v5, v5
	s_movk_i32 s2, 0x7fff
	s_mov_b64 s[12:13], -1
	v_ldexp_f32 v0, v5, v0
	v_bfe_u32 v5, v0, 16, 1
	v_add3_u32 v0, v0, v5, s2
	v_lshrrev_b32_e32 v0, 16, v0
	global_store_dword v[3:4], v0, off
	s_mov_b64 s[2:3], 0
	s_branch .LBB79_47
.LBB79_32:
	s_mov_b64 s[16:17], 0
	s_mov_b64 s[2:3], 0
                                        ; implicit-def: $vgpr3_vgpr4
	s_cbranch_execnz .LBB79_181
	s_branch .LBB79_211
.LBB79_33:
	s_mov_b64 s[2:3], 0
	s_mov_b64 s[12:13], 0
	s_cbranch_execnz .LBB79_116
.LBB79_34:
	s_andn2_b64 vcc, exec, s[12:13]
	s_cbranch_vccnz .LBB79_260
	s_branch .LBB79_154
.LBB79_35:
	s_mov_b64 s[12:13], -1
	s_mov_b64 s[16:17], 0
	s_mov_b64 s[2:3], 0
                                        ; implicit-def: $vgpr3_vgpr4
	s_branch .LBB79_162
.LBB79_36:
	s_mov_b64 s[18:19], -1
	s_mov_b64 s[2:3], 0
	s_mov_b64 s[12:13], 0
	s_branch .LBB79_74
.LBB79_37:
	s_mov_b64 s[12:13], -1
	s_mov_b64 s[16:17], 0
	s_mov_b64 s[2:3], 0
                                        ; implicit-def: $vgpr3_vgpr4
	s_branch .LBB79_157
.LBB79_38:
	s_mov_b64 s[18:19], -1
	s_mov_b64 s[2:3], 0
	s_mov_b64 s[12:13], 0
	s_branch .LBB79_57
.LBB79_39:
	s_mov_b64 s[12:13], -1
	s_mov_b64 s[16:17], 0
	s_branch .LBB79_42
.LBB79_40:
	s_mov_b64 s[18:19], -1
	s_mov_b64 s[2:3], 0
	s_mov_b64 s[12:13], 0
	s_branch .LBB79_53
.LBB79_41:
	s_mov_b64 s[16:17], -1
.LBB79_42:
	s_mov_b64 s[2:3], 0
                                        ; implicit-def: $vgpr3_vgpr4
.LBB79_43:
	s_and_b64 vcc, exec, s[12:13]
	s_cbranch_vccz .LBB79_156
; %bb.44:
	s_cmp_eq_u32 s18, 44
	s_cbranch_scc0 .LBB79_155
; %bb.45:
	global_load_ubyte v3, v[1:2], off
	s_mov_b32 s2, 0x2f800000
	s_mov_b32 s3, 0xcf800000
	s_mov_b64 s[16:17], 0
	s_waitcnt vmcnt(0)
	v_lshlrev_b32_e32 v4, 23, v3
	v_trunc_f32_e32 v4, v4
	v_mul_f32_e64 v5, |v4|, s2
	v_floor_f32_e32 v5, v5
	v_fma_f32 v6, v5, s3, |v4|
	v_cvt_u32_f32_e32 v6, v6
	v_cvt_u32_f32_e32 v5, v5
	v_ashrrev_i32_e32 v4, 31, v4
	s_mov_b64 s[2:3], -1
	v_xor_b32_e32 v6, v6, v4
	v_xor_b32_e32 v5, v5, v4
	v_sub_co_u32_e32 v6, vcc, v6, v4
	v_subb_co_u32_e32 v4, vcc, v5, v4, vcc
	v_cmp_ne_u32_e32 vcc, 0, v3
	v_cndmask_b32_e32 v4, 0, v4, vcc
	v_cndmask_b32_e32 v3, 0, v6, vcc
	s_branch .LBB79_156
.LBB79_46:
	s_mov_b64 s[18:19], -1
	s_mov_b64 s[2:3], 0
	s_mov_b64 s[12:13], 0
.LBB79_47:
	s_and_b64 vcc, exec, s[18:19]
	s_cbranch_vccz .LBB79_52
; %bb.48:
	s_cmp_eq_u32 s23, 44
	s_mov_b64 s[2:3], -1
	s_cbranch_scc0 .LBB79_52
; %bb.49:
	v_xor_b32_e32 v5, v1, v2
	v_ffbh_i32_e32 v0, v2
	v_ashrrev_i32_e32 v5, 31, v5
	v_add_u32_e32 v0, -1, v0
	v_add_u32_e32 v5, 32, v5
	v_min_u32_e32 v0, v0, v5
	v_lshlrev_b64 v[5:6], v0, v[1:2]
	v_sub_u32_e32 v0, 32, v0
	v_min_u32_e32 v5, 1, v5
	v_or_b32_e32 v5, v6, v5
	v_cvt_f32_i32_e32 v5, v5
	s_movk_i32 s2, 0xff
	v_mov_b32_e32 v6, 0xff
	v_ldexp_f32 v0, v5, v0
	v_bfe_u32 v5, v0, 23, 8
	v_cmp_ne_u32_e32 vcc, s2, v5
	s_and_saveexec_b64 s[12:13], vcc
; %bb.50:
	s_mov_b32 s2, 0x3fffff
	v_lshrrev_b32_e32 v6, 23, v0
	v_and_b32_e32 v7, 0x400000, v0
	v_and_or_b32 v0, v0, s2, v5
	v_cmp_ne_u32_e32 vcc, 0, v7
	v_cmp_ne_u32_e64 s[2:3], 0, v0
	s_and_b64 s[2:3], vcc, s[2:3]
	v_cndmask_b32_e64 v0, 0, 1, s[2:3]
	v_add_u32_e32 v6, v6, v0
; %bb.51:
	s_or_b64 exec, exec, s[12:13]
	s_mov_b64 s[12:13], -1
	s_mov_b64 s[2:3], 0
	global_store_byte v[3:4], v6, off
.LBB79_52:
	s_mov_b64 s[18:19], 0
.LBB79_53:
	s_and_b64 vcc, exec, s[18:19]
	s_cbranch_vccz .LBB79_56
; %bb.54:
	s_cmp_eq_u32 s23, 29
	s_mov_b64 s[2:3], -1
	s_cbranch_scc0 .LBB79_56
; %bb.55:
	global_store_dwordx2 v[3:4], v[1:2], off
	s_mov_b64 s[12:13], -1
	s_mov_b64 s[2:3], 0
.LBB79_56:
	s_mov_b64 s[18:19], 0
.LBB79_57:
	s_and_b64 vcc, exec, s[18:19]
	s_cbranch_vccz .LBB79_73
; %bb.58:
	s_cmp_lt_i32 s23, 27
	s_mov_b64 s[12:13], -1
	s_cbranch_scc1 .LBB79_64
; %bb.59:
	s_cmp_gt_i32 s23, 27
	s_cbranch_scc0 .LBB79_61
; %bb.60:
	s_mov_b64 s[12:13], 0
	global_store_dword v[3:4], v1, off
.LBB79_61:
	s_andn2_b64 vcc, exec, s[12:13]
	s_cbranch_vccnz .LBB79_63
; %bb.62:
	global_store_short v[3:4], v1, off
.LBB79_63:
	s_mov_b64 s[12:13], 0
.LBB79_64:
	s_andn2_b64 vcc, exec, s[12:13]
	s_cbranch_vccnz .LBB79_72
; %bb.65:
	v_xor_b32_e32 v5, v1, v2
	v_ffbh_i32_e32 v0, v2
	v_ashrrev_i32_e32 v5, 31, v5
	v_add_u32_e32 v0, -1, v0
	v_add_u32_e32 v5, 32, v5
	v_min_u32_e32 v0, v0, v5
	v_lshlrev_b64 v[5:6], v0, v[1:2]
	v_sub_u32_e32 v0, 32, v0
	v_min_u32_e32 v5, 1, v5
	v_or_b32_e32 v5, v6, v5
	v_cvt_f32_i32_e32 v5, v5
	s_mov_b32 s12, 0x43800000
	v_mov_b32_e32 v6, 0x80
	v_ldexp_f32 v0, v5, v0
	v_and_b32_e32 v5, 0x7fffffff, v0
	v_cmp_gt_u32_e32 vcc, s12, v5
	s_and_saveexec_b64 s[12:13], vcc
	s_cbranch_execz .LBB79_71
; %bb.66:
	s_mov_b32 s18, 0x3bffffff
	v_cmp_lt_u32_e32 vcc, s18, v5
	s_mov_b64 s[18:19], 0
                                        ; implicit-def: $vgpr5
	s_and_saveexec_b64 s[20:21], vcc
	s_xor_b64 s[20:21], exec, s[20:21]
	s_cbranch_execz .LBB79_303
; %bb.67:
	v_bfe_u32 v5, v0, 20, 1
	s_mov_b32 s24, 0x487ffff
	v_add3_u32 v5, v0, v5, s24
	s_mov_b64 s[18:19], exec
	v_lshrrev_b32_e32 v5, 20, v5
	s_andn2_saveexec_b64 s[20:21], s[20:21]
	s_cbranch_execnz .LBB79_304
.LBB79_68:
	s_or_b64 exec, exec, s[20:21]
	v_mov_b32_e32 v6, 0
	s_and_saveexec_b64 s[20:21], s[18:19]
.LBB79_69:
	v_lshrrev_b32_e32 v0, 24, v0
	s_movk_i32 s18, 0x80
	v_and_or_b32 v6, v0, s18, v5
.LBB79_70:
	s_or_b64 exec, exec, s[20:21]
.LBB79_71:
	s_or_b64 exec, exec, s[12:13]
	global_store_byte v[3:4], v6, off
.LBB79_72:
	s_mov_b64 s[12:13], -1
.LBB79_73:
	s_mov_b64 s[18:19], 0
.LBB79_74:
	s_and_b64 vcc, exec, s[18:19]
	s_cbranch_vccz .LBB79_115
; %bb.75:
	s_cmp_gt_i32 s23, 22
	s_mov_b64 s[18:19], -1
	s_cbranch_scc0 .LBB79_107
; %bb.76:
	s_cmp_lt_i32 s23, 24
	s_mov_b64 s[12:13], -1
	s_cbranch_scc1 .LBB79_96
; %bb.77:
	s_cmp_gt_i32 s23, 24
	s_cbranch_scc0 .LBB79_85
; %bb.78:
	v_xor_b32_e32 v5, v1, v2
	v_ffbh_i32_e32 v0, v2
	v_ashrrev_i32_e32 v5, 31, v5
	v_add_u32_e32 v0, -1, v0
	v_add_u32_e32 v5, 32, v5
	v_min_u32_e32 v0, v0, v5
	v_lshlrev_b64 v[5:6], v0, v[1:2]
	v_sub_u32_e32 v0, 32, v0
	v_min_u32_e32 v5, 1, v5
	v_or_b32_e32 v5, v6, v5
	v_cvt_f32_i32_e32 v5, v5
	s_mov_b32 s12, 0x47800000
	v_mov_b32_e32 v6, 0x80
	v_ldexp_f32 v0, v5, v0
	v_and_b32_e32 v5, 0x7fffffff, v0
	v_cmp_gt_u32_e32 vcc, s12, v5
	s_and_saveexec_b64 s[12:13], vcc
	s_cbranch_execz .LBB79_84
; %bb.79:
	s_mov_b32 s18, 0x37ffffff
	v_cmp_lt_u32_e32 vcc, s18, v5
	s_mov_b64 s[18:19], 0
                                        ; implicit-def: $vgpr5
	s_and_saveexec_b64 s[20:21], vcc
	s_xor_b64 s[20:21], exec, s[20:21]
	s_cbranch_execz .LBB79_307
; %bb.80:
	v_bfe_u32 v5, v0, 21, 1
	s_mov_b32 s24, 0x88fffff
	v_add3_u32 v5, v0, v5, s24
	s_mov_b64 s[18:19], exec
	v_lshrrev_b32_e32 v5, 21, v5
	s_andn2_saveexec_b64 s[20:21], s[20:21]
	s_cbranch_execnz .LBB79_308
.LBB79_81:
	s_or_b64 exec, exec, s[20:21]
	v_mov_b32_e32 v6, 0
	s_and_saveexec_b64 s[20:21], s[18:19]
.LBB79_82:
	v_lshrrev_b32_e32 v0, 24, v0
	s_movk_i32 s18, 0x80
	v_and_or_b32 v6, v0, s18, v5
.LBB79_83:
	s_or_b64 exec, exec, s[20:21]
.LBB79_84:
	s_or_b64 exec, exec, s[12:13]
	s_mov_b64 s[12:13], 0
	global_store_byte v[3:4], v6, off
.LBB79_85:
	s_and_b64 vcc, exec, s[12:13]
	s_cbranch_vccz .LBB79_95
; %bb.86:
	v_xor_b32_e32 v5, v1, v2
	v_ffbh_i32_e32 v0, v2
	v_ashrrev_i32_e32 v5, 31, v5
	v_add_u32_e32 v0, -1, v0
	v_add_u32_e32 v5, 32, v5
	v_min_u32_e32 v0, v0, v5
	v_lshlrev_b64 v[5:6], v0, v[1:2]
	v_sub_u32_e32 v0, 32, v0
	v_min_u32_e32 v5, 1, v5
	v_or_b32_e32 v5, v6, v5
	v_cvt_f32_i32_e32 v5, v5
	s_mov_b32 s12, 0x43f00000
	v_ldexp_f32 v0, v5, v0
	v_and_b32_e32 v6, 0x7fffffff, v0
	v_cmp_gt_u32_e32 vcc, s12, v6
                                        ; implicit-def: $vgpr5
	s_and_saveexec_b64 s[12:13], vcc
	s_xor_b64 s[12:13], exec, s[12:13]
	s_cbranch_execz .LBB79_92
; %bb.87:
	s_mov_b32 s18, 0x3c7fffff
	v_cmp_lt_u32_e32 vcc, s18, v6
                                        ; implicit-def: $vgpr5
	s_and_saveexec_b64 s[18:19], vcc
	s_xor_b64 s[18:19], exec, s[18:19]
; %bb.88:
	v_bfe_u32 v5, v0, 20, 1
	s_mov_b32 s20, 0x407ffff
	v_add3_u32 v5, v0, v5, s20
	v_lshrrev_b32_e32 v6, 20, v5
	v_and_b32_e32 v5, 0xff00000, v5
	s_mov_b32 s20, 0x7f00000
	v_mov_b32_e32 v7, 0x7e
	v_cmp_ne_u32_e32 vcc, s20, v5
	v_cndmask_b32_e32 v5, v7, v6, vcc
; %bb.89:
	s_andn2_saveexec_b64 s[18:19], s[18:19]
; %bb.90:
	s_mov_b32 s20, 0x46800000
	v_add_f32_e64 v5, |v0|, s20
; %bb.91:
	s_or_b64 exec, exec, s[18:19]
                                        ; implicit-def: $vgpr6
.LBB79_92:
	s_andn2_saveexec_b64 s[12:13], s[12:13]
; %bb.93:
	s_mov_b32 s18, 0x7f800000
	v_mov_b32_e32 v5, 0x7e
	v_mov_b32_e32 v7, 0x7f
	v_cmp_lt_u32_e32 vcc, s18, v6
	v_cndmask_b32_e32 v5, v5, v7, vcc
; %bb.94:
	s_or_b64 exec, exec, s[12:13]
	v_lshrrev_b32_e32 v0, 24, v0
	s_movk_i32 s12, 0x80
	v_and_or_b32 v0, v0, s12, v5
	global_store_byte v[3:4], v0, off
.LBB79_95:
	s_mov_b64 s[12:13], 0
.LBB79_96:
	s_andn2_b64 vcc, exec, s[12:13]
	s_cbranch_vccnz .LBB79_106
; %bb.97:
	v_xor_b32_e32 v5, v1, v2
	v_ffbh_i32_e32 v0, v2
	v_ashrrev_i32_e32 v5, 31, v5
	v_add_u32_e32 v0, -1, v0
	v_add_u32_e32 v5, 32, v5
	v_min_u32_e32 v0, v0, v5
	v_lshlrev_b64 v[5:6], v0, v[1:2]
	v_sub_u32_e32 v0, 32, v0
	v_min_u32_e32 v5, 1, v5
	v_or_b32_e32 v5, v6, v5
	v_cvt_f32_i32_e32 v5, v5
	s_mov_b32 s12, 0x47800000
	v_ldexp_f32 v0, v5, v0
	v_and_b32_e32 v6, 0x7fffffff, v0
	v_cmp_gt_u32_e32 vcc, s12, v6
                                        ; implicit-def: $vgpr5
	s_and_saveexec_b64 s[12:13], vcc
	s_xor_b64 s[12:13], exec, s[12:13]
	s_cbranch_execz .LBB79_103
; %bb.98:
	s_mov_b32 s18, 0x387fffff
	v_cmp_lt_u32_e32 vcc, s18, v6
                                        ; implicit-def: $vgpr5
	s_and_saveexec_b64 s[18:19], vcc
	s_xor_b64 s[18:19], exec, s[18:19]
; %bb.99:
	v_bfe_u32 v5, v0, 21, 1
	s_mov_b32 s20, 0x80fffff
	v_add3_u32 v5, v0, v5, s20
	v_lshrrev_b32_e32 v5, 21, v5
; %bb.100:
	s_andn2_saveexec_b64 s[18:19], s[18:19]
; %bb.101:
	s_mov_b32 s20, 0x43000000
	v_add_f32_e64 v5, |v0|, s20
; %bb.102:
	s_or_b64 exec, exec, s[18:19]
                                        ; implicit-def: $vgpr6
.LBB79_103:
	s_andn2_saveexec_b64 s[12:13], s[12:13]
; %bb.104:
	s_mov_b32 s18, 0x7f800000
	v_mov_b32_e32 v5, 0x7c
	v_mov_b32_e32 v7, 0x7f
	v_cmp_lt_u32_e32 vcc, s18, v6
	v_cndmask_b32_e32 v5, v5, v7, vcc
; %bb.105:
	s_or_b64 exec, exec, s[12:13]
	v_lshrrev_b32_e32 v0, 24, v0
	s_movk_i32 s12, 0x80
	v_and_or_b32 v0, v0, s12, v5
	global_store_byte v[3:4], v0, off
.LBB79_106:
	s_mov_b64 s[18:19], 0
	s_mov_b64 s[12:13], -1
.LBB79_107:
	s_andn2_b64 vcc, exec, s[18:19]
	s_cbranch_vccnz .LBB79_115
; %bb.108:
	s_cmp_gt_i32 s23, 14
	s_mov_b64 s[18:19], -1
	s_cbranch_scc0 .LBB79_112
; %bb.109:
	s_cmp_eq_u32 s23, 15
	s_mov_b64 s[2:3], -1
	s_cbranch_scc0 .LBB79_111
; %bb.110:
	v_xor_b32_e32 v5, v1, v2
	v_ffbh_i32_e32 v0, v2
	v_ashrrev_i32_e32 v5, 31, v5
	v_add_u32_e32 v0, -1, v0
	v_add_u32_e32 v5, 32, v5
	v_min_u32_e32 v0, v0, v5
	v_lshlrev_b64 v[5:6], v0, v[1:2]
	v_sub_u32_e32 v0, 32, v0
	v_min_u32_e32 v5, 1, v5
	v_or_b32_e32 v5, v6, v5
	v_cvt_f32_i32_e32 v5, v5
	s_movk_i32 s2, 0x7fff
	s_mov_b64 s[12:13], -1
	v_ldexp_f32 v0, v5, v0
	v_bfe_u32 v5, v0, 16, 1
	v_add3_u32 v0, v0, v5, s2
	global_store_short_d16_hi v[3:4], v0, off
	s_mov_b64 s[2:3], 0
.LBB79_111:
	s_mov_b64 s[18:19], 0
.LBB79_112:
	s_and_b64 vcc, exec, s[18:19]
	s_cbranch_vccz .LBB79_115
; %bb.113:
	s_cmp_eq_u32 s23, 11
	s_mov_b64 s[2:3], -1
	s_cbranch_scc0 .LBB79_115
; %bb.114:
	v_cmp_ne_u64_e32 vcc, 0, v[1:2]
	s_mov_b64 s[2:3], 0
	v_cndmask_b32_e64 v0, 0, 1, vcc
	s_mov_b64 s[12:13], -1
	global_store_byte v[3:4], v0, off
.LBB79_115:
	s_branch .LBB79_34
.LBB79_116:
	s_and_b32 s18, 0xffff, s22
	s_cmp_lt_i32 s18, 5
	s_mov_b64 s[12:13], -1
	s_cbranch_scc1 .LBB79_137
; %bb.117:
	s_cmp_lt_i32 s18, 8
	s_cbranch_scc1 .LBB79_127
; %bb.118:
	s_cmp_lt_i32 s18, 9
	s_cbranch_scc1 .LBB79_124
; %bb.119:
	s_cmp_gt_i32 s18, 9
	s_cbranch_scc0 .LBB79_121
; %bb.120:
	v_cvt_f64_i32_e32 v[5:6], v2
	v_cvt_f64_u32_e32 v[7:8], v1
	s_mov_b64 s[12:13], 0
	v_ldexp_f64 v[5:6], v[5:6], 32
	v_add_f64 v[5:6], v[5:6], v[7:8]
	v_mov_b32_e32 v7, 0
	v_mov_b32_e32 v8, v7
	global_store_dwordx4 v[3:4], v[5:8], off
.LBB79_121:
	s_andn2_b64 vcc, exec, s[12:13]
	s_cbranch_vccnz .LBB79_123
; %bb.122:
	v_xor_b32_e32 v5, v1, v2
	v_ffbh_i32_e32 v0, v2
	v_ashrrev_i32_e32 v5, 31, v5
	v_add_u32_e32 v0, -1, v0
	v_add_u32_e32 v5, 32, v5
	v_min_u32_e32 v0, v0, v5
	v_lshlrev_b64 v[5:6], v0, v[1:2]
	v_sub_u32_e32 v0, 32, v0
	v_min_u32_e32 v5, 1, v5
	v_or_b32_e32 v5, v6, v5
	v_cvt_f32_i32_e32 v5, v5
	v_mov_b32_e32 v6, 0
	v_ldexp_f32 v5, v5, v0
	global_store_dwordx2 v[3:4], v[5:6], off
.LBB79_123:
	s_mov_b64 s[12:13], 0
.LBB79_124:
	s_andn2_b64 vcc, exec, s[12:13]
	s_cbranch_vccnz .LBB79_126
; %bb.125:
	v_xor_b32_e32 v5, v1, v2
	v_ffbh_i32_e32 v0, v2
	v_ashrrev_i32_e32 v5, 31, v5
	v_add_u32_e32 v0, -1, v0
	v_add_u32_e32 v5, 32, v5
	v_min_u32_e32 v0, v0, v5
	v_lshlrev_b64 v[5:6], v0, v[1:2]
	v_sub_u32_e32 v0, 32, v0
	v_min_u32_e32 v5, 1, v5
	v_or_b32_e32 v5, v6, v5
	v_cvt_f32_i32_e32 v5, v5
	v_ldexp_f32 v0, v5, v0
	v_cvt_f16_f32_e32 v0, v0
	global_store_dword v[3:4], v0, off
.LBB79_126:
	s_mov_b64 s[12:13], 0
.LBB79_127:
	s_andn2_b64 vcc, exec, s[12:13]
	s_cbranch_vccnz .LBB79_136
; %bb.128:
	s_cmp_lt_i32 s18, 6
	s_mov_b64 s[12:13], -1
	s_cbranch_scc1 .LBB79_134
; %bb.129:
	s_cmp_gt_i32 s18, 6
	s_cbranch_scc0 .LBB79_131
; %bb.130:
	v_cvt_f64_i32_e32 v[5:6], v2
	v_cvt_f64_u32_e32 v[7:8], v1
	s_mov_b64 s[12:13], 0
	v_ldexp_f64 v[5:6], v[5:6], 32
	v_add_f64 v[5:6], v[5:6], v[7:8]
	global_store_dwordx2 v[3:4], v[5:6], off
.LBB79_131:
	s_andn2_b64 vcc, exec, s[12:13]
	s_cbranch_vccnz .LBB79_133
; %bb.132:
	v_xor_b32_e32 v5, v1, v2
	v_ffbh_i32_e32 v0, v2
	v_ashrrev_i32_e32 v5, 31, v5
	v_add_u32_e32 v0, -1, v0
	v_add_u32_e32 v5, 32, v5
	v_min_u32_e32 v0, v0, v5
	v_lshlrev_b64 v[5:6], v0, v[1:2]
	v_sub_u32_e32 v0, 32, v0
	v_min_u32_e32 v5, 1, v5
	v_or_b32_e32 v5, v6, v5
	v_cvt_f32_i32_e32 v5, v5
	v_ldexp_f32 v0, v5, v0
	global_store_dword v[3:4], v0, off
.LBB79_133:
	s_mov_b64 s[12:13], 0
.LBB79_134:
	s_andn2_b64 vcc, exec, s[12:13]
	s_cbranch_vccnz .LBB79_136
; %bb.135:
	v_xor_b32_e32 v5, v1, v2
	v_ffbh_i32_e32 v0, v2
	v_ashrrev_i32_e32 v5, 31, v5
	v_add_u32_e32 v0, -1, v0
	v_add_u32_e32 v5, 32, v5
	v_min_u32_e32 v0, v0, v5
	v_lshlrev_b64 v[5:6], v0, v[1:2]
	v_sub_u32_e32 v0, 32, v0
	v_min_u32_e32 v5, 1, v5
	v_or_b32_e32 v5, v6, v5
	v_cvt_f32_i32_e32 v5, v5
	v_ldexp_f32 v0, v5, v0
	v_cvt_f16_f32_e32 v0, v0
	global_store_short v[3:4], v0, off
.LBB79_136:
	s_mov_b64 s[12:13], 0
.LBB79_137:
	s_andn2_b64 vcc, exec, s[12:13]
	s_cbranch_vccnz .LBB79_153
; %bb.138:
	s_cmp_lt_i32 s18, 2
	s_mov_b64 s[12:13], -1
	s_cbranch_scc1 .LBB79_148
; %bb.139:
	s_cmp_lt_i32 s18, 3
	s_cbranch_scc1 .LBB79_145
; %bb.140:
	s_cmp_gt_i32 s18, 3
	s_cbranch_scc0 .LBB79_142
; %bb.141:
	global_store_dwordx2 v[3:4], v[1:2], off
	s_mov_b64 s[12:13], 0
.LBB79_142:
	s_andn2_b64 vcc, exec, s[12:13]
	s_cbranch_vccnz .LBB79_144
; %bb.143:
	global_store_dword v[3:4], v1, off
.LBB79_144:
	s_mov_b64 s[12:13], 0
.LBB79_145:
	s_andn2_b64 vcc, exec, s[12:13]
	s_cbranch_vccnz .LBB79_147
; %bb.146:
	global_store_short v[3:4], v1, off
.LBB79_147:
	s_mov_b64 s[12:13], 0
.LBB79_148:
	s_andn2_b64 vcc, exec, s[12:13]
	s_cbranch_vccnz .LBB79_153
; %bb.149:
	s_cmp_gt_i32 s18, 0
	s_mov_b64 s[12:13], -1
	s_cbranch_scc0 .LBB79_151
; %bb.150:
	global_store_byte v[3:4], v1, off
	s_mov_b64 s[12:13], 0
.LBB79_151:
	s_andn2_b64 vcc, exec, s[12:13]
	s_cbranch_vccnz .LBB79_153
; %bb.152:
	global_store_byte v[3:4], v1, off
.LBB79_153:
.LBB79_154:
	v_add_u32_e32 v11, 0x80, v11
	s_mov_b64 s[18:19], -1
	s_branch .LBB79_261
.LBB79_155:
	s_mov_b64 s[16:17], -1
                                        ; implicit-def: $vgpr3_vgpr4
.LBB79_156:
	s_mov_b64 s[12:13], 0
.LBB79_157:
	s_and_b64 vcc, exec, s[12:13]
	s_cbranch_vccz .LBB79_161
; %bb.158:
	s_cmp_eq_u32 s18, 29
	s_cbranch_scc0 .LBB79_160
; %bb.159:
	global_load_dwordx2 v[3:4], v[1:2], off
	s_mov_b64 s[2:3], -1
	s_mov_b64 s[16:17], 0
	s_branch .LBB79_161
.LBB79_160:
	s_mov_b64 s[16:17], -1
                                        ; implicit-def: $vgpr3_vgpr4
.LBB79_161:
	s_mov_b64 s[12:13], 0
.LBB79_162:
	s_and_b64 vcc, exec, s[12:13]
	s_cbranch_vccz .LBB79_180
; %bb.163:
	s_cmp_lt_i32 s18, 27
	s_cbranch_scc1 .LBB79_166
; %bb.164:
	s_cmp_gt_i32 s18, 27
	s_cbranch_scc0 .LBB79_167
; %bb.165:
	global_load_dword v3, v[1:2], off
	s_waitcnt vmcnt(1)
	v_mov_b32_e32 v4, 0
	s_mov_b64 s[2:3], 0
	s_branch .LBB79_168
.LBB79_166:
	s_mov_b64 s[2:3], -1
                                        ; implicit-def: $vgpr3_vgpr4
	s_branch .LBB79_171
.LBB79_167:
	s_mov_b64 s[2:3], -1
                                        ; implicit-def: $vgpr3_vgpr4
.LBB79_168:
	s_andn2_b64 vcc, exec, s[2:3]
	s_cbranch_vccnz .LBB79_170
; %bb.169:
	global_load_ushort v3, v[1:2], off
	s_mov_b32 s2, 0
	s_waitcnt vmcnt(1)
	v_mov_b32_e32 v4, s2
	s_waitcnt vmcnt(0)
	v_and_b32_e32 v3, 0xffff, v3
.LBB79_170:
	s_mov_b64 s[2:3], 0
.LBB79_171:
	s_andn2_b64 vcc, exec, s[2:3]
	s_cbranch_vccnz .LBB79_179
; %bb.172:
	global_load_ubyte v5, v[1:2], off
	s_movk_i32 s2, 0x7f
	s_mov_b64 s[12:13], 0
	s_waitcnt vmcnt(0)
	v_cmp_lt_i16_e32 vcc, s2, v5
	s_and_saveexec_b64 s[2:3], vcc
	s_xor_b64 s[2:3], exec, s[2:3]
; %bb.173:
	s_movk_i32 s12, 0x80
	v_cmp_ne_u16_e32 vcc, s12, v5
	s_and_b64 s[12:13], vcc, exec
; %bb.174:
	s_andn2_saveexec_b64 s[2:3], s[2:3]
; %bb.175:
	v_cmp_ne_u16_e32 vcc, 0, v5
	s_andn2_b64 s[12:13], s[12:13], exec
	s_and_b64 s[20:21], vcc, exec
	s_or_b64 s[12:13], s[12:13], s[20:21]
; %bb.176:
	s_or_b64 exec, exec, s[2:3]
	v_mov_b32_e32 v3, 0
	v_mov_b32_e32 v4, 0
	s_and_saveexec_b64 s[2:3], s[12:13]
	s_cbranch_execz .LBB79_178
; %bb.177:
	v_and_b32_e32 v4, 0xffff, v5
	v_lshlrev_b32_e32 v3, 24, v5
	v_and_b32_e32 v5, 7, v4
	v_ffbh_u32_e32 v7, v5
	v_min_u32_e32 v7, 32, v7
	v_subrev_u32_e32 v8, 28, v7
	v_bfe_u32 v6, v4, 3, 4
	v_lshlrev_b32_e32 v4, v8, v4
	v_sub_u32_e32 v7, 29, v7
	v_and_b32_e32 v4, 7, v4
	v_cmp_eq_u32_e32 vcc, 0, v6
	v_cndmask_b32_e32 v6, v6, v7, vcc
	v_cndmask_b32_e32 v4, v5, v4, vcc
	v_mov_b32_e32 v5, 0x3b800000
	v_lshlrev_b32_e32 v4, 20, v4
	v_and_b32_e32 v3, 0x80000000, v3
	v_lshl_add_u32 v5, v6, 23, v5
	v_or3_b32 v3, v3, v5, v4
	v_trunc_f32_e32 v3, v3
	s_mov_b32 s12, 0x2f800000
	v_mul_f32_e64 v4, |v3|, s12
	v_floor_f32_e32 v4, v4
	s_mov_b32 s12, 0xcf800000
	v_fma_f32 v5, v4, s12, |v3|
	v_cvt_u32_f32_e32 v5, v5
	v_cvt_u32_f32_e32 v4, v4
	v_ashrrev_i32_e32 v6, 31, v3
	v_xor_b32_e32 v3, v5, v6
	v_xor_b32_e32 v4, v4, v6
	v_sub_co_u32_e32 v3, vcc, v3, v6
	v_subb_co_u32_e32 v4, vcc, v4, v6, vcc
.LBB79_178:
	s_or_b64 exec, exec, s[2:3]
.LBB79_179:
	s_mov_b64 s[2:3], -1
.LBB79_180:
	s_branch .LBB79_211
.LBB79_181:
	s_cmp_gt_i32 s18, 22
	s_cbranch_scc0 .LBB79_191
; %bb.182:
	s_cmp_lt_i32 s18, 24
	s_cbranch_scc1 .LBB79_192
; %bb.183:
	s_cmp_gt_i32 s18, 24
	s_cbranch_scc0 .LBB79_193
; %bb.184:
	global_load_ubyte v5, v[1:2], off
	s_movk_i32 s2, 0x7f
	s_mov_b64 s[12:13], 0
	s_waitcnt vmcnt(0)
	v_cmp_lt_i16_e32 vcc, s2, v5
	s_and_saveexec_b64 s[2:3], vcc
	s_xor_b64 s[2:3], exec, s[2:3]
; %bb.185:
	s_movk_i32 s12, 0x80
	v_cmp_ne_u16_e32 vcc, s12, v5
	s_and_b64 s[12:13], vcc, exec
; %bb.186:
	s_andn2_saveexec_b64 s[2:3], s[2:3]
; %bb.187:
	v_cmp_ne_u16_e32 vcc, 0, v5
	s_andn2_b64 s[12:13], s[12:13], exec
	s_and_b64 s[20:21], vcc, exec
	s_or_b64 s[12:13], s[12:13], s[20:21]
; %bb.188:
	s_or_b64 exec, exec, s[2:3]
	v_mov_b32_e32 v3, 0
	v_mov_b32_e32 v4, 0
	s_and_saveexec_b64 s[2:3], s[12:13]
	s_cbranch_execz .LBB79_190
; %bb.189:
	v_and_b32_e32 v4, 0xffff, v5
	v_lshlrev_b32_e32 v3, 24, v5
	v_and_b32_e32 v5, 3, v4
	v_ffbh_u32_e32 v7, v5
	v_min_u32_e32 v7, 32, v7
	v_subrev_u32_e32 v8, 29, v7
	v_bfe_u32 v6, v4, 2, 5
	v_lshlrev_b32_e32 v4, v8, v4
	v_sub_u32_e32 v7, 30, v7
	v_and_b32_e32 v4, 3, v4
	v_cmp_eq_u32_e32 vcc, 0, v6
	v_cndmask_b32_e32 v6, v6, v7, vcc
	v_cndmask_b32_e32 v4, v5, v4, vcc
	v_mov_b32_e32 v5, 0x37800000
	v_lshlrev_b32_e32 v4, 21, v4
	v_and_b32_e32 v3, 0x80000000, v3
	v_lshl_add_u32 v5, v6, 23, v5
	v_or3_b32 v3, v3, v5, v4
	v_trunc_f32_e32 v3, v3
	s_mov_b32 s12, 0x2f800000
	v_mul_f32_e64 v4, |v3|, s12
	v_floor_f32_e32 v4, v4
	s_mov_b32 s12, 0xcf800000
	v_fma_f32 v5, v4, s12, |v3|
	v_cvt_u32_f32_e32 v5, v5
	v_cvt_u32_f32_e32 v4, v4
	v_ashrrev_i32_e32 v6, 31, v3
	v_xor_b32_e32 v3, v5, v6
	v_xor_b32_e32 v4, v4, v6
	v_sub_co_u32_e32 v3, vcc, v3, v6
	v_subb_co_u32_e32 v4, vcc, v4, v6, vcc
.LBB79_190:
	s_or_b64 exec, exec, s[2:3]
	s_mov_b64 s[2:3], 0
	s_branch .LBB79_194
.LBB79_191:
	s_mov_b64 s[12:13], -1
                                        ; implicit-def: $vgpr3_vgpr4
	s_branch .LBB79_200
.LBB79_192:
	s_mov_b64 s[2:3], -1
                                        ; implicit-def: $vgpr3_vgpr4
	s_branch .LBB79_197
.LBB79_193:
	s_mov_b64 s[2:3], -1
                                        ; implicit-def: $vgpr3_vgpr4
.LBB79_194:
	s_and_b64 vcc, exec, s[2:3]
	s_cbranch_vccz .LBB79_196
; %bb.195:
	global_load_ubyte v3, v[1:2], off
	s_mov_b32 s2, 0x7f800000
	s_brev_b32 s3, 1
	s_mov_b32 s12, 0x2f800000
	s_mov_b32 s13, 0xcf800000
	s_waitcnt vmcnt(0)
	v_lshlrev_b32_e32 v3, 24, v3
	v_and_b32_e32 v4, 0x7f000000, v3
	v_ffbh_u32_e32 v5, v4
	v_min_u32_e32 v5, 32, v5
	v_sub_u32_e64 v5, v5, 4 clamp
	v_lshlrev_b32_e32 v7, v5, v4
	v_lshlrev_b32_e32 v5, 23, v5
	v_lshrrev_b32_e32 v7, 4, v7
	v_add_u32_e32 v6, 0x1000000, v4
	v_sub_u32_e32 v5, v7, v5
	v_ashrrev_i32_e32 v6, 8, v6
	v_add_u32_e32 v5, 0x3c000000, v5
	v_and_or_b32 v5, v6, s2, v5
	v_cmp_ne_u32_e32 vcc, 0, v4
	v_cndmask_b32_e32 v4, 0, v5, vcc
	v_and_or_b32 v3, v3, s3, v4
	v_trunc_f32_e32 v3, v3
	v_mul_f32_e64 v4, |v3|, s12
	v_floor_f32_e32 v4, v4
	v_fma_f32 v5, v4, s13, |v3|
	v_cvt_u32_f32_e32 v5, v5
	v_cvt_u32_f32_e32 v4, v4
	v_ashrrev_i32_e32 v6, 31, v3
	v_xor_b32_e32 v3, v5, v6
	v_xor_b32_e32 v4, v4, v6
	v_sub_co_u32_e32 v3, vcc, v3, v6
	v_subb_co_u32_e32 v4, vcc, v4, v6, vcc
.LBB79_196:
	s_mov_b64 s[2:3], 0
.LBB79_197:
	s_andn2_b64 vcc, exec, s[2:3]
	s_cbranch_vccnz .LBB79_199
; %bb.198:
	global_load_ubyte v3, v[1:2], off
	s_movk_i32 s2, 0x7f00
	s_brev_b32 s3, 16
	s_brev_b32 s12, 1
	s_mov_b32 s13, 0x2f800000
	s_mov_b32 s19, 0xcf800000
	s_waitcnt vmcnt(0)
	v_lshlrev_b16_e32 v4, 8, v3
	v_lshlrev_b32_e32 v3, 25, v3
	v_lshrrev_b32_e32 v5, 4, v3
	v_and_or_b32 v6, v4, s2, 0.5
	v_or_b32_e32 v5, 0x70000000, v5
	v_add_f32_e32 v6, -0.5, v6
	v_mul_f32_e32 v5, 0x7800000, v5
	v_cmp_gt_u32_e32 vcc, s3, v3
	v_bfe_i32 v4, v4, 0, 16
	v_cndmask_b32_e32 v3, v5, v6, vcc
	v_and_or_b32 v3, v4, s12, v3
	v_trunc_f32_e32 v3, v3
	v_mul_f32_e64 v4, |v3|, s13
	v_floor_f32_e32 v4, v4
	v_fma_f32 v5, v4, s19, |v3|
	v_cvt_u32_f32_e32 v5, v5
	v_cvt_u32_f32_e32 v4, v4
	v_ashrrev_i32_e32 v6, 31, v3
	v_xor_b32_e32 v3, v5, v6
	v_xor_b32_e32 v4, v4, v6
	v_sub_co_u32_e32 v3, vcc, v3, v6
	v_subb_co_u32_e32 v4, vcc, v4, v6, vcc
.LBB79_199:
	s_mov_b64 s[12:13], 0
	s_mov_b64 s[2:3], -1
.LBB79_200:
	s_andn2_b64 vcc, exec, s[12:13]
	s_cbranch_vccnz .LBB79_211
; %bb.201:
	s_cmp_gt_i32 s18, 14
	s_cbranch_scc0 .LBB79_204
; %bb.202:
	s_cmp_eq_u32 s18, 15
	s_cbranch_scc0 .LBB79_205
; %bb.203:
	global_load_ushort v3, v[1:2], off
	s_mov_b32 s2, 0x2f800000
	s_mov_b32 s3, 0xcf800000
	s_mov_b64 s[16:17], 0
	s_waitcnt vmcnt(0)
	v_lshlrev_b32_e32 v3, 16, v3
	v_trunc_f32_e32 v3, v3
	v_mul_f32_e64 v4, |v3|, s2
	v_floor_f32_e32 v4, v4
	v_fma_f32 v5, v4, s3, |v3|
	v_cvt_u32_f32_e32 v5, v5
	v_cvt_u32_f32_e32 v4, v4
	v_ashrrev_i32_e32 v6, 31, v3
	s_mov_b64 s[2:3], -1
	v_xor_b32_e32 v3, v5, v6
	v_xor_b32_e32 v4, v4, v6
	v_sub_co_u32_e32 v3, vcc, v3, v6
	v_subb_co_u32_e32 v4, vcc, v4, v6, vcc
	s_branch .LBB79_206
.LBB79_204:
	s_mov_b64 s[12:13], -1
                                        ; implicit-def: $vgpr3_vgpr4
	s_branch .LBB79_207
.LBB79_205:
	s_mov_b64 s[16:17], -1
                                        ; implicit-def: $vgpr3_vgpr4
.LBB79_206:
	s_mov_b64 s[12:13], 0
.LBB79_207:
	s_and_b64 vcc, exec, s[12:13]
	s_cbranch_vccz .LBB79_211
; %bb.208:
	s_cmp_eq_u32 s18, 11
	s_cbranch_scc0 .LBB79_210
; %bb.209:
	global_load_ubyte v3, v[1:2], off
	s_mov_b32 s12, 0
	s_mov_b64 s[2:3], -1
	s_waitcnt vmcnt(1)
	v_mov_b32_e32 v4, s12
	s_mov_b64 s[16:17], 0
	s_waitcnt vmcnt(0)
	v_cmp_ne_u16_e32 vcc, 0, v3
	v_cndmask_b32_e64 v3, 0, 1, vcc
	s_branch .LBB79_211
.LBB79_210:
	s_mov_b64 s[16:17], -1
                                        ; implicit-def: $vgpr3_vgpr4
.LBB79_211:
	s_branch .LBB79_24
.LBB79_212:
	s_cmp_lt_i32 s18, 5
	s_cbranch_scc1 .LBB79_217
; %bb.213:
	s_cmp_lt_i32 s18, 8
	s_cbranch_scc1 .LBB79_218
; %bb.214:
	;; [unrolled: 3-line block ×3, first 2 shown]
	s_cmp_gt_i32 s18, 9
	s_cbranch_scc0 .LBB79_220
; %bb.216:
	global_load_dwordx2 v[3:4], v[1:2], off
	s_movk_i32 s2, 0xffe0
	s_waitcnt vmcnt(0)
	v_trunc_f64_e32 v[3:4], v[3:4]
	v_ldexp_f64 v[5:6], v[3:4], s2
	s_mov_b32 s2, 0
	s_mov_b32 s3, 0xc1f00000
	v_floor_f64_e32 v[5:6], v[5:6]
	v_fma_f64 v[7:8], v[5:6], s[2:3], v[3:4]
	v_cvt_i32_f64_e32 v4, v[5:6]
	s_mov_b64 s[2:3], 0
	v_cvt_u32_f64_e32 v3, v[7:8]
	s_branch .LBB79_221
.LBB79_217:
                                        ; implicit-def: $vgpr3_vgpr4
	s_branch .LBB79_239
.LBB79_218:
	s_mov_b64 s[2:3], -1
                                        ; implicit-def: $vgpr3_vgpr4
	s_branch .LBB79_227
.LBB79_219:
	s_mov_b64 s[2:3], -1
                                        ; implicit-def: $vgpr3_vgpr4
	s_branch .LBB79_224
.LBB79_220:
	s_mov_b64 s[2:3], -1
                                        ; implicit-def: $vgpr3_vgpr4
.LBB79_221:
	s_andn2_b64 vcc, exec, s[2:3]
	s_cbranch_vccnz .LBB79_223
; %bb.222:
	global_load_dword v3, v[1:2], off
	s_mov_b32 s2, 0x2f800000
	s_mov_b32 s3, 0xcf800000
	s_waitcnt vmcnt(0)
	v_trunc_f32_e32 v3, v3
	v_mul_f32_e64 v4, |v3|, s2
	v_floor_f32_e32 v4, v4
	v_cvt_u32_f32_e32 v5, v4
	v_fma_f32 v4, v4, s3, |v3|
	v_cvt_u32_f32_e32 v4, v4
	v_ashrrev_i32_e32 v6, 31, v3
	v_xor_b32_e32 v5, v5, v6
	v_xor_b32_e32 v3, v4, v6
	v_sub_co_u32_e32 v3, vcc, v3, v6
	v_subb_co_u32_e32 v4, vcc, v5, v6, vcc
.LBB79_223:
	s_mov_b64 s[2:3], 0
.LBB79_224:
	s_andn2_b64 vcc, exec, s[2:3]
	s_cbranch_vccnz .LBB79_226
; %bb.225:
	global_load_dword v3, v[1:2], off
	s_waitcnt vmcnt(0)
	v_cvt_f32_f16_e32 v3, v3
	v_cvt_i32_f32_e32 v3, v3
	v_ashrrev_i32_e32 v4, 31, v3
.LBB79_226:
	s_mov_b64 s[2:3], 0
.LBB79_227:
	s_andn2_b64 vcc, exec, s[2:3]
	s_cbranch_vccnz .LBB79_238
; %bb.228:
	s_cmp_lt_i32 s18, 6
	s_cbranch_scc1 .LBB79_231
; %bb.229:
	s_cmp_gt_i32 s18, 6
	s_cbranch_scc0 .LBB79_232
; %bb.230:
	global_load_dwordx2 v[3:4], v[1:2], off
	s_movk_i32 s2, 0xffe0
	s_waitcnt vmcnt(0)
	v_trunc_f64_e32 v[3:4], v[3:4]
	v_ldexp_f64 v[5:6], v[3:4], s2
	s_mov_b32 s2, 0
	s_mov_b32 s3, 0xc1f00000
	v_floor_f64_e32 v[5:6], v[5:6]
	v_fma_f64 v[7:8], v[5:6], s[2:3], v[3:4]
	v_cvt_i32_f64_e32 v4, v[5:6]
	s_mov_b64 s[2:3], 0
	v_cvt_u32_f64_e32 v3, v[7:8]
	s_branch .LBB79_233
.LBB79_231:
	s_mov_b64 s[2:3], -1
                                        ; implicit-def: $vgpr3_vgpr4
	s_branch .LBB79_236
.LBB79_232:
	s_mov_b64 s[2:3], -1
                                        ; implicit-def: $vgpr3_vgpr4
.LBB79_233:
	s_andn2_b64 vcc, exec, s[2:3]
	s_cbranch_vccnz .LBB79_235
; %bb.234:
	global_load_dword v3, v[1:2], off
	s_mov_b32 s2, 0x2f800000
	s_mov_b32 s3, 0xcf800000
	s_waitcnt vmcnt(0)
	v_trunc_f32_e32 v3, v3
	v_mul_f32_e64 v4, |v3|, s2
	v_floor_f32_e32 v4, v4
	v_cvt_u32_f32_e32 v5, v4
	v_fma_f32 v4, v4, s3, |v3|
	v_cvt_u32_f32_e32 v4, v4
	v_ashrrev_i32_e32 v6, 31, v3
	v_xor_b32_e32 v5, v5, v6
	v_xor_b32_e32 v3, v4, v6
	v_sub_co_u32_e32 v3, vcc, v3, v6
	v_subb_co_u32_e32 v4, vcc, v5, v6, vcc
.LBB79_235:
	s_mov_b64 s[2:3], 0
.LBB79_236:
	s_andn2_b64 vcc, exec, s[2:3]
	s_cbranch_vccnz .LBB79_238
; %bb.237:
	global_load_ushort v3, v[1:2], off
	s_waitcnt vmcnt(0)
	v_cvt_f32_f16_e32 v3, v3
	v_cvt_i32_f32_e32 v3, v3
	v_ashrrev_i32_e32 v4, 31, v3
.LBB79_238:
	s_cbranch_execnz .LBB79_258
.LBB79_239:
	s_cmp_lt_i32 s18, 2
	s_cbranch_scc1 .LBB79_243
; %bb.240:
	s_cmp_lt_i32 s18, 3
	s_cbranch_scc1 .LBB79_244
; %bb.241:
	s_cmp_gt_i32 s18, 3
	s_cbranch_scc0 .LBB79_245
; %bb.242:
	global_load_dwordx2 v[3:4], v[1:2], off
	s_mov_b64 s[2:3], 0
	s_branch .LBB79_246
.LBB79_243:
	s_mov_b64 s[2:3], -1
                                        ; implicit-def: $vgpr3_vgpr4
	s_branch .LBB79_252
.LBB79_244:
	s_mov_b64 s[2:3], -1
                                        ; implicit-def: $vgpr3_vgpr4
	s_branch .LBB79_249
.LBB79_245:
	s_mov_b64 s[2:3], -1
                                        ; implicit-def: $vgpr3_vgpr4
.LBB79_246:
	s_andn2_b64 vcc, exec, s[2:3]
	s_cbranch_vccnz .LBB79_248
; %bb.247:
	global_load_dword v3, v[1:2], off
	s_waitcnt vmcnt(0)
	v_ashrrev_i32_e32 v4, 31, v3
.LBB79_248:
	s_mov_b64 s[2:3], 0
.LBB79_249:
	s_andn2_b64 vcc, exec, s[2:3]
	s_cbranch_vccnz .LBB79_251
; %bb.250:
	global_load_ushort v3, v[1:2], off
	s_waitcnt vmcnt(0)
	v_bfe_i32 v3, v3, 0, 16
	v_ashrrev_i32_e32 v4, 31, v3
.LBB79_251:
	s_mov_b64 s[2:3], 0
.LBB79_252:
	s_andn2_b64 vcc, exec, s[2:3]
	s_cbranch_vccnz .LBB79_258
; %bb.253:
	s_cmp_gt_i32 s18, 0
	s_cbranch_scc0 .LBB79_255
; %bb.254:
	global_load_sbyte v3, v[1:2], off
	s_mov_b64 s[2:3], 0
	s_waitcnt vmcnt(0)
	v_bfe_i32 v3, v3, 0, 16
	v_ashrrev_i32_e32 v4, 31, v3
	s_branch .LBB79_256
.LBB79_255:
	s_mov_b64 s[2:3], -1
                                        ; implicit-def: $vgpr3_vgpr4
.LBB79_256:
	s_andn2_b64 vcc, exec, s[2:3]
	s_cbranch_vccnz .LBB79_258
; %bb.257:
	global_load_ubyte v1, v[1:2], off
	s_mov_b32 s2, 0
	s_waitcnt vmcnt(1)
	v_mov_b32_e32 v4, s2
	s_waitcnt vmcnt(0)
	v_and_b32_e32 v3, 0xffff, v1
.LBB79_258:
	s_branch .LBB79_25
.LBB79_259:
	s_mov_b64 s[2:3], 0
.LBB79_260:
	s_mov_b64 s[18:19], 0
                                        ; implicit-def: $vgpr11
.LBB79_261:
	s_and_b64 s[12:13], s[2:3], exec
	s_and_b64 s[60:61], s[16:17], exec
	s_orn2_b64 s[2:3], s[18:19], exec
.LBB79_262:
	s_or_b64 exec, exec, s[62:63]
	s_mov_b64 s[18:19], 0
	s_mov_b64 s[16:17], 0
                                        ; implicit-def: $vgpr1_vgpr2
                                        ; implicit-def: $vgpr0
                                        ; implicit-def: $vgpr5_vgpr6
	s_and_saveexec_b64 s[62:63], s[2:3]
	s_cbranch_execz .LBB79_269
; %bb.263:
	v_cmp_gt_i32_e32 vcc, s74, v11
	s_mov_b64 s[2:3], -1
	s_mov_b64 s[64:65], s[60:61]
	s_mov_b64 s[66:67], s[12:13]
	s_and_saveexec_b64 s[68:69], vcc
	s_cbranch_execz .LBB79_534
; %bb.264:
	s_andn2_b64 vcc, exec, s[48:49]
	s_cbranch_vccnz .LBB79_272
; %bb.265:
	s_andn2_b64 vcc, exec, s[58:59]
	s_cbranch_vccnz .LBB79_273
; %bb.266:
	s_add_i32 s67, s79, 1
	s_cmp_eq_u32 s76, 2
	s_cbranch_scc1 .LBB79_274
; %bb.267:
	s_and_b32 s66, s67, 28
	v_mov_b32_e32 v2, 0
	s_mov_b32 s70, 0
	s_mov_b64 s[2:3], s[34:35]
	s_mov_b64 s[64:65], s[56:57]
	v_mov_b32_e32 v0, 0
	v_mov_b32_e32 v1, v11
.LBB79_268:                             ; =>This Inner Loop Header: Depth=1
	s_load_dwordx8 s[24:31], s[2:3], 0x4
	s_load_dwordx4 s[44:47], s[2:3], 0x24
	s_load_dwordx8 s[16:23], s[64:65], 0x0
	s_add_u32 s2, s2, 48
	s_addc_u32 s3, s3, 0
	s_waitcnt vmcnt(0) lgkmcnt(0)
	v_mul_hi_u32 v3, s25, v1
	s_add_i32 s70, s70, 4
	s_add_u32 s64, s64, 32
	s_addc_u32 s65, s65, 0
	v_add_u32_e32 v3, v1, v3
	v_lshrrev_b32_e32 v3, s26, v3
	v_mul_lo_u32 v4, v3, s24
	v_mul_hi_u32 v5, s28, v3
	s_cmp_eq_u32 s66, s70
	v_sub_u32_e32 v1, v1, v4
	v_add_u32_e32 v4, v3, v5
	v_mul_lo_u32 v5, v1, s16
	v_mul_lo_u32 v6, v1, s17
	v_lshrrev_b32_e32 v1, s29, v4
	v_mul_lo_u32 v4, v1, s27
	v_mul_hi_u32 v7, s31, v1
	v_sub_u32_e32 v3, v3, v4
	v_add_u32_e32 v4, v1, v7
	v_lshrrev_b32_e32 v4, s44, v4
	v_mul_hi_u32 v8, s46, v4
	v_mul_lo_u32 v9, v4, s30
	v_mul_lo_u32 v7, v3, s18
	;; [unrolled: 1-line block ×3, first 2 shown]
	v_sub_u32_e32 v9, v1, v9
	v_add_u32_e32 v1, v4, v8
	v_lshrrev_b32_e32 v1, s47, v1
	v_mul_lo_u32 v8, v1, s45
	v_mul_lo_u32 v10, v9, s20
	v_mul_lo_u32 v9, v9, s21
	v_add3_u32 v0, v5, v0, v7
	v_sub_u32_e32 v4, v4, v8
	v_mul_lo_u32 v8, v4, s22
	v_mul_lo_u32 v4, v4, s23
	v_add3_u32 v2, v6, v2, v3
	v_add3_u32 v0, v10, v0, v8
	;; [unrolled: 1-line block ×3, first 2 shown]
	s_cbranch_scc0 .LBB79_268
	s_branch .LBB79_275
.LBB79_269:
	s_or_b64 exec, exec, s[62:63]
	s_mov_b64 s[2:3], 0
	s_and_saveexec_b64 s[10:11], s[60:61]
	s_cbranch_execnz .LBB79_902
.LBB79_270:
	s_or_b64 exec, exec, s[10:11]
	s_and_saveexec_b64 s[10:11], s[66:67]
	s_xor_b64 s[10:11], exec, s[10:11]
	s_cbranch_execz .LBB79_903
.LBB79_271:
	global_load_ubyte v3, v[1:2], off
	s_mov_b32 s20, 0
	s_waitcnt vmcnt(1)
	v_mov_b32_e32 v6, s20
	s_or_b64 s[16:17], s[16:17], exec
	s_waitcnt vmcnt(0)
	v_cmp_ne_u16_e32 vcc, 0, v3
	v_cndmask_b32_e64 v5, 0, 1, vcc
	s_or_b64 exec, exec, s[10:11]
	s_and_saveexec_b64 s[10:11], s[18:19]
	s_cbranch_execz .LBB79_949
	s_branch .LBB79_904
.LBB79_272:
                                        ; implicit-def: $vgpr0
                                        ; implicit-def: $vgpr2
	s_andn2_b64 vcc, exec, s[2:3]
	s_cbranch_vccz .LBB79_279
	s_branch .LBB79_281
.LBB79_273:
	v_mov_b32_e32 v0, 0
	v_mov_b32_e32 v2, 0
	s_branch .LBB79_278
.LBB79_274:
	s_mov_b32 s66, 0
	v_mov_b32_e32 v0, 0
	v_mov_b32_e32 v2, 0
	;; [unrolled: 1-line block ×3, first 2 shown]
.LBB79_275:
	s_and_b32 s18, s67, 3
	s_cmp_eq_u32 s18, 0
	s_cbranch_scc1 .LBB79_278
; %bb.276:
	s_lshl_b32 s2, s66, 3
	s_add_u32 s2, s34, s2
	s_addc_u32 s3, s35, 0
	s_add_u32 s2, s2, 0xc4
	s_addc_u32 s3, s3, 0
	s_mul_i32 s16, s66, 12
	s_add_u32 s16, s34, s16
	s_addc_u32 s17, s35, 0
.LBB79_277:                             ; =>This Inner Loop Header: Depth=1
	s_load_dwordx2 s[20:21], s[16:17], 0x4
	s_load_dword s19, s[16:17], 0xc
	s_load_dwordx2 s[22:23], s[2:3], 0x0
	s_add_u32 s16, s16, 12
	s_addc_u32 s17, s17, 0
	s_waitcnt vmcnt(0) lgkmcnt(0)
	v_mul_hi_u32 v3, s21, v1
	s_add_u32 s2, s2, 8
	s_addc_u32 s3, s3, 0
	s_add_i32 s18, s18, -1
	v_add_u32_e32 v3, v1, v3
	v_lshrrev_b32_e32 v4, s19, v3
	v_mul_lo_u32 v3, v4, s20
	s_cmp_lg_u32 s18, 0
	v_sub_u32_e32 v3, v1, v3
	v_mad_u64_u32 v[0:1], s[20:21], v3, s22, v[0:1]
	v_mad_u64_u32 v[2:3], s[20:21], v3, s23, v[2:3]
	v_mov_b32_e32 v1, v4
	s_cbranch_scc1 .LBB79_277
.LBB79_278:
	s_cbranch_execnz .LBB79_281
.LBB79_279:
	v_mul_hi_u32 v0, s41, v11
	s_andn2_b64 vcc, exec, s[54:55]
	v_add_u32_e32 v0, v11, v0
	v_lshrrev_b32_e32 v1, s42, v0
	v_mul_lo_u32 v0, v1, s40
	v_sub_u32_e32 v2, v11, v0
	v_mul_lo_u32 v0, v2, s36
	v_mul_lo_u32 v2, v2, s37
	s_cbranch_vccnz .LBB79_281
; %bb.280:
	s_waitcnt vmcnt(0)
	v_mul_hi_u32 v3, s52, v1
	v_add_u32_e32 v3, v1, v3
	v_lshrrev_b32_e32 v3, s53, v3
	v_mul_lo_u32 v3, v3, s43
	v_sub_u32_e32 v3, v1, v3
	v_mad_u64_u32 v[0:1], s[2:3], v3, s38, v[0:1]
	v_mad_u64_u32 v[2:3], s[2:3], v3, s39, v[2:3]
.LBB79_281:
	s_waitcnt vmcnt(0)
	v_mov_b32_e32 v3, s11
	s_and_b32 s20, 0xffff, s78
	v_add_co_u32_e32 v1, vcc, s10, v2
	s_cmp_lt_i32 s20, 11
	v_addc_co_u32_e32 v2, vcc, 0, v3, vcc
	s_cbranch_scc1 .LBB79_288
; %bb.282:
	s_cmp_gt_i32 s20, 25
	s_cbranch_scc0 .LBB79_297
; %bb.283:
	s_cmp_gt_i32 s20, 28
	s_cbranch_scc0 .LBB79_299
	;; [unrolled: 3-line block ×4, first 2 shown]
; %bb.286:
	s_cmp_eq_u32 s20, 46
	s_mov_b64 s[18:19], 0
	s_cbranch_scc0 .LBB79_309
; %bb.287:
	global_load_dword v3, v[1:2], off
	s_mov_b32 s2, 0x2f800000
	s_mov_b32 s3, 0xcf800000
	s_mov_b64 s[16:17], 0
	s_waitcnt vmcnt(0)
	v_lshlrev_b32_e32 v3, 16, v3
	v_trunc_f32_e32 v3, v3
	v_mul_f32_e64 v4, |v3|, s2
	v_floor_f32_e32 v4, v4
	v_fma_f32 v5, v4, s3, |v3|
	v_cvt_u32_f32_e32 v5, v5
	v_cvt_u32_f32_e32 v4, v4
	v_ashrrev_i32_e32 v6, 31, v3
	s_mov_b64 s[2:3], -1
	v_xor_b32_e32 v3, v5, v6
	v_xor_b32_e32 v4, v4, v6
	v_sub_co_u32_e32 v3, vcc, v3, v6
	v_subb_co_u32_e32 v4, vcc, v4, v6, vcc
	s_branch .LBB79_310
.LBB79_288:
	s_mov_b64 s[2:3], 0
                                        ; implicit-def: $vgpr3_vgpr4
	s_mov_b64 s[16:17], s[60:61]
	s_cbranch_execnz .LBB79_483
.LBB79_289:
	s_andn2_b64 vcc, exec, s[2:3]
	s_cbranch_vccnz .LBB79_531
.LBB79_290:
	v_mov_b32_e32 v1, s15
	s_waitcnt vmcnt(0)
	v_cndmask_b32_e64 v2, v1, v4, s[0:1]
	v_mov_b32_e32 v1, s14
	v_cndmask_b32_e64 v1, v1, v3, s[0:1]
	v_mov_b32_e32 v4, s9
	s_and_b32 s24, s77, 0xff
	v_add_co_u32_e32 v3, vcc, s8, v0
	s_cmp_lt_i32 s24, 11
	v_addc_co_u32_e32 v4, vcc, 0, v4, vcc
	s_cbranch_scc1 .LBB79_298
; %bb.291:
	s_and_b32 s25, 0xffff, s24
	s_cmp_gt_i32 s25, 25
	s_cbranch_scc0 .LBB79_300
; %bb.292:
	s_cmp_gt_i32 s25, 28
	s_cbranch_scc0 .LBB79_302
; %bb.293:
	;; [unrolled: 3-line block ×4, first 2 shown]
	s_mov_b64 s[20:21], 0
	s_mov_b64 s[2:3], -1
	s_cmp_eq_u32 s25, 46
	s_mov_b64 s[18:19], 0
	s_cbranch_scc0 .LBB79_314
; %bb.296:
	v_xor_b32_e32 v5, v1, v2
	v_ffbh_i32_e32 v0, v2
	v_ashrrev_i32_e32 v5, 31, v5
	v_add_u32_e32 v0, -1, v0
	v_add_u32_e32 v5, 32, v5
	v_min_u32_e32 v0, v0, v5
	v_lshlrev_b64 v[5:6], v0, v[1:2]
	v_sub_u32_e32 v0, 32, v0
	v_min_u32_e32 v5, 1, v5
	v_or_b32_e32 v5, v6, v5
	v_cvt_f32_i32_e32 v5, v5
	s_movk_i32 s2, 0x7fff
	s_mov_b64 s[18:19], -1
	v_ldexp_f32 v0, v5, v0
	v_bfe_u32 v5, v0, 16, 1
	v_add3_u32 v0, v0, v5, s2
	v_lshrrev_b32_e32 v0, 16, v0
	global_store_dword v[3:4], v0, off
	s_mov_b64 s[2:3], 0
	s_branch .LBB79_314
.LBB79_297:
	s_mov_b64 s[18:19], -1
	s_mov_b64 s[2:3], 0
	s_mov_b64 s[16:17], s[60:61]
                                        ; implicit-def: $vgpr3_vgpr4
	s_branch .LBB79_451
.LBB79_298:
	s_mov_b64 s[20:21], -1
	s_mov_b64 s[18:19], 0
	s_mov_b64 s[2:3], s[12:13]
	s_branch .LBB79_383
.LBB79_299:
	s_mov_b64 s[18:19], -1
	s_mov_b64 s[2:3], 0
	s_mov_b64 s[16:17], s[60:61]
                                        ; implicit-def: $vgpr3_vgpr4
	s_branch .LBB79_432
.LBB79_300:
	s_mov_b64 s[20:21], -1
	s_mov_b64 s[18:19], 0
	s_mov_b64 s[2:3], s[12:13]
	s_branch .LBB79_341
.LBB79_301:
	s_mov_b64 s[18:19], -1
	s_mov_b64 s[2:3], 0
	s_mov_b64 s[16:17], s[60:61]
                                        ; implicit-def: $vgpr3_vgpr4
	s_branch .LBB79_427
.LBB79_302:
	s_mov_b64 s[20:21], -1
	s_mov_b64 s[18:19], 0
	s_mov_b64 s[2:3], s[12:13]
	s_branch .LBB79_324
.LBB79_303:
	s_andn2_saveexec_b64 s[20:21], s[20:21]
	s_cbranch_execz .LBB79_68
.LBB79_304:
	s_mov_b32 s24, 0x46000000
	v_add_f32_e64 v5, |v0|, s24
	v_and_b32_e32 v5, 0xff, v5
	v_cmp_ne_u32_e32 vcc, 0, v5
	s_andn2_b64 s[18:19], s[18:19], exec
	s_and_b64 s[24:25], vcc, exec
	s_or_b64 s[18:19], s[18:19], s[24:25]
	s_or_b64 exec, exec, s[20:21]
	v_mov_b32_e32 v6, 0
	s_and_saveexec_b64 s[20:21], s[18:19]
	s_cbranch_execnz .LBB79_69
	s_branch .LBB79_70
.LBB79_305:
	s_mov_b64 s[18:19], -1
	s_mov_b64 s[2:3], 0
	s_mov_b64 s[16:17], s[60:61]
                                        ; implicit-def: $vgpr3_vgpr4
	s_branch .LBB79_310
.LBB79_306:
	s_mov_b64 s[20:21], -1
	s_mov_b64 s[18:19], 0
	s_mov_b64 s[2:3], s[12:13]
	s_branch .LBB79_320
.LBB79_307:
	s_andn2_saveexec_b64 s[20:21], s[20:21]
	s_cbranch_execz .LBB79_81
.LBB79_308:
	s_mov_b32 s24, 0x42800000
	v_add_f32_e64 v5, |v0|, s24
	v_and_b32_e32 v5, 0xff, v5
	v_cmp_ne_u32_e32 vcc, 0, v5
	s_andn2_b64 s[18:19], s[18:19], exec
	s_and_b64 s[24:25], vcc, exec
	s_or_b64 s[18:19], s[18:19], s[24:25]
	s_or_b64 exec, exec, s[20:21]
	v_mov_b32_e32 v6, 0
	s_and_saveexec_b64 s[20:21], s[18:19]
	s_cbranch_execnz .LBB79_82
	s_branch .LBB79_83
.LBB79_309:
	s_mov_b64 s[16:17], -1
                                        ; implicit-def: $vgpr3_vgpr4
	s_mov_b64 s[2:3], 0
.LBB79_310:
	s_and_b64 vcc, exec, s[18:19]
	s_cbranch_vccz .LBB79_426
; %bb.311:
	s_cmp_eq_u32 s20, 44
	s_cbranch_scc0 .LBB79_425
; %bb.312:
	global_load_ubyte v3, v[1:2], off
	s_mov_b32 s2, 0x2f800000
	s_mov_b32 s3, 0xcf800000
	s_mov_b64 s[16:17], 0
	s_waitcnt vmcnt(0)
	v_lshlrev_b32_e32 v4, 23, v3
	v_trunc_f32_e32 v4, v4
	v_mul_f32_e64 v5, |v4|, s2
	v_floor_f32_e32 v5, v5
	v_fma_f32 v6, v5, s3, |v4|
	v_cvt_u32_f32_e32 v6, v6
	v_cvt_u32_f32_e32 v5, v5
	v_ashrrev_i32_e32 v4, 31, v4
	s_mov_b64 s[2:3], -1
	v_xor_b32_e32 v6, v6, v4
	v_xor_b32_e32 v5, v5, v4
	v_sub_co_u32_e32 v6, vcc, v6, v4
	v_subb_co_u32_e32 v4, vcc, v5, v4, vcc
	v_cmp_ne_u32_e32 vcc, 0, v3
	v_cndmask_b32_e32 v4, 0, v4, vcc
	v_cndmask_b32_e32 v3, 0, v6, vcc
	s_branch .LBB79_426
.LBB79_313:
	s_mov_b64 s[20:21], -1
	s_mov_b64 s[18:19], 0
	s_mov_b64 s[2:3], s[12:13]
.LBB79_314:
	s_and_b64 vcc, exec, s[20:21]
	s_cbranch_vccz .LBB79_319
; %bb.315:
	s_cmp_eq_u32 s25, 44
	s_mov_b64 s[2:3], -1
	s_cbranch_scc0 .LBB79_319
; %bb.316:
	v_xor_b32_e32 v5, v1, v2
	v_ffbh_i32_e32 v0, v2
	v_ashrrev_i32_e32 v5, 31, v5
	v_add_u32_e32 v0, -1, v0
	v_add_u32_e32 v5, 32, v5
	v_min_u32_e32 v0, v0, v5
	v_lshlrev_b64 v[5:6], v0, v[1:2]
	v_sub_u32_e32 v0, 32, v0
	v_min_u32_e32 v5, 1, v5
	v_or_b32_e32 v5, v6, v5
	v_cvt_f32_i32_e32 v5, v5
	s_movk_i32 s2, 0xff
	v_mov_b32_e32 v6, 0xff
	v_ldexp_f32 v0, v5, v0
	v_bfe_u32 v5, v0, 23, 8
	v_cmp_ne_u32_e32 vcc, s2, v5
	s_and_saveexec_b64 s[18:19], vcc
; %bb.317:
	s_mov_b32 s2, 0x3fffff
	v_lshrrev_b32_e32 v6, 23, v0
	v_and_b32_e32 v7, 0x400000, v0
	v_and_or_b32 v0, v0, s2, v5
	v_cmp_ne_u32_e32 vcc, 0, v7
	v_cmp_ne_u32_e64 s[2:3], 0, v0
	s_and_b64 s[2:3], vcc, s[2:3]
	v_cndmask_b32_e64 v0, 0, 1, s[2:3]
	v_add_u32_e32 v6, v6, v0
; %bb.318:
	s_or_b64 exec, exec, s[18:19]
	s_mov_b64 s[18:19], -1
	s_mov_b64 s[2:3], 0
	global_store_byte v[3:4], v6, off
.LBB79_319:
	s_mov_b64 s[20:21], 0
.LBB79_320:
	s_and_b64 vcc, exec, s[20:21]
	s_cbranch_vccz .LBB79_323
; %bb.321:
	s_cmp_eq_u32 s25, 29
	s_mov_b64 s[2:3], -1
	s_cbranch_scc0 .LBB79_323
; %bb.322:
	global_store_dwordx2 v[3:4], v[1:2], off
	s_mov_b64 s[18:19], -1
	s_mov_b64 s[2:3], 0
.LBB79_323:
	s_mov_b64 s[20:21], 0
.LBB79_324:
	s_and_b64 vcc, exec, s[20:21]
	s_cbranch_vccz .LBB79_340
; %bb.325:
	s_cmp_lt_i32 s25, 27
	s_mov_b64 s[18:19], -1
	s_cbranch_scc1 .LBB79_331
; %bb.326:
	s_cmp_gt_i32 s25, 27
	s_cbranch_scc0 .LBB79_328
; %bb.327:
	s_mov_b64 s[18:19], 0
	global_store_dword v[3:4], v1, off
.LBB79_328:
	s_andn2_b64 vcc, exec, s[18:19]
	s_cbranch_vccnz .LBB79_330
; %bb.329:
	global_store_short v[3:4], v1, off
.LBB79_330:
	s_mov_b64 s[18:19], 0
.LBB79_331:
	s_andn2_b64 vcc, exec, s[18:19]
	s_cbranch_vccnz .LBB79_339
; %bb.332:
	v_xor_b32_e32 v5, v1, v2
	v_ffbh_i32_e32 v0, v2
	v_ashrrev_i32_e32 v5, 31, v5
	v_add_u32_e32 v0, -1, v0
	v_add_u32_e32 v5, 32, v5
	v_min_u32_e32 v0, v0, v5
	v_lshlrev_b64 v[5:6], v0, v[1:2]
	v_sub_u32_e32 v0, 32, v0
	v_min_u32_e32 v5, 1, v5
	v_or_b32_e32 v5, v6, v5
	v_cvt_f32_i32_e32 v5, v5
	s_mov_b32 s18, 0x43800000
	v_mov_b32_e32 v6, 0x80
	v_ldexp_f32 v0, v5, v0
	v_and_b32_e32 v5, 0x7fffffff, v0
	v_cmp_gt_u32_e32 vcc, s18, v5
	s_and_saveexec_b64 s[18:19], vcc
	s_cbranch_execz .LBB79_338
; %bb.333:
	s_mov_b32 s20, 0x3bffffff
	v_cmp_lt_u32_e32 vcc, s20, v5
	s_mov_b64 s[20:21], 0
                                        ; implicit-def: $vgpr5
	s_and_saveexec_b64 s[22:23], vcc
	s_xor_b64 s[22:23], exec, s[22:23]
	s_cbranch_execz .LBB79_562
; %bb.334:
	v_bfe_u32 v5, v0, 20, 1
	s_mov_b32 s26, 0x487ffff
	v_add3_u32 v5, v0, v5, s26
	s_mov_b64 s[20:21], exec
	v_lshrrev_b32_e32 v5, 20, v5
	s_andn2_saveexec_b64 s[22:23], s[22:23]
	s_cbranch_execnz .LBB79_563
.LBB79_335:
	s_or_b64 exec, exec, s[22:23]
	v_mov_b32_e32 v6, 0
	s_and_saveexec_b64 s[22:23], s[20:21]
.LBB79_336:
	v_lshrrev_b32_e32 v0, 24, v0
	s_movk_i32 s20, 0x80
	v_and_or_b32 v6, v0, s20, v5
.LBB79_337:
	s_or_b64 exec, exec, s[22:23]
.LBB79_338:
	s_or_b64 exec, exec, s[18:19]
	global_store_byte v[3:4], v6, off
.LBB79_339:
	s_mov_b64 s[18:19], -1
.LBB79_340:
	s_mov_b64 s[20:21], 0
.LBB79_341:
	s_and_b64 vcc, exec, s[20:21]
	s_cbranch_vccz .LBB79_382
; %bb.342:
	s_cmp_gt_i32 s25, 22
	s_mov_b64 s[20:21], -1
	s_cbranch_scc0 .LBB79_374
; %bb.343:
	s_cmp_lt_i32 s25, 24
	s_mov_b64 s[18:19], -1
	s_cbranch_scc1 .LBB79_363
; %bb.344:
	s_cmp_gt_i32 s25, 24
	s_cbranch_scc0 .LBB79_352
; %bb.345:
	v_xor_b32_e32 v5, v1, v2
	v_ffbh_i32_e32 v0, v2
	v_ashrrev_i32_e32 v5, 31, v5
	v_add_u32_e32 v0, -1, v0
	v_add_u32_e32 v5, 32, v5
	v_min_u32_e32 v0, v0, v5
	v_lshlrev_b64 v[5:6], v0, v[1:2]
	v_sub_u32_e32 v0, 32, v0
	v_min_u32_e32 v5, 1, v5
	v_or_b32_e32 v5, v6, v5
	v_cvt_f32_i32_e32 v5, v5
	s_mov_b32 s18, 0x47800000
	v_mov_b32_e32 v6, 0x80
	v_ldexp_f32 v0, v5, v0
	v_and_b32_e32 v5, 0x7fffffff, v0
	v_cmp_gt_u32_e32 vcc, s18, v5
	s_and_saveexec_b64 s[18:19], vcc
	s_cbranch_execz .LBB79_351
; %bb.346:
	s_mov_b32 s20, 0x37ffffff
	v_cmp_lt_u32_e32 vcc, s20, v5
	s_mov_b64 s[20:21], 0
                                        ; implicit-def: $vgpr5
	s_and_saveexec_b64 s[22:23], vcc
	s_xor_b64 s[22:23], exec, s[22:23]
	s_cbranch_execz .LBB79_565
; %bb.347:
	v_bfe_u32 v5, v0, 21, 1
	s_mov_b32 s26, 0x88fffff
	v_add3_u32 v5, v0, v5, s26
	s_mov_b64 s[20:21], exec
	v_lshrrev_b32_e32 v5, 21, v5
	s_andn2_saveexec_b64 s[22:23], s[22:23]
	s_cbranch_execnz .LBB79_566
.LBB79_348:
	s_or_b64 exec, exec, s[22:23]
	v_mov_b32_e32 v6, 0
	s_and_saveexec_b64 s[22:23], s[20:21]
.LBB79_349:
	v_lshrrev_b32_e32 v0, 24, v0
	s_movk_i32 s20, 0x80
	v_and_or_b32 v6, v0, s20, v5
.LBB79_350:
	s_or_b64 exec, exec, s[22:23]
.LBB79_351:
	s_or_b64 exec, exec, s[18:19]
	s_mov_b64 s[18:19], 0
	global_store_byte v[3:4], v6, off
.LBB79_352:
	s_and_b64 vcc, exec, s[18:19]
	s_cbranch_vccz .LBB79_362
; %bb.353:
	v_xor_b32_e32 v5, v1, v2
	v_ffbh_i32_e32 v0, v2
	v_ashrrev_i32_e32 v5, 31, v5
	v_add_u32_e32 v0, -1, v0
	v_add_u32_e32 v5, 32, v5
	v_min_u32_e32 v0, v0, v5
	v_lshlrev_b64 v[5:6], v0, v[1:2]
	v_sub_u32_e32 v0, 32, v0
	v_min_u32_e32 v5, 1, v5
	v_or_b32_e32 v5, v6, v5
	v_cvt_f32_i32_e32 v5, v5
	s_mov_b32 s18, 0x43f00000
	v_ldexp_f32 v0, v5, v0
	v_and_b32_e32 v6, 0x7fffffff, v0
	v_cmp_gt_u32_e32 vcc, s18, v6
                                        ; implicit-def: $vgpr5
	s_and_saveexec_b64 s[18:19], vcc
	s_xor_b64 s[18:19], exec, s[18:19]
	s_cbranch_execz .LBB79_359
; %bb.354:
	s_mov_b32 s20, 0x3c7fffff
	v_cmp_lt_u32_e32 vcc, s20, v6
                                        ; implicit-def: $vgpr5
	s_and_saveexec_b64 s[20:21], vcc
	s_xor_b64 s[20:21], exec, s[20:21]
; %bb.355:
	v_bfe_u32 v5, v0, 20, 1
	s_mov_b32 s22, 0x407ffff
	v_add3_u32 v5, v0, v5, s22
	v_lshrrev_b32_e32 v6, 20, v5
	v_and_b32_e32 v5, 0xff00000, v5
	s_mov_b32 s22, 0x7f00000
	v_mov_b32_e32 v7, 0x7e
	v_cmp_ne_u32_e32 vcc, s22, v5
	v_cndmask_b32_e32 v5, v7, v6, vcc
; %bb.356:
	s_andn2_saveexec_b64 s[20:21], s[20:21]
; %bb.357:
	s_mov_b32 s22, 0x46800000
	v_add_f32_e64 v5, |v0|, s22
; %bb.358:
	s_or_b64 exec, exec, s[20:21]
                                        ; implicit-def: $vgpr6
.LBB79_359:
	s_andn2_saveexec_b64 s[18:19], s[18:19]
; %bb.360:
	s_mov_b32 s20, 0x7f800000
	v_mov_b32_e32 v5, 0x7e
	v_mov_b32_e32 v7, 0x7f
	v_cmp_lt_u32_e32 vcc, s20, v6
	v_cndmask_b32_e32 v5, v5, v7, vcc
; %bb.361:
	s_or_b64 exec, exec, s[18:19]
	v_lshrrev_b32_e32 v0, 24, v0
	s_movk_i32 s18, 0x80
	v_and_or_b32 v0, v0, s18, v5
	global_store_byte v[3:4], v0, off
.LBB79_362:
	s_mov_b64 s[18:19], 0
.LBB79_363:
	s_andn2_b64 vcc, exec, s[18:19]
	s_cbranch_vccnz .LBB79_373
; %bb.364:
	v_xor_b32_e32 v5, v1, v2
	v_ffbh_i32_e32 v0, v2
	v_ashrrev_i32_e32 v5, 31, v5
	v_add_u32_e32 v0, -1, v0
	v_add_u32_e32 v5, 32, v5
	v_min_u32_e32 v0, v0, v5
	v_lshlrev_b64 v[5:6], v0, v[1:2]
	v_sub_u32_e32 v0, 32, v0
	v_min_u32_e32 v5, 1, v5
	v_or_b32_e32 v5, v6, v5
	v_cvt_f32_i32_e32 v5, v5
	s_mov_b32 s18, 0x47800000
	v_ldexp_f32 v0, v5, v0
	v_and_b32_e32 v6, 0x7fffffff, v0
	v_cmp_gt_u32_e32 vcc, s18, v6
                                        ; implicit-def: $vgpr5
	s_and_saveexec_b64 s[18:19], vcc
	s_xor_b64 s[18:19], exec, s[18:19]
	s_cbranch_execz .LBB79_370
; %bb.365:
	s_mov_b32 s20, 0x387fffff
	v_cmp_lt_u32_e32 vcc, s20, v6
                                        ; implicit-def: $vgpr5
	s_and_saveexec_b64 s[20:21], vcc
	s_xor_b64 s[20:21], exec, s[20:21]
; %bb.366:
	v_bfe_u32 v5, v0, 21, 1
	s_mov_b32 s22, 0x80fffff
	v_add3_u32 v5, v0, v5, s22
	v_lshrrev_b32_e32 v5, 21, v5
; %bb.367:
	s_andn2_saveexec_b64 s[20:21], s[20:21]
; %bb.368:
	s_mov_b32 s22, 0x43000000
	v_add_f32_e64 v5, |v0|, s22
; %bb.369:
	s_or_b64 exec, exec, s[20:21]
                                        ; implicit-def: $vgpr6
.LBB79_370:
	s_andn2_saveexec_b64 s[18:19], s[18:19]
; %bb.371:
	s_mov_b32 s20, 0x7f800000
	v_mov_b32_e32 v5, 0x7c
	v_mov_b32_e32 v7, 0x7f
	v_cmp_lt_u32_e32 vcc, s20, v6
	v_cndmask_b32_e32 v5, v5, v7, vcc
; %bb.372:
	s_or_b64 exec, exec, s[18:19]
	v_lshrrev_b32_e32 v0, 24, v0
	s_movk_i32 s18, 0x80
	v_and_or_b32 v0, v0, s18, v5
	global_store_byte v[3:4], v0, off
.LBB79_373:
	s_mov_b64 s[20:21], 0
	s_mov_b64 s[18:19], -1
.LBB79_374:
	s_andn2_b64 vcc, exec, s[20:21]
	s_cbranch_vccnz .LBB79_382
; %bb.375:
	s_cmp_gt_i32 s25, 14
	s_mov_b64 s[20:21], -1
	s_cbranch_scc0 .LBB79_379
; %bb.376:
	s_cmp_eq_u32 s25, 15
	s_mov_b64 s[2:3], -1
	s_cbranch_scc0 .LBB79_378
; %bb.377:
	v_xor_b32_e32 v5, v1, v2
	v_ffbh_i32_e32 v0, v2
	v_ashrrev_i32_e32 v5, 31, v5
	v_add_u32_e32 v0, -1, v0
	v_add_u32_e32 v5, 32, v5
	v_min_u32_e32 v0, v0, v5
	v_lshlrev_b64 v[5:6], v0, v[1:2]
	v_sub_u32_e32 v0, 32, v0
	v_min_u32_e32 v5, 1, v5
	v_or_b32_e32 v5, v6, v5
	v_cvt_f32_i32_e32 v5, v5
	s_movk_i32 s2, 0x7fff
	s_mov_b64 s[18:19], -1
	v_ldexp_f32 v0, v5, v0
	v_bfe_u32 v5, v0, 16, 1
	v_add3_u32 v0, v0, v5, s2
	global_store_short_d16_hi v[3:4], v0, off
	s_mov_b64 s[2:3], 0
.LBB79_378:
	s_mov_b64 s[20:21], 0
.LBB79_379:
	s_and_b64 vcc, exec, s[20:21]
	s_cbranch_vccz .LBB79_382
; %bb.380:
	s_cmp_eq_u32 s25, 11
	s_mov_b64 s[2:3], -1
	s_cbranch_scc0 .LBB79_382
; %bb.381:
	v_cmp_ne_u64_e32 vcc, 0, v[1:2]
	s_mov_b64 s[2:3], 0
	v_cndmask_b32_e64 v0, 0, 1, vcc
	s_mov_b64 s[18:19], -1
	global_store_byte v[3:4], v0, off
.LBB79_382:
	s_mov_b64 s[20:21], 0
.LBB79_383:
	s_and_b64 vcc, exec, s[20:21]
	s_cbranch_vccz .LBB79_422
; %bb.384:
	s_and_b32 s20, 0xffff, s24
	s_cmp_lt_i32 s20, 5
	s_mov_b64 s[18:19], -1
	s_cbranch_scc1 .LBB79_405
; %bb.385:
	s_cmp_lt_i32 s20, 8
	s_cbranch_scc1 .LBB79_395
; %bb.386:
	s_cmp_lt_i32 s20, 9
	s_cbranch_scc1 .LBB79_392
; %bb.387:
	s_cmp_gt_i32 s20, 9
	s_cbranch_scc0 .LBB79_389
; %bb.388:
	v_cvt_f64_i32_e32 v[5:6], v2
	v_cvt_f64_u32_e32 v[7:8], v1
	s_mov_b64 s[18:19], 0
	v_ldexp_f64 v[5:6], v[5:6], 32
	v_add_f64 v[5:6], v[5:6], v[7:8]
	v_mov_b32_e32 v7, 0
	v_mov_b32_e32 v8, v7
	global_store_dwordx4 v[3:4], v[5:8], off
.LBB79_389:
	s_andn2_b64 vcc, exec, s[18:19]
	s_cbranch_vccnz .LBB79_391
; %bb.390:
	v_xor_b32_e32 v5, v1, v2
	v_ffbh_i32_e32 v0, v2
	v_ashrrev_i32_e32 v5, 31, v5
	v_add_u32_e32 v0, -1, v0
	v_add_u32_e32 v5, 32, v5
	v_min_u32_e32 v0, v0, v5
	v_lshlrev_b64 v[5:6], v0, v[1:2]
	v_sub_u32_e32 v0, 32, v0
	v_min_u32_e32 v5, 1, v5
	v_or_b32_e32 v5, v6, v5
	v_cvt_f32_i32_e32 v5, v5
	v_mov_b32_e32 v6, 0
	v_ldexp_f32 v5, v5, v0
	global_store_dwordx2 v[3:4], v[5:6], off
.LBB79_391:
	s_mov_b64 s[18:19], 0
.LBB79_392:
	s_andn2_b64 vcc, exec, s[18:19]
	s_cbranch_vccnz .LBB79_394
; %bb.393:
	v_xor_b32_e32 v5, v1, v2
	v_ffbh_i32_e32 v0, v2
	v_ashrrev_i32_e32 v5, 31, v5
	v_add_u32_e32 v0, -1, v0
	v_add_u32_e32 v5, 32, v5
	v_min_u32_e32 v0, v0, v5
	v_lshlrev_b64 v[5:6], v0, v[1:2]
	v_sub_u32_e32 v0, 32, v0
	v_min_u32_e32 v5, 1, v5
	v_or_b32_e32 v5, v6, v5
	v_cvt_f32_i32_e32 v5, v5
	v_ldexp_f32 v0, v5, v0
	v_cvt_f16_f32_e32 v0, v0
	global_store_dword v[3:4], v0, off
.LBB79_394:
	s_mov_b64 s[18:19], 0
.LBB79_395:
	s_andn2_b64 vcc, exec, s[18:19]
	s_cbranch_vccnz .LBB79_404
; %bb.396:
	s_cmp_lt_i32 s20, 6
	s_mov_b64 s[18:19], -1
	s_cbranch_scc1 .LBB79_402
; %bb.397:
	s_cmp_gt_i32 s20, 6
	s_cbranch_scc0 .LBB79_399
; %bb.398:
	v_cvt_f64_i32_e32 v[5:6], v2
	v_cvt_f64_u32_e32 v[7:8], v1
	s_mov_b64 s[18:19], 0
	v_ldexp_f64 v[5:6], v[5:6], 32
	v_add_f64 v[5:6], v[5:6], v[7:8]
	global_store_dwordx2 v[3:4], v[5:6], off
.LBB79_399:
	s_andn2_b64 vcc, exec, s[18:19]
	s_cbranch_vccnz .LBB79_401
; %bb.400:
	v_xor_b32_e32 v5, v1, v2
	v_ffbh_i32_e32 v0, v2
	v_ashrrev_i32_e32 v5, 31, v5
	v_add_u32_e32 v0, -1, v0
	v_add_u32_e32 v5, 32, v5
	v_min_u32_e32 v0, v0, v5
	v_lshlrev_b64 v[5:6], v0, v[1:2]
	v_sub_u32_e32 v0, 32, v0
	v_min_u32_e32 v5, 1, v5
	v_or_b32_e32 v5, v6, v5
	v_cvt_f32_i32_e32 v5, v5
	v_ldexp_f32 v0, v5, v0
	global_store_dword v[3:4], v0, off
.LBB79_401:
	s_mov_b64 s[18:19], 0
.LBB79_402:
	s_andn2_b64 vcc, exec, s[18:19]
	s_cbranch_vccnz .LBB79_404
; %bb.403:
	v_xor_b32_e32 v5, v1, v2
	v_ffbh_i32_e32 v0, v2
	v_ashrrev_i32_e32 v5, 31, v5
	v_add_u32_e32 v0, -1, v0
	v_add_u32_e32 v5, 32, v5
	v_min_u32_e32 v0, v0, v5
	v_lshlrev_b64 v[5:6], v0, v[1:2]
	v_sub_u32_e32 v0, 32, v0
	v_min_u32_e32 v5, 1, v5
	v_or_b32_e32 v5, v6, v5
	v_cvt_f32_i32_e32 v5, v5
	v_ldexp_f32 v0, v5, v0
	v_cvt_f16_f32_e32 v0, v0
	global_store_short v[3:4], v0, off
.LBB79_404:
	s_mov_b64 s[18:19], 0
.LBB79_405:
	s_andn2_b64 vcc, exec, s[18:19]
	s_cbranch_vccnz .LBB79_421
; %bb.406:
	s_cmp_lt_i32 s20, 2
	s_mov_b64 s[18:19], -1
	s_cbranch_scc1 .LBB79_416
; %bb.407:
	s_cmp_lt_i32 s20, 3
	s_cbranch_scc1 .LBB79_413
; %bb.408:
	s_cmp_gt_i32 s20, 3
	s_cbranch_scc0 .LBB79_410
; %bb.409:
	s_mov_b64 s[18:19], 0
	global_store_dwordx2 v[3:4], v[1:2], off
.LBB79_410:
	s_andn2_b64 vcc, exec, s[18:19]
	s_cbranch_vccnz .LBB79_412
; %bb.411:
	global_store_dword v[3:4], v1, off
.LBB79_412:
	s_mov_b64 s[18:19], 0
.LBB79_413:
	s_andn2_b64 vcc, exec, s[18:19]
	s_cbranch_vccnz .LBB79_415
; %bb.414:
	global_store_short v[3:4], v1, off
.LBB79_415:
	s_mov_b64 s[18:19], 0
.LBB79_416:
	s_andn2_b64 vcc, exec, s[18:19]
	s_cbranch_vccnz .LBB79_421
; %bb.417:
	s_cmp_gt_i32 s20, 0
	s_mov_b64 s[18:19], -1
	s_cbranch_scc0 .LBB79_419
; %bb.418:
	s_mov_b64 s[18:19], 0
	global_store_byte v[3:4], v1, off
.LBB79_419:
	s_andn2_b64 vcc, exec, s[18:19]
	s_cbranch_vccnz .LBB79_421
; %bb.420:
	global_store_byte v[3:4], v1, off
.LBB79_421:
	s_mov_b64 s[18:19], -1
.LBB79_422:
	s_andn2_b64 vcc, exec, s[18:19]
	s_cbranch_vccnz .LBB79_424
; %bb.423:
	v_add_u32_e32 v11, 0x80, v11
	s_mov_b64 s[18:19], -1
	s_branch .LBB79_533
.LBB79_424:
	s_mov_b64 s[18:19], 0
	s_branch .LBB79_532
.LBB79_425:
	s_mov_b64 s[16:17], -1
                                        ; implicit-def: $vgpr3_vgpr4
.LBB79_426:
	s_mov_b64 s[18:19], 0
.LBB79_427:
	s_and_b64 vcc, exec, s[18:19]
	s_cbranch_vccz .LBB79_431
; %bb.428:
	s_cmp_eq_u32 s20, 29
	s_cbranch_scc0 .LBB79_430
; %bb.429:
	global_load_dwordx2 v[3:4], v[1:2], off
	s_mov_b64 s[2:3], -1
	s_mov_b64 s[16:17], 0
	s_branch .LBB79_431
.LBB79_430:
	s_mov_b64 s[16:17], -1
                                        ; implicit-def: $vgpr3_vgpr4
.LBB79_431:
	s_mov_b64 s[18:19], 0
.LBB79_432:
	s_and_b64 vcc, exec, s[18:19]
	s_cbranch_vccz .LBB79_450
; %bb.433:
	s_cmp_lt_i32 s20, 27
	s_cbranch_scc1 .LBB79_436
; %bb.434:
	s_cmp_gt_i32 s20, 27
	s_cbranch_scc0 .LBB79_437
; %bb.435:
	global_load_dword v3, v[1:2], off
	s_waitcnt vmcnt(1)
	v_mov_b32_e32 v4, 0
	s_mov_b64 s[2:3], 0
	s_branch .LBB79_438
.LBB79_436:
	s_mov_b64 s[2:3], -1
                                        ; implicit-def: $vgpr3_vgpr4
	s_branch .LBB79_441
.LBB79_437:
	s_mov_b64 s[2:3], -1
                                        ; implicit-def: $vgpr3_vgpr4
.LBB79_438:
	s_andn2_b64 vcc, exec, s[2:3]
	s_cbranch_vccnz .LBB79_440
; %bb.439:
	global_load_ushort v3, v[1:2], off
	s_mov_b32 s2, 0
	s_waitcnt vmcnt(1)
	v_mov_b32_e32 v4, s2
	s_waitcnt vmcnt(0)
	v_and_b32_e32 v3, 0xffff, v3
.LBB79_440:
	s_mov_b64 s[2:3], 0
.LBB79_441:
	s_andn2_b64 vcc, exec, s[2:3]
	s_cbranch_vccnz .LBB79_449
; %bb.442:
	global_load_ubyte v5, v[1:2], off
	s_movk_i32 s2, 0x7f
	s_mov_b64 s[18:19], 0
	s_waitcnt vmcnt(0)
	v_cmp_lt_i16_e32 vcc, s2, v5
	s_and_saveexec_b64 s[2:3], vcc
	s_xor_b64 s[2:3], exec, s[2:3]
; %bb.443:
	s_movk_i32 s18, 0x80
	v_cmp_ne_u16_e32 vcc, s18, v5
	s_and_b64 s[18:19], vcc, exec
; %bb.444:
	s_andn2_saveexec_b64 s[2:3], s[2:3]
; %bb.445:
	v_cmp_ne_u16_e32 vcc, 0, v5
	s_andn2_b64 s[18:19], s[18:19], exec
	s_and_b64 s[22:23], vcc, exec
	s_or_b64 s[18:19], s[18:19], s[22:23]
; %bb.446:
	s_or_b64 exec, exec, s[2:3]
	v_mov_b32_e32 v3, 0
	v_mov_b32_e32 v4, 0
	s_and_saveexec_b64 s[2:3], s[18:19]
	s_cbranch_execz .LBB79_448
; %bb.447:
	v_and_b32_e32 v4, 0xffff, v5
	v_lshlrev_b32_e32 v3, 24, v5
	v_and_b32_e32 v5, 7, v4
	v_ffbh_u32_e32 v7, v5
	v_min_u32_e32 v7, 32, v7
	v_subrev_u32_e32 v8, 28, v7
	v_bfe_u32 v6, v4, 3, 4
	v_lshlrev_b32_e32 v4, v8, v4
	v_sub_u32_e32 v7, 29, v7
	v_and_b32_e32 v4, 7, v4
	v_cmp_eq_u32_e32 vcc, 0, v6
	v_cndmask_b32_e32 v6, v6, v7, vcc
	v_cndmask_b32_e32 v4, v5, v4, vcc
	v_mov_b32_e32 v5, 0x3b800000
	v_lshlrev_b32_e32 v4, 20, v4
	v_and_b32_e32 v3, 0x80000000, v3
	v_lshl_add_u32 v5, v6, 23, v5
	v_or3_b32 v3, v3, v5, v4
	v_trunc_f32_e32 v3, v3
	s_mov_b32 s18, 0x2f800000
	v_mul_f32_e64 v4, |v3|, s18
	v_floor_f32_e32 v4, v4
	s_mov_b32 s18, 0xcf800000
	v_fma_f32 v5, v4, s18, |v3|
	v_cvt_u32_f32_e32 v5, v5
	v_cvt_u32_f32_e32 v4, v4
	v_ashrrev_i32_e32 v6, 31, v3
	v_xor_b32_e32 v3, v5, v6
	v_xor_b32_e32 v4, v4, v6
	v_sub_co_u32_e32 v3, vcc, v3, v6
	v_subb_co_u32_e32 v4, vcc, v4, v6, vcc
.LBB79_448:
	s_or_b64 exec, exec, s[2:3]
.LBB79_449:
	s_mov_b64 s[2:3], -1
.LBB79_450:
	s_mov_b64 s[18:19], 0
.LBB79_451:
	s_and_b64 vcc, exec, s[18:19]
	s_cbranch_vccz .LBB79_482
; %bb.452:
	s_cmp_gt_i32 s20, 22
	s_cbranch_scc0 .LBB79_462
; %bb.453:
	s_cmp_lt_i32 s20, 24
	s_cbranch_scc1 .LBB79_463
; %bb.454:
	s_cmp_gt_i32 s20, 24
	s_cbranch_scc0 .LBB79_464
; %bb.455:
	global_load_ubyte v5, v[1:2], off
	s_movk_i32 s2, 0x7f
	s_mov_b64 s[18:19], 0
	s_waitcnt vmcnt(0)
	v_cmp_lt_i16_e32 vcc, s2, v5
	s_and_saveexec_b64 s[2:3], vcc
	s_xor_b64 s[2:3], exec, s[2:3]
; %bb.456:
	s_movk_i32 s18, 0x80
	v_cmp_ne_u16_e32 vcc, s18, v5
	s_and_b64 s[18:19], vcc, exec
; %bb.457:
	s_andn2_saveexec_b64 s[2:3], s[2:3]
; %bb.458:
	v_cmp_ne_u16_e32 vcc, 0, v5
	s_andn2_b64 s[18:19], s[18:19], exec
	s_and_b64 s[22:23], vcc, exec
	s_or_b64 s[18:19], s[18:19], s[22:23]
; %bb.459:
	s_or_b64 exec, exec, s[2:3]
	v_mov_b32_e32 v3, 0
	v_mov_b32_e32 v4, 0
	s_and_saveexec_b64 s[2:3], s[18:19]
	s_cbranch_execz .LBB79_461
; %bb.460:
	v_and_b32_e32 v4, 0xffff, v5
	v_lshlrev_b32_e32 v3, 24, v5
	v_and_b32_e32 v5, 3, v4
	v_ffbh_u32_e32 v7, v5
	v_min_u32_e32 v7, 32, v7
	v_subrev_u32_e32 v8, 29, v7
	v_bfe_u32 v6, v4, 2, 5
	v_lshlrev_b32_e32 v4, v8, v4
	v_sub_u32_e32 v7, 30, v7
	v_and_b32_e32 v4, 3, v4
	v_cmp_eq_u32_e32 vcc, 0, v6
	v_cndmask_b32_e32 v6, v6, v7, vcc
	v_cndmask_b32_e32 v4, v5, v4, vcc
	v_mov_b32_e32 v5, 0x37800000
	v_lshlrev_b32_e32 v4, 21, v4
	v_and_b32_e32 v3, 0x80000000, v3
	v_lshl_add_u32 v5, v6, 23, v5
	v_or3_b32 v3, v3, v5, v4
	v_trunc_f32_e32 v3, v3
	s_mov_b32 s18, 0x2f800000
	v_mul_f32_e64 v4, |v3|, s18
	v_floor_f32_e32 v4, v4
	s_mov_b32 s18, 0xcf800000
	v_fma_f32 v5, v4, s18, |v3|
	v_cvt_u32_f32_e32 v5, v5
	v_cvt_u32_f32_e32 v4, v4
	v_ashrrev_i32_e32 v6, 31, v3
	v_xor_b32_e32 v3, v5, v6
	v_xor_b32_e32 v4, v4, v6
	v_sub_co_u32_e32 v3, vcc, v3, v6
	v_subb_co_u32_e32 v4, vcc, v4, v6, vcc
.LBB79_461:
	s_or_b64 exec, exec, s[2:3]
	s_mov_b64 s[2:3], 0
	s_branch .LBB79_465
.LBB79_462:
	s_mov_b64 s[18:19], -1
                                        ; implicit-def: $vgpr3_vgpr4
	s_branch .LBB79_471
.LBB79_463:
	s_mov_b64 s[2:3], -1
                                        ; implicit-def: $vgpr3_vgpr4
	s_branch .LBB79_468
.LBB79_464:
	s_mov_b64 s[2:3], -1
                                        ; implicit-def: $vgpr3_vgpr4
.LBB79_465:
	s_and_b64 vcc, exec, s[2:3]
	s_cbranch_vccz .LBB79_467
; %bb.466:
	global_load_ubyte v3, v[1:2], off
	s_mov_b32 s2, 0x7f800000
	s_brev_b32 s3, 1
	s_mov_b32 s18, 0x2f800000
	s_mov_b32 s19, 0xcf800000
	s_waitcnt vmcnt(0)
	v_lshlrev_b32_e32 v3, 24, v3
	v_and_b32_e32 v4, 0x7f000000, v3
	v_ffbh_u32_e32 v5, v4
	v_min_u32_e32 v5, 32, v5
	v_sub_u32_e64 v5, v5, 4 clamp
	v_lshlrev_b32_e32 v7, v5, v4
	v_lshlrev_b32_e32 v5, 23, v5
	v_lshrrev_b32_e32 v7, 4, v7
	v_add_u32_e32 v6, 0x1000000, v4
	v_sub_u32_e32 v5, v7, v5
	v_ashrrev_i32_e32 v6, 8, v6
	v_add_u32_e32 v5, 0x3c000000, v5
	v_and_or_b32 v5, v6, s2, v5
	v_cmp_ne_u32_e32 vcc, 0, v4
	v_cndmask_b32_e32 v4, 0, v5, vcc
	v_and_or_b32 v3, v3, s3, v4
	v_trunc_f32_e32 v3, v3
	v_mul_f32_e64 v4, |v3|, s18
	v_floor_f32_e32 v4, v4
	v_fma_f32 v5, v4, s19, |v3|
	v_cvt_u32_f32_e32 v5, v5
	v_cvt_u32_f32_e32 v4, v4
	v_ashrrev_i32_e32 v6, 31, v3
	v_xor_b32_e32 v3, v5, v6
	v_xor_b32_e32 v4, v4, v6
	v_sub_co_u32_e32 v3, vcc, v3, v6
	v_subb_co_u32_e32 v4, vcc, v4, v6, vcc
.LBB79_467:
	s_mov_b64 s[2:3], 0
.LBB79_468:
	s_andn2_b64 vcc, exec, s[2:3]
	s_cbranch_vccnz .LBB79_470
; %bb.469:
	global_load_ubyte v3, v[1:2], off
	s_movk_i32 s2, 0x7f00
	s_brev_b32 s3, 16
	s_brev_b32 s18, 1
	s_mov_b32 s19, 0x2f800000
	s_mov_b32 s21, 0xcf800000
	s_waitcnt vmcnt(0)
	v_lshlrev_b16_e32 v4, 8, v3
	v_lshlrev_b32_e32 v3, 25, v3
	v_lshrrev_b32_e32 v5, 4, v3
	v_and_or_b32 v6, v4, s2, 0.5
	v_or_b32_e32 v5, 0x70000000, v5
	v_add_f32_e32 v6, -0.5, v6
	v_mul_f32_e32 v5, 0x7800000, v5
	v_cmp_gt_u32_e32 vcc, s3, v3
	v_bfe_i32 v4, v4, 0, 16
	v_cndmask_b32_e32 v3, v5, v6, vcc
	v_and_or_b32 v3, v4, s18, v3
	v_trunc_f32_e32 v3, v3
	v_mul_f32_e64 v4, |v3|, s19
	v_floor_f32_e32 v4, v4
	v_fma_f32 v5, v4, s21, |v3|
	v_cvt_u32_f32_e32 v5, v5
	v_cvt_u32_f32_e32 v4, v4
	v_ashrrev_i32_e32 v6, 31, v3
	v_xor_b32_e32 v3, v5, v6
	v_xor_b32_e32 v4, v4, v6
	v_sub_co_u32_e32 v3, vcc, v3, v6
	v_subb_co_u32_e32 v4, vcc, v4, v6, vcc
.LBB79_470:
	s_mov_b64 s[18:19], 0
	s_mov_b64 s[2:3], -1
.LBB79_471:
	s_andn2_b64 vcc, exec, s[18:19]
	s_cbranch_vccnz .LBB79_482
; %bb.472:
	s_cmp_gt_i32 s20, 14
	s_cbranch_scc0 .LBB79_475
; %bb.473:
	s_cmp_eq_u32 s20, 15
	s_cbranch_scc0 .LBB79_476
; %bb.474:
	global_load_ushort v3, v[1:2], off
	s_mov_b32 s2, 0x2f800000
	s_mov_b32 s3, 0xcf800000
	s_mov_b64 s[16:17], 0
	s_waitcnt vmcnt(0)
	v_lshlrev_b32_e32 v3, 16, v3
	v_trunc_f32_e32 v3, v3
	v_mul_f32_e64 v4, |v3|, s2
	v_floor_f32_e32 v4, v4
	v_fma_f32 v5, v4, s3, |v3|
	v_cvt_u32_f32_e32 v5, v5
	v_cvt_u32_f32_e32 v4, v4
	v_ashrrev_i32_e32 v6, 31, v3
	s_mov_b64 s[2:3], -1
	v_xor_b32_e32 v3, v5, v6
	v_xor_b32_e32 v4, v4, v6
	v_sub_co_u32_e32 v3, vcc, v3, v6
	v_subb_co_u32_e32 v4, vcc, v4, v6, vcc
	s_branch .LBB79_477
.LBB79_475:
	s_mov_b64 s[18:19], -1
                                        ; implicit-def: $vgpr3_vgpr4
	s_branch .LBB79_478
.LBB79_476:
	s_mov_b64 s[16:17], -1
                                        ; implicit-def: $vgpr3_vgpr4
.LBB79_477:
	s_mov_b64 s[18:19], 0
.LBB79_478:
	s_and_b64 vcc, exec, s[18:19]
	s_cbranch_vccz .LBB79_482
; %bb.479:
	s_cmp_eq_u32 s20, 11
	s_cbranch_scc0 .LBB79_481
; %bb.480:
	global_load_ubyte v3, v[1:2], off
	s_mov_b32 s16, 0
	s_mov_b64 s[2:3], -1
	s_waitcnt vmcnt(1)
	v_mov_b32_e32 v4, s16
	s_mov_b64 s[16:17], 0
	s_waitcnt vmcnt(0)
	v_cmp_ne_u16_e32 vcc, 0, v3
	v_cndmask_b32_e64 v3, 0, 1, vcc
	s_branch .LBB79_482
.LBB79_481:
	s_mov_b64 s[16:17], -1
                                        ; implicit-def: $vgpr3_vgpr4
.LBB79_482:
	s_branch .LBB79_289
.LBB79_483:
	s_cmp_lt_i32 s20, 5
	s_cbranch_scc1 .LBB79_488
; %bb.484:
	s_cmp_lt_i32 s20, 8
	s_cbranch_scc1 .LBB79_489
; %bb.485:
	;; [unrolled: 3-line block ×3, first 2 shown]
	s_cmp_gt_i32 s20, 9
	s_cbranch_scc0 .LBB79_491
; %bb.487:
	global_load_dwordx2 v[3:4], v[1:2], off
	s_movk_i32 s2, 0xffe0
	s_waitcnt vmcnt(0)
	v_trunc_f64_e32 v[3:4], v[3:4]
	v_ldexp_f64 v[5:6], v[3:4], s2
	s_mov_b32 s2, 0
	s_mov_b32 s3, 0xc1f00000
	v_floor_f64_e32 v[5:6], v[5:6]
	v_fma_f64 v[7:8], v[5:6], s[2:3], v[3:4]
	v_cvt_i32_f64_e32 v4, v[5:6]
	s_mov_b64 s[2:3], 0
	v_cvt_u32_f64_e32 v3, v[7:8]
	s_branch .LBB79_492
.LBB79_488:
	s_mov_b64 s[2:3], -1
                                        ; implicit-def: $vgpr3_vgpr4
	s_branch .LBB79_510
.LBB79_489:
	s_mov_b64 s[2:3], -1
                                        ; implicit-def: $vgpr3_vgpr4
	s_branch .LBB79_498
.LBB79_490:
	s_mov_b64 s[2:3], -1
                                        ; implicit-def: $vgpr3_vgpr4
	s_branch .LBB79_495
.LBB79_491:
	s_mov_b64 s[2:3], -1
                                        ; implicit-def: $vgpr3_vgpr4
.LBB79_492:
	s_andn2_b64 vcc, exec, s[2:3]
	s_cbranch_vccnz .LBB79_494
; %bb.493:
	global_load_dword v3, v[1:2], off
	s_mov_b32 s2, 0x2f800000
	s_mov_b32 s3, 0xcf800000
	s_waitcnt vmcnt(0)
	v_trunc_f32_e32 v3, v3
	v_mul_f32_e64 v4, |v3|, s2
	v_floor_f32_e32 v4, v4
	v_cvt_u32_f32_e32 v5, v4
	v_fma_f32 v4, v4, s3, |v3|
	v_cvt_u32_f32_e32 v4, v4
	v_ashrrev_i32_e32 v6, 31, v3
	v_xor_b32_e32 v5, v5, v6
	v_xor_b32_e32 v3, v4, v6
	v_sub_co_u32_e32 v3, vcc, v3, v6
	v_subb_co_u32_e32 v4, vcc, v5, v6, vcc
.LBB79_494:
	s_mov_b64 s[2:3], 0
.LBB79_495:
	s_andn2_b64 vcc, exec, s[2:3]
	s_cbranch_vccnz .LBB79_497
; %bb.496:
	global_load_dword v3, v[1:2], off
	s_waitcnt vmcnt(0)
	v_cvt_f32_f16_e32 v3, v3
	v_cvt_i32_f32_e32 v3, v3
	v_ashrrev_i32_e32 v4, 31, v3
.LBB79_497:
	s_mov_b64 s[2:3], 0
.LBB79_498:
	s_andn2_b64 vcc, exec, s[2:3]
	s_cbranch_vccnz .LBB79_509
; %bb.499:
	s_cmp_lt_i32 s20, 6
	s_cbranch_scc1 .LBB79_502
; %bb.500:
	s_cmp_gt_i32 s20, 6
	s_cbranch_scc0 .LBB79_503
; %bb.501:
	global_load_dwordx2 v[3:4], v[1:2], off
	s_movk_i32 s2, 0xffe0
	s_waitcnt vmcnt(0)
	v_trunc_f64_e32 v[3:4], v[3:4]
	v_ldexp_f64 v[5:6], v[3:4], s2
	s_mov_b32 s2, 0
	s_mov_b32 s3, 0xc1f00000
	v_floor_f64_e32 v[5:6], v[5:6]
	v_fma_f64 v[7:8], v[5:6], s[2:3], v[3:4]
	v_cvt_i32_f64_e32 v4, v[5:6]
	s_mov_b64 s[2:3], 0
	v_cvt_u32_f64_e32 v3, v[7:8]
	s_branch .LBB79_504
.LBB79_502:
	s_mov_b64 s[2:3], -1
                                        ; implicit-def: $vgpr3_vgpr4
	s_branch .LBB79_507
.LBB79_503:
	s_mov_b64 s[2:3], -1
                                        ; implicit-def: $vgpr3_vgpr4
.LBB79_504:
	s_andn2_b64 vcc, exec, s[2:3]
	s_cbranch_vccnz .LBB79_506
; %bb.505:
	global_load_dword v3, v[1:2], off
	s_mov_b32 s2, 0x2f800000
	s_mov_b32 s3, 0xcf800000
	s_waitcnt vmcnt(0)
	v_trunc_f32_e32 v3, v3
	v_mul_f32_e64 v4, |v3|, s2
	v_floor_f32_e32 v4, v4
	v_cvt_u32_f32_e32 v5, v4
	v_fma_f32 v4, v4, s3, |v3|
	v_cvt_u32_f32_e32 v4, v4
	v_ashrrev_i32_e32 v6, 31, v3
	v_xor_b32_e32 v5, v5, v6
	v_xor_b32_e32 v3, v4, v6
	v_sub_co_u32_e32 v3, vcc, v3, v6
	v_subb_co_u32_e32 v4, vcc, v5, v6, vcc
.LBB79_506:
	s_mov_b64 s[2:3], 0
.LBB79_507:
	s_andn2_b64 vcc, exec, s[2:3]
	s_cbranch_vccnz .LBB79_509
; %bb.508:
	global_load_ushort v3, v[1:2], off
	s_waitcnt vmcnt(0)
	v_cvt_f32_f16_e32 v3, v3
	v_cvt_i32_f32_e32 v3, v3
	v_ashrrev_i32_e32 v4, 31, v3
.LBB79_509:
	s_mov_b64 s[2:3], 0
.LBB79_510:
	s_andn2_b64 vcc, exec, s[2:3]
	s_cbranch_vccnz .LBB79_530
; %bb.511:
	s_cmp_lt_i32 s20, 2
	s_cbranch_scc1 .LBB79_515
; %bb.512:
	s_cmp_lt_i32 s20, 3
	s_cbranch_scc1 .LBB79_516
; %bb.513:
	s_cmp_gt_i32 s20, 3
	s_cbranch_scc0 .LBB79_517
; %bb.514:
	global_load_dwordx2 v[3:4], v[1:2], off
	s_mov_b64 s[2:3], 0
	s_branch .LBB79_518
.LBB79_515:
	s_mov_b64 s[2:3], -1
                                        ; implicit-def: $vgpr3_vgpr4
	s_branch .LBB79_524
.LBB79_516:
	s_mov_b64 s[2:3], -1
                                        ; implicit-def: $vgpr3_vgpr4
	s_branch .LBB79_521
.LBB79_517:
	s_mov_b64 s[2:3], -1
                                        ; implicit-def: $vgpr3_vgpr4
.LBB79_518:
	s_andn2_b64 vcc, exec, s[2:3]
	s_cbranch_vccnz .LBB79_520
; %bb.519:
	global_load_dword v3, v[1:2], off
	s_waitcnt vmcnt(0)
	v_ashrrev_i32_e32 v4, 31, v3
.LBB79_520:
	s_mov_b64 s[2:3], 0
.LBB79_521:
	s_andn2_b64 vcc, exec, s[2:3]
	s_cbranch_vccnz .LBB79_523
; %bb.522:
	global_load_ushort v3, v[1:2], off
	s_waitcnt vmcnt(0)
	v_bfe_i32 v3, v3, 0, 16
	v_ashrrev_i32_e32 v4, 31, v3
.LBB79_523:
	s_mov_b64 s[2:3], 0
.LBB79_524:
	s_andn2_b64 vcc, exec, s[2:3]
	s_cbranch_vccnz .LBB79_530
; %bb.525:
	s_cmp_gt_i32 s20, 0
	s_cbranch_scc0 .LBB79_527
; %bb.526:
	global_load_sbyte v3, v[1:2], off
	s_mov_b64 s[2:3], 0
	s_waitcnt vmcnt(0)
	v_bfe_i32 v3, v3, 0, 16
	v_ashrrev_i32_e32 v4, 31, v3
	s_branch .LBB79_528
.LBB79_527:
	s_mov_b64 s[2:3], -1
                                        ; implicit-def: $vgpr3_vgpr4
.LBB79_528:
	s_andn2_b64 vcc, exec, s[2:3]
	s_cbranch_vccnz .LBB79_530
; %bb.529:
	global_load_ubyte v1, v[1:2], off
	s_mov_b32 s2, 0
	s_waitcnt vmcnt(1)
	v_mov_b32_e32 v4, s2
	s_waitcnt vmcnt(0)
	v_and_b32_e32 v3, 0xffff, v1
.LBB79_530:
	s_branch .LBB79_290
.LBB79_531:
	s_mov_b64 s[18:19], 0
	s_mov_b64 s[2:3], s[12:13]
.LBB79_532:
                                        ; implicit-def: $vgpr11
.LBB79_533:
	s_andn2_b64 s[20:21], s[12:13], exec
	s_and_b64 s[2:3], s[2:3], exec
	s_or_b64 s[66:67], s[20:21], s[2:3]
	s_andn2_b64 s[2:3], s[60:61], exec
	s_and_b64 s[16:17], s[16:17], exec
	s_or_b64 s[64:65], s[2:3], s[16:17]
	s_orn2_b64 s[2:3], s[18:19], exec
.LBB79_534:
	s_or_b64 exec, exec, s[68:69]
	s_mov_b64 s[20:21], 0
	s_mov_b64 s[18:19], 0
	;; [unrolled: 1-line block ×3, first 2 shown]
                                        ; implicit-def: $vgpr1_vgpr2
                                        ; implicit-def: $vgpr0
                                        ; implicit-def: $vgpr5_vgpr6
	s_and_saveexec_b64 s[68:69], s[2:3]
	s_cbranch_execz .LBB79_901
; %bb.535:
	v_cmp_gt_i32_e32 vcc, s74, v11
	s_mov_b64 s[22:23], -1
	s_mov_b64 s[2:3], s[64:65]
	s_mov_b64 s[72:73], s[66:67]
	s_and_saveexec_b64 s[70:71], vcc
	s_cbranch_execz .LBB79_805
; %bb.536:
	s_andn2_b64 vcc, exec, s[48:49]
	s_cbranch_vccnz .LBB79_541
; %bb.537:
	s_andn2_b64 vcc, exec, s[58:59]
	s_cbranch_vccnz .LBB79_542
; %bb.538:
	s_add_i32 s80, s79, 1
	s_cmp_eq_u32 s76, 2
	s_cbranch_scc1 .LBB79_543
; %bb.539:
	s_and_b32 s75, s80, 28
	v_mov_b32_e32 v2, 0
	s_mov_b32 s81, 0
	s_mov_b64 s[2:3], s[34:35]
	s_mov_b64 s[72:73], s[56:57]
	v_mov_b32_e32 v0, 0
	v_mov_b32_e32 v1, v11
.LBB79_540:                             ; =>This Inner Loop Header: Depth=1
	s_load_dwordx8 s[24:31], s[2:3], 0x4
	s_load_dwordx4 s[44:47], s[2:3], 0x24
	s_load_dwordx8 s[16:23], s[72:73], 0x0
	s_add_u32 s2, s2, 48
	s_addc_u32 s3, s3, 0
	s_waitcnt vmcnt(0) lgkmcnt(0)
	v_mul_hi_u32 v3, s25, v1
	s_add_i32 s81, s81, 4
	s_add_u32 s72, s72, 32
	s_addc_u32 s73, s73, 0
	v_add_u32_e32 v3, v1, v3
	v_lshrrev_b32_e32 v3, s26, v3
	v_mul_lo_u32 v4, v3, s24
	v_mul_hi_u32 v5, s28, v3
	s_cmp_eq_u32 s75, s81
	v_sub_u32_e32 v1, v1, v4
	v_add_u32_e32 v4, v3, v5
	v_mul_lo_u32 v5, v1, s16
	v_mul_lo_u32 v6, v1, s17
	v_lshrrev_b32_e32 v1, s29, v4
	v_mul_lo_u32 v4, v1, s27
	v_mul_hi_u32 v7, s31, v1
	v_sub_u32_e32 v3, v3, v4
	v_add_u32_e32 v4, v1, v7
	v_lshrrev_b32_e32 v4, s44, v4
	v_mul_hi_u32 v8, s46, v4
	v_mul_lo_u32 v9, v4, s30
	v_mul_lo_u32 v7, v3, s18
	;; [unrolled: 1-line block ×3, first 2 shown]
	v_sub_u32_e32 v9, v1, v9
	v_add_u32_e32 v1, v4, v8
	v_lshrrev_b32_e32 v1, s47, v1
	v_mul_lo_u32 v8, v1, s45
	v_mul_lo_u32 v10, v9, s20
	;; [unrolled: 1-line block ×3, first 2 shown]
	v_add3_u32 v0, v5, v0, v7
	v_sub_u32_e32 v4, v4, v8
	v_mul_lo_u32 v8, v4, s22
	v_mul_lo_u32 v4, v4, s23
	v_add3_u32 v2, v6, v2, v3
	v_add3_u32 v0, v10, v0, v8
	;; [unrolled: 1-line block ×3, first 2 shown]
	s_cbranch_scc0 .LBB79_540
	s_branch .LBB79_544
.LBB79_541:
	s_mov_b64 s[2:3], -1
                                        ; implicit-def: $vgpr0
                                        ; implicit-def: $vgpr2
	s_branch .LBB79_548
.LBB79_542:
	v_mov_b32_e32 v0, 0
	v_mov_b32_e32 v2, 0
	s_branch .LBB79_547
.LBB79_543:
	s_mov_b32 s75, 0
	v_mov_b32_e32 v0, 0
	v_mov_b32_e32 v2, 0
	v_mov_b32_e32 v1, v11
.LBB79_544:
	s_and_b32 s18, s80, 3
	s_cmp_eq_u32 s18, 0
	s_cbranch_scc1 .LBB79_547
; %bb.545:
	s_lshl_b32 s2, s75, 3
	s_add_u32 s2, s34, s2
	s_addc_u32 s3, s35, 0
	s_add_u32 s2, s2, 0xc4
	s_addc_u32 s3, s3, 0
	s_mul_i32 s16, s75, 12
	s_add_u32 s16, s34, s16
	s_addc_u32 s17, s35, 0
.LBB79_546:                             ; =>This Inner Loop Header: Depth=1
	s_load_dwordx2 s[20:21], s[16:17], 0x4
	s_load_dword s19, s[16:17], 0xc
	s_load_dwordx2 s[22:23], s[2:3], 0x0
	s_add_u32 s16, s16, 12
	s_addc_u32 s17, s17, 0
	s_waitcnt vmcnt(0) lgkmcnt(0)
	v_mul_hi_u32 v3, s21, v1
	s_add_u32 s2, s2, 8
	s_addc_u32 s3, s3, 0
	s_add_i32 s18, s18, -1
	v_add_u32_e32 v3, v1, v3
	v_lshrrev_b32_e32 v4, s19, v3
	v_mul_lo_u32 v3, v4, s20
	s_cmp_lg_u32 s18, 0
	v_sub_u32_e32 v3, v1, v3
	v_mad_u64_u32 v[0:1], s[20:21], v3, s22, v[0:1]
	v_mad_u64_u32 v[2:3], s[20:21], v3, s23, v[2:3]
	v_mov_b32_e32 v1, v4
	s_cbranch_scc1 .LBB79_546
.LBB79_547:
	s_mov_b64 s[2:3], 0
.LBB79_548:
	s_andn2_b64 vcc, exec, s[2:3]
	s_cbranch_vccnz .LBB79_551
; %bb.549:
	v_mul_hi_u32 v0, s41, v11
	s_andn2_b64 vcc, exec, s[54:55]
	v_add_u32_e32 v0, v11, v0
	v_lshrrev_b32_e32 v1, s42, v0
	v_mul_lo_u32 v0, v1, s40
	v_sub_u32_e32 v2, v11, v0
	v_mul_lo_u32 v0, v2, s36
	v_mul_lo_u32 v2, v2, s37
	s_cbranch_vccnz .LBB79_551
; %bb.550:
	s_waitcnt vmcnt(0)
	v_mul_hi_u32 v3, s52, v1
	v_add_u32_e32 v3, v1, v3
	v_lshrrev_b32_e32 v3, s53, v3
	v_mul_lo_u32 v3, v3, s43
	v_sub_u32_e32 v3, v1, v3
	v_mad_u64_u32 v[0:1], s[2:3], v3, s38, v[0:1]
	v_mad_u64_u32 v[2:3], s[2:3], v3, s39, v[2:3]
.LBB79_551:
	s_waitcnt vmcnt(0)
	v_mov_b32_e32 v3, s11
	s_and_b32 s20, 0xffff, s78
	v_add_co_u32_e32 v1, vcc, s10, v2
	s_cmp_lt_i32 s20, 11
	v_addc_co_u32_e32 v2, vcc, 0, v3, vcc
	s_cbranch_scc1 .LBB79_558
; %bb.552:
	s_cmp_gt_i32 s20, 25
	s_cbranch_scc0 .LBB79_559
; %bb.553:
	s_cmp_gt_i32 s20, 28
	s_cbranch_scc0 .LBB79_560
	;; [unrolled: 3-line block ×4, first 2 shown]
; %bb.556:
	s_cmp_eq_u32 s20, 46
	s_mov_b64 s[18:19], 0
	s_cbranch_scc0 .LBB79_567
; %bb.557:
	global_load_dword v3, v[1:2], off
	s_mov_b32 s2, 0x2f800000
	s_mov_b32 s3, 0xcf800000
	s_mov_b64 s[16:17], 0
	s_waitcnt vmcnt(0)
	v_lshlrev_b32_e32 v3, 16, v3
	v_trunc_f32_e32 v3, v3
	v_mul_f32_e64 v4, |v3|, s2
	v_floor_f32_e32 v4, v4
	v_fma_f32 v5, v4, s3, |v3|
	v_cvt_u32_f32_e32 v5, v5
	v_cvt_u32_f32_e32 v4, v4
	v_ashrrev_i32_e32 v6, 31, v3
	s_mov_b64 s[2:3], -1
	v_xor_b32_e32 v3, v5, v6
	v_xor_b32_e32 v4, v4, v6
	v_sub_co_u32_e32 v3, vcc, v3, v6
	v_subb_co_u32_e32 v4, vcc, v4, v6, vcc
	s_branch .LBB79_568
.LBB79_558:
	s_mov_b64 s[18:19], -1
	s_mov_b64 s[2:3], 0
                                        ; implicit-def: $vgpr3_vgpr4
	s_mov_b64 s[16:17], s[64:65]
	s_branch .LBB79_629
.LBB79_559:
	s_mov_b64 s[18:19], -1
	s_mov_b64 s[2:3], 0
	s_mov_b64 s[16:17], s[64:65]
                                        ; implicit-def: $vgpr3_vgpr4
	s_branch .LBB79_597
.LBB79_560:
	s_mov_b64 s[18:19], -1
	s_mov_b64 s[2:3], 0
	s_mov_b64 s[16:17], s[64:65]
                                        ; implicit-def: $vgpr3_vgpr4
	s_branch .LBB79_578
.LBB79_561:
	s_mov_b64 s[18:19], -1
	s_mov_b64 s[2:3], 0
	s_mov_b64 s[16:17], s[64:65]
                                        ; implicit-def: $vgpr3_vgpr4
	s_branch .LBB79_573
.LBB79_562:
	s_andn2_saveexec_b64 s[22:23], s[22:23]
	s_cbranch_execz .LBB79_335
.LBB79_563:
	s_mov_b32 s26, 0x46000000
	v_add_f32_e64 v5, |v0|, s26
	v_and_b32_e32 v5, 0xff, v5
	v_cmp_ne_u32_e32 vcc, 0, v5
	s_andn2_b64 s[20:21], s[20:21], exec
	s_and_b64 s[26:27], vcc, exec
	s_or_b64 s[20:21], s[20:21], s[26:27]
	s_or_b64 exec, exec, s[22:23]
	v_mov_b32_e32 v6, 0
	s_and_saveexec_b64 s[22:23], s[20:21]
	s_cbranch_execnz .LBB79_336
	s_branch .LBB79_337
.LBB79_564:
	s_mov_b64 s[18:19], -1
	s_mov_b64 s[2:3], 0
	s_mov_b64 s[16:17], s[64:65]
                                        ; implicit-def: $vgpr3_vgpr4
	s_branch .LBB79_568
.LBB79_565:
	s_andn2_saveexec_b64 s[22:23], s[22:23]
	s_cbranch_execz .LBB79_348
.LBB79_566:
	s_mov_b32 s26, 0x42800000
	v_add_f32_e64 v5, |v0|, s26
	v_and_b32_e32 v5, 0xff, v5
	v_cmp_ne_u32_e32 vcc, 0, v5
	s_andn2_b64 s[20:21], s[20:21], exec
	s_and_b64 s[26:27], vcc, exec
	s_or_b64 s[20:21], s[20:21], s[26:27]
	s_or_b64 exec, exec, s[22:23]
	v_mov_b32_e32 v6, 0
	s_and_saveexec_b64 s[22:23], s[20:21]
	s_cbranch_execnz .LBB79_349
	s_branch .LBB79_350
.LBB79_567:
	s_mov_b64 s[16:17], -1
                                        ; implicit-def: $vgpr3_vgpr4
	s_mov_b64 s[2:3], 0
.LBB79_568:
	s_and_b64 vcc, exec, s[18:19]
	s_cbranch_vccz .LBB79_572
; %bb.569:
	s_cmp_eq_u32 s20, 44
	s_cbranch_scc0 .LBB79_571
; %bb.570:
	global_load_ubyte v3, v[1:2], off
	s_mov_b32 s2, 0x2f800000
	s_mov_b32 s3, 0xcf800000
	s_mov_b64 s[16:17], 0
	s_waitcnt vmcnt(0)
	v_lshlrev_b32_e32 v4, 23, v3
	v_trunc_f32_e32 v4, v4
	v_mul_f32_e64 v5, |v4|, s2
	v_floor_f32_e32 v5, v5
	v_fma_f32 v6, v5, s3, |v4|
	v_cvt_u32_f32_e32 v6, v6
	v_cvt_u32_f32_e32 v5, v5
	v_ashrrev_i32_e32 v4, 31, v4
	s_mov_b64 s[2:3], -1
	v_xor_b32_e32 v6, v6, v4
	v_xor_b32_e32 v5, v5, v4
	v_sub_co_u32_e32 v6, vcc, v6, v4
	v_subb_co_u32_e32 v4, vcc, v5, v4, vcc
	v_cmp_ne_u32_e32 vcc, 0, v3
	v_cndmask_b32_e32 v4, 0, v4, vcc
	v_cndmask_b32_e32 v3, 0, v6, vcc
	s_branch .LBB79_572
.LBB79_571:
	s_mov_b64 s[16:17], -1
                                        ; implicit-def: $vgpr3_vgpr4
.LBB79_572:
	s_mov_b64 s[18:19], 0
.LBB79_573:
	s_and_b64 vcc, exec, s[18:19]
	s_cbranch_vccz .LBB79_577
; %bb.574:
	s_cmp_eq_u32 s20, 29
	s_cbranch_scc0 .LBB79_576
; %bb.575:
	global_load_dwordx2 v[3:4], v[1:2], off
	s_mov_b64 s[2:3], -1
	s_mov_b64 s[16:17], 0
	s_branch .LBB79_577
.LBB79_576:
	s_mov_b64 s[16:17], -1
                                        ; implicit-def: $vgpr3_vgpr4
.LBB79_577:
	s_mov_b64 s[18:19], 0
.LBB79_578:
	s_and_b64 vcc, exec, s[18:19]
	s_cbranch_vccz .LBB79_596
; %bb.579:
	s_cmp_lt_i32 s20, 27
	s_cbranch_scc1 .LBB79_582
; %bb.580:
	s_cmp_gt_i32 s20, 27
	s_cbranch_scc0 .LBB79_583
; %bb.581:
	global_load_dword v3, v[1:2], off
	s_waitcnt vmcnt(1)
	v_mov_b32_e32 v4, 0
	s_mov_b64 s[2:3], 0
	s_branch .LBB79_584
.LBB79_582:
	s_mov_b64 s[2:3], -1
                                        ; implicit-def: $vgpr3_vgpr4
	s_branch .LBB79_587
.LBB79_583:
	s_mov_b64 s[2:3], -1
                                        ; implicit-def: $vgpr3_vgpr4
.LBB79_584:
	s_andn2_b64 vcc, exec, s[2:3]
	s_cbranch_vccnz .LBB79_586
; %bb.585:
	global_load_ushort v3, v[1:2], off
	s_mov_b32 s2, 0
	s_waitcnt vmcnt(1)
	v_mov_b32_e32 v4, s2
	s_waitcnt vmcnt(0)
	v_and_b32_e32 v3, 0xffff, v3
.LBB79_586:
	s_mov_b64 s[2:3], 0
.LBB79_587:
	s_andn2_b64 vcc, exec, s[2:3]
	s_cbranch_vccnz .LBB79_595
; %bb.588:
	global_load_ubyte v5, v[1:2], off
	s_movk_i32 s2, 0x7f
	s_mov_b64 s[18:19], 0
	s_waitcnt vmcnt(0)
	v_cmp_lt_i16_e32 vcc, s2, v5
	s_and_saveexec_b64 s[2:3], vcc
	s_xor_b64 s[2:3], exec, s[2:3]
; %bb.589:
	s_movk_i32 s18, 0x80
	v_cmp_ne_u16_e32 vcc, s18, v5
	s_and_b64 s[18:19], vcc, exec
; %bb.590:
	s_andn2_saveexec_b64 s[2:3], s[2:3]
; %bb.591:
	v_cmp_ne_u16_e32 vcc, 0, v5
	s_andn2_b64 s[18:19], s[18:19], exec
	s_and_b64 s[22:23], vcc, exec
	s_or_b64 s[18:19], s[18:19], s[22:23]
; %bb.592:
	s_or_b64 exec, exec, s[2:3]
	v_mov_b32_e32 v3, 0
	v_mov_b32_e32 v4, 0
	s_and_saveexec_b64 s[2:3], s[18:19]
	s_cbranch_execz .LBB79_594
; %bb.593:
	v_and_b32_e32 v4, 0xffff, v5
	v_lshlrev_b32_e32 v3, 24, v5
	v_and_b32_e32 v5, 7, v4
	v_ffbh_u32_e32 v7, v5
	v_min_u32_e32 v7, 32, v7
	v_subrev_u32_e32 v8, 28, v7
	v_bfe_u32 v6, v4, 3, 4
	v_lshlrev_b32_e32 v4, v8, v4
	v_sub_u32_e32 v7, 29, v7
	v_and_b32_e32 v4, 7, v4
	v_cmp_eq_u32_e32 vcc, 0, v6
	v_cndmask_b32_e32 v6, v6, v7, vcc
	v_cndmask_b32_e32 v4, v5, v4, vcc
	v_mov_b32_e32 v5, 0x3b800000
	v_lshlrev_b32_e32 v4, 20, v4
	v_and_b32_e32 v3, 0x80000000, v3
	v_lshl_add_u32 v5, v6, 23, v5
	v_or3_b32 v3, v3, v5, v4
	v_trunc_f32_e32 v3, v3
	s_mov_b32 s18, 0x2f800000
	v_mul_f32_e64 v4, |v3|, s18
	v_floor_f32_e32 v4, v4
	s_mov_b32 s18, 0xcf800000
	v_fma_f32 v5, v4, s18, |v3|
	v_cvt_u32_f32_e32 v5, v5
	v_cvt_u32_f32_e32 v4, v4
	v_ashrrev_i32_e32 v6, 31, v3
	v_xor_b32_e32 v3, v5, v6
	v_xor_b32_e32 v4, v4, v6
	v_sub_co_u32_e32 v3, vcc, v3, v6
	v_subb_co_u32_e32 v4, vcc, v4, v6, vcc
.LBB79_594:
	s_or_b64 exec, exec, s[2:3]
.LBB79_595:
	s_mov_b64 s[2:3], -1
.LBB79_596:
	s_mov_b64 s[18:19], 0
.LBB79_597:
	s_and_b64 vcc, exec, s[18:19]
	s_cbranch_vccz .LBB79_628
; %bb.598:
	s_cmp_gt_i32 s20, 22
	s_cbranch_scc0 .LBB79_608
; %bb.599:
	s_cmp_lt_i32 s20, 24
	s_cbranch_scc1 .LBB79_609
; %bb.600:
	s_cmp_gt_i32 s20, 24
	s_cbranch_scc0 .LBB79_610
; %bb.601:
	global_load_ubyte v5, v[1:2], off
	s_movk_i32 s2, 0x7f
	s_mov_b64 s[18:19], 0
	s_waitcnt vmcnt(0)
	v_cmp_lt_i16_e32 vcc, s2, v5
	s_and_saveexec_b64 s[2:3], vcc
	s_xor_b64 s[2:3], exec, s[2:3]
; %bb.602:
	s_movk_i32 s18, 0x80
	v_cmp_ne_u16_e32 vcc, s18, v5
	s_and_b64 s[18:19], vcc, exec
; %bb.603:
	s_andn2_saveexec_b64 s[2:3], s[2:3]
; %bb.604:
	v_cmp_ne_u16_e32 vcc, 0, v5
	s_andn2_b64 s[18:19], s[18:19], exec
	s_and_b64 s[22:23], vcc, exec
	s_or_b64 s[18:19], s[18:19], s[22:23]
; %bb.605:
	s_or_b64 exec, exec, s[2:3]
	v_mov_b32_e32 v3, 0
	v_mov_b32_e32 v4, 0
	s_and_saveexec_b64 s[2:3], s[18:19]
	s_cbranch_execz .LBB79_607
; %bb.606:
	v_and_b32_e32 v4, 0xffff, v5
	v_lshlrev_b32_e32 v3, 24, v5
	v_and_b32_e32 v5, 3, v4
	v_ffbh_u32_e32 v7, v5
	v_min_u32_e32 v7, 32, v7
	v_subrev_u32_e32 v8, 29, v7
	v_bfe_u32 v6, v4, 2, 5
	v_lshlrev_b32_e32 v4, v8, v4
	v_sub_u32_e32 v7, 30, v7
	v_and_b32_e32 v4, 3, v4
	v_cmp_eq_u32_e32 vcc, 0, v6
	v_cndmask_b32_e32 v6, v6, v7, vcc
	v_cndmask_b32_e32 v4, v5, v4, vcc
	v_mov_b32_e32 v5, 0x37800000
	v_lshlrev_b32_e32 v4, 21, v4
	v_and_b32_e32 v3, 0x80000000, v3
	v_lshl_add_u32 v5, v6, 23, v5
	v_or3_b32 v3, v3, v5, v4
	v_trunc_f32_e32 v3, v3
	s_mov_b32 s18, 0x2f800000
	v_mul_f32_e64 v4, |v3|, s18
	v_floor_f32_e32 v4, v4
	s_mov_b32 s18, 0xcf800000
	v_fma_f32 v5, v4, s18, |v3|
	v_cvt_u32_f32_e32 v5, v5
	v_cvt_u32_f32_e32 v4, v4
	v_ashrrev_i32_e32 v6, 31, v3
	v_xor_b32_e32 v3, v5, v6
	v_xor_b32_e32 v4, v4, v6
	v_sub_co_u32_e32 v3, vcc, v3, v6
	v_subb_co_u32_e32 v4, vcc, v4, v6, vcc
.LBB79_607:
	s_or_b64 exec, exec, s[2:3]
	s_mov_b64 s[2:3], 0
	s_branch .LBB79_611
.LBB79_608:
	s_mov_b64 s[18:19], -1
                                        ; implicit-def: $vgpr3_vgpr4
	s_branch .LBB79_617
.LBB79_609:
	s_mov_b64 s[2:3], -1
                                        ; implicit-def: $vgpr3_vgpr4
	s_branch .LBB79_614
.LBB79_610:
	s_mov_b64 s[2:3], -1
                                        ; implicit-def: $vgpr3_vgpr4
.LBB79_611:
	s_and_b64 vcc, exec, s[2:3]
	s_cbranch_vccz .LBB79_613
; %bb.612:
	global_load_ubyte v3, v[1:2], off
	s_mov_b32 s2, 0x7f800000
	s_brev_b32 s3, 1
	s_mov_b32 s18, 0x2f800000
	s_mov_b32 s19, 0xcf800000
	s_waitcnt vmcnt(0)
	v_lshlrev_b32_e32 v3, 24, v3
	v_and_b32_e32 v4, 0x7f000000, v3
	v_ffbh_u32_e32 v5, v4
	v_min_u32_e32 v5, 32, v5
	v_sub_u32_e64 v5, v5, 4 clamp
	v_lshlrev_b32_e32 v7, v5, v4
	v_lshlrev_b32_e32 v5, 23, v5
	v_lshrrev_b32_e32 v7, 4, v7
	v_add_u32_e32 v6, 0x1000000, v4
	v_sub_u32_e32 v5, v7, v5
	v_ashrrev_i32_e32 v6, 8, v6
	v_add_u32_e32 v5, 0x3c000000, v5
	v_and_or_b32 v5, v6, s2, v5
	v_cmp_ne_u32_e32 vcc, 0, v4
	v_cndmask_b32_e32 v4, 0, v5, vcc
	v_and_or_b32 v3, v3, s3, v4
	v_trunc_f32_e32 v3, v3
	v_mul_f32_e64 v4, |v3|, s18
	v_floor_f32_e32 v4, v4
	v_fma_f32 v5, v4, s19, |v3|
	v_cvt_u32_f32_e32 v5, v5
	v_cvt_u32_f32_e32 v4, v4
	v_ashrrev_i32_e32 v6, 31, v3
	v_xor_b32_e32 v3, v5, v6
	v_xor_b32_e32 v4, v4, v6
	v_sub_co_u32_e32 v3, vcc, v3, v6
	v_subb_co_u32_e32 v4, vcc, v4, v6, vcc
.LBB79_613:
	s_mov_b64 s[2:3], 0
.LBB79_614:
	s_andn2_b64 vcc, exec, s[2:3]
	s_cbranch_vccnz .LBB79_616
; %bb.615:
	global_load_ubyte v3, v[1:2], off
	s_movk_i32 s2, 0x7f00
	s_brev_b32 s3, 16
	s_brev_b32 s18, 1
	s_mov_b32 s19, 0x2f800000
	s_mov_b32 s21, 0xcf800000
	s_waitcnt vmcnt(0)
	v_lshlrev_b16_e32 v4, 8, v3
	v_lshlrev_b32_e32 v3, 25, v3
	v_lshrrev_b32_e32 v5, 4, v3
	v_and_or_b32 v6, v4, s2, 0.5
	v_or_b32_e32 v5, 0x70000000, v5
	v_add_f32_e32 v6, -0.5, v6
	v_mul_f32_e32 v5, 0x7800000, v5
	v_cmp_gt_u32_e32 vcc, s3, v3
	v_bfe_i32 v4, v4, 0, 16
	v_cndmask_b32_e32 v3, v5, v6, vcc
	v_and_or_b32 v3, v4, s18, v3
	v_trunc_f32_e32 v3, v3
	v_mul_f32_e64 v4, |v3|, s19
	v_floor_f32_e32 v4, v4
	v_fma_f32 v5, v4, s21, |v3|
	v_cvt_u32_f32_e32 v5, v5
	v_cvt_u32_f32_e32 v4, v4
	v_ashrrev_i32_e32 v6, 31, v3
	v_xor_b32_e32 v3, v5, v6
	v_xor_b32_e32 v4, v4, v6
	v_sub_co_u32_e32 v3, vcc, v3, v6
	v_subb_co_u32_e32 v4, vcc, v4, v6, vcc
.LBB79_616:
	s_mov_b64 s[18:19], 0
	s_mov_b64 s[2:3], -1
.LBB79_617:
	s_andn2_b64 vcc, exec, s[18:19]
	s_cbranch_vccnz .LBB79_628
; %bb.618:
	s_cmp_gt_i32 s20, 14
	s_cbranch_scc0 .LBB79_621
; %bb.619:
	s_cmp_eq_u32 s20, 15
	s_cbranch_scc0 .LBB79_622
; %bb.620:
	global_load_ushort v3, v[1:2], off
	s_mov_b32 s2, 0x2f800000
	s_mov_b32 s3, 0xcf800000
	s_mov_b64 s[16:17], 0
	s_waitcnt vmcnt(0)
	v_lshlrev_b32_e32 v3, 16, v3
	v_trunc_f32_e32 v3, v3
	v_mul_f32_e64 v4, |v3|, s2
	v_floor_f32_e32 v4, v4
	v_fma_f32 v5, v4, s3, |v3|
	v_cvt_u32_f32_e32 v5, v5
	v_cvt_u32_f32_e32 v4, v4
	v_ashrrev_i32_e32 v6, 31, v3
	s_mov_b64 s[2:3], -1
	v_xor_b32_e32 v3, v5, v6
	v_xor_b32_e32 v4, v4, v6
	v_sub_co_u32_e32 v3, vcc, v3, v6
	v_subb_co_u32_e32 v4, vcc, v4, v6, vcc
	s_branch .LBB79_623
.LBB79_621:
	s_mov_b64 s[18:19], -1
                                        ; implicit-def: $vgpr3_vgpr4
	s_branch .LBB79_624
.LBB79_622:
	s_mov_b64 s[16:17], -1
                                        ; implicit-def: $vgpr3_vgpr4
.LBB79_623:
	s_mov_b64 s[18:19], 0
.LBB79_624:
	s_and_b64 vcc, exec, s[18:19]
	s_cbranch_vccz .LBB79_628
; %bb.625:
	s_cmp_eq_u32 s20, 11
	s_cbranch_scc0 .LBB79_627
; %bb.626:
	global_load_ubyte v3, v[1:2], off
	s_mov_b32 s16, 0
	s_mov_b64 s[2:3], -1
	s_waitcnt vmcnt(1)
	v_mov_b32_e32 v4, s16
	s_mov_b64 s[16:17], 0
	s_waitcnt vmcnt(0)
	v_cmp_ne_u16_e32 vcc, 0, v3
	v_cndmask_b32_e64 v3, 0, 1, vcc
	s_branch .LBB79_628
.LBB79_627:
	s_mov_b64 s[16:17], -1
                                        ; implicit-def: $vgpr3_vgpr4
.LBB79_628:
	s_mov_b64 s[18:19], 0
.LBB79_629:
	s_and_b64 vcc, exec, s[18:19]
	s_cbranch_vccz .LBB79_678
; %bb.630:
	s_cmp_lt_i32 s20, 5
	s_cbranch_scc1 .LBB79_635
; %bb.631:
	s_cmp_lt_i32 s20, 8
	s_cbranch_scc1 .LBB79_636
	;; [unrolled: 3-line block ×3, first 2 shown]
; %bb.633:
	s_cmp_gt_i32 s20, 9
	s_cbranch_scc0 .LBB79_638
; %bb.634:
	global_load_dwordx2 v[3:4], v[1:2], off
	s_movk_i32 s2, 0xffe0
	s_waitcnt vmcnt(0)
	v_trunc_f64_e32 v[3:4], v[3:4]
	v_ldexp_f64 v[5:6], v[3:4], s2
	s_mov_b32 s2, 0
	s_mov_b32 s3, 0xc1f00000
	v_floor_f64_e32 v[5:6], v[5:6]
	v_fma_f64 v[7:8], v[5:6], s[2:3], v[3:4]
	v_cvt_i32_f64_e32 v4, v[5:6]
	s_mov_b64 s[2:3], 0
	v_cvt_u32_f64_e32 v3, v[7:8]
	s_branch .LBB79_639
.LBB79_635:
	s_mov_b64 s[2:3], -1
                                        ; implicit-def: $vgpr3_vgpr4
	s_branch .LBB79_657
.LBB79_636:
	s_mov_b64 s[2:3], -1
                                        ; implicit-def: $vgpr3_vgpr4
	s_branch .LBB79_645
.LBB79_637:
	s_mov_b64 s[2:3], -1
                                        ; implicit-def: $vgpr3_vgpr4
	s_branch .LBB79_642
.LBB79_638:
	s_mov_b64 s[2:3], -1
                                        ; implicit-def: $vgpr3_vgpr4
.LBB79_639:
	s_andn2_b64 vcc, exec, s[2:3]
	s_cbranch_vccnz .LBB79_641
; %bb.640:
	global_load_dword v3, v[1:2], off
	s_mov_b32 s2, 0x2f800000
	s_mov_b32 s3, 0xcf800000
	s_waitcnt vmcnt(0)
	v_trunc_f32_e32 v3, v3
	v_mul_f32_e64 v4, |v3|, s2
	v_floor_f32_e32 v4, v4
	v_cvt_u32_f32_e32 v5, v4
	v_fma_f32 v4, v4, s3, |v3|
	v_cvt_u32_f32_e32 v4, v4
	v_ashrrev_i32_e32 v6, 31, v3
	v_xor_b32_e32 v5, v5, v6
	v_xor_b32_e32 v3, v4, v6
	v_sub_co_u32_e32 v3, vcc, v3, v6
	v_subb_co_u32_e32 v4, vcc, v5, v6, vcc
.LBB79_641:
	s_mov_b64 s[2:3], 0
.LBB79_642:
	s_andn2_b64 vcc, exec, s[2:3]
	s_cbranch_vccnz .LBB79_644
; %bb.643:
	global_load_dword v3, v[1:2], off
	s_waitcnt vmcnt(0)
	v_cvt_f32_f16_e32 v3, v3
	v_cvt_i32_f32_e32 v3, v3
	v_ashrrev_i32_e32 v4, 31, v3
.LBB79_644:
	s_mov_b64 s[2:3], 0
.LBB79_645:
	s_andn2_b64 vcc, exec, s[2:3]
	s_cbranch_vccnz .LBB79_656
; %bb.646:
	s_cmp_lt_i32 s20, 6
	s_cbranch_scc1 .LBB79_649
; %bb.647:
	s_cmp_gt_i32 s20, 6
	s_cbranch_scc0 .LBB79_650
; %bb.648:
	global_load_dwordx2 v[3:4], v[1:2], off
	s_movk_i32 s2, 0xffe0
	s_waitcnt vmcnt(0)
	v_trunc_f64_e32 v[3:4], v[3:4]
	v_ldexp_f64 v[5:6], v[3:4], s2
	s_mov_b32 s2, 0
	s_mov_b32 s3, 0xc1f00000
	v_floor_f64_e32 v[5:6], v[5:6]
	v_fma_f64 v[7:8], v[5:6], s[2:3], v[3:4]
	v_cvt_i32_f64_e32 v4, v[5:6]
	s_mov_b64 s[2:3], 0
	v_cvt_u32_f64_e32 v3, v[7:8]
	s_branch .LBB79_651
.LBB79_649:
	s_mov_b64 s[2:3], -1
                                        ; implicit-def: $vgpr3_vgpr4
	s_branch .LBB79_654
.LBB79_650:
	s_mov_b64 s[2:3], -1
                                        ; implicit-def: $vgpr3_vgpr4
.LBB79_651:
	s_andn2_b64 vcc, exec, s[2:3]
	s_cbranch_vccnz .LBB79_653
; %bb.652:
	global_load_dword v3, v[1:2], off
	s_mov_b32 s2, 0x2f800000
	s_mov_b32 s3, 0xcf800000
	s_waitcnt vmcnt(0)
	v_trunc_f32_e32 v3, v3
	v_mul_f32_e64 v4, |v3|, s2
	v_floor_f32_e32 v4, v4
	v_cvt_u32_f32_e32 v5, v4
	v_fma_f32 v4, v4, s3, |v3|
	v_cvt_u32_f32_e32 v4, v4
	v_ashrrev_i32_e32 v6, 31, v3
	v_xor_b32_e32 v5, v5, v6
	v_xor_b32_e32 v3, v4, v6
	v_sub_co_u32_e32 v3, vcc, v3, v6
	v_subb_co_u32_e32 v4, vcc, v5, v6, vcc
.LBB79_653:
	s_mov_b64 s[2:3], 0
.LBB79_654:
	s_andn2_b64 vcc, exec, s[2:3]
	s_cbranch_vccnz .LBB79_656
; %bb.655:
	global_load_ushort v3, v[1:2], off
	s_waitcnt vmcnt(0)
	v_cvt_f32_f16_e32 v3, v3
	v_cvt_i32_f32_e32 v3, v3
	v_ashrrev_i32_e32 v4, 31, v3
.LBB79_656:
	s_mov_b64 s[2:3], 0
.LBB79_657:
	s_andn2_b64 vcc, exec, s[2:3]
	s_cbranch_vccnz .LBB79_677
; %bb.658:
	s_cmp_lt_i32 s20, 2
	s_cbranch_scc1 .LBB79_662
; %bb.659:
	s_cmp_lt_i32 s20, 3
	s_cbranch_scc1 .LBB79_663
; %bb.660:
	s_cmp_gt_i32 s20, 3
	s_cbranch_scc0 .LBB79_664
; %bb.661:
	global_load_dwordx2 v[3:4], v[1:2], off
	s_mov_b64 s[2:3], 0
	s_branch .LBB79_665
.LBB79_662:
	s_mov_b64 s[2:3], -1
                                        ; implicit-def: $vgpr3_vgpr4
	s_branch .LBB79_671
.LBB79_663:
	s_mov_b64 s[2:3], -1
                                        ; implicit-def: $vgpr3_vgpr4
	s_branch .LBB79_668
.LBB79_664:
	s_mov_b64 s[2:3], -1
                                        ; implicit-def: $vgpr3_vgpr4
.LBB79_665:
	s_andn2_b64 vcc, exec, s[2:3]
	s_cbranch_vccnz .LBB79_667
; %bb.666:
	global_load_dword v3, v[1:2], off
	s_waitcnt vmcnt(0)
	v_ashrrev_i32_e32 v4, 31, v3
.LBB79_667:
	s_mov_b64 s[2:3], 0
.LBB79_668:
	s_andn2_b64 vcc, exec, s[2:3]
	s_cbranch_vccnz .LBB79_670
; %bb.669:
	global_load_ushort v3, v[1:2], off
	s_waitcnt vmcnt(0)
	v_bfe_i32 v3, v3, 0, 16
	v_ashrrev_i32_e32 v4, 31, v3
.LBB79_670:
	s_mov_b64 s[2:3], 0
.LBB79_671:
	s_andn2_b64 vcc, exec, s[2:3]
	s_cbranch_vccnz .LBB79_677
; %bb.672:
	s_cmp_gt_i32 s20, 0
	s_cbranch_scc0 .LBB79_674
; %bb.673:
	global_load_sbyte v3, v[1:2], off
	s_mov_b64 s[2:3], 0
	s_waitcnt vmcnt(0)
	v_bfe_i32 v3, v3, 0, 16
	v_ashrrev_i32_e32 v4, 31, v3
	s_branch .LBB79_675
.LBB79_674:
	s_mov_b64 s[2:3], -1
                                        ; implicit-def: $vgpr3_vgpr4
.LBB79_675:
	s_andn2_b64 vcc, exec, s[2:3]
	s_cbranch_vccnz .LBB79_677
; %bb.676:
	global_load_ubyte v1, v[1:2], off
	s_mov_b32 s2, 0
	s_waitcnt vmcnt(1)
	v_mov_b32_e32 v4, s2
	s_waitcnt vmcnt(0)
	v_and_b32_e32 v3, 0xffff, v1
.LBB79_677:
	s_mov_b64 s[2:3], -1
.LBB79_678:
	s_andn2_b64 vcc, exec, s[2:3]
	s_cbranch_vccnz .LBB79_686
; %bb.679:
	v_mov_b32_e32 v1, s15
	s_waitcnt vmcnt(0)
	v_cndmask_b32_e64 v2, v1, v4, s[0:1]
	v_mov_b32_e32 v1, s14
	v_cndmask_b32_e64 v1, v1, v3, s[0:1]
	v_mov_b32_e32 v4, s9
	s_and_b32 s24, s77, 0xff
	v_add_co_u32_e32 v3, vcc, s8, v0
	s_cmp_lt_i32 s24, 11
	v_addc_co_u32_e32 v4, vcc, 0, v4, vcc
	s_cbranch_scc1 .LBB79_687
; %bb.680:
	s_and_b32 s25, 0xffff, s24
	s_cmp_gt_i32 s25, 25
	s_cbranch_scc0 .LBB79_688
; %bb.681:
	s_cmp_gt_i32 s25, 28
	s_cbranch_scc0 .LBB79_689
; %bb.682:
	;; [unrolled: 3-line block ×4, first 2 shown]
	s_mov_b64 s[20:21], 0
	s_mov_b64 s[2:3], -1
	s_cmp_eq_u32 s25, 46
	s_mov_b64 s[18:19], 0
	s_cbranch_scc0 .LBB79_692
; %bb.685:
	v_xor_b32_e32 v5, v1, v2
	v_ffbh_i32_e32 v0, v2
	v_ashrrev_i32_e32 v5, 31, v5
	v_add_u32_e32 v0, -1, v0
	v_add_u32_e32 v5, 32, v5
	v_min_u32_e32 v0, v0, v5
	v_lshlrev_b64 v[5:6], v0, v[1:2]
	v_sub_u32_e32 v0, 32, v0
	v_min_u32_e32 v5, 1, v5
	v_or_b32_e32 v5, v6, v5
	v_cvt_f32_i32_e32 v5, v5
	s_movk_i32 s2, 0x7fff
	s_mov_b64 s[18:19], -1
	v_ldexp_f32 v0, v5, v0
	v_bfe_u32 v5, v0, 16, 1
	v_add3_u32 v0, v0, v5, s2
	v_lshrrev_b32_e32 v0, 16, v0
	global_store_dword v[3:4], v0, off
	s_mov_b64 s[2:3], 0
	s_branch .LBB79_692
.LBB79_686:
	s_mov_b64 s[18:19], 0
	s_mov_b64 s[2:3], s[66:67]
	s_branch .LBB79_803
.LBB79_687:
	s_mov_b64 s[20:21], -1
	s_mov_b64 s[18:19], 0
	s_mov_b64 s[2:3], s[66:67]
	s_branch .LBB79_761
.LBB79_688:
	s_mov_b64 s[20:21], -1
	s_mov_b64 s[18:19], 0
	s_mov_b64 s[2:3], s[66:67]
	s_branch .LBB79_719
.LBB79_689:
	s_mov_b64 s[20:21], -1
	s_mov_b64 s[18:19], 0
	s_mov_b64 s[2:3], s[66:67]
	s_branch .LBB79_702
.LBB79_690:
	s_mov_b64 s[20:21], -1
	s_mov_b64 s[18:19], 0
	s_mov_b64 s[2:3], s[66:67]
	s_branch .LBB79_698
.LBB79_691:
	s_mov_b64 s[20:21], -1
	s_mov_b64 s[18:19], 0
	s_mov_b64 s[2:3], s[66:67]
.LBB79_692:
	s_and_b64 vcc, exec, s[20:21]
	s_cbranch_vccz .LBB79_697
; %bb.693:
	s_cmp_eq_u32 s25, 44
	s_mov_b64 s[2:3], -1
	s_cbranch_scc0 .LBB79_697
; %bb.694:
	v_xor_b32_e32 v5, v1, v2
	v_ffbh_i32_e32 v0, v2
	v_ashrrev_i32_e32 v5, 31, v5
	v_add_u32_e32 v0, -1, v0
	v_add_u32_e32 v5, 32, v5
	v_min_u32_e32 v0, v0, v5
	v_lshlrev_b64 v[5:6], v0, v[1:2]
	v_sub_u32_e32 v0, 32, v0
	v_min_u32_e32 v5, 1, v5
	v_or_b32_e32 v5, v6, v5
	v_cvt_f32_i32_e32 v5, v5
	s_movk_i32 s2, 0xff
	v_mov_b32_e32 v6, 0xff
	v_ldexp_f32 v0, v5, v0
	v_bfe_u32 v5, v0, 23, 8
	v_cmp_ne_u32_e32 vcc, s2, v5
	s_and_saveexec_b64 s[18:19], vcc
; %bb.695:
	s_mov_b32 s2, 0x3fffff
	v_lshrrev_b32_e32 v6, 23, v0
	v_and_b32_e32 v7, 0x400000, v0
	v_and_or_b32 v0, v0, s2, v5
	v_cmp_ne_u32_e32 vcc, 0, v7
	v_cmp_ne_u32_e64 s[2:3], 0, v0
	s_and_b64 s[2:3], vcc, s[2:3]
	v_cndmask_b32_e64 v0, 0, 1, s[2:3]
	v_add_u32_e32 v6, v6, v0
; %bb.696:
	s_or_b64 exec, exec, s[18:19]
	s_mov_b64 s[18:19], -1
	s_mov_b64 s[2:3], 0
	global_store_byte v[3:4], v6, off
.LBB79_697:
	s_mov_b64 s[20:21], 0
.LBB79_698:
	s_and_b64 vcc, exec, s[20:21]
	s_cbranch_vccz .LBB79_701
; %bb.699:
	s_cmp_eq_u32 s25, 29
	s_mov_b64 s[2:3], -1
	s_cbranch_scc0 .LBB79_701
; %bb.700:
	global_store_dwordx2 v[3:4], v[1:2], off
	s_mov_b64 s[18:19], -1
	s_mov_b64 s[2:3], 0
.LBB79_701:
	s_mov_b64 s[20:21], 0
.LBB79_702:
	s_and_b64 vcc, exec, s[20:21]
	s_cbranch_vccz .LBB79_718
; %bb.703:
	s_cmp_lt_i32 s25, 27
	s_mov_b64 s[18:19], -1
	s_cbranch_scc1 .LBB79_709
; %bb.704:
	s_cmp_gt_i32 s25, 27
	s_cbranch_scc0 .LBB79_706
; %bb.705:
	s_mov_b64 s[18:19], 0
	global_store_dword v[3:4], v1, off
.LBB79_706:
	s_andn2_b64 vcc, exec, s[18:19]
	s_cbranch_vccnz .LBB79_708
; %bb.707:
	global_store_short v[3:4], v1, off
.LBB79_708:
	s_mov_b64 s[18:19], 0
.LBB79_709:
	s_andn2_b64 vcc, exec, s[18:19]
	s_cbranch_vccnz .LBB79_717
; %bb.710:
	v_xor_b32_e32 v5, v1, v2
	v_ffbh_i32_e32 v0, v2
	v_ashrrev_i32_e32 v5, 31, v5
	v_add_u32_e32 v0, -1, v0
	v_add_u32_e32 v5, 32, v5
	v_min_u32_e32 v0, v0, v5
	v_lshlrev_b64 v[5:6], v0, v[1:2]
	v_sub_u32_e32 v0, 32, v0
	v_min_u32_e32 v5, 1, v5
	v_or_b32_e32 v5, v6, v5
	v_cvt_f32_i32_e32 v5, v5
	s_mov_b32 s18, 0x43800000
	v_mov_b32_e32 v6, 0x80
	v_ldexp_f32 v0, v5, v0
	v_and_b32_e32 v5, 0x7fffffff, v0
	v_cmp_gt_u32_e32 vcc, s18, v5
	s_and_saveexec_b64 s[18:19], vcc
	s_cbranch_execz .LBB79_716
; %bb.711:
	s_mov_b32 s20, 0x3bffffff
	v_cmp_lt_u32_e32 vcc, s20, v5
	s_mov_b64 s[20:21], 0
                                        ; implicit-def: $vgpr5
	s_and_saveexec_b64 s[22:23], vcc
	s_xor_b64 s[22:23], exec, s[22:23]
	s_cbranch_execz .LBB79_833
; %bb.712:
	v_bfe_u32 v5, v0, 20, 1
	s_mov_b32 s26, 0x487ffff
	v_add3_u32 v5, v0, v5, s26
	s_mov_b64 s[20:21], exec
	v_lshrrev_b32_e32 v5, 20, v5
	s_andn2_saveexec_b64 s[22:23], s[22:23]
	s_cbranch_execnz .LBB79_834
.LBB79_713:
	s_or_b64 exec, exec, s[22:23]
	v_mov_b32_e32 v6, 0
	s_and_saveexec_b64 s[22:23], s[20:21]
.LBB79_714:
	v_lshrrev_b32_e32 v0, 24, v0
	s_movk_i32 s20, 0x80
	v_and_or_b32 v6, v0, s20, v5
.LBB79_715:
	s_or_b64 exec, exec, s[22:23]
.LBB79_716:
	s_or_b64 exec, exec, s[18:19]
	global_store_byte v[3:4], v6, off
.LBB79_717:
	s_mov_b64 s[18:19], -1
.LBB79_718:
	s_mov_b64 s[20:21], 0
.LBB79_719:
	s_and_b64 vcc, exec, s[20:21]
	s_cbranch_vccz .LBB79_760
; %bb.720:
	s_cmp_gt_i32 s25, 22
	s_mov_b64 s[20:21], -1
	s_cbranch_scc0 .LBB79_752
; %bb.721:
	s_cmp_lt_i32 s25, 24
	s_mov_b64 s[18:19], -1
	s_cbranch_scc1 .LBB79_741
; %bb.722:
	s_cmp_gt_i32 s25, 24
	s_cbranch_scc0 .LBB79_730
; %bb.723:
	v_xor_b32_e32 v5, v1, v2
	v_ffbh_i32_e32 v0, v2
	v_ashrrev_i32_e32 v5, 31, v5
	v_add_u32_e32 v0, -1, v0
	v_add_u32_e32 v5, 32, v5
	v_min_u32_e32 v0, v0, v5
	v_lshlrev_b64 v[5:6], v0, v[1:2]
	v_sub_u32_e32 v0, 32, v0
	v_min_u32_e32 v5, 1, v5
	v_or_b32_e32 v5, v6, v5
	v_cvt_f32_i32_e32 v5, v5
	s_mov_b32 s18, 0x47800000
	v_mov_b32_e32 v6, 0x80
	v_ldexp_f32 v0, v5, v0
	v_and_b32_e32 v5, 0x7fffffff, v0
	v_cmp_gt_u32_e32 vcc, s18, v5
	s_and_saveexec_b64 s[18:19], vcc
	s_cbranch_execz .LBB79_729
; %bb.724:
	s_mov_b32 s20, 0x37ffffff
	v_cmp_lt_u32_e32 vcc, s20, v5
	s_mov_b64 s[20:21], 0
                                        ; implicit-def: $vgpr5
	s_and_saveexec_b64 s[22:23], vcc
	s_xor_b64 s[22:23], exec, s[22:23]
	s_cbranch_execz .LBB79_836
; %bb.725:
	v_bfe_u32 v5, v0, 21, 1
	s_mov_b32 s26, 0x88fffff
	v_add3_u32 v5, v0, v5, s26
	s_mov_b64 s[20:21], exec
	v_lshrrev_b32_e32 v5, 21, v5
	s_andn2_saveexec_b64 s[22:23], s[22:23]
	s_cbranch_execnz .LBB79_837
.LBB79_726:
	s_or_b64 exec, exec, s[22:23]
	v_mov_b32_e32 v6, 0
	s_and_saveexec_b64 s[22:23], s[20:21]
.LBB79_727:
	v_lshrrev_b32_e32 v0, 24, v0
	s_movk_i32 s20, 0x80
	v_and_or_b32 v6, v0, s20, v5
.LBB79_728:
	s_or_b64 exec, exec, s[22:23]
.LBB79_729:
	s_or_b64 exec, exec, s[18:19]
	s_mov_b64 s[18:19], 0
	global_store_byte v[3:4], v6, off
.LBB79_730:
	s_and_b64 vcc, exec, s[18:19]
	s_cbranch_vccz .LBB79_740
; %bb.731:
	v_xor_b32_e32 v5, v1, v2
	v_ffbh_i32_e32 v0, v2
	v_ashrrev_i32_e32 v5, 31, v5
	v_add_u32_e32 v0, -1, v0
	v_add_u32_e32 v5, 32, v5
	v_min_u32_e32 v0, v0, v5
	v_lshlrev_b64 v[5:6], v0, v[1:2]
	v_sub_u32_e32 v0, 32, v0
	v_min_u32_e32 v5, 1, v5
	v_or_b32_e32 v5, v6, v5
	v_cvt_f32_i32_e32 v5, v5
	s_mov_b32 s18, 0x43f00000
	v_ldexp_f32 v0, v5, v0
	v_and_b32_e32 v6, 0x7fffffff, v0
	v_cmp_gt_u32_e32 vcc, s18, v6
                                        ; implicit-def: $vgpr5
	s_and_saveexec_b64 s[18:19], vcc
	s_xor_b64 s[18:19], exec, s[18:19]
	s_cbranch_execz .LBB79_737
; %bb.732:
	s_mov_b32 s20, 0x3c7fffff
	v_cmp_lt_u32_e32 vcc, s20, v6
                                        ; implicit-def: $vgpr5
	s_and_saveexec_b64 s[20:21], vcc
	s_xor_b64 s[20:21], exec, s[20:21]
; %bb.733:
	v_bfe_u32 v5, v0, 20, 1
	s_mov_b32 s22, 0x407ffff
	v_add3_u32 v5, v0, v5, s22
	v_lshrrev_b32_e32 v6, 20, v5
	v_and_b32_e32 v5, 0xff00000, v5
	s_mov_b32 s22, 0x7f00000
	v_mov_b32_e32 v7, 0x7e
	v_cmp_ne_u32_e32 vcc, s22, v5
	v_cndmask_b32_e32 v5, v7, v6, vcc
; %bb.734:
	s_andn2_saveexec_b64 s[20:21], s[20:21]
; %bb.735:
	s_mov_b32 s22, 0x46800000
	v_add_f32_e64 v5, |v0|, s22
; %bb.736:
	s_or_b64 exec, exec, s[20:21]
                                        ; implicit-def: $vgpr6
.LBB79_737:
	s_andn2_saveexec_b64 s[18:19], s[18:19]
; %bb.738:
	s_mov_b32 s20, 0x7f800000
	v_mov_b32_e32 v5, 0x7e
	v_mov_b32_e32 v7, 0x7f
	v_cmp_lt_u32_e32 vcc, s20, v6
	v_cndmask_b32_e32 v5, v5, v7, vcc
; %bb.739:
	s_or_b64 exec, exec, s[18:19]
	v_lshrrev_b32_e32 v0, 24, v0
	s_movk_i32 s18, 0x80
	v_and_or_b32 v0, v0, s18, v5
	global_store_byte v[3:4], v0, off
.LBB79_740:
	s_mov_b64 s[18:19], 0
.LBB79_741:
	s_andn2_b64 vcc, exec, s[18:19]
	s_cbranch_vccnz .LBB79_751
; %bb.742:
	v_xor_b32_e32 v5, v1, v2
	v_ffbh_i32_e32 v0, v2
	v_ashrrev_i32_e32 v5, 31, v5
	v_add_u32_e32 v0, -1, v0
	v_add_u32_e32 v5, 32, v5
	v_min_u32_e32 v0, v0, v5
	v_lshlrev_b64 v[5:6], v0, v[1:2]
	v_sub_u32_e32 v0, 32, v0
	v_min_u32_e32 v5, 1, v5
	v_or_b32_e32 v5, v6, v5
	v_cvt_f32_i32_e32 v5, v5
	s_mov_b32 s18, 0x47800000
	v_ldexp_f32 v0, v5, v0
	v_and_b32_e32 v6, 0x7fffffff, v0
	v_cmp_gt_u32_e32 vcc, s18, v6
                                        ; implicit-def: $vgpr5
	s_and_saveexec_b64 s[18:19], vcc
	s_xor_b64 s[18:19], exec, s[18:19]
	s_cbranch_execz .LBB79_748
; %bb.743:
	s_mov_b32 s20, 0x387fffff
	v_cmp_lt_u32_e32 vcc, s20, v6
                                        ; implicit-def: $vgpr5
	s_and_saveexec_b64 s[20:21], vcc
	s_xor_b64 s[20:21], exec, s[20:21]
; %bb.744:
	v_bfe_u32 v5, v0, 21, 1
	s_mov_b32 s22, 0x80fffff
	v_add3_u32 v5, v0, v5, s22
	v_lshrrev_b32_e32 v5, 21, v5
; %bb.745:
	s_andn2_saveexec_b64 s[20:21], s[20:21]
; %bb.746:
	s_mov_b32 s22, 0x43000000
	v_add_f32_e64 v5, |v0|, s22
; %bb.747:
	s_or_b64 exec, exec, s[20:21]
                                        ; implicit-def: $vgpr6
.LBB79_748:
	s_andn2_saveexec_b64 s[18:19], s[18:19]
; %bb.749:
	s_mov_b32 s20, 0x7f800000
	v_mov_b32_e32 v5, 0x7c
	v_mov_b32_e32 v7, 0x7f
	v_cmp_lt_u32_e32 vcc, s20, v6
	v_cndmask_b32_e32 v5, v5, v7, vcc
; %bb.750:
	s_or_b64 exec, exec, s[18:19]
	v_lshrrev_b32_e32 v0, 24, v0
	s_movk_i32 s18, 0x80
	v_and_or_b32 v0, v0, s18, v5
	global_store_byte v[3:4], v0, off
.LBB79_751:
	s_mov_b64 s[20:21], 0
	s_mov_b64 s[18:19], -1
.LBB79_752:
	s_andn2_b64 vcc, exec, s[20:21]
	s_cbranch_vccnz .LBB79_760
; %bb.753:
	s_cmp_gt_i32 s25, 14
	s_mov_b64 s[20:21], -1
	s_cbranch_scc0 .LBB79_757
; %bb.754:
	s_cmp_eq_u32 s25, 15
	s_mov_b64 s[2:3], -1
	s_cbranch_scc0 .LBB79_756
; %bb.755:
	v_xor_b32_e32 v5, v1, v2
	v_ffbh_i32_e32 v0, v2
	v_ashrrev_i32_e32 v5, 31, v5
	v_add_u32_e32 v0, -1, v0
	v_add_u32_e32 v5, 32, v5
	v_min_u32_e32 v0, v0, v5
	v_lshlrev_b64 v[5:6], v0, v[1:2]
	v_sub_u32_e32 v0, 32, v0
	v_min_u32_e32 v5, 1, v5
	v_or_b32_e32 v5, v6, v5
	v_cvt_f32_i32_e32 v5, v5
	s_movk_i32 s2, 0x7fff
	s_mov_b64 s[18:19], -1
	v_ldexp_f32 v0, v5, v0
	v_bfe_u32 v5, v0, 16, 1
	v_add3_u32 v0, v0, v5, s2
	global_store_short_d16_hi v[3:4], v0, off
	s_mov_b64 s[2:3], 0
.LBB79_756:
	s_mov_b64 s[20:21], 0
.LBB79_757:
	s_and_b64 vcc, exec, s[20:21]
	s_cbranch_vccz .LBB79_760
; %bb.758:
	s_cmp_eq_u32 s25, 11
	s_mov_b64 s[2:3], -1
	s_cbranch_scc0 .LBB79_760
; %bb.759:
	v_cmp_ne_u64_e32 vcc, 0, v[1:2]
	s_mov_b64 s[2:3], 0
	v_cndmask_b32_e64 v0, 0, 1, vcc
	s_mov_b64 s[18:19], -1
	global_store_byte v[3:4], v0, off
.LBB79_760:
	s_mov_b64 s[20:21], 0
.LBB79_761:
	s_and_b64 vcc, exec, s[20:21]
	s_cbranch_vccz .LBB79_800
; %bb.762:
	s_and_b32 s20, 0xffff, s24
	s_cmp_lt_i32 s20, 5
	s_mov_b64 s[18:19], -1
	s_cbranch_scc1 .LBB79_783
; %bb.763:
	s_cmp_lt_i32 s20, 8
	s_cbranch_scc1 .LBB79_773
; %bb.764:
	s_cmp_lt_i32 s20, 9
	s_cbranch_scc1 .LBB79_770
; %bb.765:
	s_cmp_gt_i32 s20, 9
	s_cbranch_scc0 .LBB79_767
; %bb.766:
	v_cvt_f64_i32_e32 v[5:6], v2
	v_cvt_f64_u32_e32 v[7:8], v1
	s_mov_b64 s[18:19], 0
	v_ldexp_f64 v[5:6], v[5:6], 32
	v_add_f64 v[5:6], v[5:6], v[7:8]
	v_mov_b32_e32 v7, 0
	v_mov_b32_e32 v8, v7
	global_store_dwordx4 v[3:4], v[5:8], off
.LBB79_767:
	s_andn2_b64 vcc, exec, s[18:19]
	s_cbranch_vccnz .LBB79_769
; %bb.768:
	v_xor_b32_e32 v5, v1, v2
	v_ffbh_i32_e32 v0, v2
	v_ashrrev_i32_e32 v5, 31, v5
	v_add_u32_e32 v0, -1, v0
	v_add_u32_e32 v5, 32, v5
	v_min_u32_e32 v0, v0, v5
	v_lshlrev_b64 v[5:6], v0, v[1:2]
	v_sub_u32_e32 v0, 32, v0
	v_min_u32_e32 v5, 1, v5
	v_or_b32_e32 v5, v6, v5
	v_cvt_f32_i32_e32 v5, v5
	v_mov_b32_e32 v6, 0
	v_ldexp_f32 v5, v5, v0
	global_store_dwordx2 v[3:4], v[5:6], off
.LBB79_769:
	s_mov_b64 s[18:19], 0
.LBB79_770:
	s_andn2_b64 vcc, exec, s[18:19]
	s_cbranch_vccnz .LBB79_772
; %bb.771:
	v_xor_b32_e32 v5, v1, v2
	v_ffbh_i32_e32 v0, v2
	v_ashrrev_i32_e32 v5, 31, v5
	v_add_u32_e32 v0, -1, v0
	v_add_u32_e32 v5, 32, v5
	v_min_u32_e32 v0, v0, v5
	v_lshlrev_b64 v[5:6], v0, v[1:2]
	v_sub_u32_e32 v0, 32, v0
	v_min_u32_e32 v5, 1, v5
	v_or_b32_e32 v5, v6, v5
	v_cvt_f32_i32_e32 v5, v5
	v_ldexp_f32 v0, v5, v0
	v_cvt_f16_f32_e32 v0, v0
	global_store_dword v[3:4], v0, off
.LBB79_772:
	s_mov_b64 s[18:19], 0
.LBB79_773:
	s_andn2_b64 vcc, exec, s[18:19]
	s_cbranch_vccnz .LBB79_782
; %bb.774:
	s_cmp_lt_i32 s20, 6
	s_mov_b64 s[18:19], -1
	s_cbranch_scc1 .LBB79_780
; %bb.775:
	s_cmp_gt_i32 s20, 6
	s_cbranch_scc0 .LBB79_777
; %bb.776:
	v_cvt_f64_i32_e32 v[5:6], v2
	v_cvt_f64_u32_e32 v[7:8], v1
	s_mov_b64 s[18:19], 0
	v_ldexp_f64 v[5:6], v[5:6], 32
	v_add_f64 v[5:6], v[5:6], v[7:8]
	global_store_dwordx2 v[3:4], v[5:6], off
.LBB79_777:
	s_andn2_b64 vcc, exec, s[18:19]
	s_cbranch_vccnz .LBB79_779
; %bb.778:
	v_xor_b32_e32 v5, v1, v2
	v_ffbh_i32_e32 v0, v2
	v_ashrrev_i32_e32 v5, 31, v5
	v_add_u32_e32 v0, -1, v0
	v_add_u32_e32 v5, 32, v5
	v_min_u32_e32 v0, v0, v5
	v_lshlrev_b64 v[5:6], v0, v[1:2]
	v_sub_u32_e32 v0, 32, v0
	v_min_u32_e32 v5, 1, v5
	v_or_b32_e32 v5, v6, v5
	v_cvt_f32_i32_e32 v5, v5
	v_ldexp_f32 v0, v5, v0
	global_store_dword v[3:4], v0, off
.LBB79_779:
	s_mov_b64 s[18:19], 0
.LBB79_780:
	s_andn2_b64 vcc, exec, s[18:19]
	s_cbranch_vccnz .LBB79_782
; %bb.781:
	v_xor_b32_e32 v5, v1, v2
	v_ffbh_i32_e32 v0, v2
	v_ashrrev_i32_e32 v5, 31, v5
	v_add_u32_e32 v0, -1, v0
	v_add_u32_e32 v5, 32, v5
	v_min_u32_e32 v0, v0, v5
	v_lshlrev_b64 v[5:6], v0, v[1:2]
	v_sub_u32_e32 v0, 32, v0
	v_min_u32_e32 v5, 1, v5
	v_or_b32_e32 v5, v6, v5
	v_cvt_f32_i32_e32 v5, v5
	v_ldexp_f32 v0, v5, v0
	v_cvt_f16_f32_e32 v0, v0
	global_store_short v[3:4], v0, off
.LBB79_782:
	s_mov_b64 s[18:19], 0
.LBB79_783:
	s_andn2_b64 vcc, exec, s[18:19]
	s_cbranch_vccnz .LBB79_799
; %bb.784:
	s_cmp_lt_i32 s20, 2
	s_mov_b64 s[18:19], -1
	s_cbranch_scc1 .LBB79_794
; %bb.785:
	s_cmp_lt_i32 s20, 3
	s_cbranch_scc1 .LBB79_791
; %bb.786:
	s_cmp_gt_i32 s20, 3
	s_cbranch_scc0 .LBB79_788
; %bb.787:
	s_mov_b64 s[18:19], 0
	global_store_dwordx2 v[3:4], v[1:2], off
.LBB79_788:
	s_andn2_b64 vcc, exec, s[18:19]
	s_cbranch_vccnz .LBB79_790
; %bb.789:
	global_store_dword v[3:4], v1, off
.LBB79_790:
	s_mov_b64 s[18:19], 0
.LBB79_791:
	s_andn2_b64 vcc, exec, s[18:19]
	s_cbranch_vccnz .LBB79_793
; %bb.792:
	global_store_short v[3:4], v1, off
.LBB79_793:
	s_mov_b64 s[18:19], 0
.LBB79_794:
	s_andn2_b64 vcc, exec, s[18:19]
	s_cbranch_vccnz .LBB79_799
; %bb.795:
	s_cmp_gt_i32 s20, 0
	s_mov_b64 s[18:19], -1
	s_cbranch_scc0 .LBB79_797
; %bb.796:
	s_mov_b64 s[18:19], 0
	global_store_byte v[3:4], v1, off
.LBB79_797:
	s_andn2_b64 vcc, exec, s[18:19]
	s_cbranch_vccnz .LBB79_799
; %bb.798:
	global_store_byte v[3:4], v1, off
.LBB79_799:
	s_mov_b64 s[18:19], -1
.LBB79_800:
	s_andn2_b64 vcc, exec, s[18:19]
	s_cbranch_vccnz .LBB79_802
; %bb.801:
	v_add_u32_e32 v11, 0x80, v11
	s_mov_b64 s[18:19], -1
	s_branch .LBB79_804
.LBB79_802:
	s_mov_b64 s[18:19], 0
.LBB79_803:
                                        ; implicit-def: $vgpr11
.LBB79_804:
	s_andn2_b64 s[20:21], s[66:67], exec
	s_and_b64 s[2:3], s[2:3], exec
	s_or_b64 s[72:73], s[20:21], s[2:3]
	s_andn2_b64 s[2:3], s[64:65], exec
	s_and_b64 s[16:17], s[16:17], exec
	s_or_b64 s[2:3], s[2:3], s[16:17]
	s_orn2_b64 s[22:23], s[18:19], exec
.LBB79_805:
	s_or_b64 exec, exec, s[70:71]
	s_mov_b64 s[16:17], 0
	s_mov_b64 s[18:19], 0
	s_mov_b64 s[20:21], 0
                                        ; implicit-def: $vgpr1_vgpr2
                                        ; implicit-def: $vgpr0
                                        ; implicit-def: $vgpr5_vgpr6
	s_and_saveexec_b64 s[70:71], s[22:23]
	s_cbranch_execz .LBB79_900
; %bb.806:
	v_cmp_gt_i32_e32 vcc, s74, v11
	s_mov_b64 s[22:23], s[2:3]
                                        ; implicit-def: $vgpr1_vgpr2
                                        ; implicit-def: $vgpr0
                                        ; implicit-def: $vgpr5_vgpr6
	s_and_saveexec_b64 s[74:75], vcc
	s_cbranch_execz .LBB79_899
; %bb.807:
	s_andn2_b64 vcc, exec, s[48:49]
	s_cbranch_vccnz .LBB79_812
; %bb.808:
	s_andn2_b64 vcc, exec, s[58:59]
	s_cbranch_vccnz .LBB79_813
; %bb.809:
	s_add_i32 s80, s79, 1
	s_cmp_eq_u32 s76, 2
	s_cbranch_scc1 .LBB79_814
; %bb.810:
	s_and_b32 s79, s80, 28
	v_mov_b32_e32 v2, 0
	s_mov_b32 s81, 0
	s_mov_b64 s[58:59], s[34:35]
	v_mov_b32_e32 v0, 0
	v_mov_b32_e32 v1, v11
.LBB79_811:                             ; =>This Inner Loop Header: Depth=1
	s_load_dwordx8 s[24:31], s[58:59], 0x4
	s_load_dwordx4 s[44:47], s[58:59], 0x24
	s_load_dwordx8 s[16:23], s[56:57], 0x0
	s_add_u32 s58, s58, 48
	s_addc_u32 s59, s59, 0
	s_waitcnt vmcnt(0) lgkmcnt(0)
	v_mul_hi_u32 v3, s25, v1
	s_add_i32 s81, s81, 4
	s_add_u32 s56, s56, 32
	s_addc_u32 s57, s57, 0
	v_add_u32_e32 v3, v1, v3
	v_lshrrev_b32_e32 v3, s26, v3
	v_mul_lo_u32 v4, v3, s24
	v_mul_hi_u32 v5, s28, v3
	s_cmp_eq_u32 s79, s81
	v_sub_u32_e32 v1, v1, v4
	v_add_u32_e32 v4, v3, v5
	v_mul_lo_u32 v5, v1, s16
	v_mul_lo_u32 v6, v1, s17
	v_lshrrev_b32_e32 v1, s29, v4
	v_mul_lo_u32 v4, v1, s27
	v_mul_hi_u32 v7, s31, v1
	v_sub_u32_e32 v3, v3, v4
	v_add_u32_e32 v4, v1, v7
	v_lshrrev_b32_e32 v4, s44, v4
	v_mul_hi_u32 v8, s46, v4
	v_mul_lo_u32 v9, v4, s30
	v_mul_lo_u32 v7, v3, s18
	;; [unrolled: 1-line block ×3, first 2 shown]
	v_sub_u32_e32 v9, v1, v9
	v_add_u32_e32 v1, v4, v8
	v_lshrrev_b32_e32 v1, s47, v1
	v_mul_lo_u32 v8, v1, s45
	v_mul_lo_u32 v10, v9, s20
	;; [unrolled: 1-line block ×3, first 2 shown]
	v_add3_u32 v0, v5, v0, v7
	v_sub_u32_e32 v4, v4, v8
	v_mul_lo_u32 v8, v4, s22
	v_mul_lo_u32 v4, v4, s23
	v_add3_u32 v2, v6, v2, v3
	v_add3_u32 v0, v10, v0, v8
	;; [unrolled: 1-line block ×3, first 2 shown]
	s_cbranch_scc0 .LBB79_811
	s_branch .LBB79_815
.LBB79_812:
	s_mov_b64 s[16:17], -1
                                        ; implicit-def: $vgpr0
                                        ; implicit-def: $vgpr2
	s_branch .LBB79_819
.LBB79_813:
	v_mov_b32_e32 v0, 0
	v_mov_b32_e32 v2, 0
	s_branch .LBB79_818
.LBB79_814:
	s_mov_b32 s79, 0
	v_mov_b32_e32 v0, 0
	v_mov_b32_e32 v2, 0
	;; [unrolled: 1-line block ×3, first 2 shown]
.LBB79_815:
	s_and_b32 s20, s80, 3
	s_cmp_eq_u32 s20, 0
	s_cbranch_scc1 .LBB79_818
; %bb.816:
	s_lshl_b32 s16, s79, 3
	s_add_u32 s16, s34, s16
	s_addc_u32 s17, s35, 0
	s_add_u32 s16, s16, 0xc4
	s_addc_u32 s17, s17, 0
	s_mul_i32 s18, s79, 12
	s_add_u32 s18, s34, s18
	s_addc_u32 s19, s35, 0
.LBB79_817:                             ; =>This Inner Loop Header: Depth=1
	s_load_dwordx2 s[22:23], s[18:19], 0x4
	s_load_dword s21, s[18:19], 0xc
	s_load_dwordx2 s[24:25], s[16:17], 0x0
	s_add_u32 s18, s18, 12
	s_addc_u32 s19, s19, 0
	s_waitcnt vmcnt(0) lgkmcnt(0)
	v_mul_hi_u32 v3, s23, v1
	s_add_u32 s16, s16, 8
	s_addc_u32 s17, s17, 0
	s_add_i32 s20, s20, -1
	v_add_u32_e32 v3, v1, v3
	v_lshrrev_b32_e32 v4, s21, v3
	v_mul_lo_u32 v3, v4, s22
	s_cmp_lg_u32 s20, 0
	v_sub_u32_e32 v3, v1, v3
	v_mad_u64_u32 v[0:1], s[22:23], v3, s24, v[0:1]
	v_mad_u64_u32 v[2:3], s[22:23], v3, s25, v[2:3]
	v_mov_b32_e32 v1, v4
	s_cbranch_scc1 .LBB79_817
.LBB79_818:
	s_mov_b64 s[16:17], 0
.LBB79_819:
	s_andn2_b64 vcc, exec, s[16:17]
	s_cbranch_vccnz .LBB79_822
; %bb.820:
	v_mul_hi_u32 v0, s41, v11
	s_andn2_b64 vcc, exec, s[54:55]
	v_add_u32_e32 v0, v11, v0
	v_lshrrev_b32_e32 v1, s42, v0
	v_mul_lo_u32 v0, v1, s40
	v_sub_u32_e32 v2, v11, v0
	v_mul_lo_u32 v0, v2, s36
	v_mul_lo_u32 v2, v2, s37
	s_cbranch_vccnz .LBB79_822
; %bb.821:
	s_waitcnt vmcnt(0)
	v_mul_hi_u32 v3, s52, v1
	v_add_u32_e32 v3, v1, v3
	v_lshrrev_b32_e32 v3, s53, v3
	v_mul_lo_u32 v3, v3, s43
	v_sub_u32_e32 v3, v1, v3
	v_mad_u64_u32 v[0:1], s[16:17], v3, s38, v[0:1]
	v_mad_u64_u32 v[2:3], s[16:17], v3, s39, v[2:3]
.LBB79_822:
	s_waitcnt vmcnt(0)
	v_mov_b32_e32 v3, s11
	s_and_b32 s22, 0xffff, s78
	v_add_co_u32_e32 v1, vcc, s10, v2
	s_cmp_lt_i32 s22, 11
	v_addc_co_u32_e32 v2, vcc, 0, v3, vcc
	s_cbranch_scc1 .LBB79_829
; %bb.823:
	s_cmp_gt_i32 s22, 25
	s_mov_b64 s[16:17], 0
	s_cbranch_scc0 .LBB79_830
; %bb.824:
	s_cmp_gt_i32 s22, 28
	s_cbranch_scc0 .LBB79_831
; %bb.825:
	s_cmp_gt_i32 s22, 43
	;; [unrolled: 3-line block ×3, first 2 shown]
	s_cbranch_scc0 .LBB79_835
; %bb.827:
	s_cmp_eq_u32 s22, 46
	s_mov_b64 s[20:21], 0
	s_cbranch_scc0 .LBB79_838
; %bb.828:
	global_load_dword v3, v[1:2], off
	s_mov_b32 s10, 0x2f800000
	s_mov_b32 s11, 0xcf800000
	s_mov_b64 s[18:19], -1
	s_waitcnt vmcnt(0)
	v_lshlrev_b32_e32 v3, 16, v3
	v_trunc_f32_e32 v3, v3
	v_mul_f32_e64 v4, |v3|, s10
	v_floor_f32_e32 v4, v4
	v_fma_f32 v5, v4, s11, |v3|
	v_cvt_u32_f32_e32 v5, v5
	v_cvt_u32_f32_e32 v4, v4
	v_ashrrev_i32_e32 v3, 31, v3
	s_mov_b64 s[10:11], 0
	v_xor_b32_e32 v5, v5, v3
	v_xor_b32_e32 v4, v4, v3
	v_sub_co_u32_e32 v5, vcc, v5, v3
	v_subb_co_u32_e32 v6, vcc, v4, v3, vcc
	s_branch .LBB79_839
.LBB79_829:
	s_mov_b64 s[22:23], -1
	s_mov_b64 s[18:19], 0
	s_mov_b64 s[16:17], 0
	;; [unrolled: 1-line block ×3, first 2 shown]
                                        ; implicit-def: $vgpr5_vgpr6
	s_branch .LBB79_898
.LBB79_830:
	s_mov_b64 s[20:21], -1
	s_mov_b64 s[18:19], 0
	s_mov_b64 s[10:11], s[2:3]
                                        ; implicit-def: $vgpr5_vgpr6
	s_branch .LBB79_868
.LBB79_831:
	s_mov_b64 s[20:21], -1
	s_mov_b64 s[18:19], 0
	s_mov_b64 s[10:11], s[2:3]
                                        ; implicit-def: $vgpr5_vgpr6
	s_branch .LBB79_849
.LBB79_832:
	s_mov_b64 s[20:21], -1
	s_mov_b64 s[18:19], 0
	s_mov_b64 s[10:11], s[2:3]
                                        ; implicit-def: $vgpr5_vgpr6
	s_branch .LBB79_844
.LBB79_833:
	s_andn2_saveexec_b64 s[22:23], s[22:23]
	s_cbranch_execz .LBB79_713
.LBB79_834:
	s_mov_b32 s26, 0x46000000
	v_add_f32_e64 v5, |v0|, s26
	v_and_b32_e32 v5, 0xff, v5
	v_cmp_ne_u32_e32 vcc, 0, v5
	s_andn2_b64 s[20:21], s[20:21], exec
	s_and_b64 s[26:27], vcc, exec
	s_or_b64 s[20:21], s[20:21], s[26:27]
	s_or_b64 exec, exec, s[22:23]
	v_mov_b32_e32 v6, 0
	s_and_saveexec_b64 s[22:23], s[20:21]
	s_cbranch_execnz .LBB79_714
	s_branch .LBB79_715
.LBB79_835:
	s_mov_b64 s[20:21], -1
	s_mov_b64 s[18:19], 0
	s_mov_b64 s[10:11], s[2:3]
                                        ; implicit-def: $vgpr5_vgpr6
	s_branch .LBB79_839
.LBB79_836:
	s_andn2_saveexec_b64 s[22:23], s[22:23]
	s_cbranch_execz .LBB79_726
.LBB79_837:
	s_mov_b32 s26, 0x42800000
	v_add_f32_e64 v5, |v0|, s26
	v_and_b32_e32 v5, 0xff, v5
	v_cmp_ne_u32_e32 vcc, 0, v5
	s_andn2_b64 s[20:21], s[20:21], exec
	s_and_b64 s[26:27], vcc, exec
	s_or_b64 s[20:21], s[20:21], s[26:27]
	s_or_b64 exec, exec, s[22:23]
	v_mov_b32_e32 v6, 0
	s_and_saveexec_b64 s[22:23], s[20:21]
	s_cbranch_execnz .LBB79_727
	s_branch .LBB79_728
.LBB79_838:
	s_mov_b64 s[10:11], -1
                                        ; implicit-def: $vgpr5_vgpr6
	s_mov_b64 s[18:19], 0
.LBB79_839:
	s_and_b64 vcc, exec, s[20:21]
	s_cbranch_vccz .LBB79_843
; %bb.840:
	s_cmp_eq_u32 s22, 44
	s_cbranch_scc0 .LBB79_842
; %bb.841:
	global_load_ubyte v3, v[1:2], off
	s_mov_b32 s10, 0x2f800000
	s_mov_b32 s11, 0xcf800000
	s_mov_b64 s[18:19], -1
	s_waitcnt vmcnt(0)
	v_lshlrev_b32_e32 v4, 23, v3
	v_trunc_f32_e32 v4, v4
	v_mul_f32_e64 v5, |v4|, s10
	v_floor_f32_e32 v5, v5
	v_fma_f32 v6, v5, s11, |v4|
	v_cvt_u32_f32_e32 v6, v6
	v_cvt_u32_f32_e32 v5, v5
	v_ashrrev_i32_e32 v4, 31, v4
	s_mov_b64 s[10:11], 0
	v_xor_b32_e32 v6, v6, v4
	v_xor_b32_e32 v5, v5, v4
	v_sub_co_u32_e32 v7, vcc, v6, v4
	v_subb_co_u32_e32 v4, vcc, v5, v4, vcc
	v_cmp_ne_u32_e32 vcc, 0, v3
	v_cndmask_b32_e32 v6, 0, v4, vcc
	v_cndmask_b32_e32 v5, 0, v7, vcc
	s_branch .LBB79_843
.LBB79_842:
	s_mov_b64 s[10:11], -1
                                        ; implicit-def: $vgpr5_vgpr6
.LBB79_843:
	s_mov_b64 s[20:21], 0
.LBB79_844:
	s_and_b64 vcc, exec, s[20:21]
	s_cbranch_vccz .LBB79_848
; %bb.845:
	s_cmp_eq_u32 s22, 29
	s_cbranch_scc0 .LBB79_847
; %bb.846:
	global_load_dwordx2 v[5:6], v[1:2], off
	s_mov_b64 s[10:11], 0
	s_mov_b64 s[18:19], -1
	s_branch .LBB79_848
.LBB79_847:
	s_mov_b64 s[10:11], -1
                                        ; implicit-def: $vgpr5_vgpr6
.LBB79_848:
	s_mov_b64 s[20:21], 0
.LBB79_849:
	s_and_b64 vcc, exec, s[20:21]
	s_cbranch_vccz .LBB79_867
; %bb.850:
	s_cmp_lt_i32 s22, 27
	s_cbranch_scc1 .LBB79_853
; %bb.851:
	s_cmp_gt_i32 s22, 27
	s_cbranch_scc0 .LBB79_854
; %bb.852:
	global_load_dword v5, v[1:2], off
	s_waitcnt vmcnt(1)
	v_mov_b32_e32 v6, 0
	s_mov_b64 s[18:19], 0
	s_branch .LBB79_855
.LBB79_853:
	s_mov_b64 s[18:19], -1
                                        ; implicit-def: $vgpr5_vgpr6
	s_branch .LBB79_858
.LBB79_854:
	s_mov_b64 s[18:19], -1
                                        ; implicit-def: $vgpr5_vgpr6
.LBB79_855:
	s_andn2_b64 vcc, exec, s[18:19]
	s_cbranch_vccnz .LBB79_857
; %bb.856:
	global_load_ushort v3, v[1:2], off
	s_mov_b32 s18, 0
	s_waitcnt vmcnt(1)
	v_mov_b32_e32 v6, s18
	s_waitcnt vmcnt(0)
	v_and_b32_e32 v5, 0xffff, v3
.LBB79_857:
	s_mov_b64 s[18:19], 0
.LBB79_858:
	s_andn2_b64 vcc, exec, s[18:19]
	s_cbranch_vccnz .LBB79_866
; %bb.859:
	global_load_ubyte v3, v[1:2], off
	s_movk_i32 s18, 0x7f
	s_mov_b64 s[20:21], 0
	s_waitcnt vmcnt(0)
	v_cmp_lt_i16_e32 vcc, s18, v3
	s_and_saveexec_b64 s[18:19], vcc
	s_xor_b64 s[18:19], exec, s[18:19]
; %bb.860:
	s_movk_i32 s20, 0x80
	v_cmp_ne_u16_e32 vcc, s20, v3
	s_and_b64 s[20:21], vcc, exec
; %bb.861:
	s_andn2_saveexec_b64 s[18:19], s[18:19]
; %bb.862:
	v_cmp_ne_u16_e32 vcc, 0, v3
	s_andn2_b64 s[20:21], s[20:21], exec
	s_and_b64 s[24:25], vcc, exec
	s_or_b64 s[20:21], s[20:21], s[24:25]
; %bb.863:
	s_or_b64 exec, exec, s[18:19]
	v_mov_b32_e32 v5, 0
	v_mov_b32_e32 v6, 0
	s_and_saveexec_b64 s[18:19], s[20:21]
	s_cbranch_execz .LBB79_865
; %bb.864:
	v_lshlrev_b32_e32 v4, 24, v3
	v_and_b32_e32 v3, 0xffff, v3
	v_and_b32_e32 v5, 7, v3
	v_ffbh_u32_e32 v7, v5
	v_min_u32_e32 v7, 32, v7
	v_subrev_u32_e32 v8, 28, v7
	v_bfe_u32 v6, v3, 3, 4
	v_lshlrev_b32_e32 v3, v8, v3
	v_sub_u32_e32 v7, 29, v7
	v_and_b32_e32 v3, 7, v3
	v_cmp_eq_u32_e32 vcc, 0, v6
	v_cndmask_b32_e32 v6, v6, v7, vcc
	v_cndmask_b32_e32 v3, v5, v3, vcc
	v_mov_b32_e32 v5, 0x3b800000
	v_lshlrev_b32_e32 v3, 20, v3
	v_and_b32_e32 v4, 0x80000000, v4
	v_lshl_add_u32 v5, v6, 23, v5
	v_or3_b32 v3, v4, v5, v3
	v_trunc_f32_e32 v3, v3
	s_mov_b32 s20, 0x2f800000
	v_mul_f32_e64 v4, |v3|, s20
	v_floor_f32_e32 v4, v4
	s_mov_b32 s20, 0xcf800000
	v_fma_f32 v5, v4, s20, |v3|
	v_cvt_u32_f32_e32 v5, v5
	v_cvt_u32_f32_e32 v4, v4
	v_ashrrev_i32_e32 v3, 31, v3
	v_xor_b32_e32 v5, v5, v3
	v_xor_b32_e32 v4, v4, v3
	v_sub_co_u32_e32 v5, vcc, v5, v3
	v_subb_co_u32_e32 v6, vcc, v4, v3, vcc
.LBB79_865:
	s_or_b64 exec, exec, s[18:19]
.LBB79_866:
	s_mov_b64 s[18:19], -1
.LBB79_867:
	s_mov_b64 s[20:21], 0
.LBB79_868:
	s_and_b64 vcc, exec, s[20:21]
	s_cbranch_vccz .LBB79_897
; %bb.869:
	s_cmp_gt_i32 s22, 22
	s_cbranch_scc0 .LBB79_879
; %bb.870:
	s_cmp_lt_i32 s22, 24
	s_cbranch_scc1 .LBB79_880
; %bb.871:
	s_cmp_gt_i32 s22, 24
	s_cbranch_scc0 .LBB79_881
; %bb.872:
	global_load_ubyte v3, v[1:2], off
	s_movk_i32 s16, 0x7f
	s_mov_b64 s[18:19], 0
	s_waitcnt vmcnt(0)
	v_cmp_lt_i16_e32 vcc, s16, v3
	s_and_saveexec_b64 s[16:17], vcc
	s_xor_b64 s[16:17], exec, s[16:17]
; %bb.873:
	s_movk_i32 s18, 0x80
	v_cmp_ne_u16_e32 vcc, s18, v3
	s_and_b64 s[18:19], vcc, exec
; %bb.874:
	s_andn2_saveexec_b64 s[16:17], s[16:17]
; %bb.875:
	v_cmp_ne_u16_e32 vcc, 0, v3
	s_andn2_b64 s[18:19], s[18:19], exec
	s_and_b64 s[20:21], vcc, exec
	s_or_b64 s[18:19], s[18:19], s[20:21]
; %bb.876:
	s_or_b64 exec, exec, s[16:17]
	v_mov_b32_e32 v5, 0
	v_mov_b32_e32 v6, 0
	s_and_saveexec_b64 s[16:17], s[18:19]
	s_cbranch_execz .LBB79_878
; %bb.877:
	v_lshlrev_b32_e32 v4, 24, v3
	v_and_b32_e32 v3, 0xffff, v3
	v_and_b32_e32 v5, 3, v3
	v_ffbh_u32_e32 v7, v5
	v_min_u32_e32 v7, 32, v7
	v_subrev_u32_e32 v8, 29, v7
	v_bfe_u32 v6, v3, 2, 5
	v_lshlrev_b32_e32 v3, v8, v3
	v_sub_u32_e32 v7, 30, v7
	v_and_b32_e32 v3, 3, v3
	v_cmp_eq_u32_e32 vcc, 0, v6
	v_cndmask_b32_e32 v6, v6, v7, vcc
	v_cndmask_b32_e32 v3, v5, v3, vcc
	v_mov_b32_e32 v5, 0x37800000
	v_lshlrev_b32_e32 v3, 21, v3
	v_and_b32_e32 v4, 0x80000000, v4
	v_lshl_add_u32 v5, v6, 23, v5
	v_or3_b32 v3, v4, v5, v3
	v_trunc_f32_e32 v3, v3
	s_mov_b32 s18, 0x2f800000
	v_mul_f32_e64 v4, |v3|, s18
	v_floor_f32_e32 v4, v4
	s_mov_b32 s18, 0xcf800000
	v_fma_f32 v5, v4, s18, |v3|
	v_cvt_u32_f32_e32 v5, v5
	v_cvt_u32_f32_e32 v4, v4
	v_ashrrev_i32_e32 v3, 31, v3
	v_xor_b32_e32 v5, v5, v3
	v_xor_b32_e32 v4, v4, v3
	v_sub_co_u32_e32 v5, vcc, v5, v3
	v_subb_co_u32_e32 v6, vcc, v4, v3, vcc
.LBB79_878:
	s_or_b64 exec, exec, s[16:17]
	s_mov_b64 s[16:17], 0
	s_branch .LBB79_882
.LBB79_879:
	s_mov_b64 s[16:17], -1
                                        ; implicit-def: $vgpr5_vgpr6
	s_branch .LBB79_888
.LBB79_880:
	s_mov_b64 s[16:17], -1
                                        ; implicit-def: $vgpr5_vgpr6
	s_branch .LBB79_885
.LBB79_881:
	s_mov_b64 s[16:17], -1
                                        ; implicit-def: $vgpr5_vgpr6
.LBB79_882:
	s_and_b64 vcc, exec, s[16:17]
	s_cbranch_vccz .LBB79_884
; %bb.883:
	global_load_ubyte v3, v[1:2], off
	s_mov_b32 s16, 0x7f800000
	s_brev_b32 s17, 1
	s_mov_b32 s18, 0x2f800000
	s_mov_b32 s19, 0xcf800000
	s_waitcnt vmcnt(0)
	v_lshlrev_b32_e32 v3, 24, v3
	v_and_b32_e32 v4, 0x7f000000, v3
	v_ffbh_u32_e32 v5, v4
	v_min_u32_e32 v5, 32, v5
	v_sub_u32_e64 v5, v5, 4 clamp
	v_lshlrev_b32_e32 v7, v5, v4
	v_lshlrev_b32_e32 v5, 23, v5
	v_lshrrev_b32_e32 v7, 4, v7
	v_add_u32_e32 v6, 0x1000000, v4
	v_sub_u32_e32 v5, v7, v5
	v_ashrrev_i32_e32 v6, 8, v6
	v_add_u32_e32 v5, 0x3c000000, v5
	v_and_or_b32 v5, v6, s16, v5
	v_cmp_ne_u32_e32 vcc, 0, v4
	v_cndmask_b32_e32 v4, 0, v5, vcc
	v_and_or_b32 v3, v3, s17, v4
	v_trunc_f32_e32 v3, v3
	v_mul_f32_e64 v4, |v3|, s18
	v_floor_f32_e32 v4, v4
	v_fma_f32 v5, v4, s19, |v3|
	v_cvt_u32_f32_e32 v5, v5
	v_cvt_u32_f32_e32 v4, v4
	v_ashrrev_i32_e32 v3, 31, v3
	v_xor_b32_e32 v5, v5, v3
	v_xor_b32_e32 v4, v4, v3
	v_sub_co_u32_e32 v5, vcc, v5, v3
	v_subb_co_u32_e32 v6, vcc, v4, v3, vcc
.LBB79_884:
	s_mov_b64 s[16:17], 0
.LBB79_885:
	s_andn2_b64 vcc, exec, s[16:17]
	s_cbranch_vccnz .LBB79_887
; %bb.886:
	global_load_ubyte v3, v[1:2], off
	s_movk_i32 s16, 0x7f00
	s_brev_b32 s17, 16
	s_brev_b32 s18, 1
	s_mov_b32 s19, 0x2f800000
	s_mov_b32 s20, 0xcf800000
	s_waitcnt vmcnt(0)
	v_lshlrev_b16_e32 v4, 8, v3
	v_lshlrev_b32_e32 v3, 25, v3
	v_lshrrev_b32_e32 v5, 4, v3
	v_and_or_b32 v6, v4, s16, 0.5
	v_or_b32_e32 v5, 0x70000000, v5
	v_add_f32_e32 v6, -0.5, v6
	v_mul_f32_e32 v5, 0x7800000, v5
	v_cmp_gt_u32_e32 vcc, s17, v3
	v_bfe_i32 v4, v4, 0, 16
	v_cndmask_b32_e32 v3, v5, v6, vcc
	v_and_or_b32 v3, v4, s18, v3
	v_trunc_f32_e32 v3, v3
	v_mul_f32_e64 v4, |v3|, s19
	v_floor_f32_e32 v4, v4
	v_fma_f32 v5, v4, s20, |v3|
	v_cvt_u32_f32_e32 v5, v5
	v_cvt_u32_f32_e32 v4, v4
	v_ashrrev_i32_e32 v3, 31, v3
	v_xor_b32_e32 v5, v5, v3
	v_xor_b32_e32 v4, v4, v3
	v_sub_co_u32_e32 v5, vcc, v5, v3
	v_subb_co_u32_e32 v6, vcc, v4, v3, vcc
.LBB79_887:
	s_mov_b64 s[16:17], 0
	s_mov_b64 s[18:19], -1
.LBB79_888:
	s_andn2_b64 vcc, exec, s[16:17]
	s_mov_b64 s[16:17], 0
	s_cbranch_vccnz .LBB79_897
; %bb.889:
	s_cmp_gt_i32 s22, 14
	s_cbranch_scc0 .LBB79_892
; %bb.890:
	s_cmp_eq_u32 s22, 15
	s_cbranch_scc0 .LBB79_893
; %bb.891:
	global_load_ushort v3, v[1:2], off
	s_mov_b32 s10, 0x2f800000
	s_mov_b32 s11, 0xcf800000
	s_mov_b64 s[18:19], -1
	s_waitcnt vmcnt(0)
	v_lshlrev_b32_e32 v3, 16, v3
	v_trunc_f32_e32 v3, v3
	v_mul_f32_e64 v4, |v3|, s10
	v_floor_f32_e32 v4, v4
	v_fma_f32 v5, v4, s11, |v3|
	v_cvt_u32_f32_e32 v5, v5
	v_cvt_u32_f32_e32 v4, v4
	v_ashrrev_i32_e32 v3, 31, v3
	s_mov_b64 s[10:11], 0
	v_xor_b32_e32 v5, v5, v3
	v_xor_b32_e32 v4, v4, v3
	v_sub_co_u32_e32 v5, vcc, v5, v3
	v_subb_co_u32_e32 v6, vcc, v4, v3, vcc
	s_branch .LBB79_894
.LBB79_892:
	s_mov_b64 s[20:21], -1
                                        ; implicit-def: $vgpr5_vgpr6
	s_branch .LBB79_895
.LBB79_893:
	s_mov_b64 s[10:11], -1
                                        ; implicit-def: $vgpr5_vgpr6
.LBB79_894:
	s_mov_b64 s[20:21], 0
.LBB79_895:
	s_and_b64 vcc, exec, s[20:21]
	s_cbranch_vccz .LBB79_897
; %bb.896:
	s_cmp_lg_u32 s22, 11
	s_cselect_b64 s[20:21], -1, 0
	s_andn2_b64 s[10:11], s[10:11], exec
	s_and_b64 s[20:21], s[20:21], exec
	s_mov_b64 s[16:17], -1
	s_or_b64 s[10:11], s[10:11], s[20:21]
.LBB79_897:
	s_mov_b64 s[22:23], 0
.LBB79_898:
	s_and_b64 s[20:21], s[18:19], exec
	s_and_b64 s[18:19], s[22:23], exec
	s_andn2_b64 s[22:23], s[2:3], exec
	s_and_b64 s[10:11], s[10:11], exec
	s_and_b64 s[16:17], s[16:17], exec
	s_or_b64 s[22:23], s[22:23], s[10:11]
.LBB79_899:
	s_or_b64 exec, exec, s[74:75]
	s_andn2_b64 s[2:3], s[2:3], exec
	s_and_b64 s[10:11], s[22:23], exec
	s_and_b64 s[20:21], s[20:21], exec
	;; [unrolled: 1-line block ×4, first 2 shown]
	s_or_b64 s[2:3], s[2:3], s[10:11]
.LBB79_900:
	s_or_b64 exec, exec, s[70:71]
	s_andn2_b64 s[10:11], s[66:67], exec
	s_and_b64 s[22:23], s[72:73], exec
	s_or_b64 s[66:67], s[10:11], s[22:23]
	s_andn2_b64 s[10:11], s[64:65], exec
	s_and_b64 s[2:3], s[2:3], exec
	s_and_b64 s[22:23], s[20:21], exec
	;; [unrolled: 1-line block ×4, first 2 shown]
	s_or_b64 s[64:65], s[10:11], s[2:3]
.LBB79_901:
	s_or_b64 exec, exec, s[68:69]
	s_andn2_b64 s[2:3], s[12:13], exec
	s_and_b64 s[10:11], s[66:67], exec
	s_or_b64 s[12:13], s[2:3], s[10:11]
	s_andn2_b64 s[2:3], s[60:61], exec
	s_and_b64 s[10:11], s[64:65], exec
	s_and_b64 s[16:17], s[22:23], exec
	;; [unrolled: 1-line block ×4, first 2 shown]
	s_or_b64 s[60:61], s[2:3], s[10:11]
	s_or_b64 exec, exec, s[62:63]
	s_mov_b64 s[2:3], 0
	s_and_saveexec_b64 s[10:11], s[60:61]
	s_cbranch_execz .LBB79_270
.LBB79_902:
	s_mov_b64 s[2:3], exec
	s_andn2_b64 s[66:67], s[66:67], exec
	s_trap 2
	s_or_b64 exec, exec, s[10:11]
	s_and_saveexec_b64 s[10:11], s[66:67]
	s_xor_b64 s[10:11], exec, s[10:11]
	s_cbranch_execnz .LBB79_271
.LBB79_903:
	s_or_b64 exec, exec, s[10:11]
	s_and_saveexec_b64 s[10:11], s[18:19]
	s_cbranch_execz .LBB79_949
.LBB79_904:
	s_sext_i32_i16 s18, s78
	s_cmp_lt_i32 s18, 5
	s_cbranch_scc1 .LBB79_909
; %bb.905:
	s_cmp_lt_i32 s18, 8
	s_cbranch_scc1 .LBB79_910
; %bb.906:
	;; [unrolled: 3-line block ×3, first 2 shown]
	s_cmp_gt_i32 s18, 9
	s_cbranch_scc0 .LBB79_912
; %bb.908:
	global_load_dwordx2 v[3:4], v[1:2], off
	s_movk_i32 s18, 0xffe0
	s_waitcnt vmcnt(0)
	v_trunc_f64_e32 v[3:4], v[3:4]
	v_ldexp_f64 v[5:6], v[3:4], s18
	s_mov_b32 s18, 0
	s_mov_b32 s19, 0xc1f00000
	v_floor_f64_e32 v[5:6], v[5:6]
	v_fma_f64 v[3:4], v[5:6], s[18:19], v[3:4]
	v_cvt_i32_f64_e32 v6, v[5:6]
	s_mov_b64 s[18:19], 0
	v_cvt_u32_f64_e32 v5, v[3:4]
	s_branch .LBB79_913
.LBB79_909:
                                        ; implicit-def: $vgpr5_vgpr6
	s_branch .LBB79_930
.LBB79_910:
                                        ; implicit-def: $vgpr5_vgpr6
	s_branch .LBB79_919
.LBB79_911:
	s_mov_b64 s[18:19], -1
                                        ; implicit-def: $vgpr5_vgpr6
	s_branch .LBB79_916
.LBB79_912:
	s_mov_b64 s[18:19], -1
                                        ; implicit-def: $vgpr5_vgpr6
.LBB79_913:
	s_andn2_b64 vcc, exec, s[18:19]
	s_cbranch_vccnz .LBB79_915
; %bb.914:
	global_load_dword v3, v[1:2], off
	s_mov_b32 s18, 0x2f800000
	s_mov_b32 s19, 0xcf800000
	s_waitcnt vmcnt(0)
	v_trunc_f32_e32 v3, v3
	v_mul_f32_e64 v4, |v3|, s18
	v_floor_f32_e32 v4, v4
	v_cvt_u32_f32_e32 v5, v4
	v_fma_f32 v4, v4, s19, |v3|
	v_cvt_u32_f32_e32 v4, v4
	v_ashrrev_i32_e32 v3, 31, v3
	v_xor_b32_e32 v6, v5, v3
	v_xor_b32_e32 v4, v4, v3
	v_sub_co_u32_e32 v5, vcc, v4, v3
	v_subb_co_u32_e32 v6, vcc, v6, v3, vcc
.LBB79_915:
	s_mov_b64 s[18:19], 0
.LBB79_916:
	s_andn2_b64 vcc, exec, s[18:19]
	s_cbranch_vccnz .LBB79_918
; %bb.917:
	global_load_dword v3, v[1:2], off
	s_waitcnt vmcnt(0)
	v_cvt_f32_f16_e32 v3, v3
	v_cvt_i32_f32_e32 v5, v3
	v_ashrrev_i32_e32 v6, 31, v5
.LBB79_918:
	s_cbranch_execnz .LBB79_929
.LBB79_919:
	s_sext_i32_i16 s18, s78
	s_cmp_lt_i32 s18, 6
	s_cbranch_scc1 .LBB79_922
; %bb.920:
	s_cmp_gt_i32 s18, 6
	s_cbranch_scc0 .LBB79_923
; %bb.921:
	global_load_dwordx2 v[3:4], v[1:2], off
	s_movk_i32 s18, 0xffe0
	s_waitcnt vmcnt(0)
	v_trunc_f64_e32 v[3:4], v[3:4]
	v_ldexp_f64 v[5:6], v[3:4], s18
	s_mov_b32 s18, 0
	s_mov_b32 s19, 0xc1f00000
	v_floor_f64_e32 v[5:6], v[5:6]
	v_fma_f64 v[3:4], v[5:6], s[18:19], v[3:4]
	v_cvt_i32_f64_e32 v6, v[5:6]
	s_mov_b64 s[18:19], 0
	v_cvt_u32_f64_e32 v5, v[3:4]
	s_branch .LBB79_924
.LBB79_922:
	s_mov_b64 s[18:19], -1
                                        ; implicit-def: $vgpr5_vgpr6
	s_branch .LBB79_927
.LBB79_923:
	s_mov_b64 s[18:19], -1
                                        ; implicit-def: $vgpr5_vgpr6
.LBB79_924:
	s_andn2_b64 vcc, exec, s[18:19]
	s_cbranch_vccnz .LBB79_926
; %bb.925:
	global_load_dword v3, v[1:2], off
	s_mov_b32 s18, 0x2f800000
	s_mov_b32 s19, 0xcf800000
	s_waitcnt vmcnt(0)
	v_trunc_f32_e32 v3, v3
	v_mul_f32_e64 v4, |v3|, s18
	v_floor_f32_e32 v4, v4
	v_cvt_u32_f32_e32 v5, v4
	v_fma_f32 v4, v4, s19, |v3|
	v_cvt_u32_f32_e32 v4, v4
	v_ashrrev_i32_e32 v3, 31, v3
	v_xor_b32_e32 v6, v5, v3
	v_xor_b32_e32 v4, v4, v3
	v_sub_co_u32_e32 v5, vcc, v4, v3
	v_subb_co_u32_e32 v6, vcc, v6, v3, vcc
.LBB79_926:
	s_mov_b64 s[18:19], 0
.LBB79_927:
	s_andn2_b64 vcc, exec, s[18:19]
	s_cbranch_vccnz .LBB79_929
; %bb.928:
	global_load_ushort v3, v[1:2], off
	s_waitcnt vmcnt(0)
	v_cvt_f32_f16_e32 v3, v3
	v_cvt_i32_f32_e32 v5, v3
	v_ashrrev_i32_e32 v6, 31, v5
.LBB79_929:
	s_cbranch_execnz .LBB79_948
.LBB79_930:
	s_sext_i32_i16 s18, s78
	s_cmp_lt_i32 s18, 2
	s_cbranch_scc1 .LBB79_934
; %bb.931:
	s_cmp_lt_i32 s18, 3
	s_cbranch_scc1 .LBB79_935
; %bb.932:
	s_cmp_gt_i32 s18, 3
	s_cbranch_scc0 .LBB79_936
; %bb.933:
	global_load_dwordx2 v[5:6], v[1:2], off
	s_mov_b64 s[18:19], 0
	s_branch .LBB79_937
.LBB79_934:
                                        ; implicit-def: $vgpr5_vgpr6
	s_branch .LBB79_943
.LBB79_935:
	s_mov_b64 s[18:19], -1
                                        ; implicit-def: $vgpr5_vgpr6
	s_branch .LBB79_940
.LBB79_936:
	s_mov_b64 s[18:19], -1
                                        ; implicit-def: $vgpr5_vgpr6
.LBB79_937:
	s_andn2_b64 vcc, exec, s[18:19]
	s_cbranch_vccnz .LBB79_939
; %bb.938:
	global_load_dword v5, v[1:2], off
	s_waitcnt vmcnt(0)
	v_ashrrev_i32_e32 v6, 31, v5
.LBB79_939:
	s_mov_b64 s[18:19], 0
.LBB79_940:
	s_andn2_b64 vcc, exec, s[18:19]
	s_cbranch_vccnz .LBB79_942
; %bb.941:
	global_load_ushort v3, v[1:2], off
	s_waitcnt vmcnt(0)
	v_bfe_i32 v5, v3, 0, 16
	v_ashrrev_i32_e32 v6, 31, v5
.LBB79_942:
	s_cbranch_execnz .LBB79_948
.LBB79_943:
	s_sext_i32_i16 s18, s78
	s_cmp_gt_i32 s18, 0
	s_cbranch_scc0 .LBB79_945
; %bb.944:
	global_load_sbyte v3, v[1:2], off
	s_mov_b64 s[18:19], 0
	s_waitcnt vmcnt(0)
	v_bfe_i32 v5, v3, 0, 16
	v_ashrrev_i32_e32 v6, 31, v5
	s_branch .LBB79_946
.LBB79_945:
	s_mov_b64 s[18:19], -1
                                        ; implicit-def: $vgpr5_vgpr6
.LBB79_946:
	s_andn2_b64 vcc, exec, s[18:19]
	s_cbranch_vccnz .LBB79_948
; %bb.947:
	global_load_ubyte v1, v[1:2], off
	s_mov_b32 s18, 0
	s_waitcnt vmcnt(1)
	v_mov_b32_e32 v6, s18
	s_waitcnt vmcnt(0)
	v_and_b32_e32 v5, 0xffff, v1
.LBB79_948:
	s_or_b64 s[16:17], s[16:17], exec
.LBB79_949:
	s_or_b64 exec, exec, s[10:11]
	s_mov_b64 s[20:21], 0
	s_mov_b64 s[18:19], 0
                                        ; implicit-def: $sgpr22
                                        ; implicit-def: $vgpr3_vgpr4
                                        ; implicit-def: $vgpr1_vgpr2
	s_and_saveexec_b64 s[10:11], s[16:17]
	s_cbranch_execz .LBB79_957
; %bb.950:
	v_mov_b32_e32 v1, s15
	s_waitcnt vmcnt(0)
	v_cndmask_b32_e64 v2, v1, v6, s[0:1]
	v_mov_b32_e32 v1, s14
	v_mov_b32_e32 v4, s9
	s_and_b32 s22, s77, 0xff
	v_add_co_u32_e32 v3, vcc, s8, v0
	v_cndmask_b32_e64 v1, v1, v5, s[0:1]
	s_cmp_lt_i32 s22, 11
	v_addc_co_u32_e32 v4, vcc, 0, v4, vcc
	s_cbranch_scc1 .LBB79_960
; %bb.951:
	s_and_b32 s20, 0xffff, s22
	s_mov_b64 s[14:15], -1
	s_cmp_gt_i32 s20, 25
	s_mov_b64 s[0:1], s[12:13]
	s_cbranch_scc0 .LBB79_988
; %bb.952:
	s_mov_b64 s[8:9], -1
	s_cmp_gt_i32 s20, 28
	s_mov_b64 s[0:1], s[12:13]
	s_cbranch_scc0 .LBB79_972
; %bb.953:
	s_cmp_gt_i32 s20, 43
	s_mov_b64 s[0:1], s[12:13]
	s_cbranch_scc0 .LBB79_968
; %bb.954:
	s_cmp_gt_i32 s20, 45
	s_mov_b64 s[0:1], s[12:13]
	s_cbranch_scc0 .LBB79_962
; %bb.955:
	s_cmp_eq_u32 s20, 46
	s_mov_b64 s[0:1], -1
	s_cbranch_scc0 .LBB79_961
; %bb.956:
	v_xor_b32_e32 v5, v1, v2
	v_ffbh_i32_e32 v0, v2
	v_ashrrev_i32_e32 v5, 31, v5
	v_add_u32_e32 v0, -1, v0
	v_add_u32_e32 v5, 32, v5
	v_min_u32_e32 v0, v0, v5
	v_lshlrev_b64 v[5:6], v0, v[1:2]
	v_sub_u32_e32 v0, 32, v0
	v_min_u32_e32 v5, 1, v5
	v_or_b32_e32 v5, v6, v5
	v_cvt_f32_i32_e32 v5, v5
	s_movk_i32 s0, 0x7fff
	s_mov_b64 s[8:9], 0
	v_ldexp_f32 v0, v5, v0
	v_bfe_u32 v5, v0, 16, 1
	v_add3_u32 v0, v0, v5, s0
	v_lshrrev_b32_e32 v0, 16, v0
	global_store_dword v[3:4], v0, off
	s_mov_b64 s[0:1], 0
	s_branch .LBB79_962
.LBB79_957:
	s_or_b64 exec, exec, s[10:11]
	s_and_saveexec_b64 s[0:1], s[12:13]
	s_cbranch_execnz .LBB79_1030
.LBB79_958:
	s_or_b64 exec, exec, s[0:1]
	s_and_saveexec_b64 s[0:1], s[20:21]
	s_xor_b64 s[0:1], exec, s[0:1]
	s_cbranch_execz .LBB79_1031
.LBB79_959:
	v_cmp_ne_u64_e32 vcc, 0, v[1:2]
	v_cndmask_b32_e64 v0, 0, 1, vcc
	s_waitcnt vmcnt(0)
	global_store_byte v[3:4], v0, off
	s_or_b64 exec, exec, s[0:1]
	s_and_saveexec_b64 s[0:1], s[18:19]
	s_xor_b64 s[0:1], exec, s[0:1]
	s_cbranch_execz .LBB79_1069
	s_branch .LBB79_1032
.LBB79_960:
	s_mov_b64 s[14:15], 0
	s_mov_b64 s[8:9], -1
	s_mov_b64 s[0:1], s[12:13]
	s_branch .LBB79_1029
.LBB79_961:
	s_mov_b64 s[8:9], 0
.LBB79_962:
	s_and_b64 vcc, exec, s[8:9]
	s_cbranch_vccz .LBB79_967
; %bb.963:
	s_cmp_eq_u32 s20, 44
	s_mov_b64 s[0:1], -1
	s_cbranch_scc0 .LBB79_967
; %bb.964:
	v_xor_b32_e32 v5, v1, v2
	v_ffbh_i32_e32 v0, v2
	v_ashrrev_i32_e32 v5, 31, v5
	v_add_u32_e32 v0, -1, v0
	v_add_u32_e32 v5, 32, v5
	v_min_u32_e32 v0, v0, v5
	v_lshlrev_b64 v[5:6], v0, v[1:2]
	v_sub_u32_e32 v0, 32, v0
	v_min_u32_e32 v5, 1, v5
	v_or_b32_e32 v5, v6, v5
	v_cvt_f32_i32_e32 v5, v5
	s_movk_i32 s0, 0xff
	v_mov_b32_e32 v6, 0xff
	v_ldexp_f32 v0, v5, v0
	v_bfe_u32 v5, v0, 23, 8
	v_cmp_ne_u32_e32 vcc, s0, v5
	s_and_saveexec_b64 s[8:9], vcc
; %bb.965:
	s_mov_b32 s0, 0x3fffff
	v_lshrrev_b32_e32 v6, 23, v0
	v_and_b32_e32 v7, 0x400000, v0
	v_and_or_b32 v0, v0, s0, v5
	v_cmp_ne_u32_e32 vcc, 0, v7
	v_cmp_ne_u32_e64 s[0:1], 0, v0
	s_and_b64 s[0:1], vcc, s[0:1]
	v_cndmask_b32_e64 v0, 0, 1, s[0:1]
	v_add_u32_e32 v6, v6, v0
; %bb.966:
	s_or_b64 exec, exec, s[8:9]
	s_mov_b64 s[0:1], 0
	global_store_byte v[3:4], v6, off
.LBB79_967:
	s_mov_b64 s[8:9], 0
.LBB79_968:
	s_and_b64 vcc, exec, s[8:9]
	s_cbranch_vccz .LBB79_971
; %bb.969:
	s_cmp_eq_u32 s20, 29
	s_mov_b64 s[0:1], -1
	s_cbranch_scc0 .LBB79_971
; %bb.970:
	global_store_dwordx2 v[3:4], v[1:2], off
	s_mov_b64 s[0:1], 0
.LBB79_971:
	s_mov_b64 s[8:9], 0
.LBB79_972:
	s_and_b64 vcc, exec, s[8:9]
	s_cbranch_vccz .LBB79_987
; %bb.973:
	s_cmp_lt_i32 s20, 27
	s_mov_b64 s[8:9], -1
	s_cbranch_scc1 .LBB79_979
; %bb.974:
	s_cmp_gt_i32 s20, 27
	s_cbranch_scc0 .LBB79_976
; %bb.975:
	s_mov_b64 s[8:9], 0
	global_store_dword v[3:4], v1, off
.LBB79_976:
	s_andn2_b64 vcc, exec, s[8:9]
	s_cbranch_vccnz .LBB79_978
; %bb.977:
	global_store_short v[3:4], v1, off
.LBB79_978:
	s_mov_b64 s[8:9], 0
.LBB79_979:
	s_andn2_b64 vcc, exec, s[8:9]
	s_cbranch_vccnz .LBB79_987
; %bb.980:
	v_xor_b32_e32 v5, v1, v2
	v_ffbh_i32_e32 v0, v2
	v_ashrrev_i32_e32 v5, 31, v5
	v_add_u32_e32 v0, -1, v0
	v_add_u32_e32 v5, 32, v5
	v_min_u32_e32 v0, v0, v5
	v_lshlrev_b64 v[5:6], v0, v[1:2]
	v_sub_u32_e32 v0, 32, v0
	v_min_u32_e32 v5, 1, v5
	v_or_b32_e32 v5, v6, v5
	v_cvt_f32_i32_e32 v5, v5
	s_mov_b32 s8, 0x43800000
	v_mov_b32_e32 v6, 0x80
	v_ldexp_f32 v0, v5, v0
	v_and_b32_e32 v5, 0x7fffffff, v0
	v_cmp_gt_u32_e32 vcc, s8, v5
	s_and_saveexec_b64 s[8:9], vcc
	s_cbranch_execz .LBB79_986
; %bb.981:
	s_mov_b32 s14, 0x3bffffff
	v_cmp_lt_u32_e32 vcc, s14, v5
	s_mov_b64 s[14:15], 0
                                        ; implicit-def: $vgpr5
	s_and_saveexec_b64 s[16:17], vcc
	s_xor_b64 s[16:17], exec, s[16:17]
	s_cbranch_execz .LBB79_1140
; %bb.982:
	v_bfe_u32 v5, v0, 20, 1
	s_mov_b32 s18, 0x487ffff
	v_add3_u32 v5, v0, v5, s18
	s_mov_b64 s[14:15], exec
	v_lshrrev_b32_e32 v5, 20, v5
	s_andn2_saveexec_b64 s[16:17], s[16:17]
	s_cbranch_execnz .LBB79_1141
.LBB79_983:
	s_or_b64 exec, exec, s[16:17]
	v_mov_b32_e32 v6, 0
	s_and_saveexec_b64 s[16:17], s[14:15]
.LBB79_984:
	v_lshrrev_b32_e32 v0, 24, v0
	s_movk_i32 s14, 0x80
	v_and_or_b32 v6, v0, s14, v5
.LBB79_985:
	s_or_b64 exec, exec, s[16:17]
.LBB79_986:
	s_or_b64 exec, exec, s[8:9]
	global_store_byte v[3:4], v6, off
.LBB79_987:
	s_mov_b64 s[14:15], 0
.LBB79_988:
	s_mov_b64 s[8:9], 0
	s_and_b64 vcc, exec, s[14:15]
	s_cbranch_vccz .LBB79_1028
; %bb.989:
	s_cmp_gt_i32 s20, 22
	s_mov_b64 s[14:15], -1
	s_cbranch_scc0 .LBB79_1021
; %bb.990:
	s_cmp_lt_i32 s20, 24
	s_cbranch_scc1 .LBB79_1010
; %bb.991:
	s_cmp_gt_i32 s20, 24
	s_cbranch_scc0 .LBB79_999
; %bb.992:
	v_xor_b32_e32 v5, v1, v2
	v_ffbh_i32_e32 v0, v2
	v_ashrrev_i32_e32 v5, 31, v5
	v_add_u32_e32 v0, -1, v0
	v_add_u32_e32 v5, 32, v5
	v_min_u32_e32 v0, v0, v5
	v_lshlrev_b64 v[5:6], v0, v[1:2]
	v_sub_u32_e32 v0, 32, v0
	v_min_u32_e32 v5, 1, v5
	v_or_b32_e32 v5, v6, v5
	v_cvt_f32_i32_e32 v5, v5
	s_mov_b32 s14, 0x47800000
	v_mov_b32_e32 v6, 0x80
	v_ldexp_f32 v0, v5, v0
	v_and_b32_e32 v5, 0x7fffffff, v0
	v_cmp_gt_u32_e32 vcc, s14, v5
	s_and_saveexec_b64 s[14:15], vcc
	s_cbranch_execz .LBB79_998
; %bb.993:
	s_mov_b32 s16, 0x37ffffff
	v_cmp_lt_u32_e32 vcc, s16, v5
	s_mov_b64 s[16:17], 0
                                        ; implicit-def: $vgpr5
	s_and_saveexec_b64 s[18:19], vcc
	s_xor_b64 s[18:19], exec, s[18:19]
	s_cbranch_execz .LBB79_1260
; %bb.994:
	v_bfe_u32 v5, v0, 21, 1
	s_mov_b32 s21, 0x88fffff
	v_add3_u32 v5, v0, v5, s21
	s_mov_b64 s[16:17], exec
	v_lshrrev_b32_e32 v5, 21, v5
	s_andn2_saveexec_b64 s[18:19], s[18:19]
	s_cbranch_execnz .LBB79_1261
.LBB79_995:
	s_or_b64 exec, exec, s[18:19]
	v_mov_b32_e32 v6, 0
	s_and_saveexec_b64 s[18:19], s[16:17]
.LBB79_996:
	v_lshrrev_b32_e32 v0, 24, v0
	s_movk_i32 s16, 0x80
	v_and_or_b32 v6, v0, s16, v5
.LBB79_997:
	s_or_b64 exec, exec, s[18:19]
.LBB79_998:
	s_or_b64 exec, exec, s[14:15]
	s_mov_b64 s[14:15], 0
	global_store_byte v[3:4], v6, off
.LBB79_999:
	s_and_b64 vcc, exec, s[14:15]
	s_cbranch_vccz .LBB79_1009
; %bb.1000:
	v_xor_b32_e32 v5, v1, v2
	v_ffbh_i32_e32 v0, v2
	v_ashrrev_i32_e32 v5, 31, v5
	v_add_u32_e32 v0, -1, v0
	v_add_u32_e32 v5, 32, v5
	v_min_u32_e32 v0, v0, v5
	v_lshlrev_b64 v[5:6], v0, v[1:2]
	v_sub_u32_e32 v0, 32, v0
	v_min_u32_e32 v5, 1, v5
	v_or_b32_e32 v5, v6, v5
	v_cvt_f32_i32_e32 v5, v5
	s_mov_b32 s14, 0x43f00000
	v_ldexp_f32 v0, v5, v0
	v_and_b32_e32 v6, 0x7fffffff, v0
	v_cmp_gt_u32_e32 vcc, s14, v6
                                        ; implicit-def: $vgpr5
	s_and_saveexec_b64 s[14:15], vcc
	s_xor_b64 s[14:15], exec, s[14:15]
	s_cbranch_execz .LBB79_1006
; %bb.1001:
	s_mov_b32 s16, 0x3c7fffff
	v_cmp_lt_u32_e32 vcc, s16, v6
                                        ; implicit-def: $vgpr5
	s_and_saveexec_b64 s[16:17], vcc
	s_xor_b64 s[16:17], exec, s[16:17]
; %bb.1002:
	v_bfe_u32 v5, v0, 20, 1
	s_mov_b32 s18, 0x407ffff
	v_add3_u32 v5, v0, v5, s18
	v_lshrrev_b32_e32 v6, 20, v5
	v_and_b32_e32 v5, 0xff00000, v5
	s_mov_b32 s18, 0x7f00000
	v_mov_b32_e32 v7, 0x7e
	v_cmp_ne_u32_e32 vcc, s18, v5
	v_cndmask_b32_e32 v5, v7, v6, vcc
; %bb.1003:
	s_andn2_saveexec_b64 s[16:17], s[16:17]
; %bb.1004:
	s_mov_b32 s18, 0x46800000
	v_add_f32_e64 v5, |v0|, s18
; %bb.1005:
	s_or_b64 exec, exec, s[16:17]
                                        ; implicit-def: $vgpr6
.LBB79_1006:
	s_andn2_saveexec_b64 s[14:15], s[14:15]
; %bb.1007:
	s_mov_b32 s16, 0x7f800000
	v_mov_b32_e32 v5, 0x7e
	v_mov_b32_e32 v7, 0x7f
	v_cmp_lt_u32_e32 vcc, s16, v6
	v_cndmask_b32_e32 v5, v5, v7, vcc
; %bb.1008:
	s_or_b64 exec, exec, s[14:15]
	v_lshrrev_b32_e32 v0, 24, v0
	s_movk_i32 s14, 0x80
	v_and_or_b32 v0, v0, s14, v5
	global_store_byte v[3:4], v0, off
.LBB79_1009:
	s_mov_b64 s[14:15], 0
.LBB79_1010:
	s_andn2_b64 vcc, exec, s[14:15]
	s_cbranch_vccnz .LBB79_1020
; %bb.1011:
	v_xor_b32_e32 v5, v1, v2
	v_ffbh_i32_e32 v0, v2
	v_ashrrev_i32_e32 v5, 31, v5
	v_add_u32_e32 v0, -1, v0
	v_add_u32_e32 v5, 32, v5
	v_min_u32_e32 v0, v0, v5
	v_lshlrev_b64 v[5:6], v0, v[1:2]
	v_sub_u32_e32 v0, 32, v0
	v_min_u32_e32 v5, 1, v5
	v_or_b32_e32 v5, v6, v5
	v_cvt_f32_i32_e32 v5, v5
	s_mov_b32 s14, 0x47800000
	v_ldexp_f32 v0, v5, v0
	v_and_b32_e32 v6, 0x7fffffff, v0
	v_cmp_gt_u32_e32 vcc, s14, v6
                                        ; implicit-def: $vgpr5
	s_and_saveexec_b64 s[14:15], vcc
	s_xor_b64 s[14:15], exec, s[14:15]
	s_cbranch_execz .LBB79_1017
; %bb.1012:
	s_mov_b32 s16, 0x387fffff
	v_cmp_lt_u32_e32 vcc, s16, v6
                                        ; implicit-def: $vgpr5
	s_and_saveexec_b64 s[16:17], vcc
	s_xor_b64 s[16:17], exec, s[16:17]
; %bb.1013:
	v_bfe_u32 v5, v0, 21, 1
	s_mov_b32 s18, 0x80fffff
	v_add3_u32 v5, v0, v5, s18
	v_lshrrev_b32_e32 v5, 21, v5
; %bb.1014:
	s_andn2_saveexec_b64 s[16:17], s[16:17]
; %bb.1015:
	s_mov_b32 s18, 0x43000000
	v_add_f32_e64 v5, |v0|, s18
; %bb.1016:
	s_or_b64 exec, exec, s[16:17]
                                        ; implicit-def: $vgpr6
.LBB79_1017:
	s_andn2_saveexec_b64 s[14:15], s[14:15]
; %bb.1018:
	s_mov_b32 s16, 0x7f800000
	v_mov_b32_e32 v5, 0x7c
	v_mov_b32_e32 v7, 0x7f
	v_cmp_lt_u32_e32 vcc, s16, v6
	v_cndmask_b32_e32 v5, v5, v7, vcc
; %bb.1019:
	s_or_b64 exec, exec, s[14:15]
	v_lshrrev_b32_e32 v0, 24, v0
	s_movk_i32 s14, 0x80
	v_and_or_b32 v0, v0, s14, v5
	global_store_byte v[3:4], v0, off
.LBB79_1020:
	s_mov_b64 s[14:15], 0
.LBB79_1021:
	s_andn2_b64 vcc, exec, s[14:15]
	s_mov_b64 s[14:15], 0
	s_cbranch_vccnz .LBB79_1029
; %bb.1022:
	s_cmp_gt_i32 s20, 14
	s_mov_b64 s[16:17], -1
	s_cbranch_scc0 .LBB79_1026
; %bb.1023:
	s_cmp_eq_u32 s20, 15
	s_mov_b64 s[0:1], -1
	s_cbranch_scc0 .LBB79_1025
; %bb.1024:
	v_xor_b32_e32 v5, v1, v2
	v_ffbh_i32_e32 v0, v2
	v_ashrrev_i32_e32 v5, 31, v5
	v_add_u32_e32 v0, -1, v0
	v_add_u32_e32 v5, 32, v5
	v_min_u32_e32 v0, v0, v5
	v_lshlrev_b64 v[5:6], v0, v[1:2]
	v_sub_u32_e32 v0, 32, v0
	v_min_u32_e32 v5, 1, v5
	v_or_b32_e32 v5, v6, v5
	v_cvt_f32_i32_e32 v5, v5
	s_movk_i32 s0, 0x7fff
	v_ldexp_f32 v0, v5, v0
	v_bfe_u32 v5, v0, 16, 1
	v_add3_u32 v0, v0, v5, s0
	global_store_short_d16_hi v[3:4], v0, off
	s_mov_b64 s[0:1], 0
.LBB79_1025:
	s_mov_b64 s[16:17], 0
.LBB79_1026:
	s_and_b64 vcc, exec, s[16:17]
	s_cbranch_vccz .LBB79_1029
; %bb.1027:
	s_cmp_lg_u32 s20, 11
	s_cselect_b64 s[16:17], -1, 0
	s_andn2_b64 s[0:1], s[0:1], exec
	s_and_b64 s[16:17], s[16:17], exec
	s_mov_b64 s[14:15], -1
	s_or_b64 s[0:1], s[0:1], s[16:17]
	s_branch .LBB79_1029
.LBB79_1028:
	s_mov_b64 s[14:15], 0
.LBB79_1029:
	s_and_b64 s[18:19], s[8:9], exec
	s_andn2_b64 s[8:9], s[12:13], exec
	s_and_b64 s[0:1], s[0:1], exec
	s_and_b64 s[20:21], s[14:15], exec
	s_or_b64 s[12:13], s[8:9], s[0:1]
	s_or_b64 exec, exec, s[10:11]
	s_and_saveexec_b64 s[0:1], s[12:13]
	s_cbranch_execz .LBB79_958
.LBB79_1030:
	s_or_b64 s[2:3], s[2:3], exec
	s_andn2_b64 s[20:21], s[20:21], exec
	s_trap 2
	s_or_b64 exec, exec, s[0:1]
	s_and_saveexec_b64 s[0:1], s[20:21]
	s_xor_b64 s[0:1], exec, s[0:1]
	s_cbranch_execnz .LBB79_959
.LBB79_1031:
	s_or_b64 exec, exec, s[0:1]
	s_and_saveexec_b64 s[0:1], s[18:19]
	s_xor_b64 s[0:1], exec, s[0:1]
	s_cbranch_execz .LBB79_1069
.LBB79_1032:
	s_sext_i32_i16 s10, s22
	s_cmp_lt_i32 s10, 5
	s_mov_b64 s[8:9], -1
	s_cbranch_scc1 .LBB79_1053
; %bb.1033:
	s_cmp_lt_i32 s10, 8
	s_cbranch_scc1 .LBB79_1043
; %bb.1034:
	s_cmp_lt_i32 s10, 9
	s_cbranch_scc1 .LBB79_1040
; %bb.1035:
	s_cmp_gt_i32 s10, 9
	s_cbranch_scc0 .LBB79_1037
; %bb.1036:
	s_waitcnt vmcnt(0)
	v_cvt_f64_i32_e32 v[5:6], v2
	v_cvt_f64_u32_e32 v[7:8], v1
	s_mov_b64 s[8:9], 0
	v_ldexp_f64 v[5:6], v[5:6], 32
	v_add_f64 v[5:6], v[5:6], v[7:8]
	v_mov_b32_e32 v7, 0
	v_mov_b32_e32 v8, v7
	global_store_dwordx4 v[3:4], v[5:8], off
.LBB79_1037:
	s_andn2_b64 vcc, exec, s[8:9]
	s_cbranch_vccnz .LBB79_1039
; %bb.1038:
	s_waitcnt vmcnt(0)
	v_xor_b32_e32 v5, v1, v2
	v_ffbh_i32_e32 v0, v2
	v_ashrrev_i32_e32 v5, 31, v5
	v_add_u32_e32 v0, -1, v0
	v_add_u32_e32 v5, 32, v5
	v_min_u32_e32 v0, v0, v5
	v_lshlrev_b64 v[5:6], v0, v[1:2]
	v_sub_u32_e32 v0, 32, v0
	v_min_u32_e32 v5, 1, v5
	v_or_b32_e32 v5, v6, v5
	v_cvt_f32_i32_e32 v5, v5
	v_mov_b32_e32 v6, 0
	v_ldexp_f32 v5, v5, v0
	global_store_dwordx2 v[3:4], v[5:6], off
.LBB79_1039:
	s_mov_b64 s[8:9], 0
.LBB79_1040:
	s_andn2_b64 vcc, exec, s[8:9]
	s_cbranch_vccnz .LBB79_1042
; %bb.1041:
	s_waitcnt vmcnt(0)
	v_xor_b32_e32 v5, v1, v2
	v_ffbh_i32_e32 v0, v2
	v_ashrrev_i32_e32 v5, 31, v5
	v_add_u32_e32 v0, -1, v0
	v_add_u32_e32 v5, 32, v5
	v_min_u32_e32 v0, v0, v5
	v_lshlrev_b64 v[5:6], v0, v[1:2]
	v_sub_u32_e32 v0, 32, v0
	v_min_u32_e32 v5, 1, v5
	v_or_b32_e32 v5, v6, v5
	v_cvt_f32_i32_e32 v5, v5
	v_ldexp_f32 v0, v5, v0
	v_cvt_f16_f32_e32 v0, v0
	global_store_dword v[3:4], v0, off
.LBB79_1042:
	s_mov_b64 s[8:9], 0
.LBB79_1043:
	s_andn2_b64 vcc, exec, s[8:9]
	s_cbranch_vccnz .LBB79_1052
; %bb.1044:
	s_sext_i32_i16 s10, s22
	s_cmp_lt_i32 s10, 6
	s_mov_b64 s[8:9], -1
	s_cbranch_scc1 .LBB79_1050
; %bb.1045:
	s_cmp_gt_i32 s10, 6
	s_cbranch_scc0 .LBB79_1047
; %bb.1046:
	s_waitcnt vmcnt(0)
	v_cvt_f64_i32_e32 v[5:6], v2
	v_cvt_f64_u32_e32 v[7:8], v1
	s_mov_b64 s[8:9], 0
	v_ldexp_f64 v[5:6], v[5:6], 32
	v_add_f64 v[5:6], v[5:6], v[7:8]
	global_store_dwordx2 v[3:4], v[5:6], off
.LBB79_1047:
	s_andn2_b64 vcc, exec, s[8:9]
	s_cbranch_vccnz .LBB79_1049
; %bb.1048:
	s_waitcnt vmcnt(0)
	v_xor_b32_e32 v5, v1, v2
	v_ffbh_i32_e32 v0, v2
	v_ashrrev_i32_e32 v5, 31, v5
	v_add_u32_e32 v0, -1, v0
	v_add_u32_e32 v5, 32, v5
	v_min_u32_e32 v0, v0, v5
	v_lshlrev_b64 v[5:6], v0, v[1:2]
	v_sub_u32_e32 v0, 32, v0
	v_min_u32_e32 v5, 1, v5
	v_or_b32_e32 v5, v6, v5
	v_cvt_f32_i32_e32 v5, v5
	v_ldexp_f32 v0, v5, v0
	global_store_dword v[3:4], v0, off
.LBB79_1049:
	s_mov_b64 s[8:9], 0
.LBB79_1050:
	s_andn2_b64 vcc, exec, s[8:9]
	s_cbranch_vccnz .LBB79_1052
; %bb.1051:
	s_waitcnt vmcnt(0)
	v_xor_b32_e32 v5, v1, v2
	v_ffbh_i32_e32 v0, v2
	v_ashrrev_i32_e32 v5, 31, v5
	v_add_u32_e32 v0, -1, v0
	v_add_u32_e32 v5, 32, v5
	v_min_u32_e32 v0, v0, v5
	v_lshlrev_b64 v[5:6], v0, v[1:2]
	v_sub_u32_e32 v0, 32, v0
	v_min_u32_e32 v5, 1, v5
	v_or_b32_e32 v5, v6, v5
	v_cvt_f32_i32_e32 v5, v5
	v_ldexp_f32 v0, v5, v0
	v_cvt_f16_f32_e32 v0, v0
	global_store_short v[3:4], v0, off
.LBB79_1052:
	s_mov_b64 s[8:9], 0
.LBB79_1053:
	s_andn2_b64 vcc, exec, s[8:9]
	s_cbranch_vccnz .LBB79_1069
; %bb.1054:
	s_sext_i32_i16 s10, s22
	s_cmp_lt_i32 s10, 2
	s_mov_b64 s[8:9], -1
	s_cbranch_scc1 .LBB79_1064
; %bb.1055:
	s_cmp_lt_i32 s10, 3
	s_cbranch_scc1 .LBB79_1061
; %bb.1056:
	s_cmp_gt_i32 s10, 3
	s_cbranch_scc0 .LBB79_1058
; %bb.1057:
	s_mov_b64 s[8:9], 0
	s_waitcnt vmcnt(0)
	global_store_dwordx2 v[3:4], v[1:2], off
.LBB79_1058:
	s_andn2_b64 vcc, exec, s[8:9]
	s_cbranch_vccnz .LBB79_1060
; %bb.1059:
	s_waitcnt vmcnt(0)
	global_store_dword v[3:4], v1, off
.LBB79_1060:
	s_mov_b64 s[8:9], 0
.LBB79_1061:
	s_andn2_b64 vcc, exec, s[8:9]
	s_cbranch_vccnz .LBB79_1063
; %bb.1062:
	s_waitcnt vmcnt(0)
	global_store_short v[3:4], v1, off
.LBB79_1063:
	s_mov_b64 s[8:9], 0
.LBB79_1064:
	s_andn2_b64 vcc, exec, s[8:9]
	s_cbranch_vccnz .LBB79_1069
; %bb.1065:
	s_sext_i32_i16 s8, s22
	s_cmp_gt_i32 s8, 0
	s_mov_b64 s[8:9], -1
	s_cbranch_scc0 .LBB79_1067
; %bb.1066:
	s_mov_b64 s[8:9], 0
	s_waitcnt vmcnt(0)
	global_store_byte v[3:4], v1, off
.LBB79_1067:
	s_andn2_b64 vcc, exec, s[8:9]
	s_cbranch_vccnz .LBB79_1069
; %bb.1068:
	s_waitcnt vmcnt(0)
	global_store_byte v[3:4], v1, off
.LBB79_1069:
	s_or_b64 exec, exec, s[0:1]
	s_and_b64 s[28:29], s[2:3], exec
                                        ; implicit-def: $vgpr15
                                        ; implicit-def: $vgpr11
.LBB79_1070:
	s_or_saveexec_b64 s[30:31], s[50:51]
	s_mov_b64 s[0:1], 0
                                        ; implicit-def: $vgpr0_vgpr1
                                        ; implicit-def: $sgpr18
                                        ; implicit-def: $vgpr2_vgpr3
	s_xor_b64 exec, exec, s[30:31]
	s_cbranch_execz .LBB79_2057
; %bb.1071:
	v_cndmask_b32_e64 v0, 0, 1, s[48:49]
	v_cmp_ne_u32_e64 s[0:1], 1, v0
	s_andn2_b64 vcc, exec, s[48:49]
	s_cbranch_vccnz .LBB79_1077
; %bb.1072:
	s_cmp_lg_u32 s33, 0
	s_mov_b32 s36, 0
	s_cbranch_scc0 .LBB79_1078
; %bb.1073:
	s_min_u32 s37, s76, 15
	s_add_i32 s37, s37, 1
	s_cmp_eq_u32 s76, 2
	s_cbranch_scc1 .LBB79_1079
; %bb.1074:
	s_and_b32 s36, s37, 28
	s_add_u32 s2, s34, 0xc4
	s_addc_u32 s3, s35, 0
	v_mov_b32_e32 v8, 0
	s_mov_b32 s38, 0
	s_mov_b64 s[6:7], s[34:35]
	s_waitcnt vmcnt(0)
	v_mov_b32_e32 v6, 0
	v_mov_b32_e32 v0, v11
.LBB79_1075:                            ; =>This Inner Loop Header: Depth=1
	s_load_dwordx8 s[16:23], s[6:7], 0x4
	s_load_dwordx4 s[24:27], s[6:7], 0x24
	s_load_dwordx8 s[8:15], s[2:3], 0x0
	s_add_u32 s6, s6, 48
	s_addc_u32 s7, s7, 0
	s_waitcnt lgkmcnt(0)
	v_mul_hi_u32 v1, s17, v0
	s_add_i32 s38, s38, 4
	s_add_u32 s2, s2, 32
	s_addc_u32 s3, s3, 0
	v_add_u32_e32 v1, v0, v1
	v_lshrrev_b32_e32 v1, s18, v1
	v_mul_lo_u32 v2, v1, s16
	v_mul_hi_u32 v3, s20, v1
	s_cmp_lg_u32 s36, s38
	v_sub_u32_e32 v0, v0, v2
	v_add_u32_e32 v2, v1, v3
	v_mul_lo_u32 v3, v0, s8
	v_mul_lo_u32 v4, v0, s9
	v_lshrrev_b32_e32 v0, s21, v2
	v_mul_lo_u32 v2, v0, s19
	v_mul_hi_u32 v5, s23, v0
	v_sub_u32_e32 v1, v1, v2
	v_add_u32_e32 v2, v0, v5
	v_lshrrev_b32_e32 v2, s24, v2
	v_mul_hi_u32 v7, s26, v2
	v_mul_lo_u32 v9, v2, s22
	v_mul_lo_u32 v5, v1, s10
	;; [unrolled: 1-line block ×3, first 2 shown]
	v_sub_u32_e32 v9, v0, v9
	v_add_u32_e32 v0, v2, v7
	v_lshrrev_b32_e32 v0, s27, v0
	v_mul_lo_u32 v7, v0, s25
	v_mul_lo_u32 v10, v9, s12
	;; [unrolled: 1-line block ×3, first 2 shown]
	v_add3_u32 v3, v3, v6, v5
	v_sub_u32_e32 v2, v2, v7
	v_mul_lo_u32 v7, v2, s14
	v_mul_lo_u32 v2, v2, s15
	v_add3_u32 v1, v4, v8, v1
	v_add3_u32 v6, v10, v3, v7
	;; [unrolled: 1-line block ×3, first 2 shown]
	s_cbranch_scc1 .LBB79_1075
; %bb.1076:
	s_and_b32 s8, s37, 3
	s_cmp_eq_u32 s8, 0
	s_cbranch_scc0 .LBB79_1080
	s_branch .LBB79_1082
.LBB79_1077:
                                        ; implicit-def: $vgpr6
                                        ; implicit-def: $vgpr8
	s_branch .LBB79_1083
.LBB79_1078:
	s_waitcnt vmcnt(0)
	v_mov_b32_e32 v6, 0
	v_mov_b32_e32 v8, 0
	s_branch .LBB79_1082
.LBB79_1079:
	s_waitcnt vmcnt(0)
	v_mov_b32_e32 v6, 0
	v_mov_b32_e32 v8, 0
	;; [unrolled: 1-line block ×3, first 2 shown]
	s_and_b32 s8, s37, 3
	s_cmp_eq_u32 s8, 0
	s_cbranch_scc1 .LBB79_1082
.LBB79_1080:
	s_lshl_b32 s2, s36, 3
	s_add_u32 s2, s34, s2
	s_addc_u32 s3, s35, 0
	s_add_u32 s2, s2, 0xc4
	s_addc_u32 s3, s3, 0
	s_mul_i32 s6, s36, 12
	s_add_u32 s6, s34, s6
	s_addc_u32 s7, s35, 0
.LBB79_1081:                            ; =>This Inner Loop Header: Depth=1
	s_load_dwordx2 s[10:11], s[6:7], 0x4
	s_load_dword s9, s[6:7], 0xc
	s_load_dwordx2 s[12:13], s[2:3], 0x0
	s_add_u32 s6, s6, 12
	s_addc_u32 s7, s7, 0
	s_waitcnt lgkmcnt(0)
	v_mul_hi_u32 v1, s11, v0
	s_add_u32 s2, s2, 8
	s_addc_u32 s3, s3, 0
	s_add_i32 s8, s8, -1
	v_add_u32_e32 v1, v0, v1
	v_lshrrev_b32_e32 v1, s9, v1
	v_mul_lo_u32 v2, v1, s10
	s_cmp_lg_u32 s8, 0
	v_sub_u32_e32 v0, v0, v2
	v_mad_u64_u32 v[6:7], s[10:11], v0, s12, v[6:7]
	v_mad_u64_u32 v[8:9], s[10:11], v0, s13, v[8:9]
	v_mov_b32_e32 v0, v1
	s_cbranch_scc1 .LBB79_1081
.LBB79_1082:
	s_cbranch_execnz .LBB79_1085
.LBB79_1083:
	s_load_dwordx4 s[8:11], s[34:35], 0x4
	s_load_dwordx2 s[2:3], s[34:35], 0xc4
	s_cmp_lt_u32 s33, 2
	s_waitcnt lgkmcnt(0)
	v_mul_hi_u32 v0, s9, v11
	v_add_u32_e32 v0, v11, v0
	v_lshrrev_b32_e32 v0, s10, v0
	v_mul_lo_u32 v1, v0, s8
	v_sub_u32_e32 v1, v11, v1
	s_waitcnt vmcnt(0)
	v_mul_lo_u32 v6, v1, s2
	v_mul_lo_u32 v8, v1, s3
	s_cbranch_scc1 .LBB79_1085
; %bb.1084:
	s_load_dwordx4 s[8:11], s[34:35], 0x10
	s_load_dwordx2 s[2:3], s[34:35], 0xcc
	s_waitcnt lgkmcnt(0)
	v_mul_hi_u32 v1, s9, v0
	v_add_u32_e32 v1, v0, v1
	v_lshrrev_b32_e32 v1, s10, v1
	v_mul_lo_u32 v1, v1, s8
	v_sub_u32_e32 v0, v0, v1
	v_mad_u64_u32 v[6:7], s[6:7], v0, s2, v[6:7]
	v_mad_u64_u32 v[8:9], s[2:3], v0, s3, v[8:9]
.LBB79_1085:
	s_and_b64 vcc, exec, s[0:1]
	v_add_u32_e32 v0, 0x80, v11
	s_cbranch_vccnz .LBB79_1091
; %bb.1086:
	s_cmp_lg_u32 s33, 0
	s_mov_b32 s36, 0
	s_cbranch_scc0 .LBB79_1092
; %bb.1087:
	s_min_u32 s37, s76, 15
	s_add_i32 s37, s37, 1
	s_cmp_eq_u32 s76, 2
	s_cbranch_scc1 .LBB79_1093
; %bb.1088:
	s_and_b32 s36, s37, 28
	s_add_u32 s2, s34, 0xc4
	s_addc_u32 s3, s35, 0
	v_mov_b32_e32 v9, 0
	s_mov_b32 s38, 0
	s_mov_b64 s[6:7], s[34:35]
	s_waitcnt vmcnt(0)
	v_mov_b32_e32 v4, 0
	v_mov_b32_e32 v1, v0
.LBB79_1089:                            ; =>This Inner Loop Header: Depth=1
	s_load_dwordx8 s[16:23], s[6:7], 0x4
	s_load_dwordx4 s[24:27], s[6:7], 0x24
	s_load_dwordx8 s[8:15], s[2:3], 0x0
	s_add_u32 s6, s6, 48
	s_addc_u32 s7, s7, 0
	s_waitcnt lgkmcnt(0)
	v_mul_hi_u32 v2, s17, v1
	s_add_i32 s38, s38, 4
	s_add_u32 s2, s2, 32
	s_addc_u32 s3, s3, 0
	v_add_u32_e32 v2, v1, v2
	v_lshrrev_b32_e32 v2, s18, v2
	v_mul_lo_u32 v3, v2, s16
	v_mul_hi_u32 v5, s20, v2
	s_cmp_lg_u32 s36, s38
	v_sub_u32_e32 v1, v1, v3
	v_add_u32_e32 v3, v2, v5
	v_mul_lo_u32 v5, v1, s8
	v_mul_lo_u32 v7, v1, s9
	v_lshrrev_b32_e32 v1, s21, v3
	v_mul_lo_u32 v3, v1, s19
	v_mul_hi_u32 v10, s23, v1
	v_sub_u32_e32 v2, v2, v3
	v_add_u32_e32 v3, v1, v10
	v_lshrrev_b32_e32 v3, s24, v3
	v_mul_hi_u32 v12, s26, v3
	v_mul_lo_u32 v13, v3, s22
	v_mul_lo_u32 v10, v2, s10
	;; [unrolled: 1-line block ×3, first 2 shown]
	v_sub_u32_e32 v13, v1, v13
	v_add_u32_e32 v1, v3, v12
	v_lshrrev_b32_e32 v1, s27, v1
	v_mul_lo_u32 v12, v1, s25
	v_mul_lo_u32 v14, v13, s12
	;; [unrolled: 1-line block ×3, first 2 shown]
	v_add3_u32 v4, v5, v4, v10
	v_sub_u32_e32 v3, v3, v12
	v_mul_lo_u32 v12, v3, s14
	v_mul_lo_u32 v3, v3, s15
	v_add3_u32 v2, v7, v9, v2
	v_add3_u32 v4, v14, v4, v12
	;; [unrolled: 1-line block ×3, first 2 shown]
	s_cbranch_scc1 .LBB79_1089
; %bb.1090:
	s_and_b32 s8, s37, 3
	s_cmp_eq_u32 s8, 0
	s_cbranch_scc0 .LBB79_1094
	s_branch .LBB79_1096
.LBB79_1091:
                                        ; implicit-def: $vgpr4
                                        ; implicit-def: $vgpr9
	s_branch .LBB79_1097
.LBB79_1092:
	s_waitcnt vmcnt(0)
	v_mov_b32_e32 v4, 0
	v_mov_b32_e32 v9, 0
	s_branch .LBB79_1096
.LBB79_1093:
	s_waitcnt vmcnt(0)
	v_mov_b32_e32 v4, 0
	v_mov_b32_e32 v9, 0
	;; [unrolled: 1-line block ×3, first 2 shown]
	s_and_b32 s8, s37, 3
	s_cmp_eq_u32 s8, 0
	s_cbranch_scc1 .LBB79_1096
.LBB79_1094:
	s_lshl_b32 s2, s36, 3
	s_add_u32 s2, s34, s2
	s_addc_u32 s3, s35, 0
	s_add_u32 s2, s2, 0xc4
	s_addc_u32 s3, s3, 0
	s_mul_i32 s6, s36, 12
	s_add_u32 s6, s34, s6
	s_addc_u32 s7, s35, 0
.LBB79_1095:                            ; =>This Inner Loop Header: Depth=1
	s_load_dwordx2 s[10:11], s[6:7], 0x4
	s_load_dword s9, s[6:7], 0xc
	s_load_dwordx2 s[12:13], s[2:3], 0x0
	s_add_u32 s6, s6, 12
	s_addc_u32 s7, s7, 0
	s_waitcnt lgkmcnt(0)
	v_mul_hi_u32 v2, s11, v1
	s_add_u32 s2, s2, 8
	s_addc_u32 s3, s3, 0
	s_add_i32 s8, s8, -1
	v_add_u32_e32 v2, v1, v2
	v_lshrrev_b32_e32 v2, s9, v2
	v_mul_lo_u32 v3, v2, s10
	s_cmp_lg_u32 s8, 0
	v_sub_u32_e32 v1, v1, v3
	v_mad_u64_u32 v[4:5], s[10:11], v1, s12, v[4:5]
	v_mad_u64_u32 v[9:10], s[10:11], v1, s13, v[9:10]
	v_mov_b32_e32 v1, v2
	s_cbranch_scc1 .LBB79_1095
.LBB79_1096:
	s_cbranch_execnz .LBB79_1099
.LBB79_1097:
	s_load_dwordx4 s[8:11], s[34:35], 0x4
	s_load_dwordx2 s[2:3], s[34:35], 0xc4
	s_cmp_lt_u32 s33, 2
	s_waitcnt lgkmcnt(0)
	v_mul_hi_u32 v1, s9, v0
	v_add_u32_e32 v1, v0, v1
	v_lshrrev_b32_e32 v1, s10, v1
	v_mul_lo_u32 v2, v1, s8
	v_sub_u32_e32 v0, v0, v2
	s_waitcnt vmcnt(0)
	v_mul_lo_u32 v4, v0, s2
	v_mul_lo_u32 v9, v0, s3
	s_cbranch_scc1 .LBB79_1099
; %bb.1098:
	s_load_dwordx4 s[8:11], s[34:35], 0x10
	s_load_dwordx2 s[2:3], s[34:35], 0xcc
	s_waitcnt lgkmcnt(0)
	v_mul_hi_u32 v0, s9, v1
	v_add_u32_e32 v0, v1, v0
	v_lshrrev_b32_e32 v0, s10, v0
	v_mul_lo_u32 v0, v0, s8
	v_sub_u32_e32 v0, v1, v0
	v_mad_u64_u32 v[4:5], s[6:7], v0, s2, v[4:5]
	v_mad_u64_u32 v[9:10], s[2:3], v0, s3, v[9:10]
.LBB79_1099:
	s_and_b64 vcc, exec, s[0:1]
	v_add_u32_e32 v0, 0x100, v11
	s_cbranch_vccnz .LBB79_1105
; %bb.1100:
	s_cmp_lg_u32 s33, 0
	s_mov_b32 s36, 0
	s_cbranch_scc0 .LBB79_1106
; %bb.1101:
	s_min_u32 s37, s76, 15
	s_add_i32 s37, s37, 1
	s_cmp_eq_u32 s76, 2
	s_cbranch_scc1 .LBB79_1107
; %bb.1102:
	s_and_b32 s36, s37, 28
	s_add_u32 s2, s34, 0xc4
	s_addc_u32 s3, s35, 0
	v_mov_b32_e32 v11, 0
	s_mov_b32 s38, 0
	s_mov_b64 s[6:7], s[34:35]
	v_mov_b32_e32 v2, 0
	v_mov_b32_e32 v1, v0
.LBB79_1103:                            ; =>This Inner Loop Header: Depth=1
	s_load_dwordx8 s[16:23], s[6:7], 0x4
	s_load_dwordx4 s[24:27], s[6:7], 0x24
	s_load_dwordx8 s[8:15], s[2:3], 0x0
	s_add_u32 s6, s6, 48
	s_addc_u32 s7, s7, 0
	s_waitcnt vmcnt(0) lgkmcnt(0)
	v_mul_hi_u32 v3, s17, v1
	s_add_i32 s38, s38, 4
	s_add_u32 s2, s2, 32
	s_addc_u32 s3, s3, 0
	v_add_u32_e32 v3, v1, v3
	v_lshrrev_b32_e32 v3, s18, v3
	v_mul_lo_u32 v5, v3, s16
	v_mul_hi_u32 v7, s20, v3
	s_cmp_lg_u32 s36, s38
	v_sub_u32_e32 v1, v1, v5
	v_add_u32_e32 v5, v3, v7
	v_mul_lo_u32 v7, v1, s8
	v_mul_lo_u32 v10, v1, s9
	v_lshrrev_b32_e32 v1, s21, v5
	v_mul_lo_u32 v5, v1, s19
	v_mul_hi_u32 v12, s23, v1
	v_sub_u32_e32 v3, v3, v5
	v_add_u32_e32 v5, v1, v12
	v_lshrrev_b32_e32 v5, s24, v5
	v_mul_hi_u32 v13, s26, v5
	v_mul_lo_u32 v14, v5, s22
	v_mul_lo_u32 v12, v3, s10
	;; [unrolled: 1-line block ×3, first 2 shown]
	v_sub_u32_e32 v14, v1, v14
	v_add_u32_e32 v1, v5, v13
	v_lshrrev_b32_e32 v1, s27, v1
	v_mul_lo_u32 v13, v1, s25
	v_mul_lo_u32 v16, v14, s12
	;; [unrolled: 1-line block ×3, first 2 shown]
	v_add3_u32 v2, v7, v2, v12
	v_sub_u32_e32 v5, v5, v13
	v_mul_lo_u32 v13, v5, s14
	v_mul_lo_u32 v5, v5, s15
	v_add3_u32 v3, v10, v11, v3
	v_add3_u32 v2, v16, v2, v13
	;; [unrolled: 1-line block ×3, first 2 shown]
	s_cbranch_scc1 .LBB79_1103
; %bb.1104:
	s_and_b32 s8, s37, 3
	s_cmp_eq_u32 s8, 0
	s_cbranch_scc0 .LBB79_1108
	s_branch .LBB79_1110
.LBB79_1105:
                                        ; implicit-def: $vgpr2
                                        ; implicit-def: $vgpr11
	s_branch .LBB79_1111
.LBB79_1106:
	v_mov_b32_e32 v2, 0
	v_mov_b32_e32 v11, 0
	s_branch .LBB79_1110
.LBB79_1107:
	v_mov_b32_e32 v2, 0
	v_mov_b32_e32 v11, 0
	;; [unrolled: 1-line block ×3, first 2 shown]
	s_and_b32 s8, s37, 3
	s_cmp_eq_u32 s8, 0
	s_cbranch_scc1 .LBB79_1110
.LBB79_1108:
	s_lshl_b32 s2, s36, 3
	s_add_u32 s2, s34, s2
	s_addc_u32 s3, s35, 0
	s_add_u32 s2, s2, 0xc4
	s_addc_u32 s3, s3, 0
	s_mul_i32 s6, s36, 12
	s_add_u32 s6, s34, s6
	s_addc_u32 s7, s35, 0
.LBB79_1109:                            ; =>This Inner Loop Header: Depth=1
	s_load_dwordx2 s[10:11], s[6:7], 0x4
	s_load_dword s9, s[6:7], 0xc
	s_load_dwordx2 s[12:13], s[2:3], 0x0
	s_add_u32 s6, s6, 12
	s_addc_u32 s7, s7, 0
	s_waitcnt vmcnt(0) lgkmcnt(0)
	v_mul_hi_u32 v3, s11, v1
	s_add_u32 s2, s2, 8
	s_addc_u32 s3, s3, 0
	s_add_i32 s8, s8, -1
	v_add_u32_e32 v3, v1, v3
	v_lshrrev_b32_e32 v5, s9, v3
	v_mul_lo_u32 v3, v5, s10
	s_cmp_lg_u32 s8, 0
	v_sub_u32_e32 v1, v1, v3
	v_mad_u64_u32 v[2:3], s[10:11], v1, s12, v[2:3]
	v_mad_u64_u32 v[11:12], s[10:11], v1, s13, v[11:12]
	v_mov_b32_e32 v1, v5
	s_cbranch_scc1 .LBB79_1109
.LBB79_1110:
	s_cbranch_execnz .LBB79_1113
.LBB79_1111:
	s_load_dwordx4 s[8:11], s[34:35], 0x4
	s_load_dwordx2 s[2:3], s[34:35], 0xc4
	s_cmp_lt_u32 s33, 2
	s_waitcnt lgkmcnt(0)
	v_mul_hi_u32 v1, s9, v0
	v_add_u32_e32 v1, v0, v1
	v_lshrrev_b32_e32 v1, s10, v1
	v_mul_lo_u32 v2, v1, s8
	v_sub_u32_e32 v0, v0, v2
	v_mul_lo_u32 v2, v0, s2
	v_mul_lo_u32 v11, v0, s3
	s_cbranch_scc1 .LBB79_1113
; %bb.1112:
	s_load_dwordx4 s[8:11], s[34:35], 0x10
	s_load_dwordx2 s[2:3], s[34:35], 0xcc
	s_waitcnt lgkmcnt(0)
	v_mul_hi_u32 v0, s9, v1
	v_add_u32_e32 v0, v1, v0
	v_lshrrev_b32_e32 v0, s10, v0
	v_mul_lo_u32 v0, v0, s8
	v_sub_u32_e32 v0, v1, v0
	s_waitcnt vmcnt(0)
	v_mad_u64_u32 v[2:3], s[6:7], v0, s2, v[2:3]
	v_mad_u64_u32 v[11:12], s[2:3], v0, s3, v[11:12]
.LBB79_1113:
	s_and_b64 vcc, exec, s[0:1]
	s_cbranch_vccnz .LBB79_1119
; %bb.1114:
	s_cmp_lg_u32 s33, 0
	s_mov_b32 s26, 0
	s_cbranch_scc0 .LBB79_1120
; %bb.1115:
	s_min_u32 s27, s76, 15
	s_add_i32 s27, s27, 1
	s_cmp_eq_u32 s76, 2
	s_cbranch_scc1 .LBB79_1121
; %bb.1116:
	s_and_b32 s26, s27, 28
	s_add_u32 s6, s34, 0xc4
	s_addc_u32 s7, s35, 0
	v_mov_b32_e32 v13, 0
	s_mov_b32 s36, 0
	s_mov_b64 s[24:25], s[34:35]
	v_mov_b32_e32 v0, 0
	v_mov_b32_e32 v1, v15
.LBB79_1117:                            ; =>This Inner Loop Header: Depth=1
	s_load_dwordx8 s[16:23], s[24:25], 0x4
	s_load_dwordx4 s[0:3], s[24:25], 0x24
	s_load_dwordx8 s[8:15], s[6:7], 0x0
	s_add_u32 s24, s24, 48
	s_addc_u32 s25, s25, 0
	s_waitcnt vmcnt(0) lgkmcnt(0)
	v_mul_hi_u32 v3, s17, v1
	s_add_i32 s36, s36, 4
	s_add_u32 s6, s6, 32
	s_addc_u32 s7, s7, 0
	v_add_u32_e32 v3, v1, v3
	v_lshrrev_b32_e32 v3, s18, v3
	v_mul_lo_u32 v5, v3, s16
	v_mul_hi_u32 v7, s20, v3
	s_cmp_lg_u32 s26, s36
	v_sub_u32_e32 v1, v1, v5
	v_add_u32_e32 v5, v3, v7
	v_mul_lo_u32 v7, v1, s8
	v_mul_lo_u32 v10, v1, s9
	v_lshrrev_b32_e32 v1, s21, v5
	v_mul_lo_u32 v5, v1, s19
	v_mul_hi_u32 v12, s23, v1
	v_sub_u32_e32 v3, v3, v5
	v_add_u32_e32 v5, v1, v12
	v_lshrrev_b32_e32 v5, s0, v5
	v_mul_hi_u32 v14, s2, v5
	v_mul_lo_u32 v16, v5, s22
	v_mul_lo_u32 v12, v3, s10
	;; [unrolled: 1-line block ×3, first 2 shown]
	v_sub_u32_e32 v16, v1, v16
	v_add_u32_e32 v1, v5, v14
	v_lshrrev_b32_e32 v1, s3, v1
	v_mul_lo_u32 v14, v1, s1
	v_mul_lo_u32 v17, v16, s12
	;; [unrolled: 1-line block ×3, first 2 shown]
	v_add3_u32 v0, v7, v0, v12
	v_sub_u32_e32 v5, v5, v14
	v_mul_lo_u32 v14, v5, s14
	v_mul_lo_u32 v5, v5, s15
	v_add3_u32 v3, v10, v13, v3
	v_add3_u32 v0, v17, v0, v14
	;; [unrolled: 1-line block ×3, first 2 shown]
	s_cbranch_scc1 .LBB79_1117
; %bb.1118:
	s_and_b32 s6, s27, 3
	s_cmp_eq_u32 s6, 0
	s_cbranch_scc0 .LBB79_1122
	s_branch .LBB79_1124
.LBB79_1119:
                                        ; implicit-def: $vgpr0
                                        ; implicit-def: $vgpr13
	s_branch .LBB79_1125
.LBB79_1120:
	v_mov_b32_e32 v0, 0
	v_mov_b32_e32 v13, 0
	s_branch .LBB79_1124
.LBB79_1121:
	v_mov_b32_e32 v0, 0
	v_mov_b32_e32 v13, 0
	;; [unrolled: 1-line block ×3, first 2 shown]
	s_and_b32 s6, s27, 3
	s_cmp_eq_u32 s6, 0
	s_cbranch_scc1 .LBB79_1124
.LBB79_1122:
	s_lshl_b32 s0, s26, 3
	s_add_u32 s0, s34, s0
	s_addc_u32 s1, s35, 0
	s_add_u32 s0, s0, 0xc4
	s_addc_u32 s1, s1, 0
	s_mul_i32 s2, s26, 12
	s_add_u32 s2, s34, s2
	s_addc_u32 s3, s35, 0
.LBB79_1123:                            ; =>This Inner Loop Header: Depth=1
	s_load_dwordx2 s[8:9], s[2:3], 0x4
	s_load_dword s7, s[2:3], 0xc
	s_load_dwordx2 s[10:11], s[0:1], 0x0
	s_add_u32 s2, s2, 12
	s_addc_u32 s3, s3, 0
	s_waitcnt vmcnt(0) lgkmcnt(0)
	v_mul_hi_u32 v3, s9, v1
	s_add_u32 s0, s0, 8
	s_addc_u32 s1, s1, 0
	s_add_i32 s6, s6, -1
	v_add_u32_e32 v3, v1, v3
	v_lshrrev_b32_e32 v3, s7, v3
	v_mul_lo_u32 v5, v3, s8
	s_cmp_lg_u32 s6, 0
	v_sub_u32_e32 v5, v1, v5
	v_mad_u64_u32 v[0:1], s[8:9], v5, s10, v[0:1]
	v_mad_u64_u32 v[13:14], s[8:9], v5, s11, v[13:14]
	v_mov_b32_e32 v1, v3
	s_cbranch_scc1 .LBB79_1123
.LBB79_1124:
	s_cbranch_execnz .LBB79_1127
.LBB79_1125:
	s_load_dwordx4 s[0:3], s[34:35], 0x4
	s_load_dwordx2 s[6:7], s[34:35], 0xc4
	s_cmp_lt_u32 s33, 2
	s_waitcnt lgkmcnt(0)
	v_mul_hi_u32 v0, s1, v15
	v_add_u32_e32 v0, v15, v0
	v_lshrrev_b32_e32 v1, s2, v0
	v_mul_lo_u32 v0, v1, s0
	s_waitcnt vmcnt(0)
	v_sub_u32_e32 v3, v15, v0
	v_mul_lo_u32 v0, v3, s6
	v_mul_lo_u32 v13, v3, s7
	s_cbranch_scc1 .LBB79_1127
; %bb.1126:
	s_load_dwordx4 s[0:3], s[34:35], 0x10
	s_load_dwordx2 s[6:7], s[34:35], 0xcc
	s_waitcnt lgkmcnt(0)
	v_mul_hi_u32 v3, s1, v1
	v_add_u32_e32 v3, v1, v3
	v_lshrrev_b32_e32 v3, s2, v3
	v_mul_lo_u32 v3, v3, s0
	v_sub_u32_e32 v3, v1, v3
	v_mad_u64_u32 v[0:1], s[0:1], v3, s6, v[0:1]
	v_mad_u64_u32 v[13:14], s[0:1], v3, s7, v[13:14]
.LBB79_1127:
	s_load_dwordx4 s[8:11], s[34:35], 0x148
	s_load_dword s14, s[4:5], 0x178
	s_waitcnt lgkmcnt(0)
	v_mov_b32_e32 v1, s11
	s_bfe_u32 s15, s14, 0x80008
	v_add_co_u32_e32 v14, vcc, s10, v8
	s_cmp_lt_i32 s15, 11
	v_addc_co_u32_e32 v15, vcc, 0, v1, vcc
	s_cbranch_scc1 .LBB79_1134
; %bb.1128:
	s_and_b32 s12, 0xffff, s15
	s_cmp_gt_i32 s12, 25
	s_mov_b64 s[2:3], 0
	s_cbranch_scc0 .LBB79_1136
; %bb.1129:
	s_cmp_gt_i32 s12, 28
	s_cbranch_scc0 .LBB79_1137
; %bb.1130:
	s_cmp_gt_i32 s12, 43
	s_cbranch_scc0 .LBB79_1138
; %bb.1131:
	s_cmp_gt_i32 s12, 45
	s_cbranch_scc0 .LBB79_1139
; %bb.1132:
	s_cmp_eq_u32 s12, 46
	s_mov_b64 s[6:7], 0
	s_cbranch_scc0 .LBB79_1142
; %bb.1133:
	global_load_dword v1, v[14:15], off
	s_mov_b32 s0, 0x2f800000
	s_mov_b32 s1, 0xcf800000
	s_mov_b64 s[4:5], -1
	s_waitcnt vmcnt(0)
	v_lshlrev_b32_e32 v1, 16, v1
	v_trunc_f32_e32 v1, v1
	v_mul_f32_e64 v3, |v1|, s0
	v_floor_f32_e32 v3, v3
	v_fma_f32 v5, v3, s1, |v1|
	v_cvt_u32_f32_e32 v5, v5
	v_cvt_u32_f32_e32 v3, v3
	v_ashrrev_i32_e32 v1, 31, v1
	s_mov_b64 s[0:1], 0
	v_xor_b32_e32 v5, v5, v1
	v_xor_b32_e32 v3, v3, v1
	v_sub_co_u32_e32 v7, vcc, v5, v1
	v_subb_co_u32_e32 v8, vcc, v3, v1, vcc
	s_branch .LBB79_1143
.LBB79_1134:
	s_mov_b64 s[4:5], 0
                                        ; implicit-def: $vgpr7_vgpr8
	s_mov_b64 s[12:13], s[28:29]
	s_cbranch_execnz .LBB79_1201
.LBB79_1135:
	s_andn2_b64 vcc, exec, s[4:5]
	s_cbranch_vccz .LBB79_1246
	s_branch .LBB79_2055
.LBB79_1136:
	s_mov_b64 s[4:5], 0
	s_mov_b64 s[0:1], 0
                                        ; implicit-def: $vgpr7_vgpr8
	s_cbranch_execnz .LBB79_1170
	s_branch .LBB79_1197
.LBB79_1137:
	s_mov_b64 s[4:5], 0
	s_mov_b64 s[0:1], 0
                                        ; implicit-def: $vgpr7_vgpr8
	s_cbranch_execz .LBB79_1169
	s_branch .LBB79_1152
.LBB79_1138:
	s_mov_b64 s[4:5], 0
	s_mov_b64 s[0:1], 0
                                        ; implicit-def: $vgpr7_vgpr8
	s_cbranch_execnz .LBB79_1148
	s_branch .LBB79_1151
.LBB79_1139:
	s_mov_b64 s[6:7], -1
	s_mov_b64 s[4:5], 0
	s_mov_b64 s[0:1], 0
                                        ; implicit-def: $vgpr7_vgpr8
	s_branch .LBB79_1143
.LBB79_1140:
	s_andn2_saveexec_b64 s[16:17], s[16:17]
	s_cbranch_execz .LBB79_983
.LBB79_1141:
	s_mov_b32 s18, 0x46000000
	v_add_f32_e64 v5, |v0|, s18
	v_and_b32_e32 v5, 0xff, v5
	v_cmp_ne_u32_e32 vcc, 0, v5
	s_andn2_b64 s[14:15], s[14:15], exec
	s_and_b64 s[18:19], vcc, exec
	s_or_b64 s[14:15], s[14:15], s[18:19]
	s_or_b64 exec, exec, s[16:17]
	v_mov_b32_e32 v6, 0
	s_and_saveexec_b64 s[16:17], s[14:15]
	s_cbranch_execnz .LBB79_984
	s_branch .LBB79_985
.LBB79_1142:
	s_mov_b64 s[0:1], -1
                                        ; implicit-def: $vgpr7_vgpr8
	s_mov_b64 s[4:5], 0
.LBB79_1143:
	s_and_b64 vcc, exec, s[6:7]
	s_cbranch_vccz .LBB79_1146
; %bb.1144:
	s_cmp_eq_u32 s12, 44
	s_cbranch_scc0 .LBB79_1147
; %bb.1145:
	global_load_ubyte v1, v[14:15], off
	s_mov_b32 s0, 0x2f800000
	s_mov_b32 s1, 0xcf800000
	s_mov_b64 s[4:5], -1
	s_waitcnt vmcnt(0)
	v_lshlrev_b32_e32 v3, 23, v1
	v_trunc_f32_e32 v3, v3
	v_mul_f32_e64 v5, |v3|, s0
	v_floor_f32_e32 v5, v5
	v_fma_f32 v7, v5, s1, |v3|
	v_cvt_u32_f32_e32 v7, v7
	v_cvt_u32_f32_e32 v5, v5
	v_ashrrev_i32_e32 v3, 31, v3
	s_mov_b64 s[0:1], 0
	v_xor_b32_e32 v7, v7, v3
	v_xor_b32_e32 v5, v5, v3
	v_sub_co_u32_e32 v7, vcc, v7, v3
	v_subb_co_u32_e32 v3, vcc, v5, v3, vcc
	v_cmp_ne_u32_e32 vcc, 0, v1
	v_cndmask_b32_e32 v8, 0, v3, vcc
	v_cndmask_b32_e32 v7, 0, v7, vcc
.LBB79_1146:
	s_branch .LBB79_1151
.LBB79_1147:
	s_mov_b64 s[0:1], -1
                                        ; implicit-def: $vgpr7_vgpr8
	s_branch .LBB79_1151
.LBB79_1148:
	s_cmp_eq_u32 s12, 29
	s_cbranch_scc0 .LBB79_1150
; %bb.1149:
	global_load_dwordx2 v[7:8], v[14:15], off
	s_mov_b64 s[0:1], 0
	s_mov_b64 s[4:5], -1
	s_branch .LBB79_1151
.LBB79_1150:
	s_mov_b64 s[0:1], -1
                                        ; implicit-def: $vgpr7_vgpr8
.LBB79_1151:
	s_branch .LBB79_1169
.LBB79_1152:
	s_cmp_lt_i32 s12, 27
	s_cbranch_scc1 .LBB79_1155
; %bb.1153:
	s_cmp_gt_i32 s12, 27
	s_cbranch_scc0 .LBB79_1156
; %bb.1154:
	global_load_dword v7, v[14:15], off
	s_waitcnt vmcnt(1)
	v_mov_b32_e32 v8, 0
	s_mov_b64 s[4:5], 0
	s_branch .LBB79_1157
.LBB79_1155:
	s_mov_b64 s[4:5], -1
                                        ; implicit-def: $vgpr7_vgpr8
	s_branch .LBB79_1160
.LBB79_1156:
	s_mov_b64 s[4:5], -1
                                        ; implicit-def: $vgpr7_vgpr8
.LBB79_1157:
	s_andn2_b64 vcc, exec, s[4:5]
	s_cbranch_vccnz .LBB79_1159
; %bb.1158:
	global_load_ushort v1, v[14:15], off
	s_mov_b32 s4, 0
	s_waitcnt vmcnt(1)
	v_mov_b32_e32 v8, s4
	s_waitcnt vmcnt(0)
	v_and_b32_e32 v7, 0xffff, v1
.LBB79_1159:
	s_mov_b64 s[4:5], 0
.LBB79_1160:
	s_andn2_b64 vcc, exec, s[4:5]
	s_cbranch_vccnz .LBB79_1168
; %bb.1161:
	global_load_ubyte v1, v[14:15], off
	s_movk_i32 s4, 0x7f
	s_mov_b64 s[6:7], 0
	s_waitcnt vmcnt(0)
	v_cmp_lt_i16_e32 vcc, s4, v1
	s_and_saveexec_b64 s[4:5], vcc
	s_xor_b64 s[4:5], exec, s[4:5]
; %bb.1162:
	s_movk_i32 s6, 0x80
	v_cmp_ne_u16_e32 vcc, s6, v1
	s_and_b64 s[6:7], vcc, exec
; %bb.1163:
	s_andn2_saveexec_b64 s[4:5], s[4:5]
; %bb.1164:
	v_cmp_ne_u16_e32 vcc, 0, v1
	s_andn2_b64 s[6:7], s[6:7], exec
	s_and_b64 s[16:17], vcc, exec
	s_or_b64 s[6:7], s[6:7], s[16:17]
; %bb.1165:
	s_or_b64 exec, exec, s[4:5]
	v_mov_b32_e32 v7, 0
	v_mov_b32_e32 v8, 0
	s_and_saveexec_b64 s[4:5], s[6:7]
	s_cbranch_execz .LBB79_1167
; %bb.1166:
	v_lshlrev_b32_e32 v3, 24, v1
	v_and_b32_e32 v1, 0xffff, v1
	v_and_b32_e32 v5, 7, v1
	v_ffbh_u32_e32 v8, v5
	v_min_u32_e32 v8, 32, v8
	v_subrev_u32_e32 v10, 28, v8
	v_bfe_u32 v7, v1, 3, 4
	v_lshlrev_b32_e32 v1, v10, v1
	v_sub_u32_e32 v8, 29, v8
	v_and_b32_e32 v1, 7, v1
	v_cmp_eq_u32_e32 vcc, 0, v7
	v_cndmask_b32_e32 v7, v7, v8, vcc
	v_cndmask_b32_e32 v1, v5, v1, vcc
	v_mov_b32_e32 v5, 0x3b800000
	v_lshlrev_b32_e32 v1, 20, v1
	v_and_b32_e32 v3, 0x80000000, v3
	v_lshl_add_u32 v5, v7, 23, v5
	v_or3_b32 v1, v3, v5, v1
	v_trunc_f32_e32 v1, v1
	s_mov_b32 s6, 0x2f800000
	v_mul_f32_e64 v3, |v1|, s6
	v_floor_f32_e32 v3, v3
	s_mov_b32 s6, 0xcf800000
	v_fma_f32 v5, v3, s6, |v1|
	v_cvt_u32_f32_e32 v5, v5
	v_cvt_u32_f32_e32 v3, v3
	v_ashrrev_i32_e32 v1, 31, v1
	v_xor_b32_e32 v5, v5, v1
	v_xor_b32_e32 v3, v3, v1
	v_sub_co_u32_e32 v7, vcc, v5, v1
	v_subb_co_u32_e32 v8, vcc, v3, v1, vcc
.LBB79_1167:
	s_or_b64 exec, exec, s[4:5]
.LBB79_1168:
	s_mov_b64 s[4:5], -1
.LBB79_1169:
	s_branch .LBB79_1197
.LBB79_1170:
	s_cmp_gt_i32 s12, 22
	s_cbranch_scc0 .LBB79_1180
; %bb.1171:
	s_cmp_lt_i32 s12, 24
	s_cbranch_scc1 .LBB79_1181
; %bb.1172:
	s_cmp_gt_i32 s12, 24
	s_cbranch_scc0 .LBB79_1182
; %bb.1173:
	global_load_ubyte v1, v[14:15], off
	s_movk_i32 s2, 0x7f
	s_mov_b64 s[4:5], 0
	s_waitcnt vmcnt(0)
	v_cmp_lt_i16_e32 vcc, s2, v1
	s_and_saveexec_b64 s[2:3], vcc
	s_xor_b64 s[2:3], exec, s[2:3]
; %bb.1174:
	s_movk_i32 s4, 0x80
	v_cmp_ne_u16_e32 vcc, s4, v1
	s_and_b64 s[4:5], vcc, exec
; %bb.1175:
	s_andn2_saveexec_b64 s[2:3], s[2:3]
; %bb.1176:
	v_cmp_ne_u16_e32 vcc, 0, v1
	s_andn2_b64 s[4:5], s[4:5], exec
	s_and_b64 s[6:7], vcc, exec
	s_or_b64 s[4:5], s[4:5], s[6:7]
; %bb.1177:
	s_or_b64 exec, exec, s[2:3]
	v_mov_b32_e32 v7, 0
	v_mov_b32_e32 v8, 0
	s_and_saveexec_b64 s[2:3], s[4:5]
	s_cbranch_execz .LBB79_1179
; %bb.1178:
	v_lshlrev_b32_e32 v3, 24, v1
	v_and_b32_e32 v1, 0xffff, v1
	v_and_b32_e32 v5, 3, v1
	v_ffbh_u32_e32 v8, v5
	v_min_u32_e32 v8, 32, v8
	v_subrev_u32_e32 v10, 29, v8
	v_bfe_u32 v7, v1, 2, 5
	v_lshlrev_b32_e32 v1, v10, v1
	v_sub_u32_e32 v8, 30, v8
	v_and_b32_e32 v1, 3, v1
	v_cmp_eq_u32_e32 vcc, 0, v7
	v_cndmask_b32_e32 v7, v7, v8, vcc
	v_cndmask_b32_e32 v1, v5, v1, vcc
	v_mov_b32_e32 v5, 0x37800000
	v_lshlrev_b32_e32 v1, 21, v1
	v_and_b32_e32 v3, 0x80000000, v3
	v_lshl_add_u32 v5, v7, 23, v5
	v_or3_b32 v1, v3, v5, v1
	v_trunc_f32_e32 v1, v1
	s_mov_b32 s4, 0x2f800000
	v_mul_f32_e64 v3, |v1|, s4
	v_floor_f32_e32 v3, v3
	s_mov_b32 s4, 0xcf800000
	v_fma_f32 v5, v3, s4, |v1|
	v_cvt_u32_f32_e32 v5, v5
	v_cvt_u32_f32_e32 v3, v3
	v_ashrrev_i32_e32 v1, 31, v1
	v_xor_b32_e32 v5, v5, v1
	v_xor_b32_e32 v3, v3, v1
	v_sub_co_u32_e32 v7, vcc, v5, v1
	v_subb_co_u32_e32 v8, vcc, v3, v1, vcc
.LBB79_1179:
	s_or_b64 exec, exec, s[2:3]
	s_mov_b64 s[2:3], 0
	s_branch .LBB79_1183
.LBB79_1180:
                                        ; implicit-def: $vgpr7_vgpr8
	s_mov_b64 s[2:3], 0
	s_branch .LBB79_1189
.LBB79_1181:
	s_mov_b64 s[2:3], -1
                                        ; implicit-def: $vgpr7_vgpr8
	s_branch .LBB79_1186
.LBB79_1182:
	s_mov_b64 s[2:3], -1
                                        ; implicit-def: $vgpr7_vgpr8
.LBB79_1183:
	s_and_b64 vcc, exec, s[2:3]
	s_cbranch_vccz .LBB79_1185
; %bb.1184:
	global_load_ubyte v1, v[14:15], off
	s_mov_b32 s2, 0x7f800000
	s_brev_b32 s3, 1
	s_mov_b32 s4, 0x2f800000
	s_mov_b32 s5, 0xcf800000
	s_waitcnt vmcnt(0)
	v_lshlrev_b32_e32 v1, 24, v1
	v_and_b32_e32 v3, 0x7f000000, v1
	v_ffbh_u32_e32 v5, v3
	v_min_u32_e32 v5, 32, v5
	v_sub_u32_e64 v5, v5, 4 clamp
	v_lshlrev_b32_e32 v8, v5, v3
	v_lshlrev_b32_e32 v5, 23, v5
	v_lshrrev_b32_e32 v8, 4, v8
	v_add_u32_e32 v7, 0x1000000, v3
	v_sub_u32_e32 v5, v8, v5
	v_ashrrev_i32_e32 v7, 8, v7
	v_add_u32_e32 v5, 0x3c000000, v5
	v_and_or_b32 v5, v7, s2, v5
	v_cmp_ne_u32_e32 vcc, 0, v3
	v_cndmask_b32_e32 v3, 0, v5, vcc
	v_and_or_b32 v1, v1, s3, v3
	v_trunc_f32_e32 v1, v1
	v_mul_f32_e64 v3, |v1|, s4
	v_floor_f32_e32 v3, v3
	v_fma_f32 v5, v3, s5, |v1|
	v_cvt_u32_f32_e32 v5, v5
	v_cvt_u32_f32_e32 v3, v3
	v_ashrrev_i32_e32 v1, 31, v1
	v_xor_b32_e32 v5, v5, v1
	v_xor_b32_e32 v3, v3, v1
	v_sub_co_u32_e32 v7, vcc, v5, v1
	v_subb_co_u32_e32 v8, vcc, v3, v1, vcc
.LBB79_1185:
	s_mov_b64 s[2:3], 0
.LBB79_1186:
	s_andn2_b64 vcc, exec, s[2:3]
	s_cbranch_vccnz .LBB79_1188
; %bb.1187:
	global_load_ubyte v1, v[14:15], off
	s_movk_i32 s2, 0x7f00
	s_brev_b32 s3, 16
	s_brev_b32 s4, 1
	s_mov_b32 s5, 0x2f800000
	s_mov_b32 s6, 0xcf800000
	s_waitcnt vmcnt(0)
	v_lshlrev_b16_e32 v3, 8, v1
	v_lshlrev_b32_e32 v1, 25, v1
	v_lshrrev_b32_e32 v5, 4, v1
	v_and_or_b32 v7, v3, s2, 0.5
	v_or_b32_e32 v5, 0x70000000, v5
	v_add_f32_e32 v7, -0.5, v7
	v_mul_f32_e32 v5, 0x7800000, v5
	v_cmp_gt_u32_e32 vcc, s3, v1
	v_bfe_i32 v3, v3, 0, 16
	v_cndmask_b32_e32 v1, v5, v7, vcc
	v_and_or_b32 v1, v3, s4, v1
	v_trunc_f32_e32 v1, v1
	v_mul_f32_e64 v3, |v1|, s5
	v_floor_f32_e32 v3, v3
	v_fma_f32 v5, v3, s6, |v1|
	v_cvt_u32_f32_e32 v5, v5
	v_cvt_u32_f32_e32 v3, v3
	v_ashrrev_i32_e32 v1, 31, v1
	v_xor_b32_e32 v5, v5, v1
	v_xor_b32_e32 v3, v3, v1
	v_sub_co_u32_e32 v7, vcc, v5, v1
	v_subb_co_u32_e32 v8, vcc, v3, v1, vcc
.LBB79_1188:
	s_mov_b64 s[4:5], -1
	s_mov_b64 s[2:3], 0
	s_cbranch_execnz .LBB79_1197
.LBB79_1189:
	s_cmp_gt_i32 s12, 14
	s_cbranch_scc0 .LBB79_1192
; %bb.1190:
	s_cmp_eq_u32 s12, 15
	s_cbranch_scc0 .LBB79_1193
; %bb.1191:
	global_load_ushort v1, v[14:15], off
	s_mov_b32 s0, 0x2f800000
	s_mov_b32 s1, 0xcf800000
	s_mov_b64 s[4:5], -1
	s_waitcnt vmcnt(0)
	v_lshlrev_b32_e32 v1, 16, v1
	v_trunc_f32_e32 v1, v1
	v_mul_f32_e64 v3, |v1|, s0
	v_floor_f32_e32 v3, v3
	v_fma_f32 v5, v3, s1, |v1|
	v_cvt_u32_f32_e32 v5, v5
	v_cvt_u32_f32_e32 v3, v3
	v_ashrrev_i32_e32 v1, 31, v1
	s_mov_b64 s[0:1], 0
	v_xor_b32_e32 v5, v5, v1
	v_xor_b32_e32 v3, v3, v1
	v_sub_co_u32_e32 v7, vcc, v5, v1
	v_subb_co_u32_e32 v8, vcc, v3, v1, vcc
	s_branch .LBB79_1194
.LBB79_1192:
	s_mov_b64 s[6:7], -1
                                        ; implicit-def: $vgpr7_vgpr8
	s_branch .LBB79_1195
.LBB79_1193:
	s_mov_b64 s[0:1], -1
                                        ; implicit-def: $vgpr7_vgpr8
.LBB79_1194:
	s_mov_b64 s[6:7], 0
.LBB79_1195:
	s_and_b64 vcc, exec, s[6:7]
	s_cbranch_vccz .LBB79_1197
; %bb.1196:
	s_cmp_lg_u32 s12, 11
	s_mov_b64 s[2:3], -1
	s_cselect_b64 s[0:1], -1, 0
.LBB79_1197:
	s_and_b64 vcc, exec, s[0:1]
	s_mov_b64 s[12:13], s[28:29]
	s_cbranch_vccnz .LBB79_1258
; %bb.1198:
	s_andn2_b64 vcc, exec, s[2:3]
	s_cbranch_vccnz .LBB79_1200
.LBB79_1199:
	global_load_ubyte v1, v[14:15], off
	s_mov_b32 s0, 0
	s_waitcnt vmcnt(1)
	v_mov_b32_e32 v8, s0
	s_mov_b64 s[4:5], -1
	s_waitcnt vmcnt(0)
	v_cmp_ne_u16_e32 vcc, 0, v1
	v_cndmask_b32_e64 v7, 0, 1, vcc
.LBB79_1200:
	s_branch .LBB79_1135
.LBB79_1201:
	s_and_b32 s2, 0xffff, s15
	s_cmp_lt_i32 s2, 5
	s_cbranch_scc1 .LBB79_1206
; %bb.1202:
	s_cmp_lt_i32 s2, 8
	s_cbranch_scc1 .LBB79_1207
; %bb.1203:
	;; [unrolled: 3-line block ×3, first 2 shown]
	s_cmp_gt_i32 s2, 9
	s_cbranch_scc0 .LBB79_1209
; %bb.1205:
	global_load_dwordx2 v[7:8], v[14:15], off
	s_movk_i32 s0, 0xffe0
	s_waitcnt vmcnt(0)
	v_trunc_f64_e32 v[7:8], v[7:8]
	v_ldexp_f64 v[16:17], v[7:8], s0
	s_mov_b32 s0, 0
	s_mov_b32 s1, 0xc1f00000
	v_floor_f64_e32 v[16:17], v[16:17]
	v_fma_f64 v[18:19], v[16:17], s[0:1], v[7:8]
	v_cvt_i32_f64_e32 v8, v[16:17]
	s_mov_b64 s[0:1], 0
	v_cvt_u32_f64_e32 v7, v[18:19]
	s_branch .LBB79_1210
.LBB79_1206:
                                        ; implicit-def: $vgpr7_vgpr8
	s_branch .LBB79_1227
.LBB79_1207:
                                        ; implicit-def: $vgpr7_vgpr8
	s_branch .LBB79_1216
.LBB79_1208:
	s_mov_b64 s[0:1], -1
                                        ; implicit-def: $vgpr7_vgpr8
	s_branch .LBB79_1213
.LBB79_1209:
	s_mov_b64 s[0:1], -1
                                        ; implicit-def: $vgpr7_vgpr8
.LBB79_1210:
	s_andn2_b64 vcc, exec, s[0:1]
	s_cbranch_vccnz .LBB79_1212
; %bb.1211:
	global_load_dword v1, v[14:15], off
	s_mov_b32 s0, 0x2f800000
	s_mov_b32 s1, 0xcf800000
	s_waitcnt vmcnt(0)
	v_trunc_f32_e32 v1, v1
	v_mul_f32_e64 v3, |v1|, s0
	v_floor_f32_e32 v3, v3
	v_cvt_u32_f32_e32 v5, v3
	v_fma_f32 v3, v3, s1, |v1|
	v_cvt_u32_f32_e32 v3, v3
	v_ashrrev_i32_e32 v1, 31, v1
	v_xor_b32_e32 v5, v5, v1
	v_xor_b32_e32 v3, v3, v1
	v_sub_co_u32_e32 v7, vcc, v3, v1
	v_subb_co_u32_e32 v8, vcc, v5, v1, vcc
.LBB79_1212:
	s_mov_b64 s[0:1], 0
.LBB79_1213:
	s_andn2_b64 vcc, exec, s[0:1]
	s_cbranch_vccnz .LBB79_1215
; %bb.1214:
	global_load_dword v1, v[14:15], off
	s_waitcnt vmcnt(0)
	v_cvt_f32_f16_e32 v1, v1
	v_cvt_i32_f32_e32 v7, v1
	v_ashrrev_i32_e32 v8, 31, v7
.LBB79_1215:
	s_cbranch_execnz .LBB79_1226
.LBB79_1216:
	s_cmp_lt_i32 s2, 6
	s_cbranch_scc1 .LBB79_1219
; %bb.1217:
	s_cmp_gt_i32 s2, 6
	s_cbranch_scc0 .LBB79_1220
; %bb.1218:
	global_load_dwordx2 v[7:8], v[14:15], off
	s_movk_i32 s0, 0xffe0
	s_waitcnt vmcnt(0)
	v_trunc_f64_e32 v[7:8], v[7:8]
	v_ldexp_f64 v[16:17], v[7:8], s0
	s_mov_b32 s0, 0
	s_mov_b32 s1, 0xc1f00000
	v_floor_f64_e32 v[16:17], v[16:17]
	v_fma_f64 v[18:19], v[16:17], s[0:1], v[7:8]
	v_cvt_i32_f64_e32 v8, v[16:17]
	s_mov_b64 s[0:1], 0
	v_cvt_u32_f64_e32 v7, v[18:19]
	s_branch .LBB79_1221
.LBB79_1219:
	s_mov_b64 s[0:1], -1
                                        ; implicit-def: $vgpr7_vgpr8
	s_branch .LBB79_1224
.LBB79_1220:
	s_mov_b64 s[0:1], -1
                                        ; implicit-def: $vgpr7_vgpr8
.LBB79_1221:
	s_andn2_b64 vcc, exec, s[0:1]
	s_cbranch_vccnz .LBB79_1223
; %bb.1222:
	global_load_dword v1, v[14:15], off
	s_mov_b32 s0, 0x2f800000
	s_mov_b32 s1, 0xcf800000
	s_waitcnt vmcnt(0)
	v_trunc_f32_e32 v1, v1
	v_mul_f32_e64 v3, |v1|, s0
	v_floor_f32_e32 v3, v3
	v_cvt_u32_f32_e32 v5, v3
	v_fma_f32 v3, v3, s1, |v1|
	v_cvt_u32_f32_e32 v3, v3
	v_ashrrev_i32_e32 v1, 31, v1
	v_xor_b32_e32 v5, v5, v1
	v_xor_b32_e32 v3, v3, v1
	v_sub_co_u32_e32 v7, vcc, v3, v1
	v_subb_co_u32_e32 v8, vcc, v5, v1, vcc
.LBB79_1223:
	s_mov_b64 s[0:1], 0
.LBB79_1224:
	s_andn2_b64 vcc, exec, s[0:1]
	s_cbranch_vccnz .LBB79_1226
; %bb.1225:
	global_load_ushort v1, v[14:15], off
	s_waitcnt vmcnt(0)
	v_cvt_f32_f16_e32 v1, v1
	v_cvt_i32_f32_e32 v7, v1
	v_ashrrev_i32_e32 v8, 31, v7
.LBB79_1226:
	s_cbranch_execnz .LBB79_1245
.LBB79_1227:
	s_cmp_lt_i32 s2, 2
	s_cbranch_scc1 .LBB79_1231
; %bb.1228:
	s_cmp_lt_i32 s2, 3
	s_cbranch_scc1 .LBB79_1232
; %bb.1229:
	s_cmp_gt_i32 s2, 3
	s_cbranch_scc0 .LBB79_1233
; %bb.1230:
	global_load_dwordx2 v[7:8], v[14:15], off
	s_mov_b64 s[0:1], 0
	s_branch .LBB79_1234
.LBB79_1231:
                                        ; implicit-def: $vgpr7_vgpr8
	s_branch .LBB79_1240
.LBB79_1232:
	s_mov_b64 s[0:1], -1
                                        ; implicit-def: $vgpr7_vgpr8
	s_branch .LBB79_1237
.LBB79_1233:
	s_mov_b64 s[0:1], -1
                                        ; implicit-def: $vgpr7_vgpr8
.LBB79_1234:
	s_andn2_b64 vcc, exec, s[0:1]
	s_cbranch_vccnz .LBB79_1236
; %bb.1235:
	global_load_dword v7, v[14:15], off
	s_waitcnt vmcnt(0)
	v_ashrrev_i32_e32 v8, 31, v7
.LBB79_1236:
	s_mov_b64 s[0:1], 0
.LBB79_1237:
	s_andn2_b64 vcc, exec, s[0:1]
	s_cbranch_vccnz .LBB79_1239
; %bb.1238:
	global_load_ushort v1, v[14:15], off
	s_waitcnt vmcnt(0)
	v_bfe_i32 v7, v1, 0, 16
	v_ashrrev_i32_e32 v8, 31, v7
.LBB79_1239:
	s_cbranch_execnz .LBB79_1245
.LBB79_1240:
	s_cmp_gt_i32 s2, 0
	s_cbranch_scc0 .LBB79_1242
; %bb.1241:
	global_load_sbyte v1, v[14:15], off
	s_mov_b64 s[0:1], 0
	s_waitcnt vmcnt(0)
	v_bfe_i32 v7, v1, 0, 16
	v_ashrrev_i32_e32 v8, 31, v7
	s_branch .LBB79_1243
.LBB79_1242:
	s_mov_b64 s[0:1], -1
                                        ; implicit-def: $vgpr7_vgpr8
.LBB79_1243:
	s_andn2_b64 vcc, exec, s[0:1]
	s_cbranch_vccnz .LBB79_1245
; %bb.1244:
	global_load_ubyte v1, v[14:15], off
	s_mov_b32 s0, 0
	s_waitcnt vmcnt(1)
	v_mov_b32_e32 v8, s0
	s_waitcnt vmcnt(0)
	v_and_b32_e32 v7, 0xffff, v1
.LBB79_1245:
.LBB79_1246:
	s_lshr_b32 s0, s14, 8
	v_mov_b32_e32 v1, s11
	s_and_b32 s14, s0, 0xff
	v_add_co_u32_e32 v14, vcc, s10, v9
	s_cmp_lt_i32 s14, 11
	v_addc_co_u32_e32 v15, vcc, 0, v1, vcc
	s_cbranch_scc1 .LBB79_1253
; %bb.1247:
	s_and_b32 s15, 0xffff, s14
	s_cmp_gt_i32 s15, 25
	s_mov_b64 s[2:3], 0
	s_cbranch_scc0 .LBB79_1255
; %bb.1248:
	s_cmp_gt_i32 s15, 28
	s_cbranch_scc0 .LBB79_1256
; %bb.1249:
	s_cmp_gt_i32 s15, 43
	;; [unrolled: 3-line block ×3, first 2 shown]
	s_cbranch_scc0 .LBB79_1259
; %bb.1251:
	s_cmp_eq_u32 s15, 46
	s_mov_b64 s[6:7], 0
	s_cbranch_scc0 .LBB79_1262
; %bb.1252:
	global_load_dword v1, v[14:15], off
	s_mov_b32 s0, 0x2f800000
	s_mov_b32 s1, 0xcf800000
	s_mov_b64 s[4:5], -1
	s_waitcnt vmcnt(0)
	v_lshlrev_b32_e32 v1, 16, v1
	v_trunc_f32_e32 v1, v1
	v_mul_f32_e64 v3, |v1|, s0
	v_floor_f32_e32 v3, v3
	v_fma_f32 v5, v3, s1, |v1|
	v_cvt_u32_f32_e32 v5, v5
	v_cvt_u32_f32_e32 v3, v3
	v_ashrrev_i32_e32 v1, 31, v1
	s_mov_b64 s[0:1], 0
	v_xor_b32_e32 v5, v5, v1
	v_xor_b32_e32 v3, v3, v1
	v_sub_co_u32_e32 v9, vcc, v5, v1
	v_subb_co_u32_e32 v10, vcc, v3, v1, vcc
	s_branch .LBB79_1263
.LBB79_1253:
	s_mov_b64 s[4:5], 0
                                        ; implicit-def: $vgpr9_vgpr10
	s_cbranch_execnz .LBB79_1324
.LBB79_1254:
	s_andn2_b64 vcc, exec, s[4:5]
	s_cbranch_vccnz .LBB79_2055
	s_branch .LBB79_1371
.LBB79_1255:
	s_mov_b64 s[4:5], 0
	s_mov_b64 s[0:1], 0
                                        ; implicit-def: $vgpr9_vgpr10
	s_cbranch_execnz .LBB79_1292
	s_branch .LBB79_1320
.LBB79_1256:
	s_mov_b64 s[6:7], -1
	s_mov_b64 s[4:5], 0
	s_mov_b64 s[0:1], 0
                                        ; implicit-def: $vgpr9_vgpr10
	s_branch .LBB79_1273
.LBB79_1257:
	s_mov_b64 s[6:7], -1
	s_mov_b64 s[4:5], 0
	s_mov_b64 s[0:1], 0
                                        ; implicit-def: $vgpr9_vgpr10
	s_branch .LBB79_1268
.LBB79_1258:
	s_or_b64 s[12:13], s[28:29], exec
	s_trap 2
	s_cbranch_execz .LBB79_1199
	s_branch .LBB79_1200
.LBB79_1259:
	s_mov_b64 s[6:7], -1
	s_mov_b64 s[4:5], 0
	s_mov_b64 s[0:1], 0
                                        ; implicit-def: $vgpr9_vgpr10
	s_branch .LBB79_1263
.LBB79_1260:
	s_andn2_saveexec_b64 s[18:19], s[18:19]
	s_cbranch_execz .LBB79_995
.LBB79_1261:
	s_mov_b32 s21, 0x42800000
	v_add_f32_e64 v5, |v0|, s21
	v_and_b32_e32 v5, 0xff, v5
	v_cmp_ne_u32_e32 vcc, 0, v5
	s_andn2_b64 s[16:17], s[16:17], exec
	s_and_b64 s[24:25], vcc, exec
	s_or_b64 s[16:17], s[16:17], s[24:25]
	s_or_b64 exec, exec, s[18:19]
	v_mov_b32_e32 v6, 0
	s_and_saveexec_b64 s[18:19], s[16:17]
	s_cbranch_execnz .LBB79_996
	s_branch .LBB79_997
.LBB79_1262:
	s_mov_b64 s[0:1], -1
                                        ; implicit-def: $vgpr9_vgpr10
	s_mov_b64 s[4:5], 0
.LBB79_1263:
	s_and_b64 vcc, exec, s[6:7]
	s_cbranch_vccz .LBB79_1267
; %bb.1264:
	s_cmp_eq_u32 s15, 44
	s_cbranch_scc0 .LBB79_1266
; %bb.1265:
	global_load_ubyte v1, v[14:15], off
	s_mov_b32 s0, 0x2f800000
	s_mov_b32 s1, 0xcf800000
	s_mov_b64 s[4:5], -1
	s_waitcnt vmcnt(0)
	v_lshlrev_b32_e32 v3, 23, v1
	v_trunc_f32_e32 v3, v3
	v_mul_f32_e64 v5, |v3|, s0
	v_floor_f32_e32 v5, v5
	v_fma_f32 v9, v5, s1, |v3|
	v_cvt_u32_f32_e32 v9, v9
	v_cvt_u32_f32_e32 v5, v5
	v_ashrrev_i32_e32 v3, 31, v3
	s_mov_b64 s[0:1], 0
	v_xor_b32_e32 v9, v9, v3
	v_xor_b32_e32 v5, v5, v3
	v_sub_co_u32_e32 v9, vcc, v9, v3
	v_subb_co_u32_e32 v3, vcc, v5, v3, vcc
	v_cmp_ne_u32_e32 vcc, 0, v1
	v_cndmask_b32_e32 v10, 0, v3, vcc
	v_cndmask_b32_e32 v9, 0, v9, vcc
	s_branch .LBB79_1267
.LBB79_1266:
	s_mov_b64 s[0:1], -1
                                        ; implicit-def: $vgpr9_vgpr10
.LBB79_1267:
	s_mov_b64 s[6:7], 0
.LBB79_1268:
	s_and_b64 vcc, exec, s[6:7]
	s_cbranch_vccz .LBB79_1272
; %bb.1269:
	s_cmp_eq_u32 s15, 29
	s_cbranch_scc0 .LBB79_1271
; %bb.1270:
	global_load_dwordx2 v[9:10], v[14:15], off
	s_mov_b64 s[0:1], 0
	s_mov_b64 s[4:5], -1
	s_branch .LBB79_1272
.LBB79_1271:
	s_mov_b64 s[0:1], -1
                                        ; implicit-def: $vgpr9_vgpr10
.LBB79_1272:
	s_mov_b64 s[6:7], 0
.LBB79_1273:
	s_and_b64 vcc, exec, s[6:7]
	s_cbranch_vccz .LBB79_1291
; %bb.1274:
	s_cmp_lt_i32 s15, 27
	s_cbranch_scc1 .LBB79_1277
; %bb.1275:
	s_cmp_gt_i32 s15, 27
	s_cbranch_scc0 .LBB79_1278
; %bb.1276:
	global_load_dword v9, v[14:15], off
	s_waitcnt vmcnt(1)
	v_mov_b32_e32 v10, 0
	s_mov_b64 s[4:5], 0
	s_branch .LBB79_1279
.LBB79_1277:
	s_mov_b64 s[4:5], -1
                                        ; implicit-def: $vgpr9_vgpr10
	s_branch .LBB79_1282
.LBB79_1278:
	s_mov_b64 s[4:5], -1
                                        ; implicit-def: $vgpr9_vgpr10
.LBB79_1279:
	s_andn2_b64 vcc, exec, s[4:5]
	s_cbranch_vccnz .LBB79_1281
; %bb.1280:
	global_load_ushort v1, v[14:15], off
	s_mov_b32 s4, 0
	s_waitcnt vmcnt(1)
	v_mov_b32_e32 v10, s4
	s_waitcnt vmcnt(0)
	v_and_b32_e32 v9, 0xffff, v1
.LBB79_1281:
	s_mov_b64 s[4:5], 0
.LBB79_1282:
	s_andn2_b64 vcc, exec, s[4:5]
	s_cbranch_vccnz .LBB79_1290
; %bb.1283:
	global_load_ubyte v1, v[14:15], off
	s_movk_i32 s4, 0x7f
	s_mov_b64 s[6:7], 0
	s_waitcnt vmcnt(0)
	v_cmp_lt_i16_e32 vcc, s4, v1
	s_and_saveexec_b64 s[4:5], vcc
	s_xor_b64 s[4:5], exec, s[4:5]
; %bb.1284:
	s_movk_i32 s6, 0x80
	v_cmp_ne_u16_e32 vcc, s6, v1
	s_and_b64 s[6:7], vcc, exec
; %bb.1285:
	s_andn2_saveexec_b64 s[4:5], s[4:5]
; %bb.1286:
	v_cmp_ne_u16_e32 vcc, 0, v1
	s_andn2_b64 s[6:7], s[6:7], exec
	s_and_b64 s[16:17], vcc, exec
	s_or_b64 s[6:7], s[6:7], s[16:17]
; %bb.1287:
	s_or_b64 exec, exec, s[4:5]
	v_mov_b32_e32 v9, 0
	v_mov_b32_e32 v10, 0
	s_and_saveexec_b64 s[4:5], s[6:7]
	s_cbranch_execz .LBB79_1289
; %bb.1288:
	v_lshlrev_b32_e32 v3, 24, v1
	v_and_b32_e32 v1, 0xffff, v1
	v_and_b32_e32 v5, 7, v1
	v_ffbh_u32_e32 v10, v5
	v_min_u32_e32 v10, 32, v10
	v_subrev_u32_e32 v12, 28, v10
	v_bfe_u32 v9, v1, 3, 4
	v_lshlrev_b32_e32 v1, v12, v1
	v_sub_u32_e32 v10, 29, v10
	v_and_b32_e32 v1, 7, v1
	v_cmp_eq_u32_e32 vcc, 0, v9
	v_cndmask_b32_e32 v9, v9, v10, vcc
	v_cndmask_b32_e32 v1, v5, v1, vcc
	v_mov_b32_e32 v5, 0x3b800000
	v_lshlrev_b32_e32 v1, 20, v1
	v_and_b32_e32 v3, 0x80000000, v3
	v_lshl_add_u32 v5, v9, 23, v5
	v_or3_b32 v1, v3, v5, v1
	v_trunc_f32_e32 v1, v1
	s_mov_b32 s6, 0x2f800000
	v_mul_f32_e64 v3, |v1|, s6
	v_floor_f32_e32 v3, v3
	s_mov_b32 s6, 0xcf800000
	v_fma_f32 v5, v3, s6, |v1|
	v_cvt_u32_f32_e32 v5, v5
	v_cvt_u32_f32_e32 v3, v3
	v_ashrrev_i32_e32 v1, 31, v1
	v_xor_b32_e32 v5, v5, v1
	v_xor_b32_e32 v3, v3, v1
	v_sub_co_u32_e32 v9, vcc, v5, v1
	v_subb_co_u32_e32 v10, vcc, v3, v1, vcc
.LBB79_1289:
	s_or_b64 exec, exec, s[4:5]
.LBB79_1290:
	s_mov_b64 s[4:5], -1
.LBB79_1291:
	s_branch .LBB79_1320
.LBB79_1292:
	s_cmp_gt_i32 s15, 22
	s_cbranch_scc0 .LBB79_1302
; %bb.1293:
	s_cmp_lt_i32 s15, 24
	s_cbranch_scc1 .LBB79_1303
; %bb.1294:
	s_cmp_gt_i32 s15, 24
	s_cbranch_scc0 .LBB79_1304
; %bb.1295:
	global_load_ubyte v1, v[14:15], off
	s_movk_i32 s2, 0x7f
	s_mov_b64 s[4:5], 0
	s_waitcnt vmcnt(0)
	v_cmp_lt_i16_e32 vcc, s2, v1
	s_and_saveexec_b64 s[2:3], vcc
	s_xor_b64 s[2:3], exec, s[2:3]
; %bb.1296:
	s_movk_i32 s4, 0x80
	v_cmp_ne_u16_e32 vcc, s4, v1
	s_and_b64 s[4:5], vcc, exec
; %bb.1297:
	s_andn2_saveexec_b64 s[2:3], s[2:3]
; %bb.1298:
	v_cmp_ne_u16_e32 vcc, 0, v1
	s_andn2_b64 s[4:5], s[4:5], exec
	s_and_b64 s[6:7], vcc, exec
	s_or_b64 s[4:5], s[4:5], s[6:7]
; %bb.1299:
	s_or_b64 exec, exec, s[2:3]
	v_mov_b32_e32 v9, 0
	v_mov_b32_e32 v10, 0
	s_and_saveexec_b64 s[2:3], s[4:5]
	s_cbranch_execz .LBB79_1301
; %bb.1300:
	v_lshlrev_b32_e32 v3, 24, v1
	v_and_b32_e32 v1, 0xffff, v1
	v_and_b32_e32 v5, 3, v1
	v_ffbh_u32_e32 v10, v5
	v_min_u32_e32 v10, 32, v10
	v_subrev_u32_e32 v12, 29, v10
	v_bfe_u32 v9, v1, 2, 5
	v_lshlrev_b32_e32 v1, v12, v1
	v_sub_u32_e32 v10, 30, v10
	v_and_b32_e32 v1, 3, v1
	v_cmp_eq_u32_e32 vcc, 0, v9
	v_cndmask_b32_e32 v9, v9, v10, vcc
	v_cndmask_b32_e32 v1, v5, v1, vcc
	v_mov_b32_e32 v5, 0x37800000
	v_lshlrev_b32_e32 v1, 21, v1
	v_and_b32_e32 v3, 0x80000000, v3
	v_lshl_add_u32 v5, v9, 23, v5
	v_or3_b32 v1, v3, v5, v1
	v_trunc_f32_e32 v1, v1
	s_mov_b32 s4, 0x2f800000
	v_mul_f32_e64 v3, |v1|, s4
	v_floor_f32_e32 v3, v3
	s_mov_b32 s4, 0xcf800000
	v_fma_f32 v5, v3, s4, |v1|
	v_cvt_u32_f32_e32 v5, v5
	v_cvt_u32_f32_e32 v3, v3
	v_ashrrev_i32_e32 v1, 31, v1
	v_xor_b32_e32 v5, v5, v1
	v_xor_b32_e32 v3, v3, v1
	v_sub_co_u32_e32 v9, vcc, v5, v1
	v_subb_co_u32_e32 v10, vcc, v3, v1, vcc
.LBB79_1301:
	s_or_b64 exec, exec, s[2:3]
	s_mov_b64 s[2:3], 0
	s_branch .LBB79_1305
.LBB79_1302:
	s_mov_b64 s[2:3], -1
                                        ; implicit-def: $vgpr9_vgpr10
	s_branch .LBB79_1311
.LBB79_1303:
	s_mov_b64 s[2:3], -1
                                        ; implicit-def: $vgpr9_vgpr10
	s_branch .LBB79_1308
.LBB79_1304:
	s_mov_b64 s[2:3], -1
                                        ; implicit-def: $vgpr9_vgpr10
.LBB79_1305:
	s_and_b64 vcc, exec, s[2:3]
	s_cbranch_vccz .LBB79_1307
; %bb.1306:
	global_load_ubyte v1, v[14:15], off
	s_mov_b32 s2, 0x7f800000
	s_brev_b32 s3, 1
	s_mov_b32 s4, 0x2f800000
	s_mov_b32 s5, 0xcf800000
	s_waitcnt vmcnt(0)
	v_lshlrev_b32_e32 v1, 24, v1
	v_and_b32_e32 v3, 0x7f000000, v1
	v_ffbh_u32_e32 v5, v3
	v_min_u32_e32 v5, 32, v5
	v_sub_u32_e64 v5, v5, 4 clamp
	v_lshlrev_b32_e32 v10, v5, v3
	v_lshlrev_b32_e32 v5, 23, v5
	v_lshrrev_b32_e32 v10, 4, v10
	v_add_u32_e32 v9, 0x1000000, v3
	v_sub_u32_e32 v5, v10, v5
	v_ashrrev_i32_e32 v9, 8, v9
	v_add_u32_e32 v5, 0x3c000000, v5
	v_and_or_b32 v5, v9, s2, v5
	v_cmp_ne_u32_e32 vcc, 0, v3
	v_cndmask_b32_e32 v3, 0, v5, vcc
	v_and_or_b32 v1, v1, s3, v3
	v_trunc_f32_e32 v1, v1
	v_mul_f32_e64 v3, |v1|, s4
	v_floor_f32_e32 v3, v3
	v_fma_f32 v5, v3, s5, |v1|
	v_cvt_u32_f32_e32 v5, v5
	v_cvt_u32_f32_e32 v3, v3
	v_ashrrev_i32_e32 v1, 31, v1
	v_xor_b32_e32 v5, v5, v1
	v_xor_b32_e32 v3, v3, v1
	v_sub_co_u32_e32 v9, vcc, v5, v1
	v_subb_co_u32_e32 v10, vcc, v3, v1, vcc
.LBB79_1307:
	s_mov_b64 s[2:3], 0
.LBB79_1308:
	s_andn2_b64 vcc, exec, s[2:3]
	s_cbranch_vccnz .LBB79_1310
; %bb.1309:
	global_load_ubyte v1, v[14:15], off
	s_movk_i32 s2, 0x7f00
	s_brev_b32 s3, 16
	s_brev_b32 s4, 1
	s_mov_b32 s5, 0x2f800000
	s_mov_b32 s6, 0xcf800000
	s_waitcnt vmcnt(0)
	v_lshlrev_b16_e32 v3, 8, v1
	v_lshlrev_b32_e32 v1, 25, v1
	v_lshrrev_b32_e32 v5, 4, v1
	v_and_or_b32 v9, v3, s2, 0.5
	v_or_b32_e32 v5, 0x70000000, v5
	v_add_f32_e32 v9, -0.5, v9
	v_mul_f32_e32 v5, 0x7800000, v5
	v_cmp_gt_u32_e32 vcc, s3, v1
	v_bfe_i32 v3, v3, 0, 16
	v_cndmask_b32_e32 v1, v5, v9, vcc
	v_and_or_b32 v1, v3, s4, v1
	v_trunc_f32_e32 v1, v1
	v_mul_f32_e64 v3, |v1|, s5
	v_floor_f32_e32 v3, v3
	v_fma_f32 v5, v3, s6, |v1|
	v_cvt_u32_f32_e32 v5, v5
	v_cvt_u32_f32_e32 v3, v3
	v_ashrrev_i32_e32 v1, 31, v1
	v_xor_b32_e32 v5, v5, v1
	v_xor_b32_e32 v3, v3, v1
	v_sub_co_u32_e32 v9, vcc, v5, v1
	v_subb_co_u32_e32 v10, vcc, v3, v1, vcc
.LBB79_1310:
	s_mov_b64 s[2:3], 0
	s_mov_b64 s[4:5], -1
.LBB79_1311:
	s_andn2_b64 vcc, exec, s[2:3]
	s_mov_b64 s[2:3], 0
	s_cbranch_vccnz .LBB79_1320
; %bb.1312:
	s_cmp_gt_i32 s15, 14
	s_cbranch_scc0 .LBB79_1315
; %bb.1313:
	s_cmp_eq_u32 s15, 15
	s_cbranch_scc0 .LBB79_1316
; %bb.1314:
	global_load_ushort v1, v[14:15], off
	s_mov_b32 s0, 0x2f800000
	s_mov_b32 s1, 0xcf800000
	s_mov_b64 s[4:5], -1
	s_waitcnt vmcnt(0)
	v_lshlrev_b32_e32 v1, 16, v1
	v_trunc_f32_e32 v1, v1
	v_mul_f32_e64 v3, |v1|, s0
	v_floor_f32_e32 v3, v3
	v_fma_f32 v5, v3, s1, |v1|
	v_cvt_u32_f32_e32 v5, v5
	v_cvt_u32_f32_e32 v3, v3
	v_ashrrev_i32_e32 v1, 31, v1
	s_mov_b64 s[0:1], 0
	v_xor_b32_e32 v5, v5, v1
	v_xor_b32_e32 v3, v3, v1
	v_sub_co_u32_e32 v9, vcc, v5, v1
	v_subb_co_u32_e32 v10, vcc, v3, v1, vcc
	s_branch .LBB79_1317
.LBB79_1315:
	s_mov_b64 s[6:7], -1
                                        ; implicit-def: $vgpr9_vgpr10
	s_branch .LBB79_1318
.LBB79_1316:
	s_mov_b64 s[0:1], -1
                                        ; implicit-def: $vgpr9_vgpr10
.LBB79_1317:
	s_mov_b64 s[6:7], 0
.LBB79_1318:
	s_and_b64 vcc, exec, s[6:7]
	s_cbranch_vccz .LBB79_1320
; %bb.1319:
	s_cmp_lg_u32 s15, 11
	s_mov_b64 s[2:3], -1
	s_cselect_b64 s[0:1], -1, 0
.LBB79_1320:
	s_and_b64 vcc, exec, s[0:1]
	s_cbranch_vccnz .LBB79_1383
; %bb.1321:
	s_andn2_b64 vcc, exec, s[2:3]
	s_cbranch_vccnz .LBB79_1323
.LBB79_1322:
	global_load_ubyte v1, v[14:15], off
	s_mov_b32 s0, 0
	s_waitcnt vmcnt(1)
	v_mov_b32_e32 v10, s0
	s_mov_b64 s[4:5], -1
	s_waitcnt vmcnt(0)
	v_cmp_ne_u16_e32 vcc, 0, v1
	v_cndmask_b32_e64 v9, 0, 1, vcc
.LBB79_1323:
	s_branch .LBB79_1254
.LBB79_1324:
	s_and_b32 s2, 0xffff, s14
	s_cmp_lt_i32 s2, 5
	s_cbranch_scc1 .LBB79_1329
; %bb.1325:
	s_cmp_lt_i32 s2, 8
	s_cbranch_scc1 .LBB79_1330
; %bb.1326:
	;; [unrolled: 3-line block ×3, first 2 shown]
	s_cmp_gt_i32 s2, 9
	s_cbranch_scc0 .LBB79_1332
; %bb.1328:
	global_load_dwordx2 v[9:10], v[14:15], off
	s_movk_i32 s0, 0xffe0
	s_waitcnt vmcnt(0)
	v_trunc_f64_e32 v[9:10], v[9:10]
	v_ldexp_f64 v[16:17], v[9:10], s0
	s_mov_b32 s0, 0
	s_mov_b32 s1, 0xc1f00000
	v_floor_f64_e32 v[16:17], v[16:17]
	v_fma_f64 v[18:19], v[16:17], s[0:1], v[9:10]
	v_cvt_i32_f64_e32 v10, v[16:17]
	s_mov_b64 s[0:1], 0
	v_cvt_u32_f64_e32 v9, v[18:19]
	s_branch .LBB79_1333
.LBB79_1329:
                                        ; implicit-def: $vgpr9_vgpr10
	s_branch .LBB79_1351
.LBB79_1330:
	s_mov_b64 s[0:1], -1
                                        ; implicit-def: $vgpr9_vgpr10
	s_branch .LBB79_1339
.LBB79_1331:
	s_mov_b64 s[0:1], -1
                                        ; implicit-def: $vgpr9_vgpr10
	s_branch .LBB79_1336
.LBB79_1332:
	s_mov_b64 s[0:1], -1
                                        ; implicit-def: $vgpr9_vgpr10
.LBB79_1333:
	s_andn2_b64 vcc, exec, s[0:1]
	s_cbranch_vccnz .LBB79_1335
; %bb.1334:
	global_load_dword v1, v[14:15], off
	s_mov_b32 s0, 0x2f800000
	s_mov_b32 s1, 0xcf800000
	s_waitcnt vmcnt(0)
	v_trunc_f32_e32 v1, v1
	v_mul_f32_e64 v3, |v1|, s0
	v_floor_f32_e32 v3, v3
	v_cvt_u32_f32_e32 v5, v3
	v_fma_f32 v3, v3, s1, |v1|
	v_cvt_u32_f32_e32 v3, v3
	v_ashrrev_i32_e32 v1, 31, v1
	v_xor_b32_e32 v5, v5, v1
	v_xor_b32_e32 v3, v3, v1
	v_sub_co_u32_e32 v9, vcc, v3, v1
	v_subb_co_u32_e32 v10, vcc, v5, v1, vcc
.LBB79_1335:
	s_mov_b64 s[0:1], 0
.LBB79_1336:
	s_andn2_b64 vcc, exec, s[0:1]
	s_cbranch_vccnz .LBB79_1338
; %bb.1337:
	global_load_dword v1, v[14:15], off
	s_waitcnt vmcnt(0)
	v_cvt_f32_f16_e32 v1, v1
	v_cvt_i32_f32_e32 v9, v1
	v_ashrrev_i32_e32 v10, 31, v9
.LBB79_1338:
	s_mov_b64 s[0:1], 0
.LBB79_1339:
	s_andn2_b64 vcc, exec, s[0:1]
	s_cbranch_vccnz .LBB79_1350
; %bb.1340:
	s_cmp_lt_i32 s2, 6
	s_cbranch_scc1 .LBB79_1343
; %bb.1341:
	s_cmp_gt_i32 s2, 6
	s_cbranch_scc0 .LBB79_1344
; %bb.1342:
	global_load_dwordx2 v[9:10], v[14:15], off
	s_movk_i32 s0, 0xffe0
	s_waitcnt vmcnt(0)
	v_trunc_f64_e32 v[9:10], v[9:10]
	v_ldexp_f64 v[16:17], v[9:10], s0
	s_mov_b32 s0, 0
	s_mov_b32 s1, 0xc1f00000
	v_floor_f64_e32 v[16:17], v[16:17]
	v_fma_f64 v[18:19], v[16:17], s[0:1], v[9:10]
	v_cvt_i32_f64_e32 v10, v[16:17]
	s_mov_b64 s[0:1], 0
	v_cvt_u32_f64_e32 v9, v[18:19]
	s_branch .LBB79_1345
.LBB79_1343:
	s_mov_b64 s[0:1], -1
                                        ; implicit-def: $vgpr9_vgpr10
	s_branch .LBB79_1348
.LBB79_1344:
	s_mov_b64 s[0:1], -1
                                        ; implicit-def: $vgpr9_vgpr10
.LBB79_1345:
	s_andn2_b64 vcc, exec, s[0:1]
	s_cbranch_vccnz .LBB79_1347
; %bb.1346:
	global_load_dword v1, v[14:15], off
	s_mov_b32 s0, 0x2f800000
	s_mov_b32 s1, 0xcf800000
	s_waitcnt vmcnt(0)
	v_trunc_f32_e32 v1, v1
	v_mul_f32_e64 v3, |v1|, s0
	v_floor_f32_e32 v3, v3
	v_cvt_u32_f32_e32 v5, v3
	v_fma_f32 v3, v3, s1, |v1|
	v_cvt_u32_f32_e32 v3, v3
	v_ashrrev_i32_e32 v1, 31, v1
	v_xor_b32_e32 v5, v5, v1
	v_xor_b32_e32 v3, v3, v1
	v_sub_co_u32_e32 v9, vcc, v3, v1
	v_subb_co_u32_e32 v10, vcc, v5, v1, vcc
.LBB79_1347:
	s_mov_b64 s[0:1], 0
.LBB79_1348:
	s_andn2_b64 vcc, exec, s[0:1]
	s_cbranch_vccnz .LBB79_1350
; %bb.1349:
	global_load_ushort v1, v[14:15], off
	s_waitcnt vmcnt(0)
	v_cvt_f32_f16_e32 v1, v1
	v_cvt_i32_f32_e32 v9, v1
	v_ashrrev_i32_e32 v10, 31, v9
.LBB79_1350:
	s_cbranch_execnz .LBB79_1370
.LBB79_1351:
	s_cmp_lt_i32 s2, 2
	s_cbranch_scc1 .LBB79_1355
; %bb.1352:
	s_cmp_lt_i32 s2, 3
	s_cbranch_scc1 .LBB79_1356
; %bb.1353:
	s_cmp_gt_i32 s2, 3
	s_cbranch_scc0 .LBB79_1357
; %bb.1354:
	global_load_dwordx2 v[9:10], v[14:15], off
	s_mov_b64 s[0:1], 0
	s_branch .LBB79_1358
.LBB79_1355:
	s_mov_b64 s[0:1], -1
                                        ; implicit-def: $vgpr9_vgpr10
	s_branch .LBB79_1364
.LBB79_1356:
	s_mov_b64 s[0:1], -1
                                        ; implicit-def: $vgpr9_vgpr10
	s_branch .LBB79_1361
.LBB79_1357:
	s_mov_b64 s[0:1], -1
                                        ; implicit-def: $vgpr9_vgpr10
.LBB79_1358:
	s_andn2_b64 vcc, exec, s[0:1]
	s_cbranch_vccnz .LBB79_1360
; %bb.1359:
	global_load_dword v9, v[14:15], off
	s_waitcnt vmcnt(0)
	v_ashrrev_i32_e32 v10, 31, v9
.LBB79_1360:
	s_mov_b64 s[0:1], 0
.LBB79_1361:
	s_andn2_b64 vcc, exec, s[0:1]
	s_cbranch_vccnz .LBB79_1363
; %bb.1362:
	global_load_ushort v1, v[14:15], off
	s_waitcnt vmcnt(0)
	v_bfe_i32 v9, v1, 0, 16
	v_ashrrev_i32_e32 v10, 31, v9
.LBB79_1363:
	s_mov_b64 s[0:1], 0
.LBB79_1364:
	s_andn2_b64 vcc, exec, s[0:1]
	s_cbranch_vccnz .LBB79_1370
; %bb.1365:
	s_cmp_gt_i32 s2, 0
	s_cbranch_scc0 .LBB79_1367
; %bb.1366:
	global_load_sbyte v1, v[14:15], off
	s_mov_b64 s[0:1], 0
	s_waitcnt vmcnt(0)
	v_bfe_i32 v9, v1, 0, 16
	v_ashrrev_i32_e32 v10, 31, v9
	s_branch .LBB79_1368
.LBB79_1367:
	s_mov_b64 s[0:1], -1
                                        ; implicit-def: $vgpr9_vgpr10
.LBB79_1368:
	s_andn2_b64 vcc, exec, s[0:1]
	s_cbranch_vccnz .LBB79_1370
; %bb.1369:
	global_load_ubyte v1, v[14:15], off
	s_mov_b32 s0, 0
	s_waitcnt vmcnt(1)
	v_mov_b32_e32 v10, s0
	s_waitcnt vmcnt(0)
	v_and_b32_e32 v9, 0xffff, v1
.LBB79_1370:
.LBB79_1371:
	v_mov_b32_e32 v1, s11
	v_add_co_u32_e32 v14, vcc, s10, v11
	s_cmp_lt_i32 s14, 11
	v_addc_co_u32_e32 v15, vcc, 0, v1, vcc
	s_cbranch_scc1 .LBB79_1378
; %bb.1372:
	s_and_b32 s15, 0xffff, s14
	s_cmp_gt_i32 s15, 25
	s_mov_b64 s[2:3], 0
	s_cbranch_scc0 .LBB79_1380
; %bb.1373:
	s_cmp_gt_i32 s15, 28
	s_cbranch_scc0 .LBB79_1381
; %bb.1374:
	s_cmp_gt_i32 s15, 43
	;; [unrolled: 3-line block ×3, first 2 shown]
	s_cbranch_scc0 .LBB79_1384
; %bb.1376:
	s_cmp_eq_u32 s15, 46
	s_mov_b64 s[6:7], 0
	s_cbranch_scc0 .LBB79_1385
; %bb.1377:
	global_load_dword v1, v[14:15], off
	s_mov_b32 s0, 0x2f800000
	s_mov_b32 s1, 0xcf800000
	s_mov_b64 s[4:5], -1
	s_waitcnt vmcnt(0)
	v_lshlrev_b32_e32 v1, 16, v1
	v_trunc_f32_e32 v1, v1
	v_mul_f32_e64 v3, |v1|, s0
	v_floor_f32_e32 v3, v3
	v_fma_f32 v5, v3, s1, |v1|
	v_cvt_u32_f32_e32 v5, v5
	v_cvt_u32_f32_e32 v3, v3
	v_ashrrev_i32_e32 v1, 31, v1
	s_mov_b64 s[0:1], 0
	v_xor_b32_e32 v5, v5, v1
	v_xor_b32_e32 v3, v3, v1
	v_sub_co_u32_e32 v11, vcc, v5, v1
	v_subb_co_u32_e32 v12, vcc, v3, v1, vcc
	s_branch .LBB79_1386
.LBB79_1378:
	s_mov_b64 s[4:5], 0
                                        ; implicit-def: $vgpr11_vgpr12
	s_cbranch_execnz .LBB79_1448
.LBB79_1379:
	s_andn2_b64 vcc, exec, s[4:5]
	s_cbranch_vccnz .LBB79_2055
	s_branch .LBB79_1496
.LBB79_1380:
	s_mov_b64 s[6:7], -1
	s_mov_b64 s[4:5], 0
	s_mov_b64 s[0:1], 0
                                        ; implicit-def: $vgpr11_vgpr12
	s_branch .LBB79_1415
.LBB79_1381:
	s_mov_b64 s[6:7], -1
	s_mov_b64 s[4:5], 0
	s_mov_b64 s[0:1], 0
                                        ; implicit-def: $vgpr11_vgpr12
	s_branch .LBB79_1396
.LBB79_1382:
	s_mov_b64 s[6:7], -1
	s_mov_b64 s[4:5], 0
	s_mov_b64 s[0:1], 0
                                        ; implicit-def: $vgpr11_vgpr12
	s_branch .LBB79_1391
.LBB79_1383:
	s_trap 2
	s_or_b64 s[12:13], s[12:13], exec
	s_cbranch_execz .LBB79_1322
	s_branch .LBB79_1323
.LBB79_1384:
	s_mov_b64 s[6:7], -1
	s_mov_b64 s[4:5], 0
	s_mov_b64 s[0:1], 0
                                        ; implicit-def: $vgpr11_vgpr12
	s_branch .LBB79_1386
.LBB79_1385:
	s_mov_b64 s[0:1], -1
                                        ; implicit-def: $vgpr11_vgpr12
	s_mov_b64 s[4:5], 0
.LBB79_1386:
	s_and_b64 vcc, exec, s[6:7]
	s_cbranch_vccz .LBB79_1390
; %bb.1387:
	s_cmp_eq_u32 s15, 44
	s_cbranch_scc0 .LBB79_1389
; %bb.1388:
	global_load_ubyte v1, v[14:15], off
	s_mov_b32 s0, 0x2f800000
	s_mov_b32 s1, 0xcf800000
	s_mov_b64 s[4:5], -1
	s_waitcnt vmcnt(0)
	v_lshlrev_b32_e32 v3, 23, v1
	v_trunc_f32_e32 v3, v3
	v_mul_f32_e64 v5, |v3|, s0
	v_floor_f32_e32 v5, v5
	v_fma_f32 v11, v5, s1, |v3|
	v_cvt_u32_f32_e32 v11, v11
	v_cvt_u32_f32_e32 v5, v5
	v_ashrrev_i32_e32 v3, 31, v3
	s_mov_b64 s[0:1], 0
	v_xor_b32_e32 v11, v11, v3
	v_xor_b32_e32 v5, v5, v3
	v_sub_co_u32_e32 v11, vcc, v11, v3
	v_subb_co_u32_e32 v3, vcc, v5, v3, vcc
	v_cmp_ne_u32_e32 vcc, 0, v1
	v_cndmask_b32_e32 v12, 0, v3, vcc
	v_cndmask_b32_e32 v11, 0, v11, vcc
	s_branch .LBB79_1390
.LBB79_1389:
	s_mov_b64 s[0:1], -1
                                        ; implicit-def: $vgpr11_vgpr12
.LBB79_1390:
	s_mov_b64 s[6:7], 0
.LBB79_1391:
	s_and_b64 vcc, exec, s[6:7]
	s_cbranch_vccz .LBB79_1395
; %bb.1392:
	s_cmp_eq_u32 s15, 29
	s_cbranch_scc0 .LBB79_1394
; %bb.1393:
	global_load_dwordx2 v[11:12], v[14:15], off
	s_mov_b64 s[0:1], 0
	s_mov_b64 s[4:5], -1
	s_branch .LBB79_1395
.LBB79_1394:
	s_mov_b64 s[0:1], -1
                                        ; implicit-def: $vgpr11_vgpr12
.LBB79_1395:
	s_mov_b64 s[6:7], 0
.LBB79_1396:
	s_and_b64 vcc, exec, s[6:7]
	s_cbranch_vccz .LBB79_1414
; %bb.1397:
	s_cmp_lt_i32 s15, 27
	s_cbranch_scc1 .LBB79_1400
; %bb.1398:
	s_cmp_gt_i32 s15, 27
	s_cbranch_scc0 .LBB79_1401
; %bb.1399:
	global_load_dword v11, v[14:15], off
	s_waitcnt vmcnt(1)
	v_mov_b32_e32 v12, 0
	s_mov_b64 s[4:5], 0
	s_branch .LBB79_1402
.LBB79_1400:
	s_mov_b64 s[4:5], -1
                                        ; implicit-def: $vgpr11_vgpr12
	s_branch .LBB79_1405
.LBB79_1401:
	s_mov_b64 s[4:5], -1
                                        ; implicit-def: $vgpr11_vgpr12
.LBB79_1402:
	s_andn2_b64 vcc, exec, s[4:5]
	s_cbranch_vccnz .LBB79_1404
; %bb.1403:
	global_load_ushort v1, v[14:15], off
	s_mov_b32 s4, 0
	s_waitcnt vmcnt(1)
	v_mov_b32_e32 v12, s4
	s_waitcnt vmcnt(0)
	v_and_b32_e32 v11, 0xffff, v1
.LBB79_1404:
	s_mov_b64 s[4:5], 0
.LBB79_1405:
	s_andn2_b64 vcc, exec, s[4:5]
	s_cbranch_vccnz .LBB79_1413
; %bb.1406:
	global_load_ubyte v1, v[14:15], off
	s_movk_i32 s4, 0x7f
	s_mov_b64 s[6:7], 0
	s_waitcnt vmcnt(0)
	v_cmp_lt_i16_e32 vcc, s4, v1
	s_and_saveexec_b64 s[4:5], vcc
	s_xor_b64 s[4:5], exec, s[4:5]
; %bb.1407:
	s_movk_i32 s6, 0x80
	v_cmp_ne_u16_e32 vcc, s6, v1
	s_and_b64 s[6:7], vcc, exec
; %bb.1408:
	s_andn2_saveexec_b64 s[4:5], s[4:5]
; %bb.1409:
	v_cmp_ne_u16_e32 vcc, 0, v1
	s_andn2_b64 s[6:7], s[6:7], exec
	s_and_b64 s[16:17], vcc, exec
	s_or_b64 s[6:7], s[6:7], s[16:17]
; %bb.1410:
	s_or_b64 exec, exec, s[4:5]
	v_mov_b32_e32 v11, 0
	v_mov_b32_e32 v12, 0
	s_and_saveexec_b64 s[4:5], s[6:7]
	s_cbranch_execz .LBB79_1412
; %bb.1411:
	v_lshlrev_b32_e32 v3, 24, v1
	v_and_b32_e32 v1, 0xffff, v1
	v_and_b32_e32 v5, 7, v1
	v_ffbh_u32_e32 v12, v5
	v_min_u32_e32 v12, 32, v12
	v_subrev_u32_e32 v16, 28, v12
	v_bfe_u32 v11, v1, 3, 4
	v_lshlrev_b32_e32 v1, v16, v1
	v_sub_u32_e32 v12, 29, v12
	v_and_b32_e32 v1, 7, v1
	v_cmp_eq_u32_e32 vcc, 0, v11
	v_cndmask_b32_e32 v11, v11, v12, vcc
	v_cndmask_b32_e32 v1, v5, v1, vcc
	v_mov_b32_e32 v5, 0x3b800000
	v_lshlrev_b32_e32 v1, 20, v1
	v_and_b32_e32 v3, 0x80000000, v3
	v_lshl_add_u32 v5, v11, 23, v5
	v_or3_b32 v1, v3, v5, v1
	v_trunc_f32_e32 v1, v1
	s_mov_b32 s6, 0x2f800000
	v_mul_f32_e64 v3, |v1|, s6
	v_floor_f32_e32 v3, v3
	s_mov_b32 s6, 0xcf800000
	v_fma_f32 v5, v3, s6, |v1|
	v_cvt_u32_f32_e32 v5, v5
	v_cvt_u32_f32_e32 v3, v3
	v_ashrrev_i32_e32 v1, 31, v1
	v_xor_b32_e32 v5, v5, v1
	v_xor_b32_e32 v3, v3, v1
	v_sub_co_u32_e32 v11, vcc, v5, v1
	v_subb_co_u32_e32 v12, vcc, v3, v1, vcc
.LBB79_1412:
	s_or_b64 exec, exec, s[4:5]
.LBB79_1413:
	s_mov_b64 s[4:5], -1
.LBB79_1414:
	s_mov_b64 s[6:7], 0
.LBB79_1415:
	s_and_b64 vcc, exec, s[6:7]
	s_cbranch_vccz .LBB79_1444
; %bb.1416:
	s_cmp_gt_i32 s15, 22
	s_cbranch_scc0 .LBB79_1426
; %bb.1417:
	s_cmp_lt_i32 s15, 24
	s_cbranch_scc1 .LBB79_1427
; %bb.1418:
	s_cmp_gt_i32 s15, 24
	s_cbranch_scc0 .LBB79_1428
; %bb.1419:
	global_load_ubyte v1, v[14:15], off
	s_movk_i32 s2, 0x7f
	s_mov_b64 s[4:5], 0
	s_waitcnt vmcnt(0)
	v_cmp_lt_i16_e32 vcc, s2, v1
	s_and_saveexec_b64 s[2:3], vcc
	s_xor_b64 s[2:3], exec, s[2:3]
; %bb.1420:
	s_movk_i32 s4, 0x80
	v_cmp_ne_u16_e32 vcc, s4, v1
	s_and_b64 s[4:5], vcc, exec
; %bb.1421:
	s_andn2_saveexec_b64 s[2:3], s[2:3]
; %bb.1422:
	v_cmp_ne_u16_e32 vcc, 0, v1
	s_andn2_b64 s[4:5], s[4:5], exec
	s_and_b64 s[6:7], vcc, exec
	s_or_b64 s[4:5], s[4:5], s[6:7]
; %bb.1423:
	s_or_b64 exec, exec, s[2:3]
	v_mov_b32_e32 v11, 0
	v_mov_b32_e32 v12, 0
	s_and_saveexec_b64 s[2:3], s[4:5]
	s_cbranch_execz .LBB79_1425
; %bb.1424:
	v_lshlrev_b32_e32 v3, 24, v1
	v_and_b32_e32 v1, 0xffff, v1
	v_and_b32_e32 v5, 3, v1
	v_ffbh_u32_e32 v12, v5
	v_min_u32_e32 v12, 32, v12
	v_subrev_u32_e32 v16, 29, v12
	v_bfe_u32 v11, v1, 2, 5
	v_lshlrev_b32_e32 v1, v16, v1
	v_sub_u32_e32 v12, 30, v12
	v_and_b32_e32 v1, 3, v1
	v_cmp_eq_u32_e32 vcc, 0, v11
	v_cndmask_b32_e32 v11, v11, v12, vcc
	v_cndmask_b32_e32 v1, v5, v1, vcc
	v_mov_b32_e32 v5, 0x37800000
	v_lshlrev_b32_e32 v1, 21, v1
	v_and_b32_e32 v3, 0x80000000, v3
	v_lshl_add_u32 v5, v11, 23, v5
	v_or3_b32 v1, v3, v5, v1
	v_trunc_f32_e32 v1, v1
	s_mov_b32 s4, 0x2f800000
	v_mul_f32_e64 v3, |v1|, s4
	v_floor_f32_e32 v3, v3
	s_mov_b32 s4, 0xcf800000
	v_fma_f32 v5, v3, s4, |v1|
	v_cvt_u32_f32_e32 v5, v5
	v_cvt_u32_f32_e32 v3, v3
	v_ashrrev_i32_e32 v1, 31, v1
	v_xor_b32_e32 v5, v5, v1
	v_xor_b32_e32 v3, v3, v1
	v_sub_co_u32_e32 v11, vcc, v5, v1
	v_subb_co_u32_e32 v12, vcc, v3, v1, vcc
.LBB79_1425:
	s_or_b64 exec, exec, s[2:3]
	s_mov_b64 s[2:3], 0
	s_branch .LBB79_1429
.LBB79_1426:
	s_mov_b64 s[2:3], -1
                                        ; implicit-def: $vgpr11_vgpr12
	s_branch .LBB79_1435
.LBB79_1427:
	s_mov_b64 s[2:3], -1
                                        ; implicit-def: $vgpr11_vgpr12
	s_branch .LBB79_1432
.LBB79_1428:
	s_mov_b64 s[2:3], -1
                                        ; implicit-def: $vgpr11_vgpr12
.LBB79_1429:
	s_and_b64 vcc, exec, s[2:3]
	s_cbranch_vccz .LBB79_1431
; %bb.1430:
	global_load_ubyte v1, v[14:15], off
	s_mov_b32 s2, 0x7f800000
	s_brev_b32 s3, 1
	s_mov_b32 s4, 0x2f800000
	s_mov_b32 s5, 0xcf800000
	s_waitcnt vmcnt(0)
	v_lshlrev_b32_e32 v1, 24, v1
	v_and_b32_e32 v3, 0x7f000000, v1
	v_ffbh_u32_e32 v5, v3
	v_min_u32_e32 v5, 32, v5
	v_sub_u32_e64 v5, v5, 4 clamp
	v_lshlrev_b32_e32 v12, v5, v3
	v_lshlrev_b32_e32 v5, 23, v5
	v_lshrrev_b32_e32 v12, 4, v12
	v_add_u32_e32 v11, 0x1000000, v3
	v_sub_u32_e32 v5, v12, v5
	v_ashrrev_i32_e32 v11, 8, v11
	v_add_u32_e32 v5, 0x3c000000, v5
	v_and_or_b32 v5, v11, s2, v5
	v_cmp_ne_u32_e32 vcc, 0, v3
	v_cndmask_b32_e32 v3, 0, v5, vcc
	v_and_or_b32 v1, v1, s3, v3
	v_trunc_f32_e32 v1, v1
	v_mul_f32_e64 v3, |v1|, s4
	v_floor_f32_e32 v3, v3
	v_fma_f32 v5, v3, s5, |v1|
	v_cvt_u32_f32_e32 v5, v5
	v_cvt_u32_f32_e32 v3, v3
	v_ashrrev_i32_e32 v1, 31, v1
	v_xor_b32_e32 v5, v5, v1
	v_xor_b32_e32 v3, v3, v1
	v_sub_co_u32_e32 v11, vcc, v5, v1
	v_subb_co_u32_e32 v12, vcc, v3, v1, vcc
.LBB79_1431:
	s_mov_b64 s[2:3], 0
.LBB79_1432:
	s_andn2_b64 vcc, exec, s[2:3]
	s_cbranch_vccnz .LBB79_1434
; %bb.1433:
	global_load_ubyte v1, v[14:15], off
	s_movk_i32 s2, 0x7f00
	s_brev_b32 s3, 16
	s_brev_b32 s4, 1
	s_mov_b32 s5, 0x2f800000
	s_mov_b32 s6, 0xcf800000
	s_waitcnt vmcnt(0)
	v_lshlrev_b16_e32 v3, 8, v1
	v_lshlrev_b32_e32 v1, 25, v1
	v_lshrrev_b32_e32 v5, 4, v1
	v_and_or_b32 v11, v3, s2, 0.5
	v_or_b32_e32 v5, 0x70000000, v5
	v_add_f32_e32 v11, -0.5, v11
	v_mul_f32_e32 v5, 0x7800000, v5
	v_cmp_gt_u32_e32 vcc, s3, v1
	v_bfe_i32 v3, v3, 0, 16
	v_cndmask_b32_e32 v1, v5, v11, vcc
	v_and_or_b32 v1, v3, s4, v1
	v_trunc_f32_e32 v1, v1
	v_mul_f32_e64 v3, |v1|, s5
	v_floor_f32_e32 v3, v3
	v_fma_f32 v5, v3, s6, |v1|
	v_cvt_u32_f32_e32 v5, v5
	v_cvt_u32_f32_e32 v3, v3
	v_ashrrev_i32_e32 v1, 31, v1
	v_xor_b32_e32 v5, v5, v1
	v_xor_b32_e32 v3, v3, v1
	v_sub_co_u32_e32 v11, vcc, v5, v1
	v_subb_co_u32_e32 v12, vcc, v3, v1, vcc
.LBB79_1434:
	s_mov_b64 s[2:3], 0
	s_mov_b64 s[4:5], -1
.LBB79_1435:
	s_andn2_b64 vcc, exec, s[2:3]
	s_mov_b64 s[2:3], 0
	s_cbranch_vccnz .LBB79_1444
; %bb.1436:
	s_cmp_gt_i32 s15, 14
	s_cbranch_scc0 .LBB79_1439
; %bb.1437:
	s_cmp_eq_u32 s15, 15
	s_cbranch_scc0 .LBB79_1440
; %bb.1438:
	global_load_ushort v1, v[14:15], off
	s_mov_b32 s0, 0x2f800000
	s_mov_b32 s1, 0xcf800000
	s_mov_b64 s[4:5], -1
	s_waitcnt vmcnt(0)
	v_lshlrev_b32_e32 v1, 16, v1
	v_trunc_f32_e32 v1, v1
	v_mul_f32_e64 v3, |v1|, s0
	v_floor_f32_e32 v3, v3
	v_fma_f32 v5, v3, s1, |v1|
	v_cvt_u32_f32_e32 v5, v5
	v_cvt_u32_f32_e32 v3, v3
	v_ashrrev_i32_e32 v1, 31, v1
	s_mov_b64 s[0:1], 0
	v_xor_b32_e32 v5, v5, v1
	v_xor_b32_e32 v3, v3, v1
	v_sub_co_u32_e32 v11, vcc, v5, v1
	v_subb_co_u32_e32 v12, vcc, v3, v1, vcc
	s_branch .LBB79_1441
.LBB79_1439:
	s_mov_b64 s[6:7], -1
                                        ; implicit-def: $vgpr11_vgpr12
	s_branch .LBB79_1442
.LBB79_1440:
	s_mov_b64 s[0:1], -1
                                        ; implicit-def: $vgpr11_vgpr12
.LBB79_1441:
	s_mov_b64 s[6:7], 0
.LBB79_1442:
	s_and_b64 vcc, exec, s[6:7]
	s_cbranch_vccz .LBB79_1444
; %bb.1443:
	s_cmp_lg_u32 s15, 11
	s_mov_b64 s[2:3], -1
	s_cselect_b64 s[0:1], -1, 0
.LBB79_1444:
	s_and_b64 vcc, exec, s[0:1]
	s_cbranch_vccnz .LBB79_1507
; %bb.1445:
	s_andn2_b64 vcc, exec, s[2:3]
	s_cbranch_vccnz .LBB79_1447
.LBB79_1446:
	global_load_ubyte v1, v[14:15], off
	s_mov_b32 s0, 0
	s_waitcnt vmcnt(1)
	v_mov_b32_e32 v12, s0
	s_mov_b64 s[4:5], -1
	s_waitcnt vmcnt(0)
	v_cmp_ne_u16_e32 vcc, 0, v1
	v_cndmask_b32_e64 v11, 0, 1, vcc
.LBB79_1447:
	s_branch .LBB79_1379
.LBB79_1448:
	s_and_b32 s2, 0xffff, s14
	s_cmp_lt_i32 s2, 5
	s_cbranch_scc1 .LBB79_1453
; %bb.1449:
	s_cmp_lt_i32 s2, 8
	s_cbranch_scc1 .LBB79_1454
; %bb.1450:
	;; [unrolled: 3-line block ×3, first 2 shown]
	s_cmp_gt_i32 s2, 9
	s_cbranch_scc0 .LBB79_1456
; %bb.1452:
	global_load_dwordx2 v[11:12], v[14:15], off
	s_movk_i32 s0, 0xffe0
	s_waitcnt vmcnt(0)
	v_trunc_f64_e32 v[11:12], v[11:12]
	v_ldexp_f64 v[16:17], v[11:12], s0
	s_mov_b32 s0, 0
	s_mov_b32 s1, 0xc1f00000
	v_floor_f64_e32 v[16:17], v[16:17]
	v_fma_f64 v[18:19], v[16:17], s[0:1], v[11:12]
	v_cvt_i32_f64_e32 v12, v[16:17]
	s_mov_b64 s[0:1], 0
	v_cvt_u32_f64_e32 v11, v[18:19]
	s_branch .LBB79_1457
.LBB79_1453:
	s_mov_b64 s[0:1], -1
                                        ; implicit-def: $vgpr11_vgpr12
	s_branch .LBB79_1475
.LBB79_1454:
	s_mov_b64 s[0:1], -1
                                        ; implicit-def: $vgpr11_vgpr12
	s_branch .LBB79_1463
.LBB79_1455:
	s_mov_b64 s[0:1], -1
                                        ; implicit-def: $vgpr11_vgpr12
	s_branch .LBB79_1460
.LBB79_1456:
	s_mov_b64 s[0:1], -1
                                        ; implicit-def: $vgpr11_vgpr12
.LBB79_1457:
	s_andn2_b64 vcc, exec, s[0:1]
	s_cbranch_vccnz .LBB79_1459
; %bb.1458:
	global_load_dword v1, v[14:15], off
	s_mov_b32 s0, 0x2f800000
	s_mov_b32 s1, 0xcf800000
	s_waitcnt vmcnt(0)
	v_trunc_f32_e32 v1, v1
	v_mul_f32_e64 v3, |v1|, s0
	v_floor_f32_e32 v3, v3
	v_cvt_u32_f32_e32 v5, v3
	v_fma_f32 v3, v3, s1, |v1|
	v_cvt_u32_f32_e32 v3, v3
	v_ashrrev_i32_e32 v1, 31, v1
	v_xor_b32_e32 v5, v5, v1
	v_xor_b32_e32 v3, v3, v1
	v_sub_co_u32_e32 v11, vcc, v3, v1
	v_subb_co_u32_e32 v12, vcc, v5, v1, vcc
.LBB79_1459:
	s_mov_b64 s[0:1], 0
.LBB79_1460:
	s_andn2_b64 vcc, exec, s[0:1]
	s_cbranch_vccnz .LBB79_1462
; %bb.1461:
	global_load_dword v1, v[14:15], off
	s_waitcnt vmcnt(0)
	v_cvt_f32_f16_e32 v1, v1
	v_cvt_i32_f32_e32 v11, v1
	v_ashrrev_i32_e32 v12, 31, v11
.LBB79_1462:
	s_mov_b64 s[0:1], 0
.LBB79_1463:
	s_andn2_b64 vcc, exec, s[0:1]
	s_cbranch_vccnz .LBB79_1474
; %bb.1464:
	s_cmp_lt_i32 s2, 6
	s_cbranch_scc1 .LBB79_1467
; %bb.1465:
	s_cmp_gt_i32 s2, 6
	s_cbranch_scc0 .LBB79_1468
; %bb.1466:
	global_load_dwordx2 v[11:12], v[14:15], off
	s_movk_i32 s0, 0xffe0
	s_waitcnt vmcnt(0)
	v_trunc_f64_e32 v[11:12], v[11:12]
	v_ldexp_f64 v[16:17], v[11:12], s0
	s_mov_b32 s0, 0
	s_mov_b32 s1, 0xc1f00000
	v_floor_f64_e32 v[16:17], v[16:17]
	v_fma_f64 v[18:19], v[16:17], s[0:1], v[11:12]
	v_cvt_i32_f64_e32 v12, v[16:17]
	s_mov_b64 s[0:1], 0
	v_cvt_u32_f64_e32 v11, v[18:19]
	s_branch .LBB79_1469
.LBB79_1467:
	s_mov_b64 s[0:1], -1
                                        ; implicit-def: $vgpr11_vgpr12
	s_branch .LBB79_1472
.LBB79_1468:
	s_mov_b64 s[0:1], -1
                                        ; implicit-def: $vgpr11_vgpr12
.LBB79_1469:
	s_andn2_b64 vcc, exec, s[0:1]
	s_cbranch_vccnz .LBB79_1471
; %bb.1470:
	global_load_dword v1, v[14:15], off
	s_mov_b32 s0, 0x2f800000
	s_mov_b32 s1, 0xcf800000
	s_waitcnt vmcnt(0)
	v_trunc_f32_e32 v1, v1
	v_mul_f32_e64 v3, |v1|, s0
	v_floor_f32_e32 v3, v3
	v_cvt_u32_f32_e32 v5, v3
	v_fma_f32 v3, v3, s1, |v1|
	v_cvt_u32_f32_e32 v3, v3
	v_ashrrev_i32_e32 v1, 31, v1
	v_xor_b32_e32 v5, v5, v1
	v_xor_b32_e32 v3, v3, v1
	v_sub_co_u32_e32 v11, vcc, v3, v1
	v_subb_co_u32_e32 v12, vcc, v5, v1, vcc
.LBB79_1471:
	s_mov_b64 s[0:1], 0
.LBB79_1472:
	s_andn2_b64 vcc, exec, s[0:1]
	s_cbranch_vccnz .LBB79_1474
; %bb.1473:
	global_load_ushort v1, v[14:15], off
	s_waitcnt vmcnt(0)
	v_cvt_f32_f16_e32 v1, v1
	v_cvt_i32_f32_e32 v11, v1
	v_ashrrev_i32_e32 v12, 31, v11
.LBB79_1474:
	s_mov_b64 s[0:1], 0
.LBB79_1475:
	s_andn2_b64 vcc, exec, s[0:1]
	s_cbranch_vccnz .LBB79_1495
; %bb.1476:
	s_cmp_lt_i32 s2, 2
	s_cbranch_scc1 .LBB79_1480
; %bb.1477:
	s_cmp_lt_i32 s2, 3
	s_cbranch_scc1 .LBB79_1481
; %bb.1478:
	s_cmp_gt_i32 s2, 3
	s_cbranch_scc0 .LBB79_1482
; %bb.1479:
	global_load_dwordx2 v[11:12], v[14:15], off
	s_mov_b64 s[0:1], 0
	s_branch .LBB79_1483
.LBB79_1480:
	s_mov_b64 s[0:1], -1
                                        ; implicit-def: $vgpr11_vgpr12
	s_branch .LBB79_1489
.LBB79_1481:
	s_mov_b64 s[0:1], -1
                                        ; implicit-def: $vgpr11_vgpr12
	s_branch .LBB79_1486
.LBB79_1482:
	s_mov_b64 s[0:1], -1
                                        ; implicit-def: $vgpr11_vgpr12
.LBB79_1483:
	s_andn2_b64 vcc, exec, s[0:1]
	s_cbranch_vccnz .LBB79_1485
; %bb.1484:
	global_load_dword v11, v[14:15], off
	s_waitcnt vmcnt(0)
	v_ashrrev_i32_e32 v12, 31, v11
.LBB79_1485:
	s_mov_b64 s[0:1], 0
.LBB79_1486:
	s_andn2_b64 vcc, exec, s[0:1]
	s_cbranch_vccnz .LBB79_1488
; %bb.1487:
	global_load_ushort v1, v[14:15], off
	s_waitcnt vmcnt(0)
	v_bfe_i32 v11, v1, 0, 16
	v_ashrrev_i32_e32 v12, 31, v11
.LBB79_1488:
	s_mov_b64 s[0:1], 0
.LBB79_1489:
	s_andn2_b64 vcc, exec, s[0:1]
	s_cbranch_vccnz .LBB79_1495
; %bb.1490:
	s_cmp_gt_i32 s2, 0
	s_cbranch_scc0 .LBB79_1492
; %bb.1491:
	global_load_sbyte v1, v[14:15], off
	s_mov_b64 s[0:1], 0
	s_waitcnt vmcnt(0)
	v_bfe_i32 v11, v1, 0, 16
	v_ashrrev_i32_e32 v12, 31, v11
	s_branch .LBB79_1493
.LBB79_1492:
	s_mov_b64 s[0:1], -1
                                        ; implicit-def: $vgpr11_vgpr12
.LBB79_1493:
	s_andn2_b64 vcc, exec, s[0:1]
	s_cbranch_vccnz .LBB79_1495
; %bb.1494:
	global_load_ubyte v1, v[14:15], off
	s_mov_b32 s0, 0
	s_waitcnt vmcnt(1)
	v_mov_b32_e32 v12, s0
	s_waitcnt vmcnt(0)
	v_and_b32_e32 v11, 0xffff, v1
.LBB79_1495:
.LBB79_1496:
	v_mov_b32_e32 v1, s11
	v_add_co_u32_e32 v15, vcc, s10, v13
	s_cmp_lt_i32 s14, 11
	v_addc_co_u32_e32 v16, vcc, 0, v1, vcc
	s_cbranch_scc1 .LBB79_1503
; %bb.1497:
	s_and_b32 s10, 0xffff, s14
	s_cmp_gt_i32 s10, 25
	s_mov_b64 s[2:3], 0
	s_cbranch_scc0 .LBB79_1504
; %bb.1498:
	s_cmp_gt_i32 s10, 28
	s_cbranch_scc0 .LBB79_1505
; %bb.1499:
	s_cmp_gt_i32 s10, 43
	;; [unrolled: 3-line block ×3, first 2 shown]
	s_cbranch_scc0 .LBB79_1508
; %bb.1501:
	s_cmp_eq_u32 s10, 46
	s_mov_b64 s[6:7], 0
	s_cbranch_scc0 .LBB79_1509
; %bb.1502:
	global_load_dword v1, v[15:16], off
	s_mov_b32 s0, 0x2f800000
	s_mov_b32 s1, 0xcf800000
	s_mov_b64 s[4:5], -1
	s_waitcnt vmcnt(0)
	v_lshlrev_b32_e32 v1, 16, v1
	v_trunc_f32_e32 v1, v1
	v_mul_f32_e64 v3, |v1|, s0
	v_floor_f32_e32 v3, v3
	v_fma_f32 v5, v3, s1, |v1|
	v_cvt_u32_f32_e32 v5, v5
	v_cvt_u32_f32_e32 v3, v3
	v_ashrrev_i32_e32 v1, 31, v1
	s_mov_b64 s[0:1], 0
	v_xor_b32_e32 v5, v5, v1
	v_xor_b32_e32 v3, v3, v1
	v_sub_co_u32_e32 v13, vcc, v5, v1
	v_subb_co_u32_e32 v14, vcc, v3, v1, vcc
	s_branch .LBB79_1510
.LBB79_1503:
	s_mov_b64 s[0:1], -1
	s_mov_b64 s[4:5], 0
                                        ; implicit-def: $vgpr13_vgpr14
	s_branch .LBB79_1572
.LBB79_1504:
	s_mov_b64 s[6:7], -1
	s_mov_b64 s[4:5], 0
	s_mov_b64 s[0:1], 0
                                        ; implicit-def: $vgpr13_vgpr14
	s_branch .LBB79_1539
.LBB79_1505:
	s_mov_b64 s[6:7], -1
	s_mov_b64 s[4:5], 0
	s_mov_b64 s[0:1], 0
                                        ; implicit-def: $vgpr13_vgpr14
	s_branch .LBB79_1520
.LBB79_1506:
	s_mov_b64 s[6:7], -1
	s_mov_b64 s[4:5], 0
	s_mov_b64 s[0:1], 0
                                        ; implicit-def: $vgpr13_vgpr14
	s_branch .LBB79_1515
.LBB79_1507:
	s_trap 2
	s_or_b64 s[12:13], s[12:13], exec
	s_cbranch_execz .LBB79_1446
	s_branch .LBB79_1447
.LBB79_1508:
	s_mov_b64 s[6:7], -1
	s_mov_b64 s[4:5], 0
	s_mov_b64 s[0:1], 0
                                        ; implicit-def: $vgpr13_vgpr14
	s_branch .LBB79_1510
.LBB79_1509:
	s_mov_b64 s[0:1], -1
                                        ; implicit-def: $vgpr13_vgpr14
	s_mov_b64 s[4:5], 0
.LBB79_1510:
	s_and_b64 vcc, exec, s[6:7]
	s_cbranch_vccz .LBB79_1514
; %bb.1511:
	s_cmp_eq_u32 s10, 44
	s_cbranch_scc0 .LBB79_1513
; %bb.1512:
	global_load_ubyte v1, v[15:16], off
	s_mov_b32 s0, 0x2f800000
	s_mov_b32 s1, 0xcf800000
	s_mov_b64 s[4:5], -1
	s_waitcnt vmcnt(0)
	v_lshlrev_b32_e32 v3, 23, v1
	v_trunc_f32_e32 v3, v3
	v_mul_f32_e64 v5, |v3|, s0
	v_floor_f32_e32 v5, v5
	v_fma_f32 v13, v5, s1, |v3|
	v_cvt_u32_f32_e32 v13, v13
	v_cvt_u32_f32_e32 v5, v5
	v_ashrrev_i32_e32 v3, 31, v3
	s_mov_b64 s[0:1], 0
	v_xor_b32_e32 v13, v13, v3
	v_xor_b32_e32 v5, v5, v3
	v_sub_co_u32_e32 v13, vcc, v13, v3
	v_subb_co_u32_e32 v3, vcc, v5, v3, vcc
	v_cmp_ne_u32_e32 vcc, 0, v1
	v_cndmask_b32_e32 v14, 0, v3, vcc
	v_cndmask_b32_e32 v13, 0, v13, vcc
	s_branch .LBB79_1514
.LBB79_1513:
	s_mov_b64 s[0:1], -1
                                        ; implicit-def: $vgpr13_vgpr14
.LBB79_1514:
	s_mov_b64 s[6:7], 0
.LBB79_1515:
	s_and_b64 vcc, exec, s[6:7]
	s_cbranch_vccz .LBB79_1519
; %bb.1516:
	s_cmp_eq_u32 s10, 29
	s_cbranch_scc0 .LBB79_1518
; %bb.1517:
	global_load_dwordx2 v[13:14], v[15:16], off
	s_mov_b64 s[0:1], 0
	s_mov_b64 s[4:5], -1
	s_branch .LBB79_1519
.LBB79_1518:
	s_mov_b64 s[0:1], -1
                                        ; implicit-def: $vgpr13_vgpr14
.LBB79_1519:
	s_mov_b64 s[6:7], 0
.LBB79_1520:
	s_and_b64 vcc, exec, s[6:7]
	s_cbranch_vccz .LBB79_1538
; %bb.1521:
	s_cmp_lt_i32 s10, 27
	s_cbranch_scc1 .LBB79_1524
; %bb.1522:
	s_cmp_gt_i32 s10, 27
	s_cbranch_scc0 .LBB79_1525
; %bb.1523:
	global_load_dword v13, v[15:16], off
	s_waitcnt vmcnt(1)
	v_mov_b32_e32 v14, 0
	s_mov_b64 s[4:5], 0
	s_branch .LBB79_1526
.LBB79_1524:
	s_mov_b64 s[4:5], -1
                                        ; implicit-def: $vgpr13_vgpr14
	s_branch .LBB79_1529
.LBB79_1525:
	s_mov_b64 s[4:5], -1
                                        ; implicit-def: $vgpr13_vgpr14
.LBB79_1526:
	s_andn2_b64 vcc, exec, s[4:5]
	s_cbranch_vccnz .LBB79_1528
; %bb.1527:
	global_load_ushort v1, v[15:16], off
	s_mov_b32 s4, 0
	s_waitcnt vmcnt(1)
	v_mov_b32_e32 v14, s4
	s_waitcnt vmcnt(0)
	v_and_b32_e32 v13, 0xffff, v1
.LBB79_1528:
	s_mov_b64 s[4:5], 0
.LBB79_1529:
	s_andn2_b64 vcc, exec, s[4:5]
	s_cbranch_vccnz .LBB79_1537
; %bb.1530:
	global_load_ubyte v1, v[15:16], off
	s_movk_i32 s4, 0x7f
	s_mov_b64 s[6:7], 0
	s_waitcnt vmcnt(0)
	v_cmp_lt_i16_e32 vcc, s4, v1
	s_and_saveexec_b64 s[4:5], vcc
	s_xor_b64 s[4:5], exec, s[4:5]
; %bb.1531:
	s_movk_i32 s6, 0x80
	v_cmp_ne_u16_e32 vcc, s6, v1
	s_and_b64 s[6:7], vcc, exec
; %bb.1532:
	s_andn2_saveexec_b64 s[4:5], s[4:5]
; %bb.1533:
	v_cmp_ne_u16_e32 vcc, 0, v1
	s_andn2_b64 s[6:7], s[6:7], exec
	s_and_b64 s[16:17], vcc, exec
	s_or_b64 s[6:7], s[6:7], s[16:17]
; %bb.1534:
	s_or_b64 exec, exec, s[4:5]
	v_mov_b32_e32 v13, 0
	v_mov_b32_e32 v14, 0
	s_and_saveexec_b64 s[4:5], s[6:7]
	s_cbranch_execz .LBB79_1536
; %bb.1535:
	v_lshlrev_b32_e32 v3, 24, v1
	v_and_b32_e32 v1, 0xffff, v1
	v_and_b32_e32 v5, 7, v1
	v_ffbh_u32_e32 v14, v5
	v_min_u32_e32 v14, 32, v14
	v_subrev_u32_e32 v17, 28, v14
	v_bfe_u32 v13, v1, 3, 4
	v_lshlrev_b32_e32 v1, v17, v1
	v_sub_u32_e32 v14, 29, v14
	v_and_b32_e32 v1, 7, v1
	v_cmp_eq_u32_e32 vcc, 0, v13
	v_cndmask_b32_e32 v13, v13, v14, vcc
	v_cndmask_b32_e32 v1, v5, v1, vcc
	v_mov_b32_e32 v5, 0x3b800000
	v_lshlrev_b32_e32 v1, 20, v1
	v_and_b32_e32 v3, 0x80000000, v3
	v_lshl_add_u32 v5, v13, 23, v5
	v_or3_b32 v1, v3, v5, v1
	v_trunc_f32_e32 v1, v1
	s_mov_b32 s6, 0x2f800000
	v_mul_f32_e64 v3, |v1|, s6
	v_floor_f32_e32 v3, v3
	s_mov_b32 s6, 0xcf800000
	v_fma_f32 v5, v3, s6, |v1|
	v_cvt_u32_f32_e32 v5, v5
	v_cvt_u32_f32_e32 v3, v3
	v_ashrrev_i32_e32 v1, 31, v1
	v_xor_b32_e32 v5, v5, v1
	v_xor_b32_e32 v3, v3, v1
	v_sub_co_u32_e32 v13, vcc, v5, v1
	v_subb_co_u32_e32 v14, vcc, v3, v1, vcc
.LBB79_1536:
	s_or_b64 exec, exec, s[4:5]
.LBB79_1537:
	s_mov_b64 s[4:5], -1
.LBB79_1538:
	s_mov_b64 s[6:7], 0
.LBB79_1539:
	s_and_b64 vcc, exec, s[6:7]
	s_cbranch_vccz .LBB79_1568
; %bb.1540:
	s_cmp_gt_i32 s10, 22
	s_cbranch_scc0 .LBB79_1550
; %bb.1541:
	s_cmp_lt_i32 s10, 24
	s_cbranch_scc1 .LBB79_1551
; %bb.1542:
	s_cmp_gt_i32 s10, 24
	s_cbranch_scc0 .LBB79_1552
; %bb.1543:
	global_load_ubyte v1, v[15:16], off
	s_movk_i32 s2, 0x7f
	s_mov_b64 s[4:5], 0
	s_waitcnt vmcnt(0)
	v_cmp_lt_i16_e32 vcc, s2, v1
	s_and_saveexec_b64 s[2:3], vcc
	s_xor_b64 s[2:3], exec, s[2:3]
; %bb.1544:
	s_movk_i32 s4, 0x80
	v_cmp_ne_u16_e32 vcc, s4, v1
	s_and_b64 s[4:5], vcc, exec
; %bb.1545:
	s_andn2_saveexec_b64 s[2:3], s[2:3]
; %bb.1546:
	v_cmp_ne_u16_e32 vcc, 0, v1
	s_andn2_b64 s[4:5], s[4:5], exec
	s_and_b64 s[6:7], vcc, exec
	s_or_b64 s[4:5], s[4:5], s[6:7]
; %bb.1547:
	s_or_b64 exec, exec, s[2:3]
	v_mov_b32_e32 v13, 0
	v_mov_b32_e32 v14, 0
	s_and_saveexec_b64 s[2:3], s[4:5]
	s_cbranch_execz .LBB79_1549
; %bb.1548:
	v_lshlrev_b32_e32 v3, 24, v1
	v_and_b32_e32 v1, 0xffff, v1
	v_and_b32_e32 v5, 3, v1
	v_ffbh_u32_e32 v14, v5
	v_min_u32_e32 v14, 32, v14
	v_subrev_u32_e32 v17, 29, v14
	v_bfe_u32 v13, v1, 2, 5
	v_lshlrev_b32_e32 v1, v17, v1
	v_sub_u32_e32 v14, 30, v14
	v_and_b32_e32 v1, 3, v1
	v_cmp_eq_u32_e32 vcc, 0, v13
	v_cndmask_b32_e32 v13, v13, v14, vcc
	v_cndmask_b32_e32 v1, v5, v1, vcc
	v_mov_b32_e32 v5, 0x37800000
	v_lshlrev_b32_e32 v1, 21, v1
	v_and_b32_e32 v3, 0x80000000, v3
	v_lshl_add_u32 v5, v13, 23, v5
	v_or3_b32 v1, v3, v5, v1
	v_trunc_f32_e32 v1, v1
	s_mov_b32 s4, 0x2f800000
	v_mul_f32_e64 v3, |v1|, s4
	v_floor_f32_e32 v3, v3
	s_mov_b32 s4, 0xcf800000
	v_fma_f32 v5, v3, s4, |v1|
	v_cvt_u32_f32_e32 v5, v5
	v_cvt_u32_f32_e32 v3, v3
	v_ashrrev_i32_e32 v1, 31, v1
	v_xor_b32_e32 v5, v5, v1
	v_xor_b32_e32 v3, v3, v1
	v_sub_co_u32_e32 v13, vcc, v5, v1
	v_subb_co_u32_e32 v14, vcc, v3, v1, vcc
.LBB79_1549:
	s_or_b64 exec, exec, s[2:3]
	s_mov_b64 s[2:3], 0
	s_branch .LBB79_1553
.LBB79_1550:
	s_mov_b64 s[2:3], -1
                                        ; implicit-def: $vgpr13_vgpr14
	s_branch .LBB79_1559
.LBB79_1551:
	s_mov_b64 s[2:3], -1
                                        ; implicit-def: $vgpr13_vgpr14
	s_branch .LBB79_1556
.LBB79_1552:
	s_mov_b64 s[2:3], -1
                                        ; implicit-def: $vgpr13_vgpr14
.LBB79_1553:
	s_and_b64 vcc, exec, s[2:3]
	s_cbranch_vccz .LBB79_1555
; %bb.1554:
	global_load_ubyte v1, v[15:16], off
	s_mov_b32 s2, 0x7f800000
	s_brev_b32 s3, 1
	s_mov_b32 s4, 0x2f800000
	s_mov_b32 s5, 0xcf800000
	s_waitcnt vmcnt(0)
	v_lshlrev_b32_e32 v1, 24, v1
	v_and_b32_e32 v3, 0x7f000000, v1
	v_ffbh_u32_e32 v5, v3
	v_min_u32_e32 v5, 32, v5
	v_sub_u32_e64 v5, v5, 4 clamp
	v_lshlrev_b32_e32 v14, v5, v3
	v_lshlrev_b32_e32 v5, 23, v5
	v_lshrrev_b32_e32 v14, 4, v14
	v_add_u32_e32 v13, 0x1000000, v3
	v_sub_u32_e32 v5, v14, v5
	v_ashrrev_i32_e32 v13, 8, v13
	v_add_u32_e32 v5, 0x3c000000, v5
	v_and_or_b32 v5, v13, s2, v5
	v_cmp_ne_u32_e32 vcc, 0, v3
	v_cndmask_b32_e32 v3, 0, v5, vcc
	v_and_or_b32 v1, v1, s3, v3
	v_trunc_f32_e32 v1, v1
	v_mul_f32_e64 v3, |v1|, s4
	v_floor_f32_e32 v3, v3
	v_fma_f32 v5, v3, s5, |v1|
	v_cvt_u32_f32_e32 v5, v5
	v_cvt_u32_f32_e32 v3, v3
	v_ashrrev_i32_e32 v1, 31, v1
	v_xor_b32_e32 v5, v5, v1
	v_xor_b32_e32 v3, v3, v1
	v_sub_co_u32_e32 v13, vcc, v5, v1
	v_subb_co_u32_e32 v14, vcc, v3, v1, vcc
.LBB79_1555:
	s_mov_b64 s[2:3], 0
.LBB79_1556:
	s_andn2_b64 vcc, exec, s[2:3]
	s_cbranch_vccnz .LBB79_1558
; %bb.1557:
	global_load_ubyte v1, v[15:16], off
	s_movk_i32 s2, 0x7f00
	s_brev_b32 s3, 16
	s_brev_b32 s4, 1
	s_mov_b32 s5, 0x2f800000
	s_mov_b32 s6, 0xcf800000
	s_waitcnt vmcnt(0)
	v_lshlrev_b16_e32 v3, 8, v1
	v_lshlrev_b32_e32 v1, 25, v1
	v_lshrrev_b32_e32 v5, 4, v1
	v_and_or_b32 v13, v3, s2, 0.5
	v_or_b32_e32 v5, 0x70000000, v5
	v_add_f32_e32 v13, -0.5, v13
	v_mul_f32_e32 v5, 0x7800000, v5
	v_cmp_gt_u32_e32 vcc, s3, v1
	v_bfe_i32 v3, v3, 0, 16
	v_cndmask_b32_e32 v1, v5, v13, vcc
	v_and_or_b32 v1, v3, s4, v1
	v_trunc_f32_e32 v1, v1
	v_mul_f32_e64 v3, |v1|, s5
	v_floor_f32_e32 v3, v3
	v_fma_f32 v5, v3, s6, |v1|
	v_cvt_u32_f32_e32 v5, v5
	v_cvt_u32_f32_e32 v3, v3
	v_ashrrev_i32_e32 v1, 31, v1
	v_xor_b32_e32 v5, v5, v1
	v_xor_b32_e32 v3, v3, v1
	v_sub_co_u32_e32 v13, vcc, v5, v1
	v_subb_co_u32_e32 v14, vcc, v3, v1, vcc
.LBB79_1558:
	s_mov_b64 s[2:3], 0
	s_mov_b64 s[4:5], -1
.LBB79_1559:
	s_andn2_b64 vcc, exec, s[2:3]
	s_mov_b64 s[2:3], 0
	s_cbranch_vccnz .LBB79_1568
; %bb.1560:
	s_cmp_gt_i32 s10, 14
	s_cbranch_scc0 .LBB79_1563
; %bb.1561:
	s_cmp_eq_u32 s10, 15
	s_cbranch_scc0 .LBB79_1564
; %bb.1562:
	global_load_ushort v1, v[15:16], off
	s_mov_b32 s0, 0x2f800000
	s_mov_b32 s1, 0xcf800000
	s_mov_b64 s[4:5], -1
	s_waitcnt vmcnt(0)
	v_lshlrev_b32_e32 v1, 16, v1
	v_trunc_f32_e32 v1, v1
	v_mul_f32_e64 v3, |v1|, s0
	v_floor_f32_e32 v3, v3
	v_fma_f32 v5, v3, s1, |v1|
	v_cvt_u32_f32_e32 v5, v5
	v_cvt_u32_f32_e32 v3, v3
	v_ashrrev_i32_e32 v1, 31, v1
	s_mov_b64 s[0:1], 0
	v_xor_b32_e32 v5, v5, v1
	v_xor_b32_e32 v3, v3, v1
	v_sub_co_u32_e32 v13, vcc, v5, v1
	v_subb_co_u32_e32 v14, vcc, v3, v1, vcc
	s_branch .LBB79_1565
.LBB79_1563:
	s_mov_b64 s[6:7], -1
                                        ; implicit-def: $vgpr13_vgpr14
	s_branch .LBB79_1566
.LBB79_1564:
	s_mov_b64 s[0:1], -1
                                        ; implicit-def: $vgpr13_vgpr14
.LBB79_1565:
	s_mov_b64 s[6:7], 0
.LBB79_1566:
	s_and_b64 vcc, exec, s[6:7]
	s_cbranch_vccz .LBB79_1568
; %bb.1567:
	s_cmp_lg_u32 s10, 11
	s_mov_b64 s[2:3], -1
	s_cselect_b64 s[0:1], -1, 0
.LBB79_1568:
	s_and_b64 vcc, exec, s[0:1]
	s_cbranch_vccnz .LBB79_2101
; %bb.1569:
	s_andn2_b64 vcc, exec, s[2:3]
	s_cbranch_vccnz .LBB79_1571
.LBB79_1570:
	global_load_ubyte v1, v[15:16], off
	s_mov_b32 s0, 0
	s_waitcnt vmcnt(1)
	v_mov_b32_e32 v14, s0
	s_mov_b64 s[4:5], -1
	s_waitcnt vmcnt(0)
	v_cmp_ne_u16_e32 vcc, 0, v1
	v_cndmask_b32_e64 v13, 0, 1, vcc
.LBB79_1571:
	s_mov_b64 s[0:1], 0
.LBB79_1572:
	s_and_b64 vcc, exec, s[0:1]
	s_cbranch_vccz .LBB79_1621
; %bb.1573:
	s_and_b32 s2, 0xffff, s14
	s_cmp_lt_i32 s2, 5
	s_cbranch_scc1 .LBB79_1578
; %bb.1574:
	s_cmp_lt_i32 s2, 8
	s_cbranch_scc1 .LBB79_1579
; %bb.1575:
	;; [unrolled: 3-line block ×3, first 2 shown]
	s_cmp_gt_i32 s2, 9
	s_cbranch_scc0 .LBB79_1581
; %bb.1577:
	global_load_dwordx2 v[13:14], v[15:16], off
	s_movk_i32 s0, 0xffe0
	s_waitcnt vmcnt(0)
	v_trunc_f64_e32 v[13:14], v[13:14]
	v_ldexp_f64 v[17:18], v[13:14], s0
	s_mov_b32 s0, 0
	s_mov_b32 s1, 0xc1f00000
	v_floor_f64_e32 v[17:18], v[17:18]
	v_fma_f64 v[19:20], v[17:18], s[0:1], v[13:14]
	v_cvt_i32_f64_e32 v14, v[17:18]
	s_mov_b64 s[0:1], 0
	v_cvt_u32_f64_e32 v13, v[19:20]
	s_branch .LBB79_1582
.LBB79_1578:
	s_mov_b64 s[0:1], -1
                                        ; implicit-def: $vgpr13_vgpr14
	s_branch .LBB79_1600
.LBB79_1579:
	s_mov_b64 s[0:1], -1
                                        ; implicit-def: $vgpr13_vgpr14
	s_branch .LBB79_1588
.LBB79_1580:
	s_mov_b64 s[0:1], -1
                                        ; implicit-def: $vgpr13_vgpr14
	s_branch .LBB79_1585
.LBB79_1581:
	s_mov_b64 s[0:1], -1
                                        ; implicit-def: $vgpr13_vgpr14
.LBB79_1582:
	s_andn2_b64 vcc, exec, s[0:1]
	s_cbranch_vccnz .LBB79_1584
; %bb.1583:
	global_load_dword v1, v[15:16], off
	s_mov_b32 s0, 0x2f800000
	s_mov_b32 s1, 0xcf800000
	s_waitcnt vmcnt(0)
	v_trunc_f32_e32 v1, v1
	v_mul_f32_e64 v3, |v1|, s0
	v_floor_f32_e32 v3, v3
	v_cvt_u32_f32_e32 v5, v3
	v_fma_f32 v3, v3, s1, |v1|
	v_cvt_u32_f32_e32 v3, v3
	v_ashrrev_i32_e32 v1, 31, v1
	v_xor_b32_e32 v5, v5, v1
	v_xor_b32_e32 v3, v3, v1
	v_sub_co_u32_e32 v13, vcc, v3, v1
	v_subb_co_u32_e32 v14, vcc, v5, v1, vcc
.LBB79_1584:
	s_mov_b64 s[0:1], 0
.LBB79_1585:
	s_andn2_b64 vcc, exec, s[0:1]
	s_cbranch_vccnz .LBB79_1587
; %bb.1586:
	global_load_dword v1, v[15:16], off
	s_waitcnt vmcnt(0)
	v_cvt_f32_f16_e32 v1, v1
	v_cvt_i32_f32_e32 v13, v1
	v_ashrrev_i32_e32 v14, 31, v13
.LBB79_1587:
	s_mov_b64 s[0:1], 0
.LBB79_1588:
	s_andn2_b64 vcc, exec, s[0:1]
	s_cbranch_vccnz .LBB79_1599
; %bb.1589:
	s_cmp_lt_i32 s2, 6
	s_cbranch_scc1 .LBB79_1592
; %bb.1590:
	s_cmp_gt_i32 s2, 6
	s_cbranch_scc0 .LBB79_1593
; %bb.1591:
	global_load_dwordx2 v[13:14], v[15:16], off
	s_movk_i32 s0, 0xffe0
	s_waitcnt vmcnt(0)
	v_trunc_f64_e32 v[13:14], v[13:14]
	v_ldexp_f64 v[17:18], v[13:14], s0
	s_mov_b32 s0, 0
	s_mov_b32 s1, 0xc1f00000
	v_floor_f64_e32 v[17:18], v[17:18]
	v_fma_f64 v[19:20], v[17:18], s[0:1], v[13:14]
	v_cvt_i32_f64_e32 v14, v[17:18]
	s_mov_b64 s[0:1], 0
	v_cvt_u32_f64_e32 v13, v[19:20]
	s_branch .LBB79_1594
.LBB79_1592:
	s_mov_b64 s[0:1], -1
                                        ; implicit-def: $vgpr13_vgpr14
	s_branch .LBB79_1597
.LBB79_1593:
	s_mov_b64 s[0:1], -1
                                        ; implicit-def: $vgpr13_vgpr14
.LBB79_1594:
	s_andn2_b64 vcc, exec, s[0:1]
	s_cbranch_vccnz .LBB79_1596
; %bb.1595:
	global_load_dword v1, v[15:16], off
	s_mov_b32 s0, 0x2f800000
	s_mov_b32 s1, 0xcf800000
	s_waitcnt vmcnt(0)
	v_trunc_f32_e32 v1, v1
	v_mul_f32_e64 v3, |v1|, s0
	v_floor_f32_e32 v3, v3
	v_cvt_u32_f32_e32 v5, v3
	v_fma_f32 v3, v3, s1, |v1|
	v_cvt_u32_f32_e32 v3, v3
	v_ashrrev_i32_e32 v1, 31, v1
	v_xor_b32_e32 v5, v5, v1
	v_xor_b32_e32 v3, v3, v1
	v_sub_co_u32_e32 v13, vcc, v3, v1
	v_subb_co_u32_e32 v14, vcc, v5, v1, vcc
.LBB79_1596:
	s_mov_b64 s[0:1], 0
.LBB79_1597:
	s_andn2_b64 vcc, exec, s[0:1]
	s_cbranch_vccnz .LBB79_1599
; %bb.1598:
	global_load_ushort v1, v[15:16], off
	s_waitcnt vmcnt(0)
	v_cvt_f32_f16_e32 v1, v1
	v_cvt_i32_f32_e32 v13, v1
	v_ashrrev_i32_e32 v14, 31, v13
.LBB79_1599:
	s_mov_b64 s[0:1], 0
.LBB79_1600:
	s_andn2_b64 vcc, exec, s[0:1]
	s_cbranch_vccnz .LBB79_1620
; %bb.1601:
	s_cmp_lt_i32 s2, 2
	s_cbranch_scc1 .LBB79_1605
; %bb.1602:
	s_cmp_lt_i32 s2, 3
	s_cbranch_scc1 .LBB79_1606
; %bb.1603:
	s_cmp_gt_i32 s2, 3
	s_cbranch_scc0 .LBB79_1607
; %bb.1604:
	global_load_dwordx2 v[13:14], v[15:16], off
	s_mov_b64 s[0:1], 0
	s_branch .LBB79_1608
.LBB79_1605:
	s_mov_b64 s[0:1], -1
                                        ; implicit-def: $vgpr13_vgpr14
	s_branch .LBB79_1614
.LBB79_1606:
	s_mov_b64 s[0:1], -1
                                        ; implicit-def: $vgpr13_vgpr14
	s_branch .LBB79_1611
.LBB79_1607:
	s_mov_b64 s[0:1], -1
                                        ; implicit-def: $vgpr13_vgpr14
.LBB79_1608:
	s_andn2_b64 vcc, exec, s[0:1]
	s_cbranch_vccnz .LBB79_1610
; %bb.1609:
	global_load_dword v13, v[15:16], off
	s_waitcnt vmcnt(0)
	v_ashrrev_i32_e32 v14, 31, v13
.LBB79_1610:
	s_mov_b64 s[0:1], 0
.LBB79_1611:
	s_andn2_b64 vcc, exec, s[0:1]
	s_cbranch_vccnz .LBB79_1613
; %bb.1612:
	global_load_ushort v1, v[15:16], off
	s_waitcnt vmcnt(0)
	v_bfe_i32 v13, v1, 0, 16
	v_ashrrev_i32_e32 v14, 31, v13
.LBB79_1613:
	s_mov_b64 s[0:1], 0
.LBB79_1614:
	s_andn2_b64 vcc, exec, s[0:1]
	s_cbranch_vccnz .LBB79_1620
; %bb.1615:
	s_cmp_gt_i32 s2, 0
	s_cbranch_scc0 .LBB79_1617
; %bb.1616:
	global_load_sbyte v1, v[15:16], off
	s_mov_b64 s[0:1], 0
	s_waitcnt vmcnt(0)
	v_bfe_i32 v13, v1, 0, 16
	v_ashrrev_i32_e32 v14, 31, v13
	s_branch .LBB79_1618
.LBB79_1617:
	s_mov_b64 s[0:1], -1
                                        ; implicit-def: $vgpr13_vgpr14
.LBB79_1618:
	s_andn2_b64 vcc, exec, s[0:1]
	s_cbranch_vccnz .LBB79_1620
; %bb.1619:
	global_load_ubyte v1, v[15:16], off
	s_mov_b32 s0, 0
	s_waitcnt vmcnt(1)
	v_mov_b32_e32 v14, s0
	s_waitcnt vmcnt(0)
	v_and_b32_e32 v13, 0xffff, v1
.LBB79_1620:
	s_mov_b64 s[4:5], -1
.LBB79_1621:
	s_andn2_b64 vcc, exec, s[4:5]
	s_cbranch_vccnz .LBB79_2055
; %bb.1622:
	s_load_dwordx4 s[4:7], s[34:35], 0x158
	s_load_dword s2, s[34:35], 0x170
	s_load_dwordx2 s[0:1], s[34:35], 0x168
	s_waitcnt vmcnt(0)
	v_add_co_u32_e32 v5, vcc, s8, v6
	s_waitcnt lgkmcnt(0)
	v_mov_b32_e32 v15, s4
	v_mov_b32_e32 v16, s5
	v_cmp_gt_i64_e64 s[0:1], s[0:1], v[15:16]
	v_mov_b32_e32 v1, s7
	v_cndmask_b32_e64 v8, v1, v8, s[0:1]
	v_mov_b32_e32 v1, s6
	s_and_b32 s18, s2, 0xff
	v_cndmask_b32_e64 v7, v1, v7, s[0:1]
	v_mov_b32_e32 v1, s9
	s_cmp_lt_i32 s18, 11
	v_addc_co_u32_e32 v6, vcc, 0, v1, vcc
	s_cbranch_scc1 .LBB79_1700
; %bb.1623:
	s_and_b32 s19, 0xffff, s18
	s_mov_b64 s[14:15], -1
	s_mov_b64 s[4:5], 0
	s_cmp_gt_i32 s19, 25
	s_mov_b64 s[10:11], 0
	s_mov_b64 s[2:3], 0
	s_cbranch_scc0 .LBB79_1656
; %bb.1624:
	s_cmp_gt_i32 s19, 28
	s_cbranch_scc0 .LBB79_1639
; %bb.1625:
	s_cmp_gt_i32 s19, 43
	;; [unrolled: 3-line block ×3, first 2 shown]
	s_cbranch_scc0 .LBB79_1629
; %bb.1627:
	s_mov_b64 s[2:3], -1
	s_mov_b64 s[14:15], 0
	s_cmp_eq_u32 s19, 46
	s_cbranch_scc0 .LBB79_1629
; %bb.1628:
	v_xor_b32_e32 v3, v7, v8
	v_ffbh_i32_e32 v1, v8
	v_ashrrev_i32_e32 v3, 31, v3
	v_add_u32_e32 v1, -1, v1
	v_add_u32_e32 v3, 32, v3
	v_min_u32_e32 v1, v1, v3
	v_lshlrev_b64 v[15:16], v1, v[7:8]
	v_sub_u32_e32 v1, 32, v1
	v_min_u32_e32 v3, 1, v15
	v_or_b32_e32 v3, v16, v3
	v_cvt_f32_i32_e32 v3, v3
	s_movk_i32 s2, 0x7fff
	s_mov_b64 s[10:11], -1
	v_ldexp_f32 v1, v3, v1
	v_bfe_u32 v3, v1, 16, 1
	v_add3_u32 v1, v1, v3, s2
	v_lshrrev_b32_e32 v1, 16, v1
	global_store_dword v[5:6], v1, off
	s_mov_b64 s[2:3], 0
.LBB79_1629:
	s_and_b64 vcc, exec, s[14:15]
	s_cbranch_vccz .LBB79_1634
; %bb.1630:
	s_cmp_eq_u32 s19, 44
	s_mov_b64 s[2:3], -1
	s_cbranch_scc0 .LBB79_1634
; %bb.1631:
	v_xor_b32_e32 v3, v7, v8
	v_ffbh_i32_e32 v1, v8
	v_ashrrev_i32_e32 v3, 31, v3
	v_add_u32_e32 v1, -1, v1
	v_add_u32_e32 v3, 32, v3
	v_min_u32_e32 v1, v1, v3
	v_lshlrev_b64 v[15:16], v1, v[7:8]
	v_sub_u32_e32 v1, 32, v1
	v_min_u32_e32 v3, 1, v15
	v_or_b32_e32 v3, v16, v3
	v_cvt_f32_i32_e32 v3, v3
	s_movk_i32 s2, 0xff
	v_mov_b32_e32 v15, 0xff
	v_ldexp_f32 v1, v3, v1
	v_bfe_u32 v3, v1, 23, 8
	v_cmp_ne_u32_e32 vcc, s2, v3
	s_and_saveexec_b64 s[10:11], vcc
; %bb.1632:
	s_mov_b32 s2, 0x3fffff
	v_lshrrev_b32_e32 v15, 23, v1
	v_and_b32_e32 v16, 0x400000, v1
	v_and_or_b32 v1, v1, s2, v3
	v_cmp_ne_u32_e32 vcc, 0, v16
	v_cmp_ne_u32_e64 s[2:3], 0, v1
	s_and_b64 s[2:3], vcc, s[2:3]
	v_cndmask_b32_e64 v1, 0, 1, s[2:3]
	v_add_u32_e32 v15, v15, v1
; %bb.1633:
	s_or_b64 exec, exec, s[10:11]
	s_mov_b64 s[2:3], 0
	s_mov_b64 s[10:11], -1
	global_store_byte v[5:6], v15, off
.LBB79_1634:
	s_mov_b64 s[14:15], 0
.LBB79_1635:
	s_and_b64 vcc, exec, s[14:15]
	s_cbranch_vccz .LBB79_1638
; %bb.1636:
	s_cmp_eq_u32 s19, 29
	s_mov_b64 s[2:3], -1
	s_cbranch_scc0 .LBB79_1638
; %bb.1637:
	global_store_dwordx2 v[5:6], v[7:8], off
	s_mov_b64 s[2:3], 0
	s_mov_b64 s[10:11], -1
.LBB79_1638:
	s_mov_b64 s[14:15], 0
.LBB79_1639:
	s_and_b64 vcc, exec, s[14:15]
	s_cbranch_vccz .LBB79_1655
; %bb.1640:
	s_cmp_lt_i32 s19, 27
	s_mov_b64 s[10:11], -1
	s_cbranch_scc1 .LBB79_1646
; %bb.1641:
	s_cmp_gt_i32 s19, 27
	s_cbranch_scc0 .LBB79_1643
; %bb.1642:
	s_mov_b64 s[10:11], 0
	global_store_dword v[5:6], v7, off
.LBB79_1643:
	s_andn2_b64 vcc, exec, s[10:11]
	s_cbranch_vccnz .LBB79_1645
; %bb.1644:
	global_store_short v[5:6], v7, off
.LBB79_1645:
	s_mov_b64 s[10:11], 0
.LBB79_1646:
	s_andn2_b64 vcc, exec, s[10:11]
	s_cbranch_vccnz .LBB79_1654
; %bb.1647:
	v_xor_b32_e32 v3, v7, v8
	v_ffbh_i32_e32 v1, v8
	v_ashrrev_i32_e32 v3, 31, v3
	v_add_u32_e32 v1, -1, v1
	v_add_u32_e32 v3, 32, v3
	v_min_u32_e32 v1, v1, v3
	v_lshlrev_b64 v[15:16], v1, v[7:8]
	v_sub_u32_e32 v1, 32, v1
	v_min_u32_e32 v3, 1, v15
	v_or_b32_e32 v3, v16, v3
	v_cvt_f32_i32_e32 v3, v3
	s_mov_b32 s10, 0x43800000
	v_mov_b32_e32 v15, 0x80
	v_ldexp_f32 v1, v3, v1
	v_and_b32_e32 v3, 0x7fffffff, v1
	v_cmp_gt_u32_e32 vcc, s10, v3
	s_and_saveexec_b64 s[10:11], vcc
	s_cbranch_execz .LBB79_1653
; %bb.1648:
	s_mov_b32 s14, 0x3bffffff
	v_cmp_lt_u32_e32 vcc, s14, v3
	s_mov_b64 s[14:15], 0
                                        ; implicit-def: $vgpr3
	s_and_saveexec_b64 s[16:17], vcc
	s_xor_b64 s[16:17], exec, s[16:17]
	s_cbranch_execz .LBB79_2102
; %bb.1649:
	v_bfe_u32 v3, v1, 20, 1
	s_mov_b32 s20, 0x487ffff
	v_add3_u32 v3, v1, v3, s20
	s_mov_b64 s[14:15], exec
	v_lshrrev_b32_e32 v3, 20, v3
	s_andn2_saveexec_b64 s[16:17], s[16:17]
	s_cbranch_execnz .LBB79_2103
.LBB79_1650:
	s_or_b64 exec, exec, s[16:17]
	v_mov_b32_e32 v15, 0
	s_and_saveexec_b64 s[16:17], s[14:15]
.LBB79_1651:
	v_lshrrev_b32_e32 v1, 24, v1
	s_movk_i32 s14, 0x80
	v_and_or_b32 v15, v1, s14, v3
.LBB79_1652:
	s_or_b64 exec, exec, s[16:17]
.LBB79_1653:
	s_or_b64 exec, exec, s[10:11]
	global_store_byte v[5:6], v15, off
.LBB79_1654:
	s_mov_b64 s[10:11], -1
.LBB79_1655:
	s_mov_b64 s[14:15], 0
.LBB79_1656:
	s_and_b64 vcc, exec, s[14:15]
	s_cbranch_vccz .LBB79_1696
; %bb.1657:
	s_cmp_gt_i32 s19, 22
	s_mov_b64 s[4:5], -1
	s_cbranch_scc0 .LBB79_1689
; %bb.1658:
	s_cmp_lt_i32 s19, 24
	s_cbranch_scc1 .LBB79_1678
; %bb.1659:
	s_cmp_gt_i32 s19, 24
	s_cbranch_scc0 .LBB79_1667
; %bb.1660:
	v_xor_b32_e32 v3, v7, v8
	v_ffbh_i32_e32 v1, v8
	v_ashrrev_i32_e32 v3, 31, v3
	v_add_u32_e32 v1, -1, v1
	v_add_u32_e32 v3, 32, v3
	v_min_u32_e32 v1, v1, v3
	v_lshlrev_b64 v[15:16], v1, v[7:8]
	v_sub_u32_e32 v1, 32, v1
	v_min_u32_e32 v3, 1, v15
	v_or_b32_e32 v3, v16, v3
	v_cvt_f32_i32_e32 v3, v3
	s_mov_b32 s4, 0x47800000
	v_mov_b32_e32 v15, 0x80
	v_ldexp_f32 v1, v3, v1
	v_and_b32_e32 v3, 0x7fffffff, v1
	v_cmp_gt_u32_e32 vcc, s4, v3
	s_and_saveexec_b64 s[4:5], vcc
	s_cbranch_execz .LBB79_1666
; %bb.1661:
	s_mov_b32 s10, 0x37ffffff
	v_cmp_lt_u32_e32 vcc, s10, v3
	s_mov_b64 s[10:11], 0
                                        ; implicit-def: $vgpr3
	s_and_saveexec_b64 s[14:15], vcc
	s_xor_b64 s[14:15], exec, s[14:15]
	s_cbranch_execz .LBB79_2105
; %bb.1662:
	v_bfe_u32 v3, v1, 21, 1
	s_mov_b32 s16, 0x88fffff
	v_add3_u32 v3, v1, v3, s16
	s_mov_b64 s[10:11], exec
	v_lshrrev_b32_e32 v3, 21, v3
	s_andn2_saveexec_b64 s[14:15], s[14:15]
	s_cbranch_execnz .LBB79_2106
.LBB79_1663:
	s_or_b64 exec, exec, s[14:15]
	v_mov_b32_e32 v15, 0
	s_and_saveexec_b64 s[14:15], s[10:11]
.LBB79_1664:
	v_lshrrev_b32_e32 v1, 24, v1
	s_movk_i32 s10, 0x80
	v_and_or_b32 v15, v1, s10, v3
.LBB79_1665:
	s_or_b64 exec, exec, s[14:15]
.LBB79_1666:
	s_or_b64 exec, exec, s[4:5]
	s_mov_b64 s[4:5], 0
	global_store_byte v[5:6], v15, off
.LBB79_1667:
	s_and_b64 vcc, exec, s[4:5]
	s_cbranch_vccz .LBB79_1677
; %bb.1668:
	v_xor_b32_e32 v3, v7, v8
	v_ffbh_i32_e32 v1, v8
	v_ashrrev_i32_e32 v3, 31, v3
	v_add_u32_e32 v1, -1, v1
	v_add_u32_e32 v3, 32, v3
	v_min_u32_e32 v1, v1, v3
	v_lshlrev_b64 v[15:16], v1, v[7:8]
	v_sub_u32_e32 v1, 32, v1
	v_min_u32_e32 v3, 1, v15
	v_or_b32_e32 v3, v16, v3
	v_cvt_f32_i32_e32 v3, v3
	s_mov_b32 s4, 0x43f00000
	v_ldexp_f32 v1, v3, v1
	v_and_b32_e32 v15, 0x7fffffff, v1
	v_cmp_gt_u32_e32 vcc, s4, v15
                                        ; implicit-def: $vgpr3
	s_and_saveexec_b64 s[4:5], vcc
	s_xor_b64 s[4:5], exec, s[4:5]
	s_cbranch_execz .LBB79_1674
; %bb.1669:
	s_mov_b32 s10, 0x3c7fffff
	v_cmp_lt_u32_e32 vcc, s10, v15
                                        ; implicit-def: $vgpr3
	s_and_saveexec_b64 s[10:11], vcc
	s_xor_b64 s[10:11], exec, s[10:11]
; %bb.1670:
	v_bfe_u32 v3, v1, 20, 1
	s_mov_b32 s14, 0x407ffff
	v_add3_u32 v3, v1, v3, s14
	v_lshrrev_b32_e32 v15, 20, v3
	v_and_b32_e32 v3, 0xff00000, v3
	s_mov_b32 s14, 0x7f00000
	v_mov_b32_e32 v16, 0x7e
	v_cmp_ne_u32_e32 vcc, s14, v3
	v_cndmask_b32_e32 v3, v16, v15, vcc
; %bb.1671:
	s_andn2_saveexec_b64 s[10:11], s[10:11]
; %bb.1672:
	s_mov_b32 s14, 0x46800000
	v_add_f32_e64 v3, |v1|, s14
; %bb.1673:
	s_or_b64 exec, exec, s[10:11]
                                        ; implicit-def: $vgpr15
.LBB79_1674:
	s_andn2_saveexec_b64 s[4:5], s[4:5]
; %bb.1675:
	s_mov_b32 s10, 0x7f800000
	v_mov_b32_e32 v3, 0x7e
	v_mov_b32_e32 v16, 0x7f
	v_cmp_lt_u32_e32 vcc, s10, v15
	v_cndmask_b32_e32 v3, v3, v16, vcc
; %bb.1676:
	s_or_b64 exec, exec, s[4:5]
	v_lshrrev_b32_e32 v1, 24, v1
	s_movk_i32 s4, 0x80
	v_and_or_b32 v1, v1, s4, v3
	global_store_byte v[5:6], v1, off
.LBB79_1677:
	s_mov_b64 s[4:5], 0
.LBB79_1678:
	s_andn2_b64 vcc, exec, s[4:5]
	s_cbranch_vccnz .LBB79_1688
; %bb.1679:
	v_xor_b32_e32 v3, v7, v8
	v_ffbh_i32_e32 v1, v8
	v_ashrrev_i32_e32 v3, 31, v3
	v_add_u32_e32 v1, -1, v1
	v_add_u32_e32 v3, 32, v3
	v_min_u32_e32 v1, v1, v3
	v_lshlrev_b64 v[15:16], v1, v[7:8]
	v_sub_u32_e32 v1, 32, v1
	v_min_u32_e32 v3, 1, v15
	v_or_b32_e32 v3, v16, v3
	v_cvt_f32_i32_e32 v3, v3
	s_mov_b32 s4, 0x47800000
	v_ldexp_f32 v1, v3, v1
	v_and_b32_e32 v15, 0x7fffffff, v1
	v_cmp_gt_u32_e32 vcc, s4, v15
                                        ; implicit-def: $vgpr3
	s_and_saveexec_b64 s[4:5], vcc
	s_xor_b64 s[4:5], exec, s[4:5]
	s_cbranch_execz .LBB79_1685
; %bb.1680:
	s_mov_b32 s10, 0x387fffff
	v_cmp_lt_u32_e32 vcc, s10, v15
                                        ; implicit-def: $vgpr3
	s_and_saveexec_b64 s[10:11], vcc
	s_xor_b64 s[10:11], exec, s[10:11]
; %bb.1681:
	v_bfe_u32 v3, v1, 21, 1
	s_mov_b32 s14, 0x80fffff
	v_add3_u32 v3, v1, v3, s14
	v_lshrrev_b32_e32 v3, 21, v3
; %bb.1682:
	s_andn2_saveexec_b64 s[10:11], s[10:11]
; %bb.1683:
	s_mov_b32 s14, 0x43000000
	v_add_f32_e64 v3, |v1|, s14
; %bb.1684:
	s_or_b64 exec, exec, s[10:11]
                                        ; implicit-def: $vgpr15
.LBB79_1685:
	s_andn2_saveexec_b64 s[4:5], s[4:5]
; %bb.1686:
	s_mov_b32 s10, 0x7f800000
	v_mov_b32_e32 v3, 0x7c
	v_mov_b32_e32 v16, 0x7f
	v_cmp_lt_u32_e32 vcc, s10, v15
	v_cndmask_b32_e32 v3, v3, v16, vcc
; %bb.1687:
	s_or_b64 exec, exec, s[4:5]
	v_lshrrev_b32_e32 v1, 24, v1
	s_movk_i32 s4, 0x80
	v_and_or_b32 v1, v1, s4, v3
	global_store_byte v[5:6], v1, off
.LBB79_1688:
	s_mov_b64 s[4:5], 0
	s_mov_b64 s[10:11], -1
.LBB79_1689:
	s_andn2_b64 vcc, exec, s[4:5]
	s_mov_b64 s[4:5], 0
	s_cbranch_vccnz .LBB79_1696
; %bb.1690:
	s_cmp_gt_i32 s19, 14
	s_mov_b64 s[14:15], -1
	s_cbranch_scc0 .LBB79_1694
; %bb.1691:
	s_cmp_eq_u32 s19, 15
	s_mov_b64 s[2:3], -1
	s_cbranch_scc0 .LBB79_1693
; %bb.1692:
	v_xor_b32_e32 v3, v7, v8
	v_ffbh_i32_e32 v1, v8
	v_ashrrev_i32_e32 v3, 31, v3
	v_add_u32_e32 v1, -1, v1
	v_add_u32_e32 v3, 32, v3
	v_min_u32_e32 v1, v1, v3
	v_lshlrev_b64 v[15:16], v1, v[7:8]
	v_sub_u32_e32 v1, 32, v1
	v_min_u32_e32 v3, 1, v15
	v_or_b32_e32 v3, v16, v3
	v_cvt_f32_i32_e32 v3, v3
	s_movk_i32 s2, 0x7fff
	s_mov_b64 s[10:11], -1
	v_ldexp_f32 v1, v3, v1
	v_bfe_u32 v3, v1, 16, 1
	v_add3_u32 v1, v1, v3, s2
	global_store_short_d16_hi v[5:6], v1, off
	s_mov_b64 s[2:3], 0
.LBB79_1693:
	s_mov_b64 s[14:15], 0
.LBB79_1694:
	s_and_b64 vcc, exec, s[14:15]
	s_cbranch_vccz .LBB79_1696
; %bb.1695:
	s_cmp_lg_u32 s19, 11
	s_mov_b64 s[4:5], -1
	s_cselect_b64 s[2:3], -1, 0
.LBB79_1696:
	s_and_b64 vcc, exec, s[2:3]
	s_cbranch_vccnz .LBB79_2104
; %bb.1697:
	s_andn2_b64 vcc, exec, s[4:5]
	s_cbranch_vccnz .LBB79_1699
.LBB79_1698:
	v_cmp_ne_u64_e32 vcc, 0, v[7:8]
	s_mov_b64 s[10:11], -1
	v_cndmask_b32_e64 v1, 0, 1, vcc
	global_store_byte v[5:6], v1, off
.LBB79_1699:
	s_mov_b64 s[2:3], 0
	s_branch .LBB79_1701
.LBB79_1700:
	s_mov_b64 s[2:3], -1
	s_mov_b64 s[10:11], 0
.LBB79_1701:
	s_and_b64 vcc, exec, s[2:3]
	s_cbranch_vccz .LBB79_1740
; %bb.1702:
	s_and_b32 s4, 0xffff, s18
	s_cmp_lt_i32 s4, 5
	s_mov_b64 s[2:3], -1
	s_cbranch_scc1 .LBB79_1723
; %bb.1703:
	s_cmp_lt_i32 s4, 8
	s_cbranch_scc1 .LBB79_1713
; %bb.1704:
	s_cmp_lt_i32 s4, 9
	s_cbranch_scc1 .LBB79_1710
; %bb.1705:
	s_cmp_gt_i32 s4, 9
	s_cbranch_scc0 .LBB79_1707
; %bb.1706:
	v_cvt_f64_i32_e32 v[15:16], v8
	v_cvt_f64_u32_e32 v[17:18], v7
	s_mov_b64 s[2:3], 0
	v_ldexp_f64 v[15:16], v[15:16], 32
	v_add_f64 v[15:16], v[15:16], v[17:18]
	v_mov_b32_e32 v17, 0
	v_mov_b32_e32 v18, v17
	global_store_dwordx4 v[5:6], v[15:18], off
.LBB79_1707:
	s_andn2_b64 vcc, exec, s[2:3]
	s_cbranch_vccnz .LBB79_1709
; %bb.1708:
	v_xor_b32_e32 v3, v7, v8
	v_ffbh_i32_e32 v1, v8
	v_ashrrev_i32_e32 v3, 31, v3
	v_add_u32_e32 v1, -1, v1
	v_add_u32_e32 v3, 32, v3
	v_min_u32_e32 v1, v1, v3
	v_lshlrev_b64 v[15:16], v1, v[7:8]
	v_sub_u32_e32 v1, 32, v1
	v_min_u32_e32 v3, 1, v15
	v_or_b32_e32 v3, v16, v3
	v_cvt_f32_i32_e32 v3, v3
	v_mov_b32_e32 v16, 0
	v_ldexp_f32 v15, v3, v1
	global_store_dwordx2 v[5:6], v[15:16], off
.LBB79_1709:
	s_mov_b64 s[2:3], 0
.LBB79_1710:
	s_andn2_b64 vcc, exec, s[2:3]
	s_cbranch_vccnz .LBB79_1712
; %bb.1711:
	v_xor_b32_e32 v3, v7, v8
	v_ffbh_i32_e32 v1, v8
	v_ashrrev_i32_e32 v3, 31, v3
	v_add_u32_e32 v1, -1, v1
	v_add_u32_e32 v3, 32, v3
	v_min_u32_e32 v1, v1, v3
	v_lshlrev_b64 v[15:16], v1, v[7:8]
	v_sub_u32_e32 v1, 32, v1
	v_min_u32_e32 v3, 1, v15
	v_or_b32_e32 v3, v16, v3
	v_cvt_f32_i32_e32 v3, v3
	v_ldexp_f32 v1, v3, v1
	v_cvt_f16_f32_e32 v1, v1
	global_store_dword v[5:6], v1, off
.LBB79_1712:
	s_mov_b64 s[2:3], 0
.LBB79_1713:
	s_andn2_b64 vcc, exec, s[2:3]
	s_cbranch_vccnz .LBB79_1722
; %bb.1714:
	s_cmp_lt_i32 s4, 6
	s_mov_b64 s[2:3], -1
	s_cbranch_scc1 .LBB79_1720
; %bb.1715:
	s_cmp_gt_i32 s4, 6
	s_cbranch_scc0 .LBB79_1717
; %bb.1716:
	v_cvt_f64_i32_e32 v[15:16], v8
	v_cvt_f64_u32_e32 v[17:18], v7
	s_mov_b64 s[2:3], 0
	v_ldexp_f64 v[15:16], v[15:16], 32
	v_add_f64 v[15:16], v[15:16], v[17:18]
	global_store_dwordx2 v[5:6], v[15:16], off
.LBB79_1717:
	s_andn2_b64 vcc, exec, s[2:3]
	s_cbranch_vccnz .LBB79_1719
; %bb.1718:
	v_xor_b32_e32 v3, v7, v8
	v_ffbh_i32_e32 v1, v8
	v_ashrrev_i32_e32 v3, 31, v3
	v_add_u32_e32 v1, -1, v1
	v_add_u32_e32 v3, 32, v3
	v_min_u32_e32 v1, v1, v3
	v_lshlrev_b64 v[15:16], v1, v[7:8]
	v_sub_u32_e32 v1, 32, v1
	v_min_u32_e32 v3, 1, v15
	v_or_b32_e32 v3, v16, v3
	v_cvt_f32_i32_e32 v3, v3
	v_ldexp_f32 v1, v3, v1
	global_store_dword v[5:6], v1, off
.LBB79_1719:
	s_mov_b64 s[2:3], 0
.LBB79_1720:
	s_andn2_b64 vcc, exec, s[2:3]
	s_cbranch_vccnz .LBB79_1722
; %bb.1721:
	v_xor_b32_e32 v3, v7, v8
	v_ffbh_i32_e32 v1, v8
	v_ashrrev_i32_e32 v3, 31, v3
	v_add_u32_e32 v1, -1, v1
	v_add_u32_e32 v3, 32, v3
	v_min_u32_e32 v1, v1, v3
	v_lshlrev_b64 v[15:16], v1, v[7:8]
	v_sub_u32_e32 v1, 32, v1
	v_min_u32_e32 v3, 1, v15
	v_or_b32_e32 v3, v16, v3
	v_cvt_f32_i32_e32 v3, v3
	v_ldexp_f32 v1, v3, v1
	v_cvt_f16_f32_e32 v1, v1
	global_store_short v[5:6], v1, off
.LBB79_1722:
	s_mov_b64 s[2:3], 0
.LBB79_1723:
	s_andn2_b64 vcc, exec, s[2:3]
	s_cbranch_vccnz .LBB79_1739
; %bb.1724:
	s_cmp_lt_i32 s4, 2
	s_mov_b64 s[2:3], -1
	s_cbranch_scc1 .LBB79_1734
; %bb.1725:
	s_cmp_lt_i32 s4, 3
	s_cbranch_scc1 .LBB79_1731
; %bb.1726:
	s_cmp_gt_i32 s4, 3
	s_cbranch_scc0 .LBB79_1728
; %bb.1727:
	global_store_dwordx2 v[5:6], v[7:8], off
	s_mov_b64 s[2:3], 0
.LBB79_1728:
	s_andn2_b64 vcc, exec, s[2:3]
	s_cbranch_vccnz .LBB79_1730
; %bb.1729:
	global_store_dword v[5:6], v7, off
.LBB79_1730:
	s_mov_b64 s[2:3], 0
.LBB79_1731:
	s_andn2_b64 vcc, exec, s[2:3]
	s_cbranch_vccnz .LBB79_1733
; %bb.1732:
	global_store_short v[5:6], v7, off
.LBB79_1733:
	s_mov_b64 s[2:3], 0
.LBB79_1734:
	s_andn2_b64 vcc, exec, s[2:3]
	s_cbranch_vccnz .LBB79_1739
; %bb.1735:
	s_cmp_gt_i32 s4, 0
	s_mov_b64 s[2:3], -1
	s_cbranch_scc0 .LBB79_1737
; %bb.1736:
	global_store_byte v[5:6], v7, off
	s_mov_b64 s[2:3], 0
.LBB79_1737:
	s_andn2_b64 vcc, exec, s[2:3]
	s_cbranch_vccnz .LBB79_1739
; %bb.1738:
	global_store_byte v[5:6], v7, off
.LBB79_1739:
	s_mov_b64 s[10:11], -1
.LBB79_1740:
	s_andn2_b64 vcc, exec, s[10:11]
	s_cbranch_vccnz .LBB79_2055
; %bb.1741:
	v_mov_b32_e32 v1, s7
	v_cndmask_b32_e64 v6, v1, v10, s[0:1]
	v_mov_b32_e32 v1, s6
	v_cndmask_b32_e64 v5, v1, v9, s[0:1]
	v_mov_b32_e32 v1, s9
	s_and_b32 s19, 0xffff, s18
	v_add_co_u32_e32 v3, vcc, s8, v4
	s_cmp_lt_i32 s19, 11
	v_addc_co_u32_e32 v4, vcc, 0, v1, vcc
	s_cbranch_scc1 .LBB79_1819
; %bb.1742:
	s_mov_b64 s[14:15], -1
	s_mov_b64 s[4:5], 0
	s_cmp_gt_i32 s19, 25
	s_mov_b64 s[10:11], 0
	s_mov_b64 s[2:3], 0
	s_cbranch_scc0 .LBB79_1775
; %bb.1743:
	s_cmp_gt_i32 s19, 28
	s_cbranch_scc0 .LBB79_1758
; %bb.1744:
	s_cmp_gt_i32 s19, 43
	;; [unrolled: 3-line block ×3, first 2 shown]
	s_cbranch_scc0 .LBB79_1748
; %bb.1746:
	s_mov_b64 s[2:3], -1
	s_mov_b64 s[14:15], 0
	s_cmp_eq_u32 s19, 46
	s_cbranch_scc0 .LBB79_1748
; %bb.1747:
	v_xor_b32_e32 v7, v5, v6
	v_ffbh_i32_e32 v1, v6
	v_ashrrev_i32_e32 v7, 31, v7
	v_add_u32_e32 v1, -1, v1
	v_add_u32_e32 v7, 32, v7
	v_min_u32_e32 v1, v1, v7
	v_lshlrev_b64 v[7:8], v1, v[5:6]
	v_sub_u32_e32 v1, 32, v1
	v_min_u32_e32 v7, 1, v7
	v_or_b32_e32 v7, v8, v7
	v_cvt_f32_i32_e32 v7, v7
	s_movk_i32 s2, 0x7fff
	s_mov_b64 s[10:11], -1
	v_ldexp_f32 v1, v7, v1
	v_bfe_u32 v7, v1, 16, 1
	v_add3_u32 v1, v1, v7, s2
	v_lshrrev_b32_e32 v1, 16, v1
	global_store_dword v[3:4], v1, off
	s_mov_b64 s[2:3], 0
.LBB79_1748:
	s_and_b64 vcc, exec, s[14:15]
	s_cbranch_vccz .LBB79_1753
; %bb.1749:
	s_cmp_eq_u32 s19, 44
	s_mov_b64 s[2:3], -1
	s_cbranch_scc0 .LBB79_1753
; %bb.1750:
	v_xor_b32_e32 v7, v5, v6
	v_ffbh_i32_e32 v1, v6
	v_ashrrev_i32_e32 v7, 31, v7
	v_add_u32_e32 v1, -1, v1
	v_add_u32_e32 v7, 32, v7
	v_min_u32_e32 v1, v1, v7
	v_lshlrev_b64 v[7:8], v1, v[5:6]
	v_sub_u32_e32 v1, 32, v1
	v_min_u32_e32 v7, 1, v7
	v_or_b32_e32 v7, v8, v7
	v_cvt_f32_i32_e32 v7, v7
	s_movk_i32 s2, 0xff
	v_mov_b32_e32 v8, 0xff
	v_ldexp_f32 v1, v7, v1
	v_bfe_u32 v7, v1, 23, 8
	v_cmp_ne_u32_e32 vcc, s2, v7
	s_and_saveexec_b64 s[10:11], vcc
; %bb.1751:
	s_mov_b32 s2, 0x3fffff
	v_lshrrev_b32_e32 v8, 23, v1
	v_and_b32_e32 v9, 0x400000, v1
	v_and_or_b32 v1, v1, s2, v7
	v_cmp_ne_u32_e32 vcc, 0, v9
	v_cmp_ne_u32_e64 s[2:3], 0, v1
	s_and_b64 s[2:3], vcc, s[2:3]
	v_cndmask_b32_e64 v1, 0, 1, s[2:3]
	v_add_u32_e32 v8, v8, v1
; %bb.1752:
	s_or_b64 exec, exec, s[10:11]
	s_mov_b64 s[2:3], 0
	s_mov_b64 s[10:11], -1
	global_store_byte v[3:4], v8, off
.LBB79_1753:
	s_mov_b64 s[14:15], 0
.LBB79_1754:
	s_and_b64 vcc, exec, s[14:15]
	s_cbranch_vccz .LBB79_1757
; %bb.1755:
	s_cmp_eq_u32 s19, 29
	s_mov_b64 s[2:3], -1
	s_cbranch_scc0 .LBB79_1757
; %bb.1756:
	global_store_dwordx2 v[3:4], v[5:6], off
	s_mov_b64 s[2:3], 0
	s_mov_b64 s[10:11], -1
.LBB79_1757:
	s_mov_b64 s[14:15], 0
.LBB79_1758:
	s_and_b64 vcc, exec, s[14:15]
	s_cbranch_vccz .LBB79_1774
; %bb.1759:
	s_cmp_lt_i32 s19, 27
	s_mov_b64 s[10:11], -1
	s_cbranch_scc1 .LBB79_1765
; %bb.1760:
	s_cmp_gt_i32 s19, 27
	s_cbranch_scc0 .LBB79_1762
; %bb.1761:
	s_mov_b64 s[10:11], 0
	global_store_dword v[3:4], v5, off
.LBB79_1762:
	s_andn2_b64 vcc, exec, s[10:11]
	s_cbranch_vccnz .LBB79_1764
; %bb.1763:
	global_store_short v[3:4], v5, off
.LBB79_1764:
	s_mov_b64 s[10:11], 0
.LBB79_1765:
	s_andn2_b64 vcc, exec, s[10:11]
	s_cbranch_vccnz .LBB79_1773
; %bb.1766:
	v_xor_b32_e32 v7, v5, v6
	v_ffbh_i32_e32 v1, v6
	v_ashrrev_i32_e32 v7, 31, v7
	v_add_u32_e32 v1, -1, v1
	v_add_u32_e32 v7, 32, v7
	v_min_u32_e32 v1, v1, v7
	v_lshlrev_b64 v[7:8], v1, v[5:6]
	v_sub_u32_e32 v1, 32, v1
	v_min_u32_e32 v7, 1, v7
	v_or_b32_e32 v7, v8, v7
	v_cvt_f32_i32_e32 v7, v7
	s_mov_b32 s10, 0x43800000
	v_mov_b32_e32 v8, 0x80
	v_ldexp_f32 v1, v7, v1
	v_and_b32_e32 v7, 0x7fffffff, v1
	v_cmp_gt_u32_e32 vcc, s10, v7
	s_and_saveexec_b64 s[10:11], vcc
	s_cbranch_execz .LBB79_1772
; %bb.1767:
	s_mov_b32 s14, 0x3bffffff
	v_cmp_lt_u32_e32 vcc, s14, v7
	s_mov_b64 s[14:15], 0
                                        ; implicit-def: $vgpr7
	s_and_saveexec_b64 s[16:17], vcc
	s_xor_b64 s[16:17], exec, s[16:17]
	s_cbranch_execz .LBB79_2107
; %bb.1768:
	v_bfe_u32 v7, v1, 20, 1
	s_mov_b32 s20, 0x487ffff
	v_add3_u32 v7, v1, v7, s20
	s_mov_b64 s[14:15], exec
	v_lshrrev_b32_e32 v7, 20, v7
	s_andn2_saveexec_b64 s[16:17], s[16:17]
	s_cbranch_execnz .LBB79_2108
.LBB79_1769:
	s_or_b64 exec, exec, s[16:17]
	v_mov_b32_e32 v8, 0
	s_and_saveexec_b64 s[16:17], s[14:15]
.LBB79_1770:
	v_lshrrev_b32_e32 v1, 24, v1
	s_movk_i32 s14, 0x80
	v_and_or_b32 v8, v1, s14, v7
.LBB79_1771:
	s_or_b64 exec, exec, s[16:17]
.LBB79_1772:
	s_or_b64 exec, exec, s[10:11]
	global_store_byte v[3:4], v8, off
.LBB79_1773:
	s_mov_b64 s[10:11], -1
.LBB79_1774:
	s_mov_b64 s[14:15], 0
.LBB79_1775:
	s_and_b64 vcc, exec, s[14:15]
	s_cbranch_vccz .LBB79_1815
; %bb.1776:
	s_cmp_gt_i32 s19, 22
	s_mov_b64 s[4:5], -1
	s_cbranch_scc0 .LBB79_1808
; %bb.1777:
	s_cmp_lt_i32 s19, 24
	s_cbranch_scc1 .LBB79_1797
; %bb.1778:
	s_cmp_gt_i32 s19, 24
	s_cbranch_scc0 .LBB79_1786
; %bb.1779:
	v_xor_b32_e32 v7, v5, v6
	v_ffbh_i32_e32 v1, v6
	v_ashrrev_i32_e32 v7, 31, v7
	v_add_u32_e32 v1, -1, v1
	v_add_u32_e32 v7, 32, v7
	v_min_u32_e32 v1, v1, v7
	v_lshlrev_b64 v[7:8], v1, v[5:6]
	v_sub_u32_e32 v1, 32, v1
	v_min_u32_e32 v7, 1, v7
	v_or_b32_e32 v7, v8, v7
	v_cvt_f32_i32_e32 v7, v7
	s_mov_b32 s4, 0x47800000
	v_mov_b32_e32 v8, 0x80
	v_ldexp_f32 v1, v7, v1
	v_and_b32_e32 v7, 0x7fffffff, v1
	v_cmp_gt_u32_e32 vcc, s4, v7
	s_and_saveexec_b64 s[4:5], vcc
	s_cbranch_execz .LBB79_1785
; %bb.1780:
	s_mov_b32 s10, 0x37ffffff
	v_cmp_lt_u32_e32 vcc, s10, v7
	s_mov_b64 s[10:11], 0
                                        ; implicit-def: $vgpr7
	s_and_saveexec_b64 s[14:15], vcc
	s_xor_b64 s[14:15], exec, s[14:15]
	s_cbranch_execz .LBB79_2110
; %bb.1781:
	v_bfe_u32 v7, v1, 21, 1
	s_mov_b32 s16, 0x88fffff
	v_add3_u32 v7, v1, v7, s16
	s_mov_b64 s[10:11], exec
	v_lshrrev_b32_e32 v7, 21, v7
	s_andn2_saveexec_b64 s[14:15], s[14:15]
	s_cbranch_execnz .LBB79_2111
.LBB79_1782:
	s_or_b64 exec, exec, s[14:15]
	v_mov_b32_e32 v8, 0
	s_and_saveexec_b64 s[14:15], s[10:11]
.LBB79_1783:
	v_lshrrev_b32_e32 v1, 24, v1
	s_movk_i32 s10, 0x80
	v_and_or_b32 v8, v1, s10, v7
.LBB79_1784:
	s_or_b64 exec, exec, s[14:15]
.LBB79_1785:
	s_or_b64 exec, exec, s[4:5]
	s_mov_b64 s[4:5], 0
	global_store_byte v[3:4], v8, off
.LBB79_1786:
	s_and_b64 vcc, exec, s[4:5]
	s_cbranch_vccz .LBB79_1796
; %bb.1787:
	v_xor_b32_e32 v7, v5, v6
	v_ffbh_i32_e32 v1, v6
	v_ashrrev_i32_e32 v7, 31, v7
	v_add_u32_e32 v1, -1, v1
	v_add_u32_e32 v7, 32, v7
	v_min_u32_e32 v1, v1, v7
	v_lshlrev_b64 v[7:8], v1, v[5:6]
	v_sub_u32_e32 v1, 32, v1
	v_min_u32_e32 v7, 1, v7
	v_or_b32_e32 v7, v8, v7
	v_cvt_f32_i32_e32 v7, v7
	s_mov_b32 s4, 0x43f00000
	v_ldexp_f32 v1, v7, v1
	v_and_b32_e32 v8, 0x7fffffff, v1
	v_cmp_gt_u32_e32 vcc, s4, v8
                                        ; implicit-def: $vgpr7
	s_and_saveexec_b64 s[4:5], vcc
	s_xor_b64 s[4:5], exec, s[4:5]
	s_cbranch_execz .LBB79_1793
; %bb.1788:
	s_mov_b32 s10, 0x3c7fffff
	v_cmp_lt_u32_e32 vcc, s10, v8
                                        ; implicit-def: $vgpr7
	s_and_saveexec_b64 s[10:11], vcc
	s_xor_b64 s[10:11], exec, s[10:11]
; %bb.1789:
	v_bfe_u32 v7, v1, 20, 1
	s_mov_b32 s14, 0x407ffff
	v_add3_u32 v7, v1, v7, s14
	v_lshrrev_b32_e32 v8, 20, v7
	v_and_b32_e32 v7, 0xff00000, v7
	s_mov_b32 s14, 0x7f00000
	v_mov_b32_e32 v9, 0x7e
	v_cmp_ne_u32_e32 vcc, s14, v7
	v_cndmask_b32_e32 v7, v9, v8, vcc
; %bb.1790:
	s_andn2_saveexec_b64 s[10:11], s[10:11]
; %bb.1791:
	s_mov_b32 s14, 0x46800000
	v_add_f32_e64 v7, |v1|, s14
; %bb.1792:
	s_or_b64 exec, exec, s[10:11]
                                        ; implicit-def: $vgpr8
.LBB79_1793:
	s_andn2_saveexec_b64 s[4:5], s[4:5]
; %bb.1794:
	s_mov_b32 s10, 0x7f800000
	v_mov_b32_e32 v7, 0x7e
	v_mov_b32_e32 v9, 0x7f
	v_cmp_lt_u32_e32 vcc, s10, v8
	v_cndmask_b32_e32 v7, v7, v9, vcc
; %bb.1795:
	s_or_b64 exec, exec, s[4:5]
	v_lshrrev_b32_e32 v1, 24, v1
	s_movk_i32 s4, 0x80
	v_and_or_b32 v1, v1, s4, v7
	global_store_byte v[3:4], v1, off
.LBB79_1796:
	s_mov_b64 s[4:5], 0
.LBB79_1797:
	s_andn2_b64 vcc, exec, s[4:5]
	s_cbranch_vccnz .LBB79_1807
; %bb.1798:
	v_xor_b32_e32 v7, v5, v6
	v_ffbh_i32_e32 v1, v6
	v_ashrrev_i32_e32 v7, 31, v7
	v_add_u32_e32 v1, -1, v1
	v_add_u32_e32 v7, 32, v7
	v_min_u32_e32 v1, v1, v7
	v_lshlrev_b64 v[7:8], v1, v[5:6]
	v_sub_u32_e32 v1, 32, v1
	v_min_u32_e32 v7, 1, v7
	v_or_b32_e32 v7, v8, v7
	v_cvt_f32_i32_e32 v7, v7
	s_mov_b32 s4, 0x47800000
	v_ldexp_f32 v1, v7, v1
	v_and_b32_e32 v8, 0x7fffffff, v1
	v_cmp_gt_u32_e32 vcc, s4, v8
                                        ; implicit-def: $vgpr7
	s_and_saveexec_b64 s[4:5], vcc
	s_xor_b64 s[4:5], exec, s[4:5]
	s_cbranch_execz .LBB79_1804
; %bb.1799:
	s_mov_b32 s10, 0x387fffff
	v_cmp_lt_u32_e32 vcc, s10, v8
                                        ; implicit-def: $vgpr7
	s_and_saveexec_b64 s[10:11], vcc
	s_xor_b64 s[10:11], exec, s[10:11]
; %bb.1800:
	v_bfe_u32 v7, v1, 21, 1
	s_mov_b32 s14, 0x80fffff
	v_add3_u32 v7, v1, v7, s14
	v_lshrrev_b32_e32 v7, 21, v7
; %bb.1801:
	s_andn2_saveexec_b64 s[10:11], s[10:11]
; %bb.1802:
	s_mov_b32 s14, 0x43000000
	v_add_f32_e64 v7, |v1|, s14
; %bb.1803:
	s_or_b64 exec, exec, s[10:11]
                                        ; implicit-def: $vgpr8
.LBB79_1804:
	s_andn2_saveexec_b64 s[4:5], s[4:5]
; %bb.1805:
	s_mov_b32 s10, 0x7f800000
	v_mov_b32_e32 v7, 0x7c
	v_mov_b32_e32 v9, 0x7f
	v_cmp_lt_u32_e32 vcc, s10, v8
	v_cndmask_b32_e32 v7, v7, v9, vcc
; %bb.1806:
	s_or_b64 exec, exec, s[4:5]
	v_lshrrev_b32_e32 v1, 24, v1
	s_movk_i32 s4, 0x80
	v_and_or_b32 v1, v1, s4, v7
	global_store_byte v[3:4], v1, off
.LBB79_1807:
	s_mov_b64 s[4:5], 0
	s_mov_b64 s[10:11], -1
.LBB79_1808:
	s_andn2_b64 vcc, exec, s[4:5]
	s_mov_b64 s[4:5], 0
	s_cbranch_vccnz .LBB79_1815
; %bb.1809:
	s_cmp_gt_i32 s19, 14
	s_mov_b64 s[14:15], -1
	s_cbranch_scc0 .LBB79_1813
; %bb.1810:
	s_cmp_eq_u32 s19, 15
	s_mov_b64 s[2:3], -1
	s_cbranch_scc0 .LBB79_1812
; %bb.1811:
	v_xor_b32_e32 v7, v5, v6
	v_ffbh_i32_e32 v1, v6
	v_ashrrev_i32_e32 v7, 31, v7
	v_add_u32_e32 v1, -1, v1
	v_add_u32_e32 v7, 32, v7
	v_min_u32_e32 v1, v1, v7
	v_lshlrev_b64 v[7:8], v1, v[5:6]
	v_sub_u32_e32 v1, 32, v1
	v_min_u32_e32 v7, 1, v7
	v_or_b32_e32 v7, v8, v7
	v_cvt_f32_i32_e32 v7, v7
	s_movk_i32 s2, 0x7fff
	s_mov_b64 s[10:11], -1
	v_ldexp_f32 v1, v7, v1
	v_bfe_u32 v7, v1, 16, 1
	v_add3_u32 v1, v1, v7, s2
	global_store_short_d16_hi v[3:4], v1, off
	s_mov_b64 s[2:3], 0
.LBB79_1812:
	s_mov_b64 s[14:15], 0
.LBB79_1813:
	s_and_b64 vcc, exec, s[14:15]
	s_cbranch_vccz .LBB79_1815
; %bb.1814:
	s_cmp_lg_u32 s19, 11
	s_mov_b64 s[4:5], -1
	s_cselect_b64 s[2:3], -1, 0
.LBB79_1815:
	s_and_b64 vcc, exec, s[2:3]
	s_cbranch_vccnz .LBB79_2109
; %bb.1816:
	s_andn2_b64 vcc, exec, s[4:5]
	s_cbranch_vccnz .LBB79_1818
.LBB79_1817:
	v_cmp_ne_u64_e32 vcc, 0, v[5:6]
	s_mov_b64 s[10:11], -1
	v_cndmask_b32_e64 v1, 0, 1, vcc
	global_store_byte v[3:4], v1, off
.LBB79_1818:
	s_mov_b64 s[2:3], 0
	s_branch .LBB79_1820
.LBB79_1819:
	s_mov_b64 s[2:3], -1
	s_mov_b64 s[10:11], 0
.LBB79_1820:
	s_and_b64 vcc, exec, s[2:3]
	s_cbranch_vccz .LBB79_1859
; %bb.1821:
	s_cmp_lt_i32 s19, 5
	s_mov_b64 s[2:3], -1
	s_cbranch_scc1 .LBB79_1842
; %bb.1822:
	s_cmp_lt_i32 s19, 8
	s_cbranch_scc1 .LBB79_1832
; %bb.1823:
	s_cmp_lt_i32 s19, 9
	s_cbranch_scc1 .LBB79_1829
; %bb.1824:
	s_cmp_gt_i32 s19, 9
	s_cbranch_scc0 .LBB79_1826
; %bb.1825:
	v_cvt_f64_i32_e32 v[7:8], v6
	v_cvt_f64_u32_e32 v[9:10], v5
	s_mov_b64 s[2:3], 0
	v_ldexp_f64 v[7:8], v[7:8], 32
	v_add_f64 v[7:8], v[7:8], v[9:10]
	v_mov_b32_e32 v9, 0
	v_mov_b32_e32 v10, v9
	global_store_dwordx4 v[3:4], v[7:10], off
.LBB79_1826:
	s_andn2_b64 vcc, exec, s[2:3]
	s_cbranch_vccnz .LBB79_1828
; %bb.1827:
	v_xor_b32_e32 v7, v5, v6
	v_ffbh_i32_e32 v1, v6
	v_ashrrev_i32_e32 v7, 31, v7
	v_add_u32_e32 v1, -1, v1
	v_add_u32_e32 v7, 32, v7
	v_min_u32_e32 v1, v1, v7
	v_lshlrev_b64 v[7:8], v1, v[5:6]
	v_sub_u32_e32 v1, 32, v1
	v_min_u32_e32 v7, 1, v7
	v_or_b32_e32 v7, v8, v7
	v_cvt_f32_i32_e32 v7, v7
	v_mov_b32_e32 v8, 0
	v_ldexp_f32 v7, v7, v1
	global_store_dwordx2 v[3:4], v[7:8], off
.LBB79_1828:
	s_mov_b64 s[2:3], 0
.LBB79_1829:
	s_andn2_b64 vcc, exec, s[2:3]
	s_cbranch_vccnz .LBB79_1831
; %bb.1830:
	v_xor_b32_e32 v7, v5, v6
	v_ffbh_i32_e32 v1, v6
	v_ashrrev_i32_e32 v7, 31, v7
	v_add_u32_e32 v1, -1, v1
	v_add_u32_e32 v7, 32, v7
	v_min_u32_e32 v1, v1, v7
	v_lshlrev_b64 v[7:8], v1, v[5:6]
	v_sub_u32_e32 v1, 32, v1
	v_min_u32_e32 v7, 1, v7
	v_or_b32_e32 v7, v8, v7
	v_cvt_f32_i32_e32 v7, v7
	v_ldexp_f32 v1, v7, v1
	v_cvt_f16_f32_e32 v1, v1
	global_store_dword v[3:4], v1, off
.LBB79_1831:
	s_mov_b64 s[2:3], 0
.LBB79_1832:
	s_andn2_b64 vcc, exec, s[2:3]
	s_cbranch_vccnz .LBB79_1841
; %bb.1833:
	s_cmp_lt_i32 s19, 6
	s_mov_b64 s[2:3], -1
	s_cbranch_scc1 .LBB79_1839
; %bb.1834:
	s_cmp_gt_i32 s19, 6
	s_cbranch_scc0 .LBB79_1836
; %bb.1835:
	v_cvt_f64_i32_e32 v[7:8], v6
	v_cvt_f64_u32_e32 v[9:10], v5
	s_mov_b64 s[2:3], 0
	v_ldexp_f64 v[7:8], v[7:8], 32
	v_add_f64 v[7:8], v[7:8], v[9:10]
	global_store_dwordx2 v[3:4], v[7:8], off
.LBB79_1836:
	s_andn2_b64 vcc, exec, s[2:3]
	s_cbranch_vccnz .LBB79_1838
; %bb.1837:
	v_xor_b32_e32 v7, v5, v6
	v_ffbh_i32_e32 v1, v6
	v_ashrrev_i32_e32 v7, 31, v7
	v_add_u32_e32 v1, -1, v1
	v_add_u32_e32 v7, 32, v7
	v_min_u32_e32 v1, v1, v7
	v_lshlrev_b64 v[7:8], v1, v[5:6]
	v_sub_u32_e32 v1, 32, v1
	v_min_u32_e32 v7, 1, v7
	v_or_b32_e32 v7, v8, v7
	v_cvt_f32_i32_e32 v7, v7
	v_ldexp_f32 v1, v7, v1
	global_store_dword v[3:4], v1, off
.LBB79_1838:
	s_mov_b64 s[2:3], 0
.LBB79_1839:
	s_andn2_b64 vcc, exec, s[2:3]
	s_cbranch_vccnz .LBB79_1841
; %bb.1840:
	v_xor_b32_e32 v7, v5, v6
	v_ffbh_i32_e32 v1, v6
	v_ashrrev_i32_e32 v7, 31, v7
	v_add_u32_e32 v1, -1, v1
	v_add_u32_e32 v7, 32, v7
	v_min_u32_e32 v1, v1, v7
	v_lshlrev_b64 v[7:8], v1, v[5:6]
	v_sub_u32_e32 v1, 32, v1
	v_min_u32_e32 v7, 1, v7
	v_or_b32_e32 v7, v8, v7
	v_cvt_f32_i32_e32 v7, v7
	v_ldexp_f32 v1, v7, v1
	v_cvt_f16_f32_e32 v1, v1
	global_store_short v[3:4], v1, off
.LBB79_1841:
	s_mov_b64 s[2:3], 0
.LBB79_1842:
	s_andn2_b64 vcc, exec, s[2:3]
	s_cbranch_vccnz .LBB79_1858
; %bb.1843:
	s_cmp_lt_i32 s19, 2
	s_mov_b64 s[2:3], -1
	s_cbranch_scc1 .LBB79_1853
; %bb.1844:
	s_cmp_lt_i32 s19, 3
	s_cbranch_scc1 .LBB79_1850
; %bb.1845:
	s_cmp_gt_i32 s19, 3
	s_cbranch_scc0 .LBB79_1847
; %bb.1846:
	global_store_dwordx2 v[3:4], v[5:6], off
	s_mov_b64 s[2:3], 0
.LBB79_1847:
	s_andn2_b64 vcc, exec, s[2:3]
	s_cbranch_vccnz .LBB79_1849
; %bb.1848:
	global_store_dword v[3:4], v5, off
.LBB79_1849:
	s_mov_b64 s[2:3], 0
.LBB79_1850:
	s_andn2_b64 vcc, exec, s[2:3]
	s_cbranch_vccnz .LBB79_1852
; %bb.1851:
	global_store_short v[3:4], v5, off
.LBB79_1852:
	s_mov_b64 s[2:3], 0
.LBB79_1853:
	s_andn2_b64 vcc, exec, s[2:3]
	s_cbranch_vccnz .LBB79_1858
; %bb.1854:
	s_cmp_gt_i32 s19, 0
	s_mov_b64 s[2:3], -1
	s_cbranch_scc0 .LBB79_1856
; %bb.1855:
	global_store_byte v[3:4], v5, off
	s_mov_b64 s[2:3], 0
.LBB79_1856:
	s_andn2_b64 vcc, exec, s[2:3]
	s_cbranch_vccnz .LBB79_1858
; %bb.1857:
	global_store_byte v[3:4], v5, off
.LBB79_1858:
	s_mov_b64 s[10:11], -1
.LBB79_1859:
	s_andn2_b64 vcc, exec, s[10:11]
	s_cbranch_vccnz .LBB79_2055
; %bb.1860:
	v_mov_b32_e32 v1, s7
	v_cndmask_b32_e64 v4, v1, v12, s[0:1]
	v_mov_b32_e32 v1, s6
	v_cndmask_b32_e64 v3, v1, v11, s[0:1]
	v_mov_b32_e32 v5, s9
	v_add_co_u32_e32 v1, vcc, s8, v2
	s_cmp_lt_i32 s19, 11
	v_addc_co_u32_e32 v2, vcc, 0, v5, vcc
	s_cbranch_scc1 .LBB79_1938
; %bb.1861:
	s_mov_b64 s[14:15], -1
	s_mov_b64 s[4:5], 0
	s_cmp_gt_i32 s19, 25
	s_mov_b64 s[10:11], 0
	s_mov_b64 s[2:3], 0
	s_cbranch_scc0 .LBB79_1894
; %bb.1862:
	s_cmp_gt_i32 s19, 28
	s_cbranch_scc0 .LBB79_1877
; %bb.1863:
	s_cmp_gt_i32 s19, 43
	;; [unrolled: 3-line block ×3, first 2 shown]
	s_cbranch_scc0 .LBB79_1867
; %bb.1865:
	s_mov_b64 s[2:3], -1
	s_mov_b64 s[14:15], 0
	s_cmp_eq_u32 s19, 46
	s_cbranch_scc0 .LBB79_1867
; %bb.1866:
	v_xor_b32_e32 v6, v3, v4
	v_ffbh_i32_e32 v5, v4
	v_ashrrev_i32_e32 v6, 31, v6
	v_add_u32_e32 v5, -1, v5
	v_add_u32_e32 v6, 32, v6
	v_min_u32_e32 v7, v5, v6
	v_lshlrev_b64 v[5:6], v7, v[3:4]
	s_movk_i32 s2, 0x7fff
	v_min_u32_e32 v5, 1, v5
	v_or_b32_e32 v5, v6, v5
	v_cvt_f32_i32_e32 v5, v5
	v_sub_u32_e32 v6, 32, v7
	s_mov_b64 s[10:11], -1
	v_ldexp_f32 v5, v5, v6
	v_bfe_u32 v6, v5, 16, 1
	v_add3_u32 v5, v5, v6, s2
	v_lshrrev_b32_e32 v5, 16, v5
	global_store_dword v[1:2], v5, off
	s_mov_b64 s[2:3], 0
.LBB79_1867:
	s_and_b64 vcc, exec, s[14:15]
	s_cbranch_vccz .LBB79_1872
; %bb.1868:
	s_cmp_eq_u32 s19, 44
	s_mov_b64 s[2:3], -1
	s_cbranch_scc0 .LBB79_1872
; %bb.1869:
	v_xor_b32_e32 v6, v3, v4
	v_ffbh_i32_e32 v5, v4
	v_ashrrev_i32_e32 v6, 31, v6
	v_add_u32_e32 v5, -1, v5
	v_add_u32_e32 v6, 32, v6
	v_min_u32_e32 v7, v5, v6
	v_lshlrev_b64 v[5:6], v7, v[3:4]
	s_movk_i32 s2, 0xff
	v_min_u32_e32 v5, 1, v5
	v_or_b32_e32 v5, v6, v5
	v_cvt_f32_i32_e32 v5, v5
	v_sub_u32_e32 v6, 32, v7
	v_mov_b32_e32 v7, 0xff
	v_ldexp_f32 v5, v5, v6
	v_bfe_u32 v6, v5, 23, 8
	v_cmp_ne_u32_e32 vcc, s2, v6
	s_and_saveexec_b64 s[10:11], vcc
; %bb.1870:
	s_mov_b32 s2, 0x3fffff
	v_lshrrev_b32_e32 v7, 23, v5
	v_and_b32_e32 v8, 0x400000, v5
	v_and_or_b32 v5, v5, s2, v6
	v_cmp_ne_u32_e32 vcc, 0, v8
	v_cmp_ne_u32_e64 s[2:3], 0, v5
	s_and_b64 s[2:3], vcc, s[2:3]
	v_cndmask_b32_e64 v5, 0, 1, s[2:3]
	v_add_u32_e32 v7, v7, v5
; %bb.1871:
	s_or_b64 exec, exec, s[10:11]
	s_mov_b64 s[2:3], 0
	s_mov_b64 s[10:11], -1
	global_store_byte v[1:2], v7, off
.LBB79_1872:
	s_mov_b64 s[14:15], 0
.LBB79_1873:
	s_and_b64 vcc, exec, s[14:15]
	s_cbranch_vccz .LBB79_1876
; %bb.1874:
	s_cmp_eq_u32 s19, 29
	s_mov_b64 s[2:3], -1
	s_cbranch_scc0 .LBB79_1876
; %bb.1875:
	global_store_dwordx2 v[1:2], v[3:4], off
	s_mov_b64 s[2:3], 0
	s_mov_b64 s[10:11], -1
.LBB79_1876:
	s_mov_b64 s[14:15], 0
.LBB79_1877:
	s_and_b64 vcc, exec, s[14:15]
	s_cbranch_vccz .LBB79_1893
; %bb.1878:
	s_cmp_lt_i32 s19, 27
	s_mov_b64 s[10:11], -1
	s_cbranch_scc1 .LBB79_1884
; %bb.1879:
	s_cmp_gt_i32 s19, 27
	s_cbranch_scc0 .LBB79_1881
; %bb.1880:
	s_mov_b64 s[10:11], 0
	global_store_dword v[1:2], v3, off
.LBB79_1881:
	s_andn2_b64 vcc, exec, s[10:11]
	s_cbranch_vccnz .LBB79_1883
; %bb.1882:
	global_store_short v[1:2], v3, off
.LBB79_1883:
	s_mov_b64 s[10:11], 0
.LBB79_1884:
	s_andn2_b64 vcc, exec, s[10:11]
	s_cbranch_vccnz .LBB79_1892
; %bb.1885:
	v_xor_b32_e32 v6, v3, v4
	v_ffbh_i32_e32 v5, v4
	v_ashrrev_i32_e32 v6, 31, v6
	v_add_u32_e32 v5, -1, v5
	v_add_u32_e32 v6, 32, v6
	v_min_u32_e32 v7, v5, v6
	v_lshlrev_b64 v[5:6], v7, v[3:4]
	s_mov_b32 s10, 0x43800000
	v_min_u32_e32 v5, 1, v5
	v_or_b32_e32 v5, v6, v5
	v_cvt_f32_i32_e32 v5, v5
	v_sub_u32_e32 v6, 32, v7
	v_mov_b32_e32 v7, 0x80
	v_ldexp_f32 v5, v5, v6
	v_and_b32_e32 v6, 0x7fffffff, v5
	v_cmp_gt_u32_e32 vcc, s10, v6
	s_and_saveexec_b64 s[10:11], vcc
	s_cbranch_execz .LBB79_1891
; %bb.1886:
	s_mov_b32 s14, 0x3bffffff
	v_cmp_lt_u32_e32 vcc, s14, v6
	s_mov_b64 s[14:15], 0
                                        ; implicit-def: $vgpr6
	s_and_saveexec_b64 s[16:17], vcc
	s_xor_b64 s[16:17], exec, s[16:17]
	s_cbranch_execz .LBB79_2112
; %bb.1887:
	v_bfe_u32 v6, v5, 20, 1
	s_mov_b32 s20, 0x487ffff
	v_add3_u32 v6, v5, v6, s20
	s_mov_b64 s[14:15], exec
	v_lshrrev_b32_e32 v6, 20, v6
	s_andn2_saveexec_b64 s[16:17], s[16:17]
	s_cbranch_execnz .LBB79_2113
.LBB79_1888:
	s_or_b64 exec, exec, s[16:17]
	v_mov_b32_e32 v7, 0
	s_and_saveexec_b64 s[16:17], s[14:15]
.LBB79_1889:
	v_lshrrev_b32_e32 v5, 24, v5
	s_movk_i32 s14, 0x80
	v_and_or_b32 v7, v5, s14, v6
.LBB79_1890:
	s_or_b64 exec, exec, s[16:17]
.LBB79_1891:
	s_or_b64 exec, exec, s[10:11]
	global_store_byte v[1:2], v7, off
.LBB79_1892:
	s_mov_b64 s[10:11], -1
.LBB79_1893:
	s_mov_b64 s[14:15], 0
.LBB79_1894:
	s_and_b64 vcc, exec, s[14:15]
	s_cbranch_vccz .LBB79_1934
; %bb.1895:
	s_cmp_gt_i32 s19, 22
	s_mov_b64 s[4:5], -1
	s_cbranch_scc0 .LBB79_1927
; %bb.1896:
	s_cmp_lt_i32 s19, 24
	s_cbranch_scc1 .LBB79_1916
; %bb.1897:
	s_cmp_gt_i32 s19, 24
	s_cbranch_scc0 .LBB79_1905
; %bb.1898:
	v_xor_b32_e32 v6, v3, v4
	v_ffbh_i32_e32 v5, v4
	v_ashrrev_i32_e32 v6, 31, v6
	v_add_u32_e32 v5, -1, v5
	v_add_u32_e32 v6, 32, v6
	v_min_u32_e32 v7, v5, v6
	v_lshlrev_b64 v[5:6], v7, v[3:4]
	s_mov_b32 s4, 0x47800000
	v_min_u32_e32 v5, 1, v5
	v_or_b32_e32 v5, v6, v5
	v_cvt_f32_i32_e32 v5, v5
	v_sub_u32_e32 v6, 32, v7
	v_mov_b32_e32 v7, 0x80
	v_ldexp_f32 v5, v5, v6
	v_and_b32_e32 v6, 0x7fffffff, v5
	v_cmp_gt_u32_e32 vcc, s4, v6
	s_and_saveexec_b64 s[4:5], vcc
	s_cbranch_execz .LBB79_1904
; %bb.1899:
	s_mov_b32 s10, 0x37ffffff
	v_cmp_lt_u32_e32 vcc, s10, v6
	s_mov_b64 s[10:11], 0
                                        ; implicit-def: $vgpr6
	s_and_saveexec_b64 s[14:15], vcc
	s_xor_b64 s[14:15], exec, s[14:15]
	s_cbranch_execz .LBB79_2115
; %bb.1900:
	v_bfe_u32 v6, v5, 21, 1
	s_mov_b32 s16, 0x88fffff
	v_add3_u32 v6, v5, v6, s16
	s_mov_b64 s[10:11], exec
	v_lshrrev_b32_e32 v6, 21, v6
	s_andn2_saveexec_b64 s[14:15], s[14:15]
	s_cbranch_execnz .LBB79_2116
.LBB79_1901:
	s_or_b64 exec, exec, s[14:15]
	v_mov_b32_e32 v7, 0
	s_and_saveexec_b64 s[14:15], s[10:11]
.LBB79_1902:
	v_lshrrev_b32_e32 v5, 24, v5
	s_movk_i32 s10, 0x80
	v_and_or_b32 v7, v5, s10, v6
.LBB79_1903:
	s_or_b64 exec, exec, s[14:15]
.LBB79_1904:
	s_or_b64 exec, exec, s[4:5]
	s_mov_b64 s[4:5], 0
	global_store_byte v[1:2], v7, off
.LBB79_1905:
	s_and_b64 vcc, exec, s[4:5]
	s_cbranch_vccz .LBB79_1915
; %bb.1906:
	v_xor_b32_e32 v6, v3, v4
	v_ffbh_i32_e32 v5, v4
	v_ashrrev_i32_e32 v6, 31, v6
	v_add_u32_e32 v5, -1, v5
	v_add_u32_e32 v6, 32, v6
	v_min_u32_e32 v7, v5, v6
	v_lshlrev_b64 v[5:6], v7, v[3:4]
	s_mov_b32 s4, 0x43f00000
	v_min_u32_e32 v5, 1, v5
	v_or_b32_e32 v5, v6, v5
	v_cvt_f32_i32_e32 v5, v5
	v_sub_u32_e32 v6, 32, v7
	v_ldexp_f32 v5, v5, v6
	v_and_b32_e32 v7, 0x7fffffff, v5
	v_cmp_gt_u32_e32 vcc, s4, v7
                                        ; implicit-def: $vgpr6
	s_and_saveexec_b64 s[4:5], vcc
	s_xor_b64 s[4:5], exec, s[4:5]
	s_cbranch_execz .LBB79_1912
; %bb.1907:
	s_mov_b32 s10, 0x3c7fffff
	v_cmp_lt_u32_e32 vcc, s10, v7
                                        ; implicit-def: $vgpr6
	s_and_saveexec_b64 s[10:11], vcc
	s_xor_b64 s[10:11], exec, s[10:11]
; %bb.1908:
	v_bfe_u32 v6, v5, 20, 1
	s_mov_b32 s14, 0x407ffff
	v_add3_u32 v6, v5, v6, s14
	v_lshrrev_b32_e32 v7, 20, v6
	v_and_b32_e32 v6, 0xff00000, v6
	s_mov_b32 s14, 0x7f00000
	v_mov_b32_e32 v8, 0x7e
	v_cmp_ne_u32_e32 vcc, s14, v6
	v_cndmask_b32_e32 v6, v8, v7, vcc
; %bb.1909:
	s_andn2_saveexec_b64 s[10:11], s[10:11]
; %bb.1910:
	s_mov_b32 s14, 0x46800000
	v_add_f32_e64 v6, |v5|, s14
; %bb.1911:
	s_or_b64 exec, exec, s[10:11]
                                        ; implicit-def: $vgpr7
.LBB79_1912:
	s_andn2_saveexec_b64 s[4:5], s[4:5]
; %bb.1913:
	s_mov_b32 s10, 0x7f800000
	v_mov_b32_e32 v6, 0x7e
	v_mov_b32_e32 v8, 0x7f
	v_cmp_lt_u32_e32 vcc, s10, v7
	v_cndmask_b32_e32 v6, v6, v8, vcc
; %bb.1914:
	s_or_b64 exec, exec, s[4:5]
	v_lshrrev_b32_e32 v5, 24, v5
	s_movk_i32 s4, 0x80
	v_and_or_b32 v5, v5, s4, v6
	global_store_byte v[1:2], v5, off
.LBB79_1915:
	s_mov_b64 s[4:5], 0
.LBB79_1916:
	s_andn2_b64 vcc, exec, s[4:5]
	s_cbranch_vccnz .LBB79_1926
; %bb.1917:
	v_xor_b32_e32 v6, v3, v4
	v_ffbh_i32_e32 v5, v4
	v_ashrrev_i32_e32 v6, 31, v6
	v_add_u32_e32 v5, -1, v5
	v_add_u32_e32 v6, 32, v6
	v_min_u32_e32 v7, v5, v6
	v_lshlrev_b64 v[5:6], v7, v[3:4]
	s_mov_b32 s4, 0x47800000
	v_min_u32_e32 v5, 1, v5
	v_or_b32_e32 v5, v6, v5
	v_cvt_f32_i32_e32 v5, v5
	v_sub_u32_e32 v6, 32, v7
	v_ldexp_f32 v5, v5, v6
	v_and_b32_e32 v7, 0x7fffffff, v5
	v_cmp_gt_u32_e32 vcc, s4, v7
                                        ; implicit-def: $vgpr6
	s_and_saveexec_b64 s[4:5], vcc
	s_xor_b64 s[4:5], exec, s[4:5]
	s_cbranch_execz .LBB79_1923
; %bb.1918:
	s_mov_b32 s10, 0x387fffff
	v_cmp_lt_u32_e32 vcc, s10, v7
                                        ; implicit-def: $vgpr6
	s_and_saveexec_b64 s[10:11], vcc
	s_xor_b64 s[10:11], exec, s[10:11]
; %bb.1919:
	v_bfe_u32 v6, v5, 21, 1
	s_mov_b32 s14, 0x80fffff
	v_add3_u32 v6, v5, v6, s14
	v_lshrrev_b32_e32 v6, 21, v6
; %bb.1920:
	s_andn2_saveexec_b64 s[10:11], s[10:11]
; %bb.1921:
	s_mov_b32 s14, 0x43000000
	v_add_f32_e64 v6, |v5|, s14
; %bb.1922:
	s_or_b64 exec, exec, s[10:11]
                                        ; implicit-def: $vgpr7
.LBB79_1923:
	s_andn2_saveexec_b64 s[4:5], s[4:5]
; %bb.1924:
	s_mov_b32 s10, 0x7f800000
	v_mov_b32_e32 v6, 0x7c
	v_mov_b32_e32 v8, 0x7f
	v_cmp_lt_u32_e32 vcc, s10, v7
	v_cndmask_b32_e32 v6, v6, v8, vcc
; %bb.1925:
	s_or_b64 exec, exec, s[4:5]
	v_lshrrev_b32_e32 v5, 24, v5
	s_movk_i32 s4, 0x80
	v_and_or_b32 v5, v5, s4, v6
	global_store_byte v[1:2], v5, off
.LBB79_1926:
	s_mov_b64 s[4:5], 0
	s_mov_b64 s[10:11], -1
.LBB79_1927:
	s_andn2_b64 vcc, exec, s[4:5]
	s_mov_b64 s[4:5], 0
	s_cbranch_vccnz .LBB79_1934
; %bb.1928:
	s_cmp_gt_i32 s19, 14
	s_mov_b64 s[14:15], -1
	s_cbranch_scc0 .LBB79_1932
; %bb.1929:
	s_cmp_eq_u32 s19, 15
	s_mov_b64 s[2:3], -1
	s_cbranch_scc0 .LBB79_1931
; %bb.1930:
	v_xor_b32_e32 v6, v3, v4
	v_ffbh_i32_e32 v5, v4
	v_ashrrev_i32_e32 v6, 31, v6
	v_add_u32_e32 v5, -1, v5
	v_add_u32_e32 v6, 32, v6
	v_min_u32_e32 v7, v5, v6
	v_lshlrev_b64 v[5:6], v7, v[3:4]
	s_movk_i32 s2, 0x7fff
	v_min_u32_e32 v5, 1, v5
	v_or_b32_e32 v5, v6, v5
	v_cvt_f32_i32_e32 v5, v5
	v_sub_u32_e32 v6, 32, v7
	s_mov_b64 s[10:11], -1
	v_ldexp_f32 v5, v5, v6
	v_bfe_u32 v6, v5, 16, 1
	v_add3_u32 v5, v5, v6, s2
	global_store_short_d16_hi v[1:2], v5, off
	s_mov_b64 s[2:3], 0
.LBB79_1931:
	s_mov_b64 s[14:15], 0
.LBB79_1932:
	s_and_b64 vcc, exec, s[14:15]
	s_cbranch_vccz .LBB79_1934
; %bb.1933:
	s_cmp_lg_u32 s19, 11
	s_mov_b64 s[4:5], -1
	s_cselect_b64 s[2:3], -1, 0
.LBB79_1934:
	s_and_b64 vcc, exec, s[2:3]
	s_cbranch_vccnz .LBB79_2114
; %bb.1935:
	s_andn2_b64 vcc, exec, s[4:5]
	s_cbranch_vccnz .LBB79_1937
.LBB79_1936:
	v_cmp_ne_u64_e32 vcc, 0, v[3:4]
	s_mov_b64 s[10:11], -1
	v_cndmask_b32_e64 v5, 0, 1, vcc
	global_store_byte v[1:2], v5, off
.LBB79_1937:
	s_mov_b64 s[2:3], 0
	s_branch .LBB79_1939
.LBB79_1938:
	s_mov_b64 s[2:3], -1
	s_mov_b64 s[10:11], 0
.LBB79_1939:
	s_and_b64 vcc, exec, s[2:3]
	s_cbranch_vccz .LBB79_1978
; %bb.1940:
	s_cmp_lt_i32 s19, 5
	s_mov_b64 s[2:3], -1
	s_cbranch_scc1 .LBB79_1961
; %bb.1941:
	s_cmp_lt_i32 s19, 8
	s_cbranch_scc1 .LBB79_1951
; %bb.1942:
	s_cmp_lt_i32 s19, 9
	s_cbranch_scc1 .LBB79_1948
; %bb.1943:
	s_cmp_gt_i32 s19, 9
	s_cbranch_scc0 .LBB79_1945
; %bb.1944:
	v_cvt_f64_i32_e32 v[5:6], v4
	v_cvt_f64_u32_e32 v[7:8], v3
	s_mov_b64 s[2:3], 0
	v_ldexp_f64 v[5:6], v[5:6], 32
	v_add_f64 v[5:6], v[5:6], v[7:8]
	v_mov_b32_e32 v7, 0
	v_mov_b32_e32 v8, v7
	global_store_dwordx4 v[1:2], v[5:8], off
.LBB79_1945:
	s_andn2_b64 vcc, exec, s[2:3]
	s_cbranch_vccnz .LBB79_1947
; %bb.1946:
	v_xor_b32_e32 v6, v3, v4
	v_ffbh_i32_e32 v5, v4
	v_ashrrev_i32_e32 v6, 31, v6
	v_add_u32_e32 v5, -1, v5
	v_add_u32_e32 v6, 32, v6
	v_min_u32_e32 v7, v5, v6
	v_lshlrev_b64 v[5:6], v7, v[3:4]
	v_min_u32_e32 v5, 1, v5
	v_or_b32_e32 v5, v6, v5
	v_cvt_f32_i32_e32 v5, v5
	v_sub_u32_e32 v6, 32, v7
	v_ldexp_f32 v5, v5, v6
	v_mov_b32_e32 v6, 0
	global_store_dwordx2 v[1:2], v[5:6], off
.LBB79_1947:
	s_mov_b64 s[2:3], 0
.LBB79_1948:
	s_andn2_b64 vcc, exec, s[2:3]
	s_cbranch_vccnz .LBB79_1950
; %bb.1949:
	v_xor_b32_e32 v6, v3, v4
	v_ffbh_i32_e32 v5, v4
	v_ashrrev_i32_e32 v6, 31, v6
	v_add_u32_e32 v5, -1, v5
	v_add_u32_e32 v6, 32, v6
	v_min_u32_e32 v7, v5, v6
	v_lshlrev_b64 v[5:6], v7, v[3:4]
	v_min_u32_e32 v5, 1, v5
	v_or_b32_e32 v5, v6, v5
	v_cvt_f32_i32_e32 v5, v5
	v_sub_u32_e32 v6, 32, v7
	v_ldexp_f32 v5, v5, v6
	v_cvt_f16_f32_e32 v5, v5
	global_store_dword v[1:2], v5, off
.LBB79_1950:
	s_mov_b64 s[2:3], 0
.LBB79_1951:
	s_andn2_b64 vcc, exec, s[2:3]
	s_cbranch_vccnz .LBB79_1960
; %bb.1952:
	s_cmp_lt_i32 s19, 6
	s_mov_b64 s[2:3], -1
	s_cbranch_scc1 .LBB79_1958
; %bb.1953:
	s_cmp_gt_i32 s19, 6
	s_cbranch_scc0 .LBB79_1955
; %bb.1954:
	v_cvt_f64_i32_e32 v[5:6], v4
	v_cvt_f64_u32_e32 v[7:8], v3
	s_mov_b64 s[2:3], 0
	v_ldexp_f64 v[5:6], v[5:6], 32
	v_add_f64 v[5:6], v[5:6], v[7:8]
	global_store_dwordx2 v[1:2], v[5:6], off
.LBB79_1955:
	s_andn2_b64 vcc, exec, s[2:3]
	s_cbranch_vccnz .LBB79_1957
; %bb.1956:
	v_xor_b32_e32 v6, v3, v4
	v_ffbh_i32_e32 v5, v4
	v_ashrrev_i32_e32 v6, 31, v6
	v_add_u32_e32 v5, -1, v5
	v_add_u32_e32 v6, 32, v6
	v_min_u32_e32 v7, v5, v6
	v_lshlrev_b64 v[5:6], v7, v[3:4]
	v_min_u32_e32 v5, 1, v5
	v_or_b32_e32 v5, v6, v5
	v_cvt_f32_i32_e32 v5, v5
	v_sub_u32_e32 v6, 32, v7
	v_ldexp_f32 v5, v5, v6
	global_store_dword v[1:2], v5, off
.LBB79_1957:
	s_mov_b64 s[2:3], 0
.LBB79_1958:
	s_andn2_b64 vcc, exec, s[2:3]
	s_cbranch_vccnz .LBB79_1960
; %bb.1959:
	v_xor_b32_e32 v6, v3, v4
	v_ffbh_i32_e32 v5, v4
	v_ashrrev_i32_e32 v6, 31, v6
	v_add_u32_e32 v5, -1, v5
	v_add_u32_e32 v6, 32, v6
	v_min_u32_e32 v7, v5, v6
	v_lshlrev_b64 v[5:6], v7, v[3:4]
	v_min_u32_e32 v5, 1, v5
	v_or_b32_e32 v5, v6, v5
	v_cvt_f32_i32_e32 v5, v5
	v_sub_u32_e32 v6, 32, v7
	v_ldexp_f32 v5, v5, v6
	v_cvt_f16_f32_e32 v5, v5
	global_store_short v[1:2], v5, off
.LBB79_1960:
	s_mov_b64 s[2:3], 0
.LBB79_1961:
	s_andn2_b64 vcc, exec, s[2:3]
	s_cbranch_vccnz .LBB79_1977
; %bb.1962:
	s_cmp_lt_i32 s19, 2
	s_mov_b64 s[2:3], -1
	s_cbranch_scc1 .LBB79_1972
; %bb.1963:
	s_cmp_lt_i32 s19, 3
	s_cbranch_scc1 .LBB79_1969
; %bb.1964:
	s_cmp_gt_i32 s19, 3
	s_cbranch_scc0 .LBB79_1966
; %bb.1965:
	global_store_dwordx2 v[1:2], v[3:4], off
	s_mov_b64 s[2:3], 0
.LBB79_1966:
	s_andn2_b64 vcc, exec, s[2:3]
	s_cbranch_vccnz .LBB79_1968
; %bb.1967:
	global_store_dword v[1:2], v3, off
.LBB79_1968:
	s_mov_b64 s[2:3], 0
.LBB79_1969:
	s_andn2_b64 vcc, exec, s[2:3]
	s_cbranch_vccnz .LBB79_1971
; %bb.1970:
	global_store_short v[1:2], v3, off
.LBB79_1971:
	s_mov_b64 s[2:3], 0
.LBB79_1972:
	s_andn2_b64 vcc, exec, s[2:3]
	s_cbranch_vccnz .LBB79_1977
; %bb.1973:
	s_cmp_gt_i32 s19, 0
	s_mov_b64 s[2:3], -1
	s_cbranch_scc0 .LBB79_1975
; %bb.1974:
	global_store_byte v[1:2], v3, off
	s_mov_b64 s[2:3], 0
.LBB79_1975:
	s_andn2_b64 vcc, exec, s[2:3]
	s_cbranch_vccnz .LBB79_1977
; %bb.1976:
	global_store_byte v[1:2], v3, off
.LBB79_1977:
	s_mov_b64 s[10:11], -1
.LBB79_1978:
	s_andn2_b64 vcc, exec, s[10:11]
	s_cbranch_vccnz .LBB79_2055
; %bb.1979:
	v_mov_b32_e32 v1, s7
	v_cndmask_b32_e64 v3, v1, v14, s[0:1]
	v_mov_b32_e32 v1, s6
	v_cndmask_b32_e64 v2, v1, v13, s[0:1]
	v_mov_b32_e32 v1, s9
	v_add_co_u32_e32 v0, vcc, s8, v0
	s_cmp_lt_i32 s19, 11
	v_addc_co_u32_e32 v1, vcc, 0, v1, vcc
	s_cbranch_scc1 .LBB79_2100
; %bb.1980:
	s_mov_b64 s[4:5], -1
	s_mov_b64 s[2:3], 0
	s_cmp_gt_i32 s19, 25
	s_mov_b64 s[0:1], 0
	s_cbranch_scc0 .LBB79_2013
; %bb.1981:
	s_cmp_gt_i32 s19, 28
	s_cbranch_scc0 .LBB79_1997
; %bb.1982:
	s_cmp_gt_i32 s19, 43
	;; [unrolled: 3-line block ×3, first 2 shown]
	s_cbranch_scc0 .LBB79_1987
; %bb.1984:
	s_cmp_eq_u32 s19, 46
	s_mov_b64 s[0:1], -1
	s_cbranch_scc0 .LBB79_1986
; %bb.1985:
	v_xor_b32_e32 v5, v2, v3
	v_ffbh_i32_e32 v4, v3
	v_ashrrev_i32_e32 v5, 31, v5
	v_add_u32_e32 v4, -1, v4
	v_add_u32_e32 v5, 32, v5
	v_min_u32_e32 v6, v4, v5
	v_lshlrev_b64 v[4:5], v6, v[2:3]
	s_movk_i32 s0, 0x7fff
	v_min_u32_e32 v4, 1, v4
	v_or_b32_e32 v4, v5, v4
	v_cvt_f32_i32_e32 v4, v4
	v_sub_u32_e32 v5, 32, v6
	v_ldexp_f32 v4, v4, v5
	v_bfe_u32 v5, v4, 16, 1
	v_add3_u32 v4, v4, v5, s0
	v_lshrrev_b32_e32 v4, 16, v4
	global_store_dword v[0:1], v4, off
	s_mov_b64 s[0:1], 0
.LBB79_1986:
	s_mov_b64 s[4:5], 0
.LBB79_1987:
	s_and_b64 vcc, exec, s[4:5]
	s_cbranch_vccz .LBB79_1992
; %bb.1988:
	s_cmp_eq_u32 s19, 44
	s_mov_b64 s[0:1], -1
	s_cbranch_scc0 .LBB79_1992
; %bb.1989:
	v_xor_b32_e32 v5, v2, v3
	v_ffbh_i32_e32 v4, v3
	v_ashrrev_i32_e32 v5, 31, v5
	v_add_u32_e32 v4, -1, v4
	v_add_u32_e32 v5, 32, v5
	v_min_u32_e32 v6, v4, v5
	v_lshlrev_b64 v[4:5], v6, v[2:3]
	s_movk_i32 s0, 0xff
	v_min_u32_e32 v4, 1, v4
	v_or_b32_e32 v4, v5, v4
	v_cvt_f32_i32_e32 v4, v4
	v_sub_u32_e32 v5, 32, v6
	v_mov_b32_e32 v6, 0xff
	v_ldexp_f32 v4, v4, v5
	v_bfe_u32 v5, v4, 23, 8
	v_cmp_ne_u32_e32 vcc, s0, v5
	s_and_saveexec_b64 s[4:5], vcc
; %bb.1990:
	s_mov_b32 s0, 0x3fffff
	v_lshrrev_b32_e32 v6, 23, v4
	v_and_b32_e32 v7, 0x400000, v4
	v_and_or_b32 v4, v4, s0, v5
	v_cmp_ne_u32_e32 vcc, 0, v7
	v_cmp_ne_u32_e64 s[0:1], 0, v4
	s_and_b64 s[0:1], vcc, s[0:1]
	v_cndmask_b32_e64 v4, 0, 1, s[0:1]
	v_add_u32_e32 v6, v6, v4
; %bb.1991:
	s_or_b64 exec, exec, s[4:5]
	s_mov_b64 s[0:1], 0
	global_store_byte v[0:1], v6, off
.LBB79_1992:
	s_mov_b64 s[4:5], 0
.LBB79_1993:
	s_and_b64 vcc, exec, s[4:5]
	s_cbranch_vccz .LBB79_1996
; %bb.1994:
	s_cmp_eq_u32 s19, 29
	s_mov_b64 s[0:1], -1
	s_cbranch_scc0 .LBB79_1996
; %bb.1995:
	global_store_dwordx2 v[0:1], v[2:3], off
	s_mov_b64 s[0:1], 0
.LBB79_1996:
	s_mov_b64 s[4:5], 0
.LBB79_1997:
	s_and_b64 vcc, exec, s[4:5]
	s_cbranch_vccz .LBB79_2012
; %bb.1998:
	s_cmp_lt_i32 s19, 27
	s_mov_b64 s[4:5], -1
	s_cbranch_scc1 .LBB79_2004
; %bb.1999:
	s_cmp_gt_i32 s19, 27
	s_cbranch_scc0 .LBB79_2001
; %bb.2000:
	global_store_dword v[0:1], v2, off
	s_mov_b64 s[4:5], 0
.LBB79_2001:
	s_andn2_b64 vcc, exec, s[4:5]
	s_cbranch_vccnz .LBB79_2003
; %bb.2002:
	global_store_short v[0:1], v2, off
.LBB79_2003:
	s_mov_b64 s[4:5], 0
.LBB79_2004:
	s_andn2_b64 vcc, exec, s[4:5]
	s_cbranch_vccnz .LBB79_2012
; %bb.2005:
	v_xor_b32_e32 v5, v2, v3
	v_ffbh_i32_e32 v4, v3
	v_ashrrev_i32_e32 v5, 31, v5
	v_add_u32_e32 v4, -1, v4
	v_add_u32_e32 v5, 32, v5
	v_min_u32_e32 v6, v4, v5
	v_lshlrev_b64 v[4:5], v6, v[2:3]
	s_mov_b32 s4, 0x43800000
	v_min_u32_e32 v4, 1, v4
	v_or_b32_e32 v4, v5, v4
	v_cvt_f32_i32_e32 v4, v4
	v_sub_u32_e32 v5, 32, v6
	v_mov_b32_e32 v6, 0x80
	v_ldexp_f32 v4, v4, v5
	v_and_b32_e32 v5, 0x7fffffff, v4
	v_cmp_gt_u32_e32 vcc, s4, v5
	s_and_saveexec_b64 s[4:5], vcc
	s_cbranch_execz .LBB79_2011
; %bb.2006:
	s_mov_b32 s6, 0x3bffffff
	v_cmp_lt_u32_e32 vcc, s6, v5
	s_mov_b64 s[6:7], 0
                                        ; implicit-def: $vgpr5
	s_and_saveexec_b64 s[8:9], vcc
	s_xor_b64 s[8:9], exec, s[8:9]
	s_cbranch_execz .LBB79_2117
; %bb.2007:
	v_bfe_u32 v5, v4, 20, 1
	s_mov_b32 s10, 0x487ffff
	v_add3_u32 v5, v4, v5, s10
	s_mov_b64 s[6:7], exec
	v_lshrrev_b32_e32 v5, 20, v5
	s_andn2_saveexec_b64 s[8:9], s[8:9]
	s_cbranch_execnz .LBB79_2118
.LBB79_2008:
	s_or_b64 exec, exec, s[8:9]
	v_mov_b32_e32 v6, 0
	s_and_saveexec_b64 s[8:9], s[6:7]
.LBB79_2009:
	v_lshrrev_b32_e32 v4, 24, v4
	s_movk_i32 s6, 0x80
	v_and_or_b32 v6, v4, s6, v5
.LBB79_2010:
	s_or_b64 exec, exec, s[8:9]
.LBB79_2011:
	s_or_b64 exec, exec, s[4:5]
	global_store_byte v[0:1], v6, off
.LBB79_2012:
	s_mov_b64 s[4:5], 0
.LBB79_2013:
	s_and_b64 vcc, exec, s[4:5]
	s_cbranch_vccz .LBB79_2053
; %bb.2014:
	s_cmp_gt_i32 s19, 22
	s_mov_b64 s[2:3], -1
	s_cbranch_scc0 .LBB79_2046
; %bb.2015:
	s_cmp_lt_i32 s19, 24
	s_cbranch_scc1 .LBB79_2035
; %bb.2016:
	s_cmp_gt_i32 s19, 24
	s_cbranch_scc0 .LBB79_2024
; %bb.2017:
	v_xor_b32_e32 v5, v2, v3
	v_ffbh_i32_e32 v4, v3
	v_ashrrev_i32_e32 v5, 31, v5
	v_add_u32_e32 v4, -1, v4
	v_add_u32_e32 v5, 32, v5
	v_min_u32_e32 v6, v4, v5
	v_lshlrev_b64 v[4:5], v6, v[2:3]
	s_mov_b32 s2, 0x47800000
	v_min_u32_e32 v4, 1, v4
	v_or_b32_e32 v4, v5, v4
	v_cvt_f32_i32_e32 v4, v4
	v_sub_u32_e32 v5, 32, v6
	v_mov_b32_e32 v6, 0x80
	v_ldexp_f32 v4, v4, v5
	v_and_b32_e32 v5, 0x7fffffff, v4
	v_cmp_gt_u32_e32 vcc, s2, v5
	s_and_saveexec_b64 s[2:3], vcc
	s_cbranch_execz .LBB79_2023
; %bb.2018:
	s_mov_b32 s4, 0x37ffffff
	v_cmp_lt_u32_e32 vcc, s4, v5
	s_mov_b64 s[4:5], 0
                                        ; implicit-def: $vgpr5
	s_and_saveexec_b64 s[6:7], vcc
	s_xor_b64 s[6:7], exec, s[6:7]
	s_cbranch_execz .LBB79_2120
; %bb.2019:
	v_bfe_u32 v5, v4, 21, 1
	s_mov_b32 s8, 0x88fffff
	v_add3_u32 v5, v4, v5, s8
	s_mov_b64 s[4:5], exec
	v_lshrrev_b32_e32 v5, 21, v5
	s_andn2_saveexec_b64 s[6:7], s[6:7]
	s_cbranch_execnz .LBB79_2121
.LBB79_2020:
	s_or_b64 exec, exec, s[6:7]
	v_mov_b32_e32 v6, 0
	s_and_saveexec_b64 s[6:7], s[4:5]
.LBB79_2021:
	v_lshrrev_b32_e32 v4, 24, v4
	s_movk_i32 s4, 0x80
	v_and_or_b32 v6, v4, s4, v5
.LBB79_2022:
	s_or_b64 exec, exec, s[6:7]
.LBB79_2023:
	s_or_b64 exec, exec, s[2:3]
	s_mov_b64 s[2:3], 0
	global_store_byte v[0:1], v6, off
.LBB79_2024:
	s_and_b64 vcc, exec, s[2:3]
	s_cbranch_vccz .LBB79_2034
; %bb.2025:
	v_xor_b32_e32 v5, v2, v3
	v_ffbh_i32_e32 v4, v3
	v_ashrrev_i32_e32 v5, 31, v5
	v_add_u32_e32 v4, -1, v4
	v_add_u32_e32 v5, 32, v5
	v_min_u32_e32 v6, v4, v5
	v_lshlrev_b64 v[4:5], v6, v[2:3]
	s_mov_b32 s2, 0x43f00000
	v_min_u32_e32 v4, 1, v4
	v_or_b32_e32 v4, v5, v4
	v_cvt_f32_i32_e32 v4, v4
	v_sub_u32_e32 v5, 32, v6
	v_ldexp_f32 v4, v4, v5
	v_and_b32_e32 v6, 0x7fffffff, v4
	v_cmp_gt_u32_e32 vcc, s2, v6
                                        ; implicit-def: $vgpr5
	s_and_saveexec_b64 s[2:3], vcc
	s_xor_b64 s[2:3], exec, s[2:3]
	s_cbranch_execz .LBB79_2031
; %bb.2026:
	s_mov_b32 s4, 0x3c7fffff
	v_cmp_lt_u32_e32 vcc, s4, v6
                                        ; implicit-def: $vgpr5
	s_and_saveexec_b64 s[4:5], vcc
	s_xor_b64 s[4:5], exec, s[4:5]
; %bb.2027:
	v_bfe_u32 v5, v4, 20, 1
	s_mov_b32 s6, 0x407ffff
	v_add3_u32 v5, v4, v5, s6
	v_lshrrev_b32_e32 v6, 20, v5
	v_and_b32_e32 v5, 0xff00000, v5
	s_mov_b32 s6, 0x7f00000
	v_mov_b32_e32 v7, 0x7e
	v_cmp_ne_u32_e32 vcc, s6, v5
	v_cndmask_b32_e32 v5, v7, v6, vcc
; %bb.2028:
	s_andn2_saveexec_b64 s[4:5], s[4:5]
; %bb.2029:
	s_mov_b32 s6, 0x46800000
	v_add_f32_e64 v5, |v4|, s6
; %bb.2030:
	s_or_b64 exec, exec, s[4:5]
                                        ; implicit-def: $vgpr6
.LBB79_2031:
	s_andn2_saveexec_b64 s[2:3], s[2:3]
; %bb.2032:
	s_mov_b32 s4, 0x7f800000
	v_mov_b32_e32 v5, 0x7e
	v_mov_b32_e32 v7, 0x7f
	v_cmp_lt_u32_e32 vcc, s4, v6
	v_cndmask_b32_e32 v5, v5, v7, vcc
; %bb.2033:
	s_or_b64 exec, exec, s[2:3]
	v_lshrrev_b32_e32 v4, 24, v4
	s_movk_i32 s2, 0x80
	v_and_or_b32 v4, v4, s2, v5
	global_store_byte v[0:1], v4, off
.LBB79_2034:
	s_mov_b64 s[2:3], 0
.LBB79_2035:
	s_andn2_b64 vcc, exec, s[2:3]
	s_cbranch_vccnz .LBB79_2045
; %bb.2036:
	v_xor_b32_e32 v5, v2, v3
	v_ffbh_i32_e32 v4, v3
	v_ashrrev_i32_e32 v5, 31, v5
	v_add_u32_e32 v4, -1, v4
	v_add_u32_e32 v5, 32, v5
	v_min_u32_e32 v6, v4, v5
	v_lshlrev_b64 v[4:5], v6, v[2:3]
	s_mov_b32 s2, 0x47800000
	v_min_u32_e32 v4, 1, v4
	v_or_b32_e32 v4, v5, v4
	v_cvt_f32_i32_e32 v4, v4
	v_sub_u32_e32 v5, 32, v6
	v_ldexp_f32 v4, v4, v5
	v_and_b32_e32 v6, 0x7fffffff, v4
	v_cmp_gt_u32_e32 vcc, s2, v6
                                        ; implicit-def: $vgpr5
	s_and_saveexec_b64 s[2:3], vcc
	s_xor_b64 s[2:3], exec, s[2:3]
	s_cbranch_execz .LBB79_2042
; %bb.2037:
	s_mov_b32 s4, 0x387fffff
	v_cmp_lt_u32_e32 vcc, s4, v6
                                        ; implicit-def: $vgpr5
	s_and_saveexec_b64 s[4:5], vcc
	s_xor_b64 s[4:5], exec, s[4:5]
; %bb.2038:
	v_bfe_u32 v5, v4, 21, 1
	s_mov_b32 s6, 0x80fffff
	v_add3_u32 v5, v4, v5, s6
	v_lshrrev_b32_e32 v5, 21, v5
; %bb.2039:
	s_andn2_saveexec_b64 s[4:5], s[4:5]
; %bb.2040:
	s_mov_b32 s6, 0x43000000
	v_add_f32_e64 v5, |v4|, s6
; %bb.2041:
	s_or_b64 exec, exec, s[4:5]
                                        ; implicit-def: $vgpr6
.LBB79_2042:
	s_andn2_saveexec_b64 s[2:3], s[2:3]
; %bb.2043:
	s_mov_b32 s4, 0x7f800000
	v_mov_b32_e32 v5, 0x7c
	v_mov_b32_e32 v7, 0x7f
	v_cmp_lt_u32_e32 vcc, s4, v6
	v_cndmask_b32_e32 v5, v5, v7, vcc
; %bb.2044:
	s_or_b64 exec, exec, s[2:3]
	v_lshrrev_b32_e32 v4, 24, v4
	s_movk_i32 s2, 0x80
	v_and_or_b32 v4, v4, s2, v5
	global_store_byte v[0:1], v4, off
.LBB79_2045:
	s_mov_b64 s[2:3], 0
.LBB79_2046:
	s_andn2_b64 vcc, exec, s[2:3]
	s_mov_b64 s[2:3], 0
	s_cbranch_vccnz .LBB79_2053
; %bb.2047:
	s_cmp_gt_i32 s19, 14
	s_mov_b64 s[4:5], -1
	s_cbranch_scc0 .LBB79_2051
; %bb.2048:
	s_cmp_eq_u32 s19, 15
	s_mov_b64 s[0:1], -1
	s_cbranch_scc0 .LBB79_2050
; %bb.2049:
	v_xor_b32_e32 v5, v2, v3
	v_ffbh_i32_e32 v4, v3
	v_ashrrev_i32_e32 v5, 31, v5
	v_add_u32_e32 v4, -1, v4
	v_add_u32_e32 v5, 32, v5
	v_min_u32_e32 v6, v4, v5
	v_lshlrev_b64 v[4:5], v6, v[2:3]
	s_movk_i32 s0, 0x7fff
	v_min_u32_e32 v4, 1, v4
	v_or_b32_e32 v4, v5, v4
	v_cvt_f32_i32_e32 v4, v4
	v_sub_u32_e32 v5, 32, v6
	v_ldexp_f32 v4, v4, v5
	v_bfe_u32 v5, v4, 16, 1
	v_add3_u32 v4, v4, v5, s0
	global_store_short_d16_hi v[0:1], v4, off
	s_mov_b64 s[0:1], 0
.LBB79_2050:
	s_mov_b64 s[4:5], 0
.LBB79_2051:
	s_and_b64 vcc, exec, s[4:5]
	s_cbranch_vccz .LBB79_2053
; %bb.2052:
	s_cmp_lg_u32 s19, 11
	s_mov_b64 s[2:3], -1
	s_cselect_b64 s[0:1], -1, 0
.LBB79_2053:
	s_and_b64 vcc, exec, s[0:1]
	s_cbranch_vccnz .LBB79_2119
.LBB79_2054:
	s_mov_b64 s[0:1], 0
	s_branch .LBB79_2056
.LBB79_2055:
	s_mov_b64 s[0:1], 0
	s_mov_b64 s[2:3], 0
                                        ; implicit-def: $vgpr0_vgpr1
                                        ; implicit-def: $sgpr18
                                        ; implicit-def: $vgpr2_vgpr3
.LBB79_2056:
	s_and_b64 s[6:7], s[2:3], exec
	s_andn2_b64 s[2:3], s[28:29], exec
	s_and_b64 s[4:5], s[12:13], exec
	s_and_b64 s[0:1], s[0:1], exec
	s_or_b64 s[28:29], s[2:3], s[4:5]
.LBB79_2057:
	s_or_b64 exec, exec, s[30:31]
	s_and_saveexec_b64 s[2:3], s[28:29]
	s_cbranch_execz .LBB79_2060
; %bb.2058:
	; divergent unreachable
	s_or_b64 exec, exec, s[2:3]
	s_and_saveexec_b64 s[2:3], s[6:7]
	s_xor_b64 s[2:3], exec, s[2:3]
	s_cbranch_execnz .LBB79_2061
.LBB79_2059:
	s_or_b64 exec, exec, s[2:3]
	s_and_saveexec_b64 s[2:3], s[0:1]
	s_cbranch_execnz .LBB79_2062
	s_branch .LBB79_2099
.LBB79_2060:
	s_or_b64 exec, exec, s[2:3]
	s_and_saveexec_b64 s[2:3], s[6:7]
	s_xor_b64 s[2:3], exec, s[2:3]
	s_cbranch_execz .LBB79_2059
.LBB79_2061:
	s_waitcnt vmcnt(0)
	v_cmp_ne_u64_e32 vcc, 0, v[2:3]
	v_cndmask_b32_e64 v4, 0, 1, vcc
	global_store_byte v[0:1], v4, off
	s_or_b64 exec, exec, s[2:3]
	s_and_saveexec_b64 s[2:3], s[0:1]
	s_cbranch_execz .LBB79_2099
.LBB79_2062:
	s_sext_i32_i16 s2, s18
	s_cmp_lt_i32 s2, 5
	s_mov_b64 s[0:1], -1
	s_cbranch_scc1 .LBB79_2083
; %bb.2063:
	s_cmp_lt_i32 s2, 8
	s_cbranch_scc1 .LBB79_2073
; %bb.2064:
	s_cmp_lt_i32 s2, 9
	s_cbranch_scc1 .LBB79_2070
; %bb.2065:
	s_cmp_gt_i32 s2, 9
	s_cbranch_scc0 .LBB79_2067
; %bb.2066:
	s_waitcnt vmcnt(0)
	v_cvt_f64_i32_e32 v[4:5], v3
	v_cvt_f64_u32_e32 v[6:7], v2
	s_mov_b64 s[0:1], 0
	v_ldexp_f64 v[4:5], v[4:5], 32
	v_add_f64 v[4:5], v[4:5], v[6:7]
	v_mov_b32_e32 v6, 0
	v_mov_b32_e32 v7, v6
	global_store_dwordx4 v[0:1], v[4:7], off
.LBB79_2067:
	s_andn2_b64 vcc, exec, s[0:1]
	s_cbranch_vccnz .LBB79_2069
; %bb.2068:
	s_waitcnt vmcnt(0)
	v_xor_b32_e32 v5, v2, v3
	v_ffbh_i32_e32 v4, v3
	v_ashrrev_i32_e32 v5, 31, v5
	v_add_u32_e32 v4, -1, v4
	v_add_u32_e32 v5, 32, v5
	v_min_u32_e32 v6, v4, v5
	v_lshlrev_b64 v[4:5], v6, v[2:3]
	v_min_u32_e32 v4, 1, v4
	v_or_b32_e32 v4, v5, v4
	v_cvt_f32_i32_e32 v4, v4
	v_sub_u32_e32 v5, 32, v6
	v_ldexp_f32 v4, v4, v5
	v_mov_b32_e32 v5, 0
	global_store_dwordx2 v[0:1], v[4:5], off
.LBB79_2069:
	s_mov_b64 s[0:1], 0
.LBB79_2070:
	s_andn2_b64 vcc, exec, s[0:1]
	s_cbranch_vccnz .LBB79_2072
; %bb.2071:
	s_waitcnt vmcnt(0)
	v_xor_b32_e32 v5, v2, v3
	v_ffbh_i32_e32 v4, v3
	v_ashrrev_i32_e32 v5, 31, v5
	v_add_u32_e32 v4, -1, v4
	v_add_u32_e32 v5, 32, v5
	v_min_u32_e32 v6, v4, v5
	v_lshlrev_b64 v[4:5], v6, v[2:3]
	v_min_u32_e32 v4, 1, v4
	v_or_b32_e32 v4, v5, v4
	v_cvt_f32_i32_e32 v4, v4
	v_sub_u32_e32 v5, 32, v6
	v_ldexp_f32 v4, v4, v5
	v_cvt_f16_f32_e32 v4, v4
	global_store_dword v[0:1], v4, off
.LBB79_2072:
	s_mov_b64 s[0:1], 0
.LBB79_2073:
	s_andn2_b64 vcc, exec, s[0:1]
	s_cbranch_vccnz .LBB79_2082
; %bb.2074:
	s_sext_i32_i16 s2, s18
	s_cmp_lt_i32 s2, 6
	s_mov_b64 s[0:1], -1
	s_cbranch_scc1 .LBB79_2080
; %bb.2075:
	s_cmp_gt_i32 s2, 6
	s_cbranch_scc0 .LBB79_2077
; %bb.2076:
	s_waitcnt vmcnt(0)
	v_cvt_f64_i32_e32 v[4:5], v3
	v_cvt_f64_u32_e32 v[6:7], v2
	s_mov_b64 s[0:1], 0
	v_ldexp_f64 v[4:5], v[4:5], 32
	v_add_f64 v[4:5], v[4:5], v[6:7]
	global_store_dwordx2 v[0:1], v[4:5], off
.LBB79_2077:
	s_andn2_b64 vcc, exec, s[0:1]
	s_cbranch_vccnz .LBB79_2079
; %bb.2078:
	s_waitcnt vmcnt(0)
	v_xor_b32_e32 v5, v2, v3
	v_ffbh_i32_e32 v4, v3
	v_ashrrev_i32_e32 v5, 31, v5
	v_add_u32_e32 v4, -1, v4
	v_add_u32_e32 v5, 32, v5
	v_min_u32_e32 v6, v4, v5
	v_lshlrev_b64 v[4:5], v6, v[2:3]
	v_min_u32_e32 v4, 1, v4
	v_or_b32_e32 v4, v5, v4
	v_cvt_f32_i32_e32 v4, v4
	v_sub_u32_e32 v5, 32, v6
	v_ldexp_f32 v4, v4, v5
	global_store_dword v[0:1], v4, off
.LBB79_2079:
	s_mov_b64 s[0:1], 0
.LBB79_2080:
	s_andn2_b64 vcc, exec, s[0:1]
	s_cbranch_vccnz .LBB79_2082
; %bb.2081:
	s_waitcnt vmcnt(0)
	v_xor_b32_e32 v5, v2, v3
	v_ffbh_i32_e32 v4, v3
	v_ashrrev_i32_e32 v5, 31, v5
	v_add_u32_e32 v4, -1, v4
	v_add_u32_e32 v5, 32, v5
	v_min_u32_e32 v6, v4, v5
	v_lshlrev_b64 v[4:5], v6, v[2:3]
	v_min_u32_e32 v4, 1, v4
	v_or_b32_e32 v4, v5, v4
	v_cvt_f32_i32_e32 v4, v4
	v_sub_u32_e32 v5, 32, v6
	v_ldexp_f32 v4, v4, v5
	v_cvt_f16_f32_e32 v4, v4
	global_store_short v[0:1], v4, off
.LBB79_2082:
	s_mov_b64 s[0:1], 0
.LBB79_2083:
	s_andn2_b64 vcc, exec, s[0:1]
	s_cbranch_vccnz .LBB79_2099
; %bb.2084:
	s_sext_i32_i16 s2, s18
	s_cmp_lt_i32 s2, 2
	s_mov_b64 s[0:1], -1
	s_cbranch_scc1 .LBB79_2094
; %bb.2085:
	s_cmp_lt_i32 s2, 3
	s_cbranch_scc1 .LBB79_2091
; %bb.2086:
	s_cmp_gt_i32 s2, 3
	s_cbranch_scc0 .LBB79_2088
; %bb.2087:
	s_waitcnt vmcnt(0)
	global_store_dwordx2 v[0:1], v[2:3], off
	s_mov_b64 s[0:1], 0
.LBB79_2088:
	s_andn2_b64 vcc, exec, s[0:1]
	s_cbranch_vccnz .LBB79_2090
; %bb.2089:
	global_store_dword v[0:1], v2, off
.LBB79_2090:
	s_mov_b64 s[0:1], 0
.LBB79_2091:
	s_andn2_b64 vcc, exec, s[0:1]
	s_cbranch_vccnz .LBB79_2093
; %bb.2092:
	global_store_short v[0:1], v2, off
.LBB79_2093:
	s_mov_b64 s[0:1], 0
.LBB79_2094:
	s_andn2_b64 vcc, exec, s[0:1]
	s_cbranch_vccnz .LBB79_2099
; %bb.2095:
	s_sext_i32_i16 s0, s18
	s_cmp_gt_i32 s0, 0
	s_mov_b64 s[0:1], -1
	s_cbranch_scc0 .LBB79_2097
; %bb.2096:
	global_store_byte v[0:1], v2, off
	s_mov_b64 s[0:1], 0
.LBB79_2097:
	s_andn2_b64 vcc, exec, s[0:1]
	s_cbranch_vccnz .LBB79_2099
; %bb.2098:
	global_store_byte v[0:1], v2, off
	s_endpgm
.LBB79_2099:
	s_endpgm
.LBB79_2100:
	s_mov_b64 s[2:3], 0
	s_mov_b64 s[0:1], -1
	s_branch .LBB79_2056
.LBB79_2101:
	s_trap 2
	s_or_b64 s[12:13], s[12:13], exec
	s_cbranch_execz .LBB79_1570
	s_branch .LBB79_1571
.LBB79_2102:
	s_andn2_saveexec_b64 s[16:17], s[16:17]
	s_cbranch_execz .LBB79_1650
.LBB79_2103:
	s_mov_b32 s20, 0x46000000
	v_add_f32_e64 v3, |v1|, s20
	v_and_b32_e32 v3, 0xff, v3
	v_cmp_ne_u32_e32 vcc, 0, v3
	s_andn2_b64 s[14:15], s[14:15], exec
	s_and_b64 s[20:21], vcc, exec
	s_or_b64 s[14:15], s[14:15], s[20:21]
	s_or_b64 exec, exec, s[16:17]
	v_mov_b32_e32 v15, 0
	s_and_saveexec_b64 s[16:17], s[14:15]
	s_cbranch_execnz .LBB79_1651
	s_branch .LBB79_1652
.LBB79_2104:
	s_trap 2
	s_or_b64 s[12:13], s[12:13], exec
	s_cbranch_execz .LBB79_1698
	s_branch .LBB79_1699
.LBB79_2105:
	s_andn2_saveexec_b64 s[14:15], s[14:15]
	s_cbranch_execz .LBB79_1663
.LBB79_2106:
	s_mov_b32 s16, 0x42800000
	v_add_f32_e64 v3, |v1|, s16
	v_and_b32_e32 v3, 0xff, v3
	v_cmp_ne_u32_e32 vcc, 0, v3
	s_andn2_b64 s[10:11], s[10:11], exec
	s_and_b64 s[16:17], vcc, exec
	s_or_b64 s[10:11], s[10:11], s[16:17]
	s_or_b64 exec, exec, s[14:15]
	v_mov_b32_e32 v15, 0
	s_and_saveexec_b64 s[14:15], s[10:11]
	s_cbranch_execnz .LBB79_1664
	s_branch .LBB79_1665
.LBB79_2107:
	s_andn2_saveexec_b64 s[16:17], s[16:17]
	s_cbranch_execz .LBB79_1769
.LBB79_2108:
	s_mov_b32 s20, 0x46000000
	v_add_f32_e64 v7, |v1|, s20
	v_and_b32_e32 v7, 0xff, v7
	v_cmp_ne_u32_e32 vcc, 0, v7
	s_andn2_b64 s[14:15], s[14:15], exec
	s_and_b64 s[20:21], vcc, exec
	s_or_b64 s[14:15], s[14:15], s[20:21]
	s_or_b64 exec, exec, s[16:17]
	v_mov_b32_e32 v8, 0
	s_and_saveexec_b64 s[16:17], s[14:15]
	s_cbranch_execnz .LBB79_1770
	s_branch .LBB79_1771
.LBB79_2109:
	s_trap 2
	s_or_b64 s[12:13], s[12:13], exec
	s_cbranch_execz .LBB79_1817
	s_branch .LBB79_1818
.LBB79_2110:
	s_andn2_saveexec_b64 s[14:15], s[14:15]
	s_cbranch_execz .LBB79_1782
.LBB79_2111:
	s_mov_b32 s16, 0x42800000
	v_add_f32_e64 v7, |v1|, s16
	v_and_b32_e32 v7, 0xff, v7
	v_cmp_ne_u32_e32 vcc, 0, v7
	s_andn2_b64 s[10:11], s[10:11], exec
	s_and_b64 s[16:17], vcc, exec
	s_or_b64 s[10:11], s[10:11], s[16:17]
	s_or_b64 exec, exec, s[14:15]
	v_mov_b32_e32 v8, 0
	s_and_saveexec_b64 s[14:15], s[10:11]
	s_cbranch_execnz .LBB79_1783
	s_branch .LBB79_1784
.LBB79_2112:
	s_andn2_saveexec_b64 s[16:17], s[16:17]
	s_cbranch_execz .LBB79_1888
.LBB79_2113:
	s_mov_b32 s20, 0x46000000
	v_add_f32_e64 v6, |v5|, s20
	v_and_b32_e32 v6, 0xff, v6
	v_cmp_ne_u32_e32 vcc, 0, v6
	s_andn2_b64 s[14:15], s[14:15], exec
	s_and_b64 s[20:21], vcc, exec
	s_or_b64 s[14:15], s[14:15], s[20:21]
	s_or_b64 exec, exec, s[16:17]
	v_mov_b32_e32 v7, 0
	s_and_saveexec_b64 s[16:17], s[14:15]
	s_cbranch_execnz .LBB79_1889
	s_branch .LBB79_1890
.LBB79_2114:
	s_trap 2
	s_or_b64 s[12:13], s[12:13], exec
	s_cbranch_execz .LBB79_1936
	s_branch .LBB79_1937
.LBB79_2115:
	s_andn2_saveexec_b64 s[14:15], s[14:15]
	s_cbranch_execz .LBB79_1901
.LBB79_2116:
	s_mov_b32 s16, 0x42800000
	v_add_f32_e64 v6, |v5|, s16
	v_and_b32_e32 v6, 0xff, v6
	v_cmp_ne_u32_e32 vcc, 0, v6
	s_andn2_b64 s[10:11], s[10:11], exec
	s_and_b64 s[16:17], vcc, exec
	s_or_b64 s[10:11], s[10:11], s[16:17]
	s_or_b64 exec, exec, s[14:15]
	v_mov_b32_e32 v7, 0
	s_and_saveexec_b64 s[14:15], s[10:11]
	s_cbranch_execnz .LBB79_1902
	s_branch .LBB79_1903
.LBB79_2117:
	s_andn2_saveexec_b64 s[8:9], s[8:9]
	s_cbranch_execz .LBB79_2008
.LBB79_2118:
	s_mov_b32 s10, 0x46000000
	v_add_f32_e64 v5, |v4|, s10
	v_and_b32_e32 v5, 0xff, v5
	v_cmp_ne_u32_e32 vcc, 0, v5
	s_andn2_b64 s[6:7], s[6:7], exec
	s_and_b64 s[10:11], vcc, exec
	s_or_b64 s[6:7], s[6:7], s[10:11]
	s_or_b64 exec, exec, s[8:9]
	v_mov_b32_e32 v6, 0
	s_and_saveexec_b64 s[8:9], s[6:7]
	s_cbranch_execnz .LBB79_2009
	s_branch .LBB79_2010
.LBB79_2119:
	s_mov_b64 s[2:3], 0
	s_or_b64 s[12:13], s[12:13], exec
	s_trap 2
	s_branch .LBB79_2054
.LBB79_2120:
	s_andn2_saveexec_b64 s[6:7], s[6:7]
	s_cbranch_execz .LBB79_2020
.LBB79_2121:
	s_mov_b32 s8, 0x42800000
	v_add_f32_e64 v5, |v4|, s8
	v_and_b32_e32 v5, 0xff, v5
	v_cmp_ne_u32_e32 vcc, 0, v5
	s_andn2_b64 s[4:5], s[4:5], exec
	s_and_b64 s[8:9], vcc, exec
	s_or_b64 s[4:5], s[4:5], s[8:9]
	s_or_b64 exec, exec, s[6:7]
	v_mov_b32_e32 v6, 0
	s_and_saveexec_b64 s[6:7], s[4:5]
	s_cbranch_execnz .LBB79_2021
	s_branch .LBB79_2022
	.section	.rodata,"a",@progbits
	.p2align	6, 0x0
	.amdhsa_kernel _ZN2at6native32elementwise_kernel_manual_unrollILi128ELi4EZNS0_15gpu_kernel_implINS0_13AUnaryFunctorIlllZNS0_12_GLOBAL__N_121threshold_kernel_implIlEEvRNS_18TensorIteratorBaseET_S8_EUlllE_EEEEvS7_RKS8_EUlibE0_EEviT1_
		.amdhsa_group_segment_fixed_size 0
		.amdhsa_private_segment_fixed_size 0
		.amdhsa_kernarg_size 384
		.amdhsa_user_sgpr_count 6
		.amdhsa_user_sgpr_private_segment_buffer 1
		.amdhsa_user_sgpr_dispatch_ptr 0
		.amdhsa_user_sgpr_queue_ptr 0
		.amdhsa_user_sgpr_kernarg_segment_ptr 1
		.amdhsa_user_sgpr_dispatch_id 0
		.amdhsa_user_sgpr_flat_scratch_init 0
		.amdhsa_user_sgpr_private_segment_size 0
		.amdhsa_uses_dynamic_stack 0
		.amdhsa_system_sgpr_private_segment_wavefront_offset 0
		.amdhsa_system_sgpr_workgroup_id_x 1
		.amdhsa_system_sgpr_workgroup_id_y 0
		.amdhsa_system_sgpr_workgroup_id_z 0
		.amdhsa_system_sgpr_workgroup_info 0
		.amdhsa_system_vgpr_workitem_id 0
		.amdhsa_next_free_vgpr 21
		.amdhsa_next_free_sgpr 82
		.amdhsa_reserve_vcc 1
		.amdhsa_reserve_flat_scratch 0
		.amdhsa_float_round_mode_32 0
		.amdhsa_float_round_mode_16_64 0
		.amdhsa_float_denorm_mode_32 3
		.amdhsa_float_denorm_mode_16_64 3
		.amdhsa_dx10_clamp 1
		.amdhsa_ieee_mode 1
		.amdhsa_fp16_overflow 0
		.amdhsa_exception_fp_ieee_invalid_op 0
		.amdhsa_exception_fp_denorm_src 0
		.amdhsa_exception_fp_ieee_div_zero 0
		.amdhsa_exception_fp_ieee_overflow 0
		.amdhsa_exception_fp_ieee_underflow 0
		.amdhsa_exception_fp_ieee_inexact 0
		.amdhsa_exception_int_div_zero 0
	.end_amdhsa_kernel
	.section	.text._ZN2at6native32elementwise_kernel_manual_unrollILi128ELi4EZNS0_15gpu_kernel_implINS0_13AUnaryFunctorIlllZNS0_12_GLOBAL__N_121threshold_kernel_implIlEEvRNS_18TensorIteratorBaseET_S8_EUlllE_EEEEvS7_RKS8_EUlibE0_EEviT1_,"axG",@progbits,_ZN2at6native32elementwise_kernel_manual_unrollILi128ELi4EZNS0_15gpu_kernel_implINS0_13AUnaryFunctorIlllZNS0_12_GLOBAL__N_121threshold_kernel_implIlEEvRNS_18TensorIteratorBaseET_S8_EUlllE_EEEEvS7_RKS8_EUlibE0_EEviT1_,comdat
.Lfunc_end79:
	.size	_ZN2at6native32elementwise_kernel_manual_unrollILi128ELi4EZNS0_15gpu_kernel_implINS0_13AUnaryFunctorIlllZNS0_12_GLOBAL__N_121threshold_kernel_implIlEEvRNS_18TensorIteratorBaseET_S8_EUlllE_EEEEvS7_RKS8_EUlibE0_EEviT1_, .Lfunc_end79-_ZN2at6native32elementwise_kernel_manual_unrollILi128ELi4EZNS0_15gpu_kernel_implINS0_13AUnaryFunctorIlllZNS0_12_GLOBAL__N_121threshold_kernel_implIlEEvRNS_18TensorIteratorBaseET_S8_EUlllE_EEEEvS7_RKS8_EUlibE0_EEviT1_
                                        ; -- End function
	.set _ZN2at6native32elementwise_kernel_manual_unrollILi128ELi4EZNS0_15gpu_kernel_implINS0_13AUnaryFunctorIlllZNS0_12_GLOBAL__N_121threshold_kernel_implIlEEvRNS_18TensorIteratorBaseET_S8_EUlllE_EEEEvS7_RKS8_EUlibE0_EEviT1_.num_vgpr, 21
	.set _ZN2at6native32elementwise_kernel_manual_unrollILi128ELi4EZNS0_15gpu_kernel_implINS0_13AUnaryFunctorIlllZNS0_12_GLOBAL__N_121threshold_kernel_implIlEEvRNS_18TensorIteratorBaseET_S8_EUlllE_EEEEvS7_RKS8_EUlibE0_EEviT1_.num_agpr, 0
	.set _ZN2at6native32elementwise_kernel_manual_unrollILi128ELi4EZNS0_15gpu_kernel_implINS0_13AUnaryFunctorIlllZNS0_12_GLOBAL__N_121threshold_kernel_implIlEEvRNS_18TensorIteratorBaseET_S8_EUlllE_EEEEvS7_RKS8_EUlibE0_EEviT1_.numbered_sgpr, 82
	.set _ZN2at6native32elementwise_kernel_manual_unrollILi128ELi4EZNS0_15gpu_kernel_implINS0_13AUnaryFunctorIlllZNS0_12_GLOBAL__N_121threshold_kernel_implIlEEvRNS_18TensorIteratorBaseET_S8_EUlllE_EEEEvS7_RKS8_EUlibE0_EEviT1_.num_named_barrier, 0
	.set _ZN2at6native32elementwise_kernel_manual_unrollILi128ELi4EZNS0_15gpu_kernel_implINS0_13AUnaryFunctorIlllZNS0_12_GLOBAL__N_121threshold_kernel_implIlEEvRNS_18TensorIteratorBaseET_S8_EUlllE_EEEEvS7_RKS8_EUlibE0_EEviT1_.private_seg_size, 0
	.set _ZN2at6native32elementwise_kernel_manual_unrollILi128ELi4EZNS0_15gpu_kernel_implINS0_13AUnaryFunctorIlllZNS0_12_GLOBAL__N_121threshold_kernel_implIlEEvRNS_18TensorIteratorBaseET_S8_EUlllE_EEEEvS7_RKS8_EUlibE0_EEviT1_.uses_vcc, 1
	.set _ZN2at6native32elementwise_kernel_manual_unrollILi128ELi4EZNS0_15gpu_kernel_implINS0_13AUnaryFunctorIlllZNS0_12_GLOBAL__N_121threshold_kernel_implIlEEvRNS_18TensorIteratorBaseET_S8_EUlllE_EEEEvS7_RKS8_EUlibE0_EEviT1_.uses_flat_scratch, 0
	.set _ZN2at6native32elementwise_kernel_manual_unrollILi128ELi4EZNS0_15gpu_kernel_implINS0_13AUnaryFunctorIlllZNS0_12_GLOBAL__N_121threshold_kernel_implIlEEvRNS_18TensorIteratorBaseET_S8_EUlllE_EEEEvS7_RKS8_EUlibE0_EEviT1_.has_dyn_sized_stack, 0
	.set _ZN2at6native32elementwise_kernel_manual_unrollILi128ELi4EZNS0_15gpu_kernel_implINS0_13AUnaryFunctorIlllZNS0_12_GLOBAL__N_121threshold_kernel_implIlEEvRNS_18TensorIteratorBaseET_S8_EUlllE_EEEEvS7_RKS8_EUlibE0_EEviT1_.has_recursion, 0
	.set _ZN2at6native32elementwise_kernel_manual_unrollILi128ELi4EZNS0_15gpu_kernel_implINS0_13AUnaryFunctorIlllZNS0_12_GLOBAL__N_121threshold_kernel_implIlEEvRNS_18TensorIteratorBaseET_S8_EUlllE_EEEEvS7_RKS8_EUlibE0_EEviT1_.has_indirect_call, 0
	.section	.AMDGPU.csdata,"",@progbits
; Kernel info:
; codeLenInByte = 45388
; TotalNumSgprs: 86
; NumVgprs: 21
; ScratchSize: 0
; MemoryBound: 1
; FloatMode: 240
; IeeeMode: 1
; LDSByteSize: 0 bytes/workgroup (compile time only)
; SGPRBlocks: 10
; VGPRBlocks: 5
; NumSGPRsForWavesPerEU: 86
; NumVGPRsForWavesPerEU: 21
; Occupancy: 9
; WaveLimiterHint : 1
; COMPUTE_PGM_RSRC2:SCRATCH_EN: 0
; COMPUTE_PGM_RSRC2:USER_SGPR: 6
; COMPUTE_PGM_RSRC2:TRAP_HANDLER: 0
; COMPUTE_PGM_RSRC2:TGID_X_EN: 1
; COMPUTE_PGM_RSRC2:TGID_Y_EN: 0
; COMPUTE_PGM_RSRC2:TGID_Z_EN: 0
; COMPUTE_PGM_RSRC2:TIDIG_COMP_CNT: 0
	.section	.text._ZN2at6native29vectorized_elementwise_kernelILi16ENS0_13BUnaryFunctorIlllZNS0_12_GLOBAL__N_121threshold_kernel_implIlEEvRNS_18TensorIteratorBaseET_S7_EUlllE_EESt5arrayIPcLm2EEEEviT0_T1_,"axG",@progbits,_ZN2at6native29vectorized_elementwise_kernelILi16ENS0_13BUnaryFunctorIlllZNS0_12_GLOBAL__N_121threshold_kernel_implIlEEvRNS_18TensorIteratorBaseET_S7_EUlllE_EESt5arrayIPcLm2EEEEviT0_T1_,comdat
	.globl	_ZN2at6native29vectorized_elementwise_kernelILi16ENS0_13BUnaryFunctorIlllZNS0_12_GLOBAL__N_121threshold_kernel_implIlEEvRNS_18TensorIteratorBaseET_S7_EUlllE_EESt5arrayIPcLm2EEEEviT0_T1_ ; -- Begin function _ZN2at6native29vectorized_elementwise_kernelILi16ENS0_13BUnaryFunctorIlllZNS0_12_GLOBAL__N_121threshold_kernel_implIlEEvRNS_18TensorIteratorBaseET_S7_EUlllE_EESt5arrayIPcLm2EEEEviT0_T1_
	.p2align	8
	.type	_ZN2at6native29vectorized_elementwise_kernelILi16ENS0_13BUnaryFunctorIlllZNS0_12_GLOBAL__N_121threshold_kernel_implIlEEvRNS_18TensorIteratorBaseET_S7_EUlllE_EESt5arrayIPcLm2EEEEviT0_T1_,@function
_ZN2at6native29vectorized_elementwise_kernelILi16ENS0_13BUnaryFunctorIlllZNS0_12_GLOBAL__N_121threshold_kernel_implIlEEvRNS_18TensorIteratorBaseET_S7_EUlllE_EESt5arrayIPcLm2EEEEviT0_T1_: ; @_ZN2at6native29vectorized_elementwise_kernelILi16ENS0_13BUnaryFunctorIlllZNS0_12_GLOBAL__N_121threshold_kernel_implIlEEvRNS_18TensorIteratorBaseET_S7_EUlllE_EESt5arrayIPcLm2EEEEviT0_T1_
; %bb.0:
	s_load_dword s0, s[4:5], 0x0
	s_load_dwordx8 s[8:15], s[4:5], 0x8
	s_load_dwordx2 s[16:17], s[4:5], 0x28
	s_lshl_b32 s6, s6, 10
	s_waitcnt lgkmcnt(0)
	s_sub_i32 s18, s0, s6
	s_cmpk_gt_i32 s18, 0x3ff
	s_mov_b64 s[0:1], -1
	s_cbranch_scc0 .LBB80_2
; %bb.1:
	s_ashr_i32 s7, s6, 31
	s_lshl_b64 s[0:1], s[6:7], 3
	s_add_u32 s2, s16, s0
	s_addc_u32 s3, s17, s1
	v_lshlrev_b32_e32 v9, 5, v0
	global_load_dwordx4 v[1:4], v9, s[2:3]
	global_load_dwordx4 v[5:8], v9, s[2:3] offset:16
	s_add_u32 s20, s14, s0
	s_addc_u32 s21, s15, s1
	v_mov_b32_e32 v10, s11
	v_mov_b32_e32 v11, s13
	;; [unrolled: 1-line block ×4, first 2 shown]
	s_waitcnt vmcnt(1)
	v_cmp_lt_i64_e32 vcc, s[8:9], v[1:2]
	v_cmp_lt_i64_e64 s[0:1], s[8:9], v[3:4]
	s_waitcnt vmcnt(0)
	v_cmp_lt_i64_e64 s[2:3], s[8:9], v[5:6]
	v_cmp_lt_i64_e64 s[4:5], s[8:9], v[7:8]
	v_cndmask_b32_e32 v2, v10, v11, vcc
	v_cndmask_b32_e64 v4, v10, v11, s[0:1]
	v_cndmask_b32_e32 v1, v12, v13, vcc
	v_cndmask_b32_e64 v3, v12, v13, s[0:1]
	v_cndmask_b32_e64 v6, v10, v11, s[2:3]
	;; [unrolled: 1-line block ×5, first 2 shown]
	global_store_dwordx4 v9, v[1:4], s[20:21]
	global_store_dwordx4 v9, v[5:8], s[20:21] offset:16
	s_mov_b64 s[0:1], 0
.LBB80_2:
	s_andn2_b64 vcc, exec, s[0:1]
	s_cbranch_vccnz .LBB80_16
; %bb.3:
	v_mov_b32_e32 v3, 0
	v_mov_b32_e32 v5, 0
	v_cmp_gt_i32_e32 vcc, s18, v0
	v_mov_b32_e32 v4, 0
	v_or_b32_e32 v1, s6, v0
	v_mov_b32_e32 v6, 0
	v_mov_b32_e32 v2, v0
	s_and_saveexec_b64 s[2:3], vcc
	s_cbranch_execz .LBB80_5
; %bb.4:
	v_mov_b32_e32 v2, 0
	v_lshlrev_b64 v[5:6], 3, v[1:2]
	v_mov_b32_e32 v2, s17
	v_add_co_u32_e64 v5, s[0:1], s16, v5
	v_addc_co_u32_e64 v6, s[0:1], v2, v6, s[0:1]
	global_load_dwordx2 v[5:6], v[5:6], off
	v_or_b32_e32 v2, 0x100, v0
.LBB80_5:
	s_or_b64 exec, exec, s[2:3]
	v_cmp_gt_i32_e64 s[0:1], s18, v2
	s_and_saveexec_b64 s[2:3], s[0:1]
	s_cbranch_execz .LBB80_7
; %bb.6:
	v_add_u32_e32 v3, s6, v2
	v_mov_b32_e32 v4, 0
	v_lshlrev_b64 v[3:4], 3, v[3:4]
	v_mov_b32_e32 v7, s17
	v_add_co_u32_e64 v3, s[0:1], s16, v3
	v_addc_co_u32_e64 v4, s[0:1], v7, v4, s[0:1]
	global_load_dwordx2 v[3:4], v[3:4], off
	v_add_u32_e32 v2, 0x100, v2
.LBB80_7:
	s_or_b64 exec, exec, s[2:3]
	v_mov_b32_e32 v7, 0
	v_mov_b32_e32 v11, 0
	;; [unrolled: 1-line block ×4, first 2 shown]
	v_cmp_gt_i32_e64 s[0:1], s18, v2
	s_and_saveexec_b64 s[2:3], s[0:1]
	s_cbranch_execz .LBB80_9
; %bb.8:
	v_add_u32_e32 v9, s6, v2
	v_mov_b32_e32 v10, 0
	v_lshlrev_b64 v[9:10], 3, v[9:10]
	v_mov_b32_e32 v11, s17
	v_add_co_u32_e64 v9, s[0:1], s16, v9
	v_addc_co_u32_e64 v10, s[0:1], v11, v10, s[0:1]
	global_load_dwordx2 v[11:12], v[9:10], off
	v_add_u32_e32 v2, 0x100, v2
.LBB80_9:
	s_or_b64 exec, exec, s[2:3]
	v_cmp_gt_i32_e64 s[0:1], s18, v2
	s_and_saveexec_b64 s[2:3], s[0:1]
	s_cbranch_execz .LBB80_11
; %bb.10:
	v_add_u32_e32 v7, s6, v2
	v_mov_b32_e32 v8, 0
	v_lshlrev_b64 v[7:8], 3, v[7:8]
	v_mov_b32_e32 v2, s17
	v_add_co_u32_e64 v7, s[0:1], s16, v7
	v_addc_co_u32_e64 v8, s[0:1], v2, v8, s[0:1]
	global_load_dwordx2 v[7:8], v[7:8], off
.LBB80_11:
	s_or_b64 exec, exec, s[2:3]
	s_waitcnt vmcnt(0)
	v_cmp_lt_i64_e64 s[0:1], s[8:9], v[5:6]
	v_mov_b32_e32 v2, s10
	v_mov_b32_e32 v16, s12
	;; [unrolled: 1-line block ×4, first 2 shown]
	v_cndmask_b32_e64 v5, v2, v16, s[0:1]
	v_cndmask_b32_e64 v6, v17, v18, s[0:1]
	v_cmp_lt_i64_e64 s[0:1], s[8:9], v[3:4]
	v_or_b32_e32 v15, 0x100, v0
	v_cndmask_b32_e64 v3, v2, v16, s[0:1]
	v_cndmask_b32_e64 v4, v17, v18, s[0:1]
	v_cmp_gt_i32_e64 s[0:1], s18, v15
	v_cndmask_b32_e64 v10, 0, v4, s[0:1]
	v_cndmask_b32_e64 v9, 0, v3, s[0:1]
	v_cmp_lt_i64_e64 s[0:1], s[8:9], v[11:12]
	v_or_b32_e32 v3, 0x200, v0
	v_cndmask_b32_e32 v13, 0, v5, vcc
	v_cndmask_b32_e64 v4, v2, v16, s[0:1]
	v_cndmask_b32_e64 v5, v17, v18, s[0:1]
	v_cmp_gt_i32_e64 s[0:1], s18, v3
	v_cndmask_b32_e32 v14, 0, v6, vcc
	v_cndmask_b32_e64 v6, 0, v5, s[0:1]
	v_cndmask_b32_e64 v5, 0, v4, s[0:1]
	v_cmp_lt_i64_e64 s[0:1], s[8:9], v[7:8]
	v_or_b32_e32 v3, 0x300, v0
	v_cndmask_b32_e64 v2, v2, v16, s[0:1]
	v_cndmask_b32_e64 v4, v17, v18, s[0:1]
	v_cmp_gt_i32_e64 s[0:1], s18, v3
	v_cndmask_b32_e64 v4, 0, v4, s[0:1]
	v_cndmask_b32_e64 v3, 0, v2, s[0:1]
	s_and_saveexec_b64 s[0:1], vcc
	s_cbranch_execnz .LBB80_17
; %bb.12:
	s_or_b64 exec, exec, s[0:1]
	v_cmp_gt_i32_e32 vcc, s18, v0
	s_and_saveexec_b64 s[0:1], vcc
	s_cbranch_execnz .LBB80_18
.LBB80_13:
	s_or_b64 exec, exec, s[0:1]
	v_cmp_gt_i32_e32 vcc, s18, v0
	s_and_saveexec_b64 s[0:1], vcc
	s_cbranch_execnz .LBB80_19
.LBB80_14:
	s_or_b64 exec, exec, s[0:1]
	v_cmp_gt_i32_e32 vcc, s18, v0
	s_and_saveexec_b64 s[0:1], vcc
	s_cbranch_execz .LBB80_16
.LBB80_15:
	v_add_u32_e32 v0, s6, v0
	v_mov_b32_e32 v1, 0
	v_lshlrev_b64 v[0:1], 3, v[0:1]
	v_mov_b32_e32 v2, s15
	v_add_co_u32_e32 v0, vcc, s14, v0
	v_addc_co_u32_e32 v1, vcc, v2, v1, vcc
	global_store_dwordx2 v[0:1], v[3:4], off
.LBB80_16:
	s_endpgm
.LBB80_17:
	v_mov_b32_e32 v2, 0
	v_lshlrev_b64 v[0:1], 3, v[1:2]
	v_mov_b32_e32 v2, s15
	v_add_co_u32_e32 v0, vcc, s14, v0
	v_addc_co_u32_e32 v1, vcc, v2, v1, vcc
	global_store_dwordx2 v[0:1], v[13:14], off
	v_mov_b32_e32 v0, v15
	s_or_b64 exec, exec, s[0:1]
	v_cmp_gt_i32_e32 vcc, s18, v0
	s_and_saveexec_b64 s[0:1], vcc
	s_cbranch_execz .LBB80_13
.LBB80_18:
	v_add_u32_e32 v1, s6, v0
	v_mov_b32_e32 v2, 0
	v_lshlrev_b64 v[1:2], 3, v[1:2]
	v_mov_b32_e32 v7, s15
	v_add_co_u32_e32 v1, vcc, s14, v1
	v_addc_co_u32_e32 v2, vcc, v7, v2, vcc
	v_add_u32_e32 v0, 0x100, v0
	global_store_dwordx2 v[1:2], v[9:10], off
	s_or_b64 exec, exec, s[0:1]
	v_cmp_gt_i32_e32 vcc, s18, v0
	s_and_saveexec_b64 s[0:1], vcc
	s_cbranch_execz .LBB80_14
.LBB80_19:
	v_add_u32_e32 v1, s6, v0
	v_mov_b32_e32 v2, 0
	v_lshlrev_b64 v[1:2], 3, v[1:2]
	v_mov_b32_e32 v7, s15
	v_add_co_u32_e32 v1, vcc, s14, v1
	v_addc_co_u32_e32 v2, vcc, v7, v2, vcc
	v_add_u32_e32 v0, 0x100, v0
	global_store_dwordx2 v[1:2], v[5:6], off
	s_or_b64 exec, exec, s[0:1]
	v_cmp_gt_i32_e32 vcc, s18, v0
	s_and_saveexec_b64 s[0:1], vcc
	s_cbranch_execnz .LBB80_15
	s_branch .LBB80_16
	.section	.rodata,"a",@progbits
	.p2align	6, 0x0
	.amdhsa_kernel _ZN2at6native29vectorized_elementwise_kernelILi16ENS0_13BUnaryFunctorIlllZNS0_12_GLOBAL__N_121threshold_kernel_implIlEEvRNS_18TensorIteratorBaseET_S7_EUlllE_EESt5arrayIPcLm2EEEEviT0_T1_
		.amdhsa_group_segment_fixed_size 0
		.amdhsa_private_segment_fixed_size 0
		.amdhsa_kernarg_size 48
		.amdhsa_user_sgpr_count 6
		.amdhsa_user_sgpr_private_segment_buffer 1
		.amdhsa_user_sgpr_dispatch_ptr 0
		.amdhsa_user_sgpr_queue_ptr 0
		.amdhsa_user_sgpr_kernarg_segment_ptr 1
		.amdhsa_user_sgpr_dispatch_id 0
		.amdhsa_user_sgpr_flat_scratch_init 0
		.amdhsa_user_sgpr_private_segment_size 0
		.amdhsa_uses_dynamic_stack 0
		.amdhsa_system_sgpr_private_segment_wavefront_offset 0
		.amdhsa_system_sgpr_workgroup_id_x 1
		.amdhsa_system_sgpr_workgroup_id_y 0
		.amdhsa_system_sgpr_workgroup_id_z 0
		.amdhsa_system_sgpr_workgroup_info 0
		.amdhsa_system_vgpr_workitem_id 0
		.amdhsa_next_free_vgpr 19
		.amdhsa_next_free_sgpr 22
		.amdhsa_reserve_vcc 1
		.amdhsa_reserve_flat_scratch 0
		.amdhsa_float_round_mode_32 0
		.amdhsa_float_round_mode_16_64 0
		.amdhsa_float_denorm_mode_32 3
		.amdhsa_float_denorm_mode_16_64 3
		.amdhsa_dx10_clamp 1
		.amdhsa_ieee_mode 1
		.amdhsa_fp16_overflow 0
		.amdhsa_exception_fp_ieee_invalid_op 0
		.amdhsa_exception_fp_denorm_src 0
		.amdhsa_exception_fp_ieee_div_zero 0
		.amdhsa_exception_fp_ieee_overflow 0
		.amdhsa_exception_fp_ieee_underflow 0
		.amdhsa_exception_fp_ieee_inexact 0
		.amdhsa_exception_int_div_zero 0
	.end_amdhsa_kernel
	.section	.text._ZN2at6native29vectorized_elementwise_kernelILi16ENS0_13BUnaryFunctorIlllZNS0_12_GLOBAL__N_121threshold_kernel_implIlEEvRNS_18TensorIteratorBaseET_S7_EUlllE_EESt5arrayIPcLm2EEEEviT0_T1_,"axG",@progbits,_ZN2at6native29vectorized_elementwise_kernelILi16ENS0_13BUnaryFunctorIlllZNS0_12_GLOBAL__N_121threshold_kernel_implIlEEvRNS_18TensorIteratorBaseET_S7_EUlllE_EESt5arrayIPcLm2EEEEviT0_T1_,comdat
.Lfunc_end80:
	.size	_ZN2at6native29vectorized_elementwise_kernelILi16ENS0_13BUnaryFunctorIlllZNS0_12_GLOBAL__N_121threshold_kernel_implIlEEvRNS_18TensorIteratorBaseET_S7_EUlllE_EESt5arrayIPcLm2EEEEviT0_T1_, .Lfunc_end80-_ZN2at6native29vectorized_elementwise_kernelILi16ENS0_13BUnaryFunctorIlllZNS0_12_GLOBAL__N_121threshold_kernel_implIlEEvRNS_18TensorIteratorBaseET_S7_EUlllE_EESt5arrayIPcLm2EEEEviT0_T1_
                                        ; -- End function
	.set _ZN2at6native29vectorized_elementwise_kernelILi16ENS0_13BUnaryFunctorIlllZNS0_12_GLOBAL__N_121threshold_kernel_implIlEEvRNS_18TensorIteratorBaseET_S7_EUlllE_EESt5arrayIPcLm2EEEEviT0_T1_.num_vgpr, 19
	.set _ZN2at6native29vectorized_elementwise_kernelILi16ENS0_13BUnaryFunctorIlllZNS0_12_GLOBAL__N_121threshold_kernel_implIlEEvRNS_18TensorIteratorBaseET_S7_EUlllE_EESt5arrayIPcLm2EEEEviT0_T1_.num_agpr, 0
	.set _ZN2at6native29vectorized_elementwise_kernelILi16ENS0_13BUnaryFunctorIlllZNS0_12_GLOBAL__N_121threshold_kernel_implIlEEvRNS_18TensorIteratorBaseET_S7_EUlllE_EESt5arrayIPcLm2EEEEviT0_T1_.numbered_sgpr, 22
	.set _ZN2at6native29vectorized_elementwise_kernelILi16ENS0_13BUnaryFunctorIlllZNS0_12_GLOBAL__N_121threshold_kernel_implIlEEvRNS_18TensorIteratorBaseET_S7_EUlllE_EESt5arrayIPcLm2EEEEviT0_T1_.num_named_barrier, 0
	.set _ZN2at6native29vectorized_elementwise_kernelILi16ENS0_13BUnaryFunctorIlllZNS0_12_GLOBAL__N_121threshold_kernel_implIlEEvRNS_18TensorIteratorBaseET_S7_EUlllE_EESt5arrayIPcLm2EEEEviT0_T1_.private_seg_size, 0
	.set _ZN2at6native29vectorized_elementwise_kernelILi16ENS0_13BUnaryFunctorIlllZNS0_12_GLOBAL__N_121threshold_kernel_implIlEEvRNS_18TensorIteratorBaseET_S7_EUlllE_EESt5arrayIPcLm2EEEEviT0_T1_.uses_vcc, 1
	.set _ZN2at6native29vectorized_elementwise_kernelILi16ENS0_13BUnaryFunctorIlllZNS0_12_GLOBAL__N_121threshold_kernel_implIlEEvRNS_18TensorIteratorBaseET_S7_EUlllE_EESt5arrayIPcLm2EEEEviT0_T1_.uses_flat_scratch, 0
	.set _ZN2at6native29vectorized_elementwise_kernelILi16ENS0_13BUnaryFunctorIlllZNS0_12_GLOBAL__N_121threshold_kernel_implIlEEvRNS_18TensorIteratorBaseET_S7_EUlllE_EESt5arrayIPcLm2EEEEviT0_T1_.has_dyn_sized_stack, 0
	.set _ZN2at6native29vectorized_elementwise_kernelILi16ENS0_13BUnaryFunctorIlllZNS0_12_GLOBAL__N_121threshold_kernel_implIlEEvRNS_18TensorIteratorBaseET_S7_EUlllE_EESt5arrayIPcLm2EEEEviT0_T1_.has_recursion, 0
	.set _ZN2at6native29vectorized_elementwise_kernelILi16ENS0_13BUnaryFunctorIlllZNS0_12_GLOBAL__N_121threshold_kernel_implIlEEvRNS_18TensorIteratorBaseET_S7_EUlllE_EESt5arrayIPcLm2EEEEviT0_T1_.has_indirect_call, 0
	.section	.AMDGPU.csdata,"",@progbits
; Kernel info:
; codeLenInByte = 1032
; TotalNumSgprs: 26
; NumVgprs: 19
; ScratchSize: 0
; MemoryBound: 0
; FloatMode: 240
; IeeeMode: 1
; LDSByteSize: 0 bytes/workgroup (compile time only)
; SGPRBlocks: 3
; VGPRBlocks: 4
; NumSGPRsForWavesPerEU: 26
; NumVGPRsForWavesPerEU: 19
; Occupancy: 10
; WaveLimiterHint : 0
; COMPUTE_PGM_RSRC2:SCRATCH_EN: 0
; COMPUTE_PGM_RSRC2:USER_SGPR: 6
; COMPUTE_PGM_RSRC2:TRAP_HANDLER: 0
; COMPUTE_PGM_RSRC2:TGID_X_EN: 1
; COMPUTE_PGM_RSRC2:TGID_Y_EN: 0
; COMPUTE_PGM_RSRC2:TGID_Z_EN: 0
; COMPUTE_PGM_RSRC2:TIDIG_COMP_CNT: 0
	.section	.text._ZN2at6native29vectorized_elementwise_kernelILi8ENS0_13BUnaryFunctorIlllZNS0_12_GLOBAL__N_121threshold_kernel_implIlEEvRNS_18TensorIteratorBaseET_S7_EUlllE_EESt5arrayIPcLm2EEEEviT0_T1_,"axG",@progbits,_ZN2at6native29vectorized_elementwise_kernelILi8ENS0_13BUnaryFunctorIlllZNS0_12_GLOBAL__N_121threshold_kernel_implIlEEvRNS_18TensorIteratorBaseET_S7_EUlllE_EESt5arrayIPcLm2EEEEviT0_T1_,comdat
	.globl	_ZN2at6native29vectorized_elementwise_kernelILi8ENS0_13BUnaryFunctorIlllZNS0_12_GLOBAL__N_121threshold_kernel_implIlEEvRNS_18TensorIteratorBaseET_S7_EUlllE_EESt5arrayIPcLm2EEEEviT0_T1_ ; -- Begin function _ZN2at6native29vectorized_elementwise_kernelILi8ENS0_13BUnaryFunctorIlllZNS0_12_GLOBAL__N_121threshold_kernel_implIlEEvRNS_18TensorIteratorBaseET_S7_EUlllE_EESt5arrayIPcLm2EEEEviT0_T1_
	.p2align	8
	.type	_ZN2at6native29vectorized_elementwise_kernelILi8ENS0_13BUnaryFunctorIlllZNS0_12_GLOBAL__N_121threshold_kernel_implIlEEvRNS_18TensorIteratorBaseET_S7_EUlllE_EESt5arrayIPcLm2EEEEviT0_T1_,@function
_ZN2at6native29vectorized_elementwise_kernelILi8ENS0_13BUnaryFunctorIlllZNS0_12_GLOBAL__N_121threshold_kernel_implIlEEvRNS_18TensorIteratorBaseET_S7_EUlllE_EESt5arrayIPcLm2EEEEviT0_T1_: ; @_ZN2at6native29vectorized_elementwise_kernelILi8ENS0_13BUnaryFunctorIlllZNS0_12_GLOBAL__N_121threshold_kernel_implIlEEvRNS_18TensorIteratorBaseET_S7_EUlllE_EESt5arrayIPcLm2EEEEviT0_T1_
; %bb.0:
	s_load_dword s0, s[4:5], 0x0
	s_load_dwordx8 s[8:15], s[4:5], 0x8
	s_load_dwordx2 s[16:17], s[4:5], 0x28
	s_lshl_b32 s6, s6, 10
	s_waitcnt lgkmcnt(0)
	s_sub_i32 s18, s0, s6
	s_cmpk_gt_i32 s18, 0x3ff
	s_mov_b64 s[0:1], -1
	s_cbranch_scc0 .LBB81_2
; %bb.1:
	s_ashr_i32 s7, s6, 31
	s_lshl_b64 s[0:1], s[6:7], 3
	s_add_u32 s2, s16, s0
	s_addc_u32 s3, s17, s1
	v_lshlrev_b32_e32 v9, 5, v0
	global_load_dwordx4 v[1:4], v9, s[2:3]
	global_load_dwordx4 v[5:8], v9, s[2:3] offset:16
	s_add_u32 s20, s14, s0
	s_addc_u32 s21, s15, s1
	v_mov_b32_e32 v10, s11
	v_mov_b32_e32 v11, s13
	;; [unrolled: 1-line block ×4, first 2 shown]
	s_waitcnt vmcnt(1)
	v_cmp_lt_i64_e32 vcc, s[8:9], v[1:2]
	v_cmp_lt_i64_e64 s[0:1], s[8:9], v[3:4]
	s_waitcnt vmcnt(0)
	v_cmp_lt_i64_e64 s[2:3], s[8:9], v[5:6]
	v_cmp_lt_i64_e64 s[4:5], s[8:9], v[7:8]
	v_cndmask_b32_e32 v2, v10, v11, vcc
	v_cndmask_b32_e64 v4, v10, v11, s[0:1]
	v_cndmask_b32_e32 v1, v12, v13, vcc
	v_cndmask_b32_e64 v3, v12, v13, s[0:1]
	v_cndmask_b32_e64 v6, v10, v11, s[2:3]
	;; [unrolled: 1-line block ×5, first 2 shown]
	global_store_dwordx4 v9, v[1:4], s[20:21]
	global_store_dwordx4 v9, v[5:8], s[20:21] offset:16
	s_mov_b64 s[0:1], 0
.LBB81_2:
	s_andn2_b64 vcc, exec, s[0:1]
	s_cbranch_vccnz .LBB81_16
; %bb.3:
	v_mov_b32_e32 v3, 0
	v_mov_b32_e32 v5, 0
	v_cmp_gt_i32_e32 vcc, s18, v0
	v_mov_b32_e32 v4, 0
	v_or_b32_e32 v1, s6, v0
	v_mov_b32_e32 v6, 0
	v_mov_b32_e32 v2, v0
	s_and_saveexec_b64 s[2:3], vcc
	s_cbranch_execz .LBB81_5
; %bb.4:
	v_mov_b32_e32 v2, 0
	v_lshlrev_b64 v[5:6], 3, v[1:2]
	v_mov_b32_e32 v2, s17
	v_add_co_u32_e64 v5, s[0:1], s16, v5
	v_addc_co_u32_e64 v6, s[0:1], v2, v6, s[0:1]
	global_load_dwordx2 v[5:6], v[5:6], off
	v_or_b32_e32 v2, 0x100, v0
.LBB81_5:
	s_or_b64 exec, exec, s[2:3]
	v_cmp_gt_i32_e64 s[0:1], s18, v2
	s_and_saveexec_b64 s[2:3], s[0:1]
	s_cbranch_execz .LBB81_7
; %bb.6:
	v_add_u32_e32 v3, s6, v2
	v_mov_b32_e32 v4, 0
	v_lshlrev_b64 v[3:4], 3, v[3:4]
	v_mov_b32_e32 v7, s17
	v_add_co_u32_e64 v3, s[0:1], s16, v3
	v_addc_co_u32_e64 v4, s[0:1], v7, v4, s[0:1]
	global_load_dwordx2 v[3:4], v[3:4], off
	v_add_u32_e32 v2, 0x100, v2
.LBB81_7:
	s_or_b64 exec, exec, s[2:3]
	v_mov_b32_e32 v7, 0
	v_mov_b32_e32 v11, 0
	;; [unrolled: 1-line block ×4, first 2 shown]
	v_cmp_gt_i32_e64 s[0:1], s18, v2
	s_and_saveexec_b64 s[2:3], s[0:1]
	s_cbranch_execz .LBB81_9
; %bb.8:
	v_add_u32_e32 v9, s6, v2
	v_mov_b32_e32 v10, 0
	v_lshlrev_b64 v[9:10], 3, v[9:10]
	v_mov_b32_e32 v11, s17
	v_add_co_u32_e64 v9, s[0:1], s16, v9
	v_addc_co_u32_e64 v10, s[0:1], v11, v10, s[0:1]
	global_load_dwordx2 v[11:12], v[9:10], off
	v_add_u32_e32 v2, 0x100, v2
.LBB81_9:
	s_or_b64 exec, exec, s[2:3]
	v_cmp_gt_i32_e64 s[0:1], s18, v2
	s_and_saveexec_b64 s[2:3], s[0:1]
	s_cbranch_execz .LBB81_11
; %bb.10:
	v_add_u32_e32 v7, s6, v2
	v_mov_b32_e32 v8, 0
	v_lshlrev_b64 v[7:8], 3, v[7:8]
	v_mov_b32_e32 v2, s17
	v_add_co_u32_e64 v7, s[0:1], s16, v7
	v_addc_co_u32_e64 v8, s[0:1], v2, v8, s[0:1]
	global_load_dwordx2 v[7:8], v[7:8], off
.LBB81_11:
	s_or_b64 exec, exec, s[2:3]
	s_waitcnt vmcnt(0)
	v_cmp_lt_i64_e64 s[0:1], s[8:9], v[5:6]
	v_mov_b32_e32 v2, s10
	v_mov_b32_e32 v16, s12
	;; [unrolled: 1-line block ×4, first 2 shown]
	v_cndmask_b32_e64 v5, v2, v16, s[0:1]
	v_cndmask_b32_e64 v6, v17, v18, s[0:1]
	v_cmp_lt_i64_e64 s[0:1], s[8:9], v[3:4]
	v_or_b32_e32 v15, 0x100, v0
	v_cndmask_b32_e64 v3, v2, v16, s[0:1]
	v_cndmask_b32_e64 v4, v17, v18, s[0:1]
	v_cmp_gt_i32_e64 s[0:1], s18, v15
	v_cndmask_b32_e64 v10, 0, v4, s[0:1]
	v_cndmask_b32_e64 v9, 0, v3, s[0:1]
	v_cmp_lt_i64_e64 s[0:1], s[8:9], v[11:12]
	v_or_b32_e32 v3, 0x200, v0
	v_cndmask_b32_e32 v13, 0, v5, vcc
	v_cndmask_b32_e64 v4, v2, v16, s[0:1]
	v_cndmask_b32_e64 v5, v17, v18, s[0:1]
	v_cmp_gt_i32_e64 s[0:1], s18, v3
	v_cndmask_b32_e32 v14, 0, v6, vcc
	v_cndmask_b32_e64 v6, 0, v5, s[0:1]
	v_cndmask_b32_e64 v5, 0, v4, s[0:1]
	v_cmp_lt_i64_e64 s[0:1], s[8:9], v[7:8]
	v_or_b32_e32 v3, 0x300, v0
	v_cndmask_b32_e64 v2, v2, v16, s[0:1]
	v_cndmask_b32_e64 v4, v17, v18, s[0:1]
	v_cmp_gt_i32_e64 s[0:1], s18, v3
	v_cndmask_b32_e64 v4, 0, v4, s[0:1]
	v_cndmask_b32_e64 v3, 0, v2, s[0:1]
	s_and_saveexec_b64 s[0:1], vcc
	s_cbranch_execnz .LBB81_17
; %bb.12:
	s_or_b64 exec, exec, s[0:1]
	v_cmp_gt_i32_e32 vcc, s18, v0
	s_and_saveexec_b64 s[0:1], vcc
	s_cbranch_execnz .LBB81_18
.LBB81_13:
	s_or_b64 exec, exec, s[0:1]
	v_cmp_gt_i32_e32 vcc, s18, v0
	s_and_saveexec_b64 s[0:1], vcc
	s_cbranch_execnz .LBB81_19
.LBB81_14:
	s_or_b64 exec, exec, s[0:1]
	v_cmp_gt_i32_e32 vcc, s18, v0
	s_and_saveexec_b64 s[0:1], vcc
	s_cbranch_execz .LBB81_16
.LBB81_15:
	v_add_u32_e32 v0, s6, v0
	v_mov_b32_e32 v1, 0
	v_lshlrev_b64 v[0:1], 3, v[0:1]
	v_mov_b32_e32 v2, s15
	v_add_co_u32_e32 v0, vcc, s14, v0
	v_addc_co_u32_e32 v1, vcc, v2, v1, vcc
	global_store_dwordx2 v[0:1], v[3:4], off
.LBB81_16:
	s_endpgm
.LBB81_17:
	v_mov_b32_e32 v2, 0
	v_lshlrev_b64 v[0:1], 3, v[1:2]
	v_mov_b32_e32 v2, s15
	v_add_co_u32_e32 v0, vcc, s14, v0
	v_addc_co_u32_e32 v1, vcc, v2, v1, vcc
	global_store_dwordx2 v[0:1], v[13:14], off
	v_mov_b32_e32 v0, v15
	s_or_b64 exec, exec, s[0:1]
	v_cmp_gt_i32_e32 vcc, s18, v0
	s_and_saveexec_b64 s[0:1], vcc
	s_cbranch_execz .LBB81_13
.LBB81_18:
	v_add_u32_e32 v1, s6, v0
	v_mov_b32_e32 v2, 0
	v_lshlrev_b64 v[1:2], 3, v[1:2]
	v_mov_b32_e32 v7, s15
	v_add_co_u32_e32 v1, vcc, s14, v1
	v_addc_co_u32_e32 v2, vcc, v7, v2, vcc
	v_add_u32_e32 v0, 0x100, v0
	global_store_dwordx2 v[1:2], v[9:10], off
	s_or_b64 exec, exec, s[0:1]
	v_cmp_gt_i32_e32 vcc, s18, v0
	s_and_saveexec_b64 s[0:1], vcc
	s_cbranch_execz .LBB81_14
.LBB81_19:
	v_add_u32_e32 v1, s6, v0
	v_mov_b32_e32 v2, 0
	v_lshlrev_b64 v[1:2], 3, v[1:2]
	v_mov_b32_e32 v7, s15
	v_add_co_u32_e32 v1, vcc, s14, v1
	v_addc_co_u32_e32 v2, vcc, v7, v2, vcc
	v_add_u32_e32 v0, 0x100, v0
	global_store_dwordx2 v[1:2], v[5:6], off
	s_or_b64 exec, exec, s[0:1]
	v_cmp_gt_i32_e32 vcc, s18, v0
	s_and_saveexec_b64 s[0:1], vcc
	s_cbranch_execnz .LBB81_15
	s_branch .LBB81_16
	.section	.rodata,"a",@progbits
	.p2align	6, 0x0
	.amdhsa_kernel _ZN2at6native29vectorized_elementwise_kernelILi8ENS0_13BUnaryFunctorIlllZNS0_12_GLOBAL__N_121threshold_kernel_implIlEEvRNS_18TensorIteratorBaseET_S7_EUlllE_EESt5arrayIPcLm2EEEEviT0_T1_
		.amdhsa_group_segment_fixed_size 0
		.amdhsa_private_segment_fixed_size 0
		.amdhsa_kernarg_size 48
		.amdhsa_user_sgpr_count 6
		.amdhsa_user_sgpr_private_segment_buffer 1
		.amdhsa_user_sgpr_dispatch_ptr 0
		.amdhsa_user_sgpr_queue_ptr 0
		.amdhsa_user_sgpr_kernarg_segment_ptr 1
		.amdhsa_user_sgpr_dispatch_id 0
		.amdhsa_user_sgpr_flat_scratch_init 0
		.amdhsa_user_sgpr_private_segment_size 0
		.amdhsa_uses_dynamic_stack 0
		.amdhsa_system_sgpr_private_segment_wavefront_offset 0
		.amdhsa_system_sgpr_workgroup_id_x 1
		.amdhsa_system_sgpr_workgroup_id_y 0
		.amdhsa_system_sgpr_workgroup_id_z 0
		.amdhsa_system_sgpr_workgroup_info 0
		.amdhsa_system_vgpr_workitem_id 0
		.amdhsa_next_free_vgpr 19
		.amdhsa_next_free_sgpr 22
		.amdhsa_reserve_vcc 1
		.amdhsa_reserve_flat_scratch 0
		.amdhsa_float_round_mode_32 0
		.amdhsa_float_round_mode_16_64 0
		.amdhsa_float_denorm_mode_32 3
		.amdhsa_float_denorm_mode_16_64 3
		.amdhsa_dx10_clamp 1
		.amdhsa_ieee_mode 1
		.amdhsa_fp16_overflow 0
		.amdhsa_exception_fp_ieee_invalid_op 0
		.amdhsa_exception_fp_denorm_src 0
		.amdhsa_exception_fp_ieee_div_zero 0
		.amdhsa_exception_fp_ieee_overflow 0
		.amdhsa_exception_fp_ieee_underflow 0
		.amdhsa_exception_fp_ieee_inexact 0
		.amdhsa_exception_int_div_zero 0
	.end_amdhsa_kernel
	.section	.text._ZN2at6native29vectorized_elementwise_kernelILi8ENS0_13BUnaryFunctorIlllZNS0_12_GLOBAL__N_121threshold_kernel_implIlEEvRNS_18TensorIteratorBaseET_S7_EUlllE_EESt5arrayIPcLm2EEEEviT0_T1_,"axG",@progbits,_ZN2at6native29vectorized_elementwise_kernelILi8ENS0_13BUnaryFunctorIlllZNS0_12_GLOBAL__N_121threshold_kernel_implIlEEvRNS_18TensorIteratorBaseET_S7_EUlllE_EESt5arrayIPcLm2EEEEviT0_T1_,comdat
.Lfunc_end81:
	.size	_ZN2at6native29vectorized_elementwise_kernelILi8ENS0_13BUnaryFunctorIlllZNS0_12_GLOBAL__N_121threshold_kernel_implIlEEvRNS_18TensorIteratorBaseET_S7_EUlllE_EESt5arrayIPcLm2EEEEviT0_T1_, .Lfunc_end81-_ZN2at6native29vectorized_elementwise_kernelILi8ENS0_13BUnaryFunctorIlllZNS0_12_GLOBAL__N_121threshold_kernel_implIlEEvRNS_18TensorIteratorBaseET_S7_EUlllE_EESt5arrayIPcLm2EEEEviT0_T1_
                                        ; -- End function
	.set _ZN2at6native29vectorized_elementwise_kernelILi8ENS0_13BUnaryFunctorIlllZNS0_12_GLOBAL__N_121threshold_kernel_implIlEEvRNS_18TensorIteratorBaseET_S7_EUlllE_EESt5arrayIPcLm2EEEEviT0_T1_.num_vgpr, 19
	.set _ZN2at6native29vectorized_elementwise_kernelILi8ENS0_13BUnaryFunctorIlllZNS0_12_GLOBAL__N_121threshold_kernel_implIlEEvRNS_18TensorIteratorBaseET_S7_EUlllE_EESt5arrayIPcLm2EEEEviT0_T1_.num_agpr, 0
	.set _ZN2at6native29vectorized_elementwise_kernelILi8ENS0_13BUnaryFunctorIlllZNS0_12_GLOBAL__N_121threshold_kernel_implIlEEvRNS_18TensorIteratorBaseET_S7_EUlllE_EESt5arrayIPcLm2EEEEviT0_T1_.numbered_sgpr, 22
	.set _ZN2at6native29vectorized_elementwise_kernelILi8ENS0_13BUnaryFunctorIlllZNS0_12_GLOBAL__N_121threshold_kernel_implIlEEvRNS_18TensorIteratorBaseET_S7_EUlllE_EESt5arrayIPcLm2EEEEviT0_T1_.num_named_barrier, 0
	.set _ZN2at6native29vectorized_elementwise_kernelILi8ENS0_13BUnaryFunctorIlllZNS0_12_GLOBAL__N_121threshold_kernel_implIlEEvRNS_18TensorIteratorBaseET_S7_EUlllE_EESt5arrayIPcLm2EEEEviT0_T1_.private_seg_size, 0
	.set _ZN2at6native29vectorized_elementwise_kernelILi8ENS0_13BUnaryFunctorIlllZNS0_12_GLOBAL__N_121threshold_kernel_implIlEEvRNS_18TensorIteratorBaseET_S7_EUlllE_EESt5arrayIPcLm2EEEEviT0_T1_.uses_vcc, 1
	.set _ZN2at6native29vectorized_elementwise_kernelILi8ENS0_13BUnaryFunctorIlllZNS0_12_GLOBAL__N_121threshold_kernel_implIlEEvRNS_18TensorIteratorBaseET_S7_EUlllE_EESt5arrayIPcLm2EEEEviT0_T1_.uses_flat_scratch, 0
	.set _ZN2at6native29vectorized_elementwise_kernelILi8ENS0_13BUnaryFunctorIlllZNS0_12_GLOBAL__N_121threshold_kernel_implIlEEvRNS_18TensorIteratorBaseET_S7_EUlllE_EESt5arrayIPcLm2EEEEviT0_T1_.has_dyn_sized_stack, 0
	.set _ZN2at6native29vectorized_elementwise_kernelILi8ENS0_13BUnaryFunctorIlllZNS0_12_GLOBAL__N_121threshold_kernel_implIlEEvRNS_18TensorIteratorBaseET_S7_EUlllE_EESt5arrayIPcLm2EEEEviT0_T1_.has_recursion, 0
	.set _ZN2at6native29vectorized_elementwise_kernelILi8ENS0_13BUnaryFunctorIlllZNS0_12_GLOBAL__N_121threshold_kernel_implIlEEvRNS_18TensorIteratorBaseET_S7_EUlllE_EESt5arrayIPcLm2EEEEviT0_T1_.has_indirect_call, 0
	.section	.AMDGPU.csdata,"",@progbits
; Kernel info:
; codeLenInByte = 1032
; TotalNumSgprs: 26
; NumVgprs: 19
; ScratchSize: 0
; MemoryBound: 0
; FloatMode: 240
; IeeeMode: 1
; LDSByteSize: 0 bytes/workgroup (compile time only)
; SGPRBlocks: 3
; VGPRBlocks: 4
; NumSGPRsForWavesPerEU: 26
; NumVGPRsForWavesPerEU: 19
; Occupancy: 10
; WaveLimiterHint : 0
; COMPUTE_PGM_RSRC2:SCRATCH_EN: 0
; COMPUTE_PGM_RSRC2:USER_SGPR: 6
; COMPUTE_PGM_RSRC2:TRAP_HANDLER: 0
; COMPUTE_PGM_RSRC2:TGID_X_EN: 1
; COMPUTE_PGM_RSRC2:TGID_Y_EN: 0
; COMPUTE_PGM_RSRC2:TGID_Z_EN: 0
; COMPUTE_PGM_RSRC2:TIDIG_COMP_CNT: 0
	.section	.text._ZN2at6native29vectorized_elementwise_kernelILi4ENS0_13BUnaryFunctorIlllZNS0_12_GLOBAL__N_121threshold_kernel_implIlEEvRNS_18TensorIteratorBaseET_S7_EUlllE_EESt5arrayIPcLm2EEEEviT0_T1_,"axG",@progbits,_ZN2at6native29vectorized_elementwise_kernelILi4ENS0_13BUnaryFunctorIlllZNS0_12_GLOBAL__N_121threshold_kernel_implIlEEvRNS_18TensorIteratorBaseET_S7_EUlllE_EESt5arrayIPcLm2EEEEviT0_T1_,comdat
	.globl	_ZN2at6native29vectorized_elementwise_kernelILi4ENS0_13BUnaryFunctorIlllZNS0_12_GLOBAL__N_121threshold_kernel_implIlEEvRNS_18TensorIteratorBaseET_S7_EUlllE_EESt5arrayIPcLm2EEEEviT0_T1_ ; -- Begin function _ZN2at6native29vectorized_elementwise_kernelILi4ENS0_13BUnaryFunctorIlllZNS0_12_GLOBAL__N_121threshold_kernel_implIlEEvRNS_18TensorIteratorBaseET_S7_EUlllE_EESt5arrayIPcLm2EEEEviT0_T1_
	.p2align	8
	.type	_ZN2at6native29vectorized_elementwise_kernelILi4ENS0_13BUnaryFunctorIlllZNS0_12_GLOBAL__N_121threshold_kernel_implIlEEvRNS_18TensorIteratorBaseET_S7_EUlllE_EESt5arrayIPcLm2EEEEviT0_T1_,@function
_ZN2at6native29vectorized_elementwise_kernelILi4ENS0_13BUnaryFunctorIlllZNS0_12_GLOBAL__N_121threshold_kernel_implIlEEvRNS_18TensorIteratorBaseET_S7_EUlllE_EESt5arrayIPcLm2EEEEviT0_T1_: ; @_ZN2at6native29vectorized_elementwise_kernelILi4ENS0_13BUnaryFunctorIlllZNS0_12_GLOBAL__N_121threshold_kernel_implIlEEvRNS_18TensorIteratorBaseET_S7_EUlllE_EESt5arrayIPcLm2EEEEviT0_T1_
; %bb.0:
	s_load_dword s0, s[4:5], 0x0
	s_load_dwordx8 s[8:15], s[4:5], 0x8
	s_load_dwordx2 s[16:17], s[4:5], 0x28
	s_lshl_b32 s6, s6, 10
	s_waitcnt lgkmcnt(0)
	s_sub_i32 s18, s0, s6
	s_cmpk_gt_i32 s18, 0x3ff
	s_mov_b64 s[0:1], -1
	s_cbranch_scc0 .LBB82_2
; %bb.1:
	s_ashr_i32 s7, s6, 31
	s_lshl_b64 s[0:1], s[6:7], 3
	s_add_u32 s2, s16, s0
	s_addc_u32 s3, s17, s1
	v_lshlrev_b32_e32 v9, 5, v0
	global_load_dwordx4 v[1:4], v9, s[2:3]
	global_load_dwordx4 v[5:8], v9, s[2:3] offset:16
	s_add_u32 s20, s14, s0
	s_addc_u32 s21, s15, s1
	v_mov_b32_e32 v10, s11
	v_mov_b32_e32 v11, s13
	v_mov_b32_e32 v12, s10
	v_mov_b32_e32 v13, s12
	s_waitcnt vmcnt(1)
	v_cmp_lt_i64_e32 vcc, s[8:9], v[1:2]
	v_cmp_lt_i64_e64 s[0:1], s[8:9], v[3:4]
	s_waitcnt vmcnt(0)
	v_cmp_lt_i64_e64 s[2:3], s[8:9], v[5:6]
	v_cmp_lt_i64_e64 s[4:5], s[8:9], v[7:8]
	v_cndmask_b32_e32 v2, v10, v11, vcc
	v_cndmask_b32_e64 v4, v10, v11, s[0:1]
	v_cndmask_b32_e32 v1, v12, v13, vcc
	v_cndmask_b32_e64 v3, v12, v13, s[0:1]
	v_cndmask_b32_e64 v6, v10, v11, s[2:3]
	;; [unrolled: 1-line block ×5, first 2 shown]
	global_store_dwordx4 v9, v[1:4], s[20:21]
	global_store_dwordx4 v9, v[5:8], s[20:21] offset:16
	s_mov_b64 s[0:1], 0
.LBB82_2:
	s_andn2_b64 vcc, exec, s[0:1]
	s_cbranch_vccnz .LBB82_16
; %bb.3:
	v_mov_b32_e32 v3, 0
	v_mov_b32_e32 v5, 0
	v_cmp_gt_i32_e32 vcc, s18, v0
	v_mov_b32_e32 v4, 0
	v_or_b32_e32 v1, s6, v0
	v_mov_b32_e32 v6, 0
	v_mov_b32_e32 v2, v0
	s_and_saveexec_b64 s[2:3], vcc
	s_cbranch_execz .LBB82_5
; %bb.4:
	v_mov_b32_e32 v2, 0
	v_lshlrev_b64 v[5:6], 3, v[1:2]
	v_mov_b32_e32 v2, s17
	v_add_co_u32_e64 v5, s[0:1], s16, v5
	v_addc_co_u32_e64 v6, s[0:1], v2, v6, s[0:1]
	global_load_dwordx2 v[5:6], v[5:6], off
	v_or_b32_e32 v2, 0x100, v0
.LBB82_5:
	s_or_b64 exec, exec, s[2:3]
	v_cmp_gt_i32_e64 s[0:1], s18, v2
	s_and_saveexec_b64 s[2:3], s[0:1]
	s_cbranch_execz .LBB82_7
; %bb.6:
	v_add_u32_e32 v3, s6, v2
	v_mov_b32_e32 v4, 0
	v_lshlrev_b64 v[3:4], 3, v[3:4]
	v_mov_b32_e32 v7, s17
	v_add_co_u32_e64 v3, s[0:1], s16, v3
	v_addc_co_u32_e64 v4, s[0:1], v7, v4, s[0:1]
	global_load_dwordx2 v[3:4], v[3:4], off
	v_add_u32_e32 v2, 0x100, v2
.LBB82_7:
	s_or_b64 exec, exec, s[2:3]
	v_mov_b32_e32 v7, 0
	v_mov_b32_e32 v11, 0
	;; [unrolled: 1-line block ×4, first 2 shown]
	v_cmp_gt_i32_e64 s[0:1], s18, v2
	s_and_saveexec_b64 s[2:3], s[0:1]
	s_cbranch_execz .LBB82_9
; %bb.8:
	v_add_u32_e32 v9, s6, v2
	v_mov_b32_e32 v10, 0
	v_lshlrev_b64 v[9:10], 3, v[9:10]
	v_mov_b32_e32 v11, s17
	v_add_co_u32_e64 v9, s[0:1], s16, v9
	v_addc_co_u32_e64 v10, s[0:1], v11, v10, s[0:1]
	global_load_dwordx2 v[11:12], v[9:10], off
	v_add_u32_e32 v2, 0x100, v2
.LBB82_9:
	s_or_b64 exec, exec, s[2:3]
	v_cmp_gt_i32_e64 s[0:1], s18, v2
	s_and_saveexec_b64 s[2:3], s[0:1]
	s_cbranch_execz .LBB82_11
; %bb.10:
	v_add_u32_e32 v7, s6, v2
	v_mov_b32_e32 v8, 0
	v_lshlrev_b64 v[7:8], 3, v[7:8]
	v_mov_b32_e32 v2, s17
	v_add_co_u32_e64 v7, s[0:1], s16, v7
	v_addc_co_u32_e64 v8, s[0:1], v2, v8, s[0:1]
	global_load_dwordx2 v[7:8], v[7:8], off
.LBB82_11:
	s_or_b64 exec, exec, s[2:3]
	s_waitcnt vmcnt(0)
	v_cmp_lt_i64_e64 s[0:1], s[8:9], v[5:6]
	v_mov_b32_e32 v2, s10
	v_mov_b32_e32 v16, s12
	;; [unrolled: 1-line block ×4, first 2 shown]
	v_cndmask_b32_e64 v5, v2, v16, s[0:1]
	v_cndmask_b32_e64 v6, v17, v18, s[0:1]
	v_cmp_lt_i64_e64 s[0:1], s[8:9], v[3:4]
	v_or_b32_e32 v15, 0x100, v0
	v_cndmask_b32_e64 v3, v2, v16, s[0:1]
	v_cndmask_b32_e64 v4, v17, v18, s[0:1]
	v_cmp_gt_i32_e64 s[0:1], s18, v15
	v_cndmask_b32_e64 v10, 0, v4, s[0:1]
	v_cndmask_b32_e64 v9, 0, v3, s[0:1]
	v_cmp_lt_i64_e64 s[0:1], s[8:9], v[11:12]
	v_or_b32_e32 v3, 0x200, v0
	v_cndmask_b32_e32 v13, 0, v5, vcc
	v_cndmask_b32_e64 v4, v2, v16, s[0:1]
	v_cndmask_b32_e64 v5, v17, v18, s[0:1]
	v_cmp_gt_i32_e64 s[0:1], s18, v3
	v_cndmask_b32_e32 v14, 0, v6, vcc
	v_cndmask_b32_e64 v6, 0, v5, s[0:1]
	v_cndmask_b32_e64 v5, 0, v4, s[0:1]
	v_cmp_lt_i64_e64 s[0:1], s[8:9], v[7:8]
	v_or_b32_e32 v3, 0x300, v0
	v_cndmask_b32_e64 v2, v2, v16, s[0:1]
	v_cndmask_b32_e64 v4, v17, v18, s[0:1]
	v_cmp_gt_i32_e64 s[0:1], s18, v3
	v_cndmask_b32_e64 v4, 0, v4, s[0:1]
	v_cndmask_b32_e64 v3, 0, v2, s[0:1]
	s_and_saveexec_b64 s[0:1], vcc
	s_cbranch_execnz .LBB82_17
; %bb.12:
	s_or_b64 exec, exec, s[0:1]
	v_cmp_gt_i32_e32 vcc, s18, v0
	s_and_saveexec_b64 s[0:1], vcc
	s_cbranch_execnz .LBB82_18
.LBB82_13:
	s_or_b64 exec, exec, s[0:1]
	v_cmp_gt_i32_e32 vcc, s18, v0
	s_and_saveexec_b64 s[0:1], vcc
	s_cbranch_execnz .LBB82_19
.LBB82_14:
	s_or_b64 exec, exec, s[0:1]
	v_cmp_gt_i32_e32 vcc, s18, v0
	s_and_saveexec_b64 s[0:1], vcc
	s_cbranch_execz .LBB82_16
.LBB82_15:
	v_add_u32_e32 v0, s6, v0
	v_mov_b32_e32 v1, 0
	v_lshlrev_b64 v[0:1], 3, v[0:1]
	v_mov_b32_e32 v2, s15
	v_add_co_u32_e32 v0, vcc, s14, v0
	v_addc_co_u32_e32 v1, vcc, v2, v1, vcc
	global_store_dwordx2 v[0:1], v[3:4], off
.LBB82_16:
	s_endpgm
.LBB82_17:
	v_mov_b32_e32 v2, 0
	v_lshlrev_b64 v[0:1], 3, v[1:2]
	v_mov_b32_e32 v2, s15
	v_add_co_u32_e32 v0, vcc, s14, v0
	v_addc_co_u32_e32 v1, vcc, v2, v1, vcc
	global_store_dwordx2 v[0:1], v[13:14], off
	v_mov_b32_e32 v0, v15
	s_or_b64 exec, exec, s[0:1]
	v_cmp_gt_i32_e32 vcc, s18, v0
	s_and_saveexec_b64 s[0:1], vcc
	s_cbranch_execz .LBB82_13
.LBB82_18:
	v_add_u32_e32 v1, s6, v0
	v_mov_b32_e32 v2, 0
	v_lshlrev_b64 v[1:2], 3, v[1:2]
	v_mov_b32_e32 v7, s15
	v_add_co_u32_e32 v1, vcc, s14, v1
	v_addc_co_u32_e32 v2, vcc, v7, v2, vcc
	v_add_u32_e32 v0, 0x100, v0
	global_store_dwordx2 v[1:2], v[9:10], off
	s_or_b64 exec, exec, s[0:1]
	v_cmp_gt_i32_e32 vcc, s18, v0
	s_and_saveexec_b64 s[0:1], vcc
	s_cbranch_execz .LBB82_14
.LBB82_19:
	v_add_u32_e32 v1, s6, v0
	v_mov_b32_e32 v2, 0
	v_lshlrev_b64 v[1:2], 3, v[1:2]
	v_mov_b32_e32 v7, s15
	v_add_co_u32_e32 v1, vcc, s14, v1
	v_addc_co_u32_e32 v2, vcc, v7, v2, vcc
	v_add_u32_e32 v0, 0x100, v0
	global_store_dwordx2 v[1:2], v[5:6], off
	s_or_b64 exec, exec, s[0:1]
	v_cmp_gt_i32_e32 vcc, s18, v0
	s_and_saveexec_b64 s[0:1], vcc
	s_cbranch_execnz .LBB82_15
	s_branch .LBB82_16
	.section	.rodata,"a",@progbits
	.p2align	6, 0x0
	.amdhsa_kernel _ZN2at6native29vectorized_elementwise_kernelILi4ENS0_13BUnaryFunctorIlllZNS0_12_GLOBAL__N_121threshold_kernel_implIlEEvRNS_18TensorIteratorBaseET_S7_EUlllE_EESt5arrayIPcLm2EEEEviT0_T1_
		.amdhsa_group_segment_fixed_size 0
		.amdhsa_private_segment_fixed_size 0
		.amdhsa_kernarg_size 48
		.amdhsa_user_sgpr_count 6
		.amdhsa_user_sgpr_private_segment_buffer 1
		.amdhsa_user_sgpr_dispatch_ptr 0
		.amdhsa_user_sgpr_queue_ptr 0
		.amdhsa_user_sgpr_kernarg_segment_ptr 1
		.amdhsa_user_sgpr_dispatch_id 0
		.amdhsa_user_sgpr_flat_scratch_init 0
		.amdhsa_user_sgpr_private_segment_size 0
		.amdhsa_uses_dynamic_stack 0
		.amdhsa_system_sgpr_private_segment_wavefront_offset 0
		.amdhsa_system_sgpr_workgroup_id_x 1
		.amdhsa_system_sgpr_workgroup_id_y 0
		.amdhsa_system_sgpr_workgroup_id_z 0
		.amdhsa_system_sgpr_workgroup_info 0
		.amdhsa_system_vgpr_workitem_id 0
		.amdhsa_next_free_vgpr 19
		.amdhsa_next_free_sgpr 22
		.amdhsa_reserve_vcc 1
		.amdhsa_reserve_flat_scratch 0
		.amdhsa_float_round_mode_32 0
		.amdhsa_float_round_mode_16_64 0
		.amdhsa_float_denorm_mode_32 3
		.amdhsa_float_denorm_mode_16_64 3
		.amdhsa_dx10_clamp 1
		.amdhsa_ieee_mode 1
		.amdhsa_fp16_overflow 0
		.amdhsa_exception_fp_ieee_invalid_op 0
		.amdhsa_exception_fp_denorm_src 0
		.amdhsa_exception_fp_ieee_div_zero 0
		.amdhsa_exception_fp_ieee_overflow 0
		.amdhsa_exception_fp_ieee_underflow 0
		.amdhsa_exception_fp_ieee_inexact 0
		.amdhsa_exception_int_div_zero 0
	.end_amdhsa_kernel
	.section	.text._ZN2at6native29vectorized_elementwise_kernelILi4ENS0_13BUnaryFunctorIlllZNS0_12_GLOBAL__N_121threshold_kernel_implIlEEvRNS_18TensorIteratorBaseET_S7_EUlllE_EESt5arrayIPcLm2EEEEviT0_T1_,"axG",@progbits,_ZN2at6native29vectorized_elementwise_kernelILi4ENS0_13BUnaryFunctorIlllZNS0_12_GLOBAL__N_121threshold_kernel_implIlEEvRNS_18TensorIteratorBaseET_S7_EUlllE_EESt5arrayIPcLm2EEEEviT0_T1_,comdat
.Lfunc_end82:
	.size	_ZN2at6native29vectorized_elementwise_kernelILi4ENS0_13BUnaryFunctorIlllZNS0_12_GLOBAL__N_121threshold_kernel_implIlEEvRNS_18TensorIteratorBaseET_S7_EUlllE_EESt5arrayIPcLm2EEEEviT0_T1_, .Lfunc_end82-_ZN2at6native29vectorized_elementwise_kernelILi4ENS0_13BUnaryFunctorIlllZNS0_12_GLOBAL__N_121threshold_kernel_implIlEEvRNS_18TensorIteratorBaseET_S7_EUlllE_EESt5arrayIPcLm2EEEEviT0_T1_
                                        ; -- End function
	.set _ZN2at6native29vectorized_elementwise_kernelILi4ENS0_13BUnaryFunctorIlllZNS0_12_GLOBAL__N_121threshold_kernel_implIlEEvRNS_18TensorIteratorBaseET_S7_EUlllE_EESt5arrayIPcLm2EEEEviT0_T1_.num_vgpr, 19
	.set _ZN2at6native29vectorized_elementwise_kernelILi4ENS0_13BUnaryFunctorIlllZNS0_12_GLOBAL__N_121threshold_kernel_implIlEEvRNS_18TensorIteratorBaseET_S7_EUlllE_EESt5arrayIPcLm2EEEEviT0_T1_.num_agpr, 0
	.set _ZN2at6native29vectorized_elementwise_kernelILi4ENS0_13BUnaryFunctorIlllZNS0_12_GLOBAL__N_121threshold_kernel_implIlEEvRNS_18TensorIteratorBaseET_S7_EUlllE_EESt5arrayIPcLm2EEEEviT0_T1_.numbered_sgpr, 22
	.set _ZN2at6native29vectorized_elementwise_kernelILi4ENS0_13BUnaryFunctorIlllZNS0_12_GLOBAL__N_121threshold_kernel_implIlEEvRNS_18TensorIteratorBaseET_S7_EUlllE_EESt5arrayIPcLm2EEEEviT0_T1_.num_named_barrier, 0
	.set _ZN2at6native29vectorized_elementwise_kernelILi4ENS0_13BUnaryFunctorIlllZNS0_12_GLOBAL__N_121threshold_kernel_implIlEEvRNS_18TensorIteratorBaseET_S7_EUlllE_EESt5arrayIPcLm2EEEEviT0_T1_.private_seg_size, 0
	.set _ZN2at6native29vectorized_elementwise_kernelILi4ENS0_13BUnaryFunctorIlllZNS0_12_GLOBAL__N_121threshold_kernel_implIlEEvRNS_18TensorIteratorBaseET_S7_EUlllE_EESt5arrayIPcLm2EEEEviT0_T1_.uses_vcc, 1
	.set _ZN2at6native29vectorized_elementwise_kernelILi4ENS0_13BUnaryFunctorIlllZNS0_12_GLOBAL__N_121threshold_kernel_implIlEEvRNS_18TensorIteratorBaseET_S7_EUlllE_EESt5arrayIPcLm2EEEEviT0_T1_.uses_flat_scratch, 0
	.set _ZN2at6native29vectorized_elementwise_kernelILi4ENS0_13BUnaryFunctorIlllZNS0_12_GLOBAL__N_121threshold_kernel_implIlEEvRNS_18TensorIteratorBaseET_S7_EUlllE_EESt5arrayIPcLm2EEEEviT0_T1_.has_dyn_sized_stack, 0
	.set _ZN2at6native29vectorized_elementwise_kernelILi4ENS0_13BUnaryFunctorIlllZNS0_12_GLOBAL__N_121threshold_kernel_implIlEEvRNS_18TensorIteratorBaseET_S7_EUlllE_EESt5arrayIPcLm2EEEEviT0_T1_.has_recursion, 0
	.set _ZN2at6native29vectorized_elementwise_kernelILi4ENS0_13BUnaryFunctorIlllZNS0_12_GLOBAL__N_121threshold_kernel_implIlEEvRNS_18TensorIteratorBaseET_S7_EUlllE_EESt5arrayIPcLm2EEEEviT0_T1_.has_indirect_call, 0
	.section	.AMDGPU.csdata,"",@progbits
; Kernel info:
; codeLenInByte = 1032
; TotalNumSgprs: 26
; NumVgprs: 19
; ScratchSize: 0
; MemoryBound: 0
; FloatMode: 240
; IeeeMode: 1
; LDSByteSize: 0 bytes/workgroup (compile time only)
; SGPRBlocks: 3
; VGPRBlocks: 4
; NumSGPRsForWavesPerEU: 26
; NumVGPRsForWavesPerEU: 19
; Occupancy: 10
; WaveLimiterHint : 0
; COMPUTE_PGM_RSRC2:SCRATCH_EN: 0
; COMPUTE_PGM_RSRC2:USER_SGPR: 6
; COMPUTE_PGM_RSRC2:TRAP_HANDLER: 0
; COMPUTE_PGM_RSRC2:TGID_X_EN: 1
; COMPUTE_PGM_RSRC2:TGID_Y_EN: 0
; COMPUTE_PGM_RSRC2:TGID_Z_EN: 0
; COMPUTE_PGM_RSRC2:TIDIG_COMP_CNT: 0
	.section	.text._ZN2at6native29vectorized_elementwise_kernelILi2ENS0_13BUnaryFunctorIlllZNS0_12_GLOBAL__N_121threshold_kernel_implIlEEvRNS_18TensorIteratorBaseET_S7_EUlllE_EESt5arrayIPcLm2EEEEviT0_T1_,"axG",@progbits,_ZN2at6native29vectorized_elementwise_kernelILi2ENS0_13BUnaryFunctorIlllZNS0_12_GLOBAL__N_121threshold_kernel_implIlEEvRNS_18TensorIteratorBaseET_S7_EUlllE_EESt5arrayIPcLm2EEEEviT0_T1_,comdat
	.globl	_ZN2at6native29vectorized_elementwise_kernelILi2ENS0_13BUnaryFunctorIlllZNS0_12_GLOBAL__N_121threshold_kernel_implIlEEvRNS_18TensorIteratorBaseET_S7_EUlllE_EESt5arrayIPcLm2EEEEviT0_T1_ ; -- Begin function _ZN2at6native29vectorized_elementwise_kernelILi2ENS0_13BUnaryFunctorIlllZNS0_12_GLOBAL__N_121threshold_kernel_implIlEEvRNS_18TensorIteratorBaseET_S7_EUlllE_EESt5arrayIPcLm2EEEEviT0_T1_
	.p2align	8
	.type	_ZN2at6native29vectorized_elementwise_kernelILi2ENS0_13BUnaryFunctorIlllZNS0_12_GLOBAL__N_121threshold_kernel_implIlEEvRNS_18TensorIteratorBaseET_S7_EUlllE_EESt5arrayIPcLm2EEEEviT0_T1_,@function
_ZN2at6native29vectorized_elementwise_kernelILi2ENS0_13BUnaryFunctorIlllZNS0_12_GLOBAL__N_121threshold_kernel_implIlEEvRNS_18TensorIteratorBaseET_S7_EUlllE_EESt5arrayIPcLm2EEEEviT0_T1_: ; @_ZN2at6native29vectorized_elementwise_kernelILi2ENS0_13BUnaryFunctorIlllZNS0_12_GLOBAL__N_121threshold_kernel_implIlEEvRNS_18TensorIteratorBaseET_S7_EUlllE_EESt5arrayIPcLm2EEEEviT0_T1_
; %bb.0:
	s_load_dword s0, s[4:5], 0x0
	s_load_dwordx8 s[8:15], s[4:5], 0x8
	s_load_dwordx2 s[16:17], s[4:5], 0x28
	s_lshl_b32 s2, s6, 10
	s_waitcnt lgkmcnt(0)
	s_sub_i32 s6, s0, s2
	s_cmpk_gt_i32 s6, 0x3ff
	s_mov_b64 s[0:1], -1
	s_cbranch_scc0 .LBB83_2
; %bb.1:
	s_ashr_i32 s3, s2, 31
	s_lshl_b64 s[0:1], s[2:3], 3
	s_add_u32 s4, s16, s0
	s_addc_u32 s5, s17, s1
	v_lshlrev_b32_e32 v11, 4, v0
	v_mov_b32_e32 v1, s5
	v_add_co_u32_e32 v5, vcc, s4, v11
	v_addc_co_u32_e32 v6, vcc, 0, v1, vcc
	global_load_dwordx4 v[1:4], v11, s[4:5]
	v_add_co_u32_e32 v5, vcc, 0x1000, v5
	v_addc_co_u32_e32 v6, vcc, 0, v6, vcc
	global_load_dwordx4 v[5:8], v[5:6], off
	s_add_u32 s4, s14, s0
	s_addc_u32 s5, s15, s1
	v_mov_b32_e32 v9, s5
	v_add_co_u32_e32 v10, vcc, s4, v11
	v_addc_co_u32_e32 v16, vcc, 0, v9, vcc
	v_add_co_u32_e32 v9, vcc, 0x1000, v10
	v_addc_co_u32_e32 v10, vcc, 0, v16, vcc
	v_mov_b32_e32 v12, s11
	v_mov_b32_e32 v13, s13
	;; [unrolled: 1-line block ×4, first 2 shown]
	s_waitcnt vmcnt(1)
	v_cmp_lt_i64_e32 vcc, s[8:9], v[1:2]
	v_cmp_lt_i64_e64 s[0:1], s[8:9], v[3:4]
	v_cndmask_b32_e32 v2, v12, v13, vcc
	v_cndmask_b32_e64 v4, v12, v13, s[0:1]
	v_cndmask_b32_e32 v1, v14, v15, vcc
	v_cndmask_b32_e64 v3, v14, v15, s[0:1]
	s_waitcnt vmcnt(0)
	v_cmp_lt_i64_e32 vcc, s[8:9], v[5:6]
	v_cmp_lt_i64_e64 s[0:1], s[8:9], v[7:8]
	v_cndmask_b32_e32 v5, v12, v13, vcc
	v_cndmask_b32_e64 v7, v12, v13, s[0:1]
	global_store_dwordx4 v11, v[1:4], s[4:5]
	v_cndmask_b32_e64 v6, v14, v15, s[0:1]
	v_cndmask_b32_e32 v4, v14, v15, vcc
	global_store_dwordx4 v[9:10], v[4:7], off
	s_mov_b64 s[0:1], 0
.LBB83_2:
	s_andn2_b64 vcc, exec, s[0:1]
	s_cbranch_vccnz .LBB83_16
; %bb.3:
	v_mov_b32_e32 v3, 0
	v_mov_b32_e32 v5, 0
	v_cmp_gt_i32_e32 vcc, s6, v0
	v_mov_b32_e32 v4, 0
	v_or_b32_e32 v1, s2, v0
	v_mov_b32_e32 v6, 0
	v_mov_b32_e32 v2, v0
	s_and_saveexec_b64 s[4:5], vcc
	s_cbranch_execz .LBB83_5
; %bb.4:
	v_mov_b32_e32 v2, 0
	v_lshlrev_b64 v[5:6], 3, v[1:2]
	v_mov_b32_e32 v2, s17
	v_add_co_u32_e64 v5, s[0:1], s16, v5
	v_addc_co_u32_e64 v6, s[0:1], v2, v6, s[0:1]
	global_load_dwordx2 v[5:6], v[5:6], off
	v_or_b32_e32 v2, 0x100, v0
.LBB83_5:
	s_or_b64 exec, exec, s[4:5]
	v_cmp_gt_i32_e64 s[0:1], s6, v2
	s_and_saveexec_b64 s[4:5], s[0:1]
	s_cbranch_execz .LBB83_7
; %bb.6:
	v_add_u32_e32 v3, s2, v2
	v_mov_b32_e32 v4, 0
	v_lshlrev_b64 v[3:4], 3, v[3:4]
	v_mov_b32_e32 v7, s17
	v_add_co_u32_e64 v3, s[0:1], s16, v3
	v_addc_co_u32_e64 v4, s[0:1], v7, v4, s[0:1]
	global_load_dwordx2 v[3:4], v[3:4], off
	v_add_u32_e32 v2, 0x100, v2
.LBB83_7:
	s_or_b64 exec, exec, s[4:5]
	v_mov_b32_e32 v7, 0
	v_mov_b32_e32 v11, 0
	;; [unrolled: 1-line block ×4, first 2 shown]
	v_cmp_gt_i32_e64 s[0:1], s6, v2
	s_and_saveexec_b64 s[4:5], s[0:1]
	s_cbranch_execz .LBB83_9
; %bb.8:
	v_add_u32_e32 v9, s2, v2
	v_mov_b32_e32 v10, 0
	v_lshlrev_b64 v[9:10], 3, v[9:10]
	v_mov_b32_e32 v11, s17
	v_add_co_u32_e64 v9, s[0:1], s16, v9
	v_addc_co_u32_e64 v10, s[0:1], v11, v10, s[0:1]
	global_load_dwordx2 v[11:12], v[9:10], off
	v_add_u32_e32 v2, 0x100, v2
.LBB83_9:
	s_or_b64 exec, exec, s[4:5]
	v_cmp_gt_i32_e64 s[0:1], s6, v2
	s_and_saveexec_b64 s[4:5], s[0:1]
	s_cbranch_execz .LBB83_11
; %bb.10:
	v_add_u32_e32 v7, s2, v2
	v_mov_b32_e32 v8, 0
	v_lshlrev_b64 v[7:8], 3, v[7:8]
	v_mov_b32_e32 v2, s17
	v_add_co_u32_e64 v7, s[0:1], s16, v7
	v_addc_co_u32_e64 v8, s[0:1], v2, v8, s[0:1]
	global_load_dwordx2 v[7:8], v[7:8], off
.LBB83_11:
	s_or_b64 exec, exec, s[4:5]
	s_waitcnt vmcnt(0)
	v_cmp_lt_i64_e64 s[0:1], s[8:9], v[5:6]
	v_mov_b32_e32 v2, s10
	v_mov_b32_e32 v16, s12
	;; [unrolled: 1-line block ×4, first 2 shown]
	v_cndmask_b32_e64 v5, v2, v16, s[0:1]
	v_cndmask_b32_e64 v6, v17, v18, s[0:1]
	v_cmp_lt_i64_e64 s[0:1], s[8:9], v[3:4]
	v_or_b32_e32 v15, 0x100, v0
	v_cndmask_b32_e64 v3, v2, v16, s[0:1]
	v_cndmask_b32_e64 v4, v17, v18, s[0:1]
	v_cmp_gt_i32_e64 s[0:1], s6, v15
	v_cndmask_b32_e64 v10, 0, v4, s[0:1]
	v_cndmask_b32_e64 v9, 0, v3, s[0:1]
	v_cmp_lt_i64_e64 s[0:1], s[8:9], v[11:12]
	v_or_b32_e32 v3, 0x200, v0
	v_cndmask_b32_e32 v13, 0, v5, vcc
	v_cndmask_b32_e64 v4, v2, v16, s[0:1]
	v_cndmask_b32_e64 v5, v17, v18, s[0:1]
	v_cmp_gt_i32_e64 s[0:1], s6, v3
	v_cndmask_b32_e32 v14, 0, v6, vcc
	v_cndmask_b32_e64 v6, 0, v5, s[0:1]
	v_cndmask_b32_e64 v5, 0, v4, s[0:1]
	v_cmp_lt_i64_e64 s[0:1], s[8:9], v[7:8]
	v_or_b32_e32 v3, 0x300, v0
	v_cndmask_b32_e64 v2, v2, v16, s[0:1]
	v_cndmask_b32_e64 v4, v17, v18, s[0:1]
	v_cmp_gt_i32_e64 s[0:1], s6, v3
	v_cndmask_b32_e64 v4, 0, v4, s[0:1]
	v_cndmask_b32_e64 v3, 0, v2, s[0:1]
	s_and_saveexec_b64 s[0:1], vcc
	s_cbranch_execnz .LBB83_17
; %bb.12:
	s_or_b64 exec, exec, s[0:1]
	v_cmp_gt_i32_e32 vcc, s6, v0
	s_and_saveexec_b64 s[0:1], vcc
	s_cbranch_execnz .LBB83_18
.LBB83_13:
	s_or_b64 exec, exec, s[0:1]
	v_cmp_gt_i32_e32 vcc, s6, v0
	s_and_saveexec_b64 s[0:1], vcc
	s_cbranch_execnz .LBB83_19
.LBB83_14:
	s_or_b64 exec, exec, s[0:1]
	v_cmp_gt_i32_e32 vcc, s6, v0
	s_and_saveexec_b64 s[0:1], vcc
	s_cbranch_execz .LBB83_16
.LBB83_15:
	v_add_u32_e32 v0, s2, v0
	v_mov_b32_e32 v1, 0
	v_lshlrev_b64 v[0:1], 3, v[0:1]
	v_mov_b32_e32 v2, s15
	v_add_co_u32_e32 v0, vcc, s14, v0
	v_addc_co_u32_e32 v1, vcc, v2, v1, vcc
	global_store_dwordx2 v[0:1], v[3:4], off
.LBB83_16:
	s_endpgm
.LBB83_17:
	v_mov_b32_e32 v2, 0
	v_lshlrev_b64 v[0:1], 3, v[1:2]
	v_mov_b32_e32 v2, s15
	v_add_co_u32_e32 v0, vcc, s14, v0
	v_addc_co_u32_e32 v1, vcc, v2, v1, vcc
	global_store_dwordx2 v[0:1], v[13:14], off
	v_mov_b32_e32 v0, v15
	s_or_b64 exec, exec, s[0:1]
	v_cmp_gt_i32_e32 vcc, s6, v0
	s_and_saveexec_b64 s[0:1], vcc
	s_cbranch_execz .LBB83_13
.LBB83_18:
	v_add_u32_e32 v1, s2, v0
	v_mov_b32_e32 v2, 0
	v_lshlrev_b64 v[1:2], 3, v[1:2]
	v_mov_b32_e32 v7, s15
	v_add_co_u32_e32 v1, vcc, s14, v1
	v_addc_co_u32_e32 v2, vcc, v7, v2, vcc
	v_add_u32_e32 v0, 0x100, v0
	global_store_dwordx2 v[1:2], v[9:10], off
	s_or_b64 exec, exec, s[0:1]
	v_cmp_gt_i32_e32 vcc, s6, v0
	s_and_saveexec_b64 s[0:1], vcc
	s_cbranch_execz .LBB83_14
.LBB83_19:
	v_add_u32_e32 v1, s2, v0
	v_mov_b32_e32 v2, 0
	v_lshlrev_b64 v[1:2], 3, v[1:2]
	v_mov_b32_e32 v7, s15
	v_add_co_u32_e32 v1, vcc, s14, v1
	v_addc_co_u32_e32 v2, vcc, v7, v2, vcc
	v_add_u32_e32 v0, 0x100, v0
	global_store_dwordx2 v[1:2], v[5:6], off
	s_or_b64 exec, exec, s[0:1]
	v_cmp_gt_i32_e32 vcc, s6, v0
	s_and_saveexec_b64 s[0:1], vcc
	s_cbranch_execnz .LBB83_15
	s_branch .LBB83_16
	.section	.rodata,"a",@progbits
	.p2align	6, 0x0
	.amdhsa_kernel _ZN2at6native29vectorized_elementwise_kernelILi2ENS0_13BUnaryFunctorIlllZNS0_12_GLOBAL__N_121threshold_kernel_implIlEEvRNS_18TensorIteratorBaseET_S7_EUlllE_EESt5arrayIPcLm2EEEEviT0_T1_
		.amdhsa_group_segment_fixed_size 0
		.amdhsa_private_segment_fixed_size 0
		.amdhsa_kernarg_size 48
		.amdhsa_user_sgpr_count 6
		.amdhsa_user_sgpr_private_segment_buffer 1
		.amdhsa_user_sgpr_dispatch_ptr 0
		.amdhsa_user_sgpr_queue_ptr 0
		.amdhsa_user_sgpr_kernarg_segment_ptr 1
		.amdhsa_user_sgpr_dispatch_id 0
		.amdhsa_user_sgpr_flat_scratch_init 0
		.amdhsa_user_sgpr_private_segment_size 0
		.amdhsa_uses_dynamic_stack 0
		.amdhsa_system_sgpr_private_segment_wavefront_offset 0
		.amdhsa_system_sgpr_workgroup_id_x 1
		.amdhsa_system_sgpr_workgroup_id_y 0
		.amdhsa_system_sgpr_workgroup_id_z 0
		.amdhsa_system_sgpr_workgroup_info 0
		.amdhsa_system_vgpr_workitem_id 0
		.amdhsa_next_free_vgpr 19
		.amdhsa_next_free_sgpr 18
		.amdhsa_reserve_vcc 1
		.amdhsa_reserve_flat_scratch 0
		.amdhsa_float_round_mode_32 0
		.amdhsa_float_round_mode_16_64 0
		.amdhsa_float_denorm_mode_32 3
		.amdhsa_float_denorm_mode_16_64 3
		.amdhsa_dx10_clamp 1
		.amdhsa_ieee_mode 1
		.amdhsa_fp16_overflow 0
		.amdhsa_exception_fp_ieee_invalid_op 0
		.amdhsa_exception_fp_denorm_src 0
		.amdhsa_exception_fp_ieee_div_zero 0
		.amdhsa_exception_fp_ieee_overflow 0
		.amdhsa_exception_fp_ieee_underflow 0
		.amdhsa_exception_fp_ieee_inexact 0
		.amdhsa_exception_int_div_zero 0
	.end_amdhsa_kernel
	.section	.text._ZN2at6native29vectorized_elementwise_kernelILi2ENS0_13BUnaryFunctorIlllZNS0_12_GLOBAL__N_121threshold_kernel_implIlEEvRNS_18TensorIteratorBaseET_S7_EUlllE_EESt5arrayIPcLm2EEEEviT0_T1_,"axG",@progbits,_ZN2at6native29vectorized_elementwise_kernelILi2ENS0_13BUnaryFunctorIlllZNS0_12_GLOBAL__N_121threshold_kernel_implIlEEvRNS_18TensorIteratorBaseET_S7_EUlllE_EESt5arrayIPcLm2EEEEviT0_T1_,comdat
.Lfunc_end83:
	.size	_ZN2at6native29vectorized_elementwise_kernelILi2ENS0_13BUnaryFunctorIlllZNS0_12_GLOBAL__N_121threshold_kernel_implIlEEvRNS_18TensorIteratorBaseET_S7_EUlllE_EESt5arrayIPcLm2EEEEviT0_T1_, .Lfunc_end83-_ZN2at6native29vectorized_elementwise_kernelILi2ENS0_13BUnaryFunctorIlllZNS0_12_GLOBAL__N_121threshold_kernel_implIlEEvRNS_18TensorIteratorBaseET_S7_EUlllE_EESt5arrayIPcLm2EEEEviT0_T1_
                                        ; -- End function
	.set _ZN2at6native29vectorized_elementwise_kernelILi2ENS0_13BUnaryFunctorIlllZNS0_12_GLOBAL__N_121threshold_kernel_implIlEEvRNS_18TensorIteratorBaseET_S7_EUlllE_EESt5arrayIPcLm2EEEEviT0_T1_.num_vgpr, 19
	.set _ZN2at6native29vectorized_elementwise_kernelILi2ENS0_13BUnaryFunctorIlllZNS0_12_GLOBAL__N_121threshold_kernel_implIlEEvRNS_18TensorIteratorBaseET_S7_EUlllE_EESt5arrayIPcLm2EEEEviT0_T1_.num_agpr, 0
	.set _ZN2at6native29vectorized_elementwise_kernelILi2ENS0_13BUnaryFunctorIlllZNS0_12_GLOBAL__N_121threshold_kernel_implIlEEvRNS_18TensorIteratorBaseET_S7_EUlllE_EESt5arrayIPcLm2EEEEviT0_T1_.numbered_sgpr, 18
	.set _ZN2at6native29vectorized_elementwise_kernelILi2ENS0_13BUnaryFunctorIlllZNS0_12_GLOBAL__N_121threshold_kernel_implIlEEvRNS_18TensorIteratorBaseET_S7_EUlllE_EESt5arrayIPcLm2EEEEviT0_T1_.num_named_barrier, 0
	.set _ZN2at6native29vectorized_elementwise_kernelILi2ENS0_13BUnaryFunctorIlllZNS0_12_GLOBAL__N_121threshold_kernel_implIlEEvRNS_18TensorIteratorBaseET_S7_EUlllE_EESt5arrayIPcLm2EEEEviT0_T1_.private_seg_size, 0
	.set _ZN2at6native29vectorized_elementwise_kernelILi2ENS0_13BUnaryFunctorIlllZNS0_12_GLOBAL__N_121threshold_kernel_implIlEEvRNS_18TensorIteratorBaseET_S7_EUlllE_EESt5arrayIPcLm2EEEEviT0_T1_.uses_vcc, 1
	.set _ZN2at6native29vectorized_elementwise_kernelILi2ENS0_13BUnaryFunctorIlllZNS0_12_GLOBAL__N_121threshold_kernel_implIlEEvRNS_18TensorIteratorBaseET_S7_EUlllE_EESt5arrayIPcLm2EEEEviT0_T1_.uses_flat_scratch, 0
	.set _ZN2at6native29vectorized_elementwise_kernelILi2ENS0_13BUnaryFunctorIlllZNS0_12_GLOBAL__N_121threshold_kernel_implIlEEvRNS_18TensorIteratorBaseET_S7_EUlllE_EESt5arrayIPcLm2EEEEviT0_T1_.has_dyn_sized_stack, 0
	.set _ZN2at6native29vectorized_elementwise_kernelILi2ENS0_13BUnaryFunctorIlllZNS0_12_GLOBAL__N_121threshold_kernel_implIlEEvRNS_18TensorIteratorBaseET_S7_EUlllE_EESt5arrayIPcLm2EEEEviT0_T1_.has_recursion, 0
	.set _ZN2at6native29vectorized_elementwise_kernelILi2ENS0_13BUnaryFunctorIlllZNS0_12_GLOBAL__N_121threshold_kernel_implIlEEvRNS_18TensorIteratorBaseET_S7_EUlllE_EESt5arrayIPcLm2EEEEviT0_T1_.has_indirect_call, 0
	.section	.AMDGPU.csdata,"",@progbits
; Kernel info:
; codeLenInByte = 1068
; TotalNumSgprs: 22
; NumVgprs: 19
; ScratchSize: 0
; MemoryBound: 0
; FloatMode: 240
; IeeeMode: 1
; LDSByteSize: 0 bytes/workgroup (compile time only)
; SGPRBlocks: 2
; VGPRBlocks: 4
; NumSGPRsForWavesPerEU: 22
; NumVGPRsForWavesPerEU: 19
; Occupancy: 10
; WaveLimiterHint : 1
; COMPUTE_PGM_RSRC2:SCRATCH_EN: 0
; COMPUTE_PGM_RSRC2:USER_SGPR: 6
; COMPUTE_PGM_RSRC2:TRAP_HANDLER: 0
; COMPUTE_PGM_RSRC2:TGID_X_EN: 1
; COMPUTE_PGM_RSRC2:TGID_Y_EN: 0
; COMPUTE_PGM_RSRC2:TGID_Z_EN: 0
; COMPUTE_PGM_RSRC2:TIDIG_COMP_CNT: 0
	.section	.text._ZN2at6native27unrolled_elementwise_kernelINS0_13BUnaryFunctorIlllZNS0_12_GLOBAL__N_121threshold_kernel_implIlEEvRNS_18TensorIteratorBaseET_S7_EUlllE_EESt5arrayIPcLm2EELi4E23TrivialOffsetCalculatorILi1EjESE_NS0_6memory15LoadWithoutCastENSF_16StoreWithoutCastEEEviS7_T0_T2_T3_T4_T5_,"axG",@progbits,_ZN2at6native27unrolled_elementwise_kernelINS0_13BUnaryFunctorIlllZNS0_12_GLOBAL__N_121threshold_kernel_implIlEEvRNS_18TensorIteratorBaseET_S7_EUlllE_EESt5arrayIPcLm2EELi4E23TrivialOffsetCalculatorILi1EjESE_NS0_6memory15LoadWithoutCastENSF_16StoreWithoutCastEEEviS7_T0_T2_T3_T4_T5_,comdat
	.globl	_ZN2at6native27unrolled_elementwise_kernelINS0_13BUnaryFunctorIlllZNS0_12_GLOBAL__N_121threshold_kernel_implIlEEvRNS_18TensorIteratorBaseET_S7_EUlllE_EESt5arrayIPcLm2EELi4E23TrivialOffsetCalculatorILi1EjESE_NS0_6memory15LoadWithoutCastENSF_16StoreWithoutCastEEEviS7_T0_T2_T3_T4_T5_ ; -- Begin function _ZN2at6native27unrolled_elementwise_kernelINS0_13BUnaryFunctorIlllZNS0_12_GLOBAL__N_121threshold_kernel_implIlEEvRNS_18TensorIteratorBaseET_S7_EUlllE_EESt5arrayIPcLm2EELi4E23TrivialOffsetCalculatorILi1EjESE_NS0_6memory15LoadWithoutCastENSF_16StoreWithoutCastEEEviS7_T0_T2_T3_T4_T5_
	.p2align	8
	.type	_ZN2at6native27unrolled_elementwise_kernelINS0_13BUnaryFunctorIlllZNS0_12_GLOBAL__N_121threshold_kernel_implIlEEvRNS_18TensorIteratorBaseET_S7_EUlllE_EESt5arrayIPcLm2EELi4E23TrivialOffsetCalculatorILi1EjESE_NS0_6memory15LoadWithoutCastENSF_16StoreWithoutCastEEEviS7_T0_T2_T3_T4_T5_,@function
_ZN2at6native27unrolled_elementwise_kernelINS0_13BUnaryFunctorIlllZNS0_12_GLOBAL__N_121threshold_kernel_implIlEEvRNS_18TensorIteratorBaseET_S7_EUlllE_EESt5arrayIPcLm2EELi4E23TrivialOffsetCalculatorILi1EjESE_NS0_6memory15LoadWithoutCastENSF_16StoreWithoutCastEEEviS7_T0_T2_T3_T4_T5_: ; @_ZN2at6native27unrolled_elementwise_kernelINS0_13BUnaryFunctorIlllZNS0_12_GLOBAL__N_121threshold_kernel_implIlEEvRNS_18TensorIteratorBaseET_S7_EUlllE_EESt5arrayIPcLm2EELi4E23TrivialOffsetCalculatorILi1EjESE_NS0_6memory15LoadWithoutCastENSF_16StoreWithoutCastEEEviS7_T0_T2_T3_T4_T5_
; %bb.0:
	s_load_dword s0, s[4:5], 0x0
	s_load_dwordx2 s[2:3], s[4:5], 0x28
	s_lshl_b32 s16, s6, 10
	v_mov_b32_e32 v3, 0
	v_mov_b32_e32 v5, 0
	s_waitcnt lgkmcnt(0)
	s_sub_i32 s17, s0, s16
	v_cmp_gt_i32_e32 vcc, s17, v0
	v_mov_b32_e32 v4, 0
	v_or_b32_e32 v1, s16, v0
	v_mov_b32_e32 v6, 0
	v_mov_b32_e32 v2, v0
	s_and_saveexec_b64 s[6:7], vcc
	s_cbranch_execz .LBB84_2
; %bb.1:
	v_mov_b32_e32 v2, 0
	v_lshlrev_b64 v[5:6], 3, v[1:2]
	v_mov_b32_e32 v2, s3
	v_add_co_u32_e64 v5, s[0:1], s2, v5
	v_addc_co_u32_e64 v6, s[0:1], v2, v6, s[0:1]
	global_load_dwordx2 v[5:6], v[5:6], off
	v_or_b32_e32 v2, 0x100, v0
.LBB84_2:
	s_or_b64 exec, exec, s[6:7]
	s_load_dwordx8 s[8:15], s[4:5], 0x8
	v_cmp_gt_i32_e64 s[0:1], s17, v2
	s_and_saveexec_b64 s[4:5], s[0:1]
	s_cbranch_execz .LBB84_4
; %bb.3:
	v_add_u32_e32 v3, s16, v2
	v_mov_b32_e32 v4, 0
	v_lshlrev_b64 v[3:4], 3, v[3:4]
	v_mov_b32_e32 v7, s3
	v_add_co_u32_e64 v3, s[0:1], s2, v3
	v_addc_co_u32_e64 v4, s[0:1], v7, v4, s[0:1]
	global_load_dwordx2 v[3:4], v[3:4], off
	v_add_u32_e32 v2, 0x100, v2
.LBB84_4:
	s_or_b64 exec, exec, s[4:5]
	v_mov_b32_e32 v7, 0
	v_mov_b32_e32 v11, 0
	;; [unrolled: 1-line block ×4, first 2 shown]
	v_cmp_gt_i32_e64 s[0:1], s17, v2
	s_and_saveexec_b64 s[4:5], s[0:1]
	s_cbranch_execz .LBB84_6
; %bb.5:
	v_add_u32_e32 v9, s16, v2
	v_mov_b32_e32 v10, 0
	v_lshlrev_b64 v[9:10], 3, v[9:10]
	v_mov_b32_e32 v11, s3
	v_add_co_u32_e64 v9, s[0:1], s2, v9
	v_addc_co_u32_e64 v10, s[0:1], v11, v10, s[0:1]
	global_load_dwordx2 v[11:12], v[9:10], off
	v_add_u32_e32 v2, 0x100, v2
.LBB84_6:
	s_or_b64 exec, exec, s[4:5]
	v_cmp_gt_i32_e64 s[0:1], s17, v2
	s_and_saveexec_b64 s[4:5], s[0:1]
	s_cbranch_execz .LBB84_8
; %bb.7:
	v_add_u32_e32 v7, s16, v2
	v_mov_b32_e32 v8, 0
	v_lshlrev_b64 v[7:8], 3, v[7:8]
	v_mov_b32_e32 v2, s3
	v_add_co_u32_e64 v7, s[0:1], s2, v7
	v_addc_co_u32_e64 v8, s[0:1], v2, v8, s[0:1]
	global_load_dwordx2 v[7:8], v[7:8], off
.LBB84_8:
	s_or_b64 exec, exec, s[4:5]
	s_waitcnt vmcnt(0) lgkmcnt(0)
	v_cmp_lt_i64_e64 s[0:1], s[8:9], v[5:6]
	v_mov_b32_e32 v2, s10
	v_mov_b32_e32 v16, s12
	;; [unrolled: 1-line block ×4, first 2 shown]
	v_cndmask_b32_e64 v5, v2, v16, s[0:1]
	v_cndmask_b32_e64 v6, v17, v18, s[0:1]
	v_cmp_lt_i64_e64 s[0:1], s[8:9], v[3:4]
	v_or_b32_e32 v15, 0x100, v0
	v_cndmask_b32_e64 v3, v2, v16, s[0:1]
	v_cndmask_b32_e64 v4, v17, v18, s[0:1]
	v_cmp_gt_i32_e64 s[0:1], s17, v15
	v_cndmask_b32_e64 v10, 0, v4, s[0:1]
	v_cndmask_b32_e64 v9, 0, v3, s[0:1]
	v_cmp_lt_i64_e64 s[0:1], s[8:9], v[11:12]
	v_or_b32_e32 v3, 0x200, v0
	v_cndmask_b32_e32 v13, 0, v5, vcc
	v_cndmask_b32_e64 v4, v2, v16, s[0:1]
	v_cndmask_b32_e64 v5, v17, v18, s[0:1]
	v_cmp_gt_i32_e64 s[0:1], s17, v3
	v_cndmask_b32_e32 v14, 0, v6, vcc
	v_cndmask_b32_e64 v6, 0, v5, s[0:1]
	v_cndmask_b32_e64 v5, 0, v4, s[0:1]
	v_cmp_lt_i64_e64 s[0:1], s[8:9], v[7:8]
	v_or_b32_e32 v3, 0x300, v0
	v_cndmask_b32_e64 v2, v2, v16, s[0:1]
	v_cndmask_b32_e64 v4, v17, v18, s[0:1]
	v_cmp_gt_i32_e64 s[0:1], s17, v3
	v_cndmask_b32_e64 v4, 0, v4, s[0:1]
	v_cndmask_b32_e64 v3, 0, v2, s[0:1]
	s_and_saveexec_b64 s[0:1], vcc
	s_cbranch_execnz .LBB84_13
; %bb.9:
	s_or_b64 exec, exec, s[0:1]
	v_cmp_gt_i32_e32 vcc, s17, v0
	s_and_saveexec_b64 s[0:1], vcc
	s_cbranch_execnz .LBB84_14
.LBB84_10:
	s_or_b64 exec, exec, s[0:1]
	v_cmp_gt_i32_e32 vcc, s17, v0
	s_and_saveexec_b64 s[0:1], vcc
	s_cbranch_execnz .LBB84_15
.LBB84_11:
	s_or_b64 exec, exec, s[0:1]
	v_cmp_gt_i32_e32 vcc, s17, v0
	s_and_saveexec_b64 s[0:1], vcc
	s_cbranch_execnz .LBB84_16
.LBB84_12:
	s_endpgm
.LBB84_13:
	v_mov_b32_e32 v2, 0
	v_lshlrev_b64 v[0:1], 3, v[1:2]
	v_mov_b32_e32 v2, s15
	v_add_co_u32_e32 v0, vcc, s14, v0
	v_addc_co_u32_e32 v1, vcc, v2, v1, vcc
	global_store_dwordx2 v[0:1], v[13:14], off
	v_mov_b32_e32 v0, v15
	s_or_b64 exec, exec, s[0:1]
	v_cmp_gt_i32_e32 vcc, s17, v0
	s_and_saveexec_b64 s[0:1], vcc
	s_cbranch_execz .LBB84_10
.LBB84_14:
	v_add_u32_e32 v2, 0x100, v0
	v_add_u32_e32 v0, s16, v0
	v_mov_b32_e32 v1, 0
	v_lshlrev_b64 v[0:1], 3, v[0:1]
	v_mov_b32_e32 v7, s15
	v_add_co_u32_e32 v0, vcc, s14, v0
	v_addc_co_u32_e32 v1, vcc, v7, v1, vcc
	global_store_dwordx2 v[0:1], v[9:10], off
	v_mov_b32_e32 v0, v2
	s_or_b64 exec, exec, s[0:1]
	v_cmp_gt_i32_e32 vcc, s17, v0
	s_and_saveexec_b64 s[0:1], vcc
	s_cbranch_execz .LBB84_11
.LBB84_15:
	v_add_u32_e32 v2, 0x100, v0
	v_add_u32_e32 v0, s16, v0
	v_mov_b32_e32 v1, 0
	v_lshlrev_b64 v[0:1], 3, v[0:1]
	v_mov_b32_e32 v7, s15
	v_add_co_u32_e32 v0, vcc, s14, v0
	v_addc_co_u32_e32 v1, vcc, v7, v1, vcc
	global_store_dwordx2 v[0:1], v[5:6], off
	v_mov_b32_e32 v0, v2
	s_or_b64 exec, exec, s[0:1]
	v_cmp_gt_i32_e32 vcc, s17, v0
	s_and_saveexec_b64 s[0:1], vcc
	s_cbranch_execz .LBB84_12
.LBB84_16:
	v_add_u32_e32 v0, s16, v0
	v_mov_b32_e32 v1, 0
	v_lshlrev_b64 v[0:1], 3, v[0:1]
	v_mov_b32_e32 v2, s15
	v_add_co_u32_e32 v0, vcc, s14, v0
	v_addc_co_u32_e32 v1, vcc, v2, v1, vcc
	global_store_dwordx2 v[0:1], v[3:4], off
	s_endpgm
	.section	.rodata,"a",@progbits
	.p2align	6, 0x0
	.amdhsa_kernel _ZN2at6native27unrolled_elementwise_kernelINS0_13BUnaryFunctorIlllZNS0_12_GLOBAL__N_121threshold_kernel_implIlEEvRNS_18TensorIteratorBaseET_S7_EUlllE_EESt5arrayIPcLm2EELi4E23TrivialOffsetCalculatorILi1EjESE_NS0_6memory15LoadWithoutCastENSF_16StoreWithoutCastEEEviS7_T0_T2_T3_T4_T5_
		.amdhsa_group_segment_fixed_size 0
		.amdhsa_private_segment_fixed_size 0
		.amdhsa_kernarg_size 52
		.amdhsa_user_sgpr_count 6
		.amdhsa_user_sgpr_private_segment_buffer 1
		.amdhsa_user_sgpr_dispatch_ptr 0
		.amdhsa_user_sgpr_queue_ptr 0
		.amdhsa_user_sgpr_kernarg_segment_ptr 1
		.amdhsa_user_sgpr_dispatch_id 0
		.amdhsa_user_sgpr_flat_scratch_init 0
		.amdhsa_user_sgpr_private_segment_size 0
		.amdhsa_uses_dynamic_stack 0
		.amdhsa_system_sgpr_private_segment_wavefront_offset 0
		.amdhsa_system_sgpr_workgroup_id_x 1
		.amdhsa_system_sgpr_workgroup_id_y 0
		.amdhsa_system_sgpr_workgroup_id_z 0
		.amdhsa_system_sgpr_workgroup_info 0
		.amdhsa_system_vgpr_workitem_id 0
		.amdhsa_next_free_vgpr 19
		.amdhsa_next_free_sgpr 18
		.amdhsa_reserve_vcc 1
		.amdhsa_reserve_flat_scratch 0
		.amdhsa_float_round_mode_32 0
		.amdhsa_float_round_mode_16_64 0
		.amdhsa_float_denorm_mode_32 3
		.amdhsa_float_denorm_mode_16_64 3
		.amdhsa_dx10_clamp 1
		.amdhsa_ieee_mode 1
		.amdhsa_fp16_overflow 0
		.amdhsa_exception_fp_ieee_invalid_op 0
		.amdhsa_exception_fp_denorm_src 0
		.amdhsa_exception_fp_ieee_div_zero 0
		.amdhsa_exception_fp_ieee_overflow 0
		.amdhsa_exception_fp_ieee_underflow 0
		.amdhsa_exception_fp_ieee_inexact 0
		.amdhsa_exception_int_div_zero 0
	.end_amdhsa_kernel
	.section	.text._ZN2at6native27unrolled_elementwise_kernelINS0_13BUnaryFunctorIlllZNS0_12_GLOBAL__N_121threshold_kernel_implIlEEvRNS_18TensorIteratorBaseET_S7_EUlllE_EESt5arrayIPcLm2EELi4E23TrivialOffsetCalculatorILi1EjESE_NS0_6memory15LoadWithoutCastENSF_16StoreWithoutCastEEEviS7_T0_T2_T3_T4_T5_,"axG",@progbits,_ZN2at6native27unrolled_elementwise_kernelINS0_13BUnaryFunctorIlllZNS0_12_GLOBAL__N_121threshold_kernel_implIlEEvRNS_18TensorIteratorBaseET_S7_EUlllE_EESt5arrayIPcLm2EELi4E23TrivialOffsetCalculatorILi1EjESE_NS0_6memory15LoadWithoutCastENSF_16StoreWithoutCastEEEviS7_T0_T2_T3_T4_T5_,comdat
.Lfunc_end84:
	.size	_ZN2at6native27unrolled_elementwise_kernelINS0_13BUnaryFunctorIlllZNS0_12_GLOBAL__N_121threshold_kernel_implIlEEvRNS_18TensorIteratorBaseET_S7_EUlllE_EESt5arrayIPcLm2EELi4E23TrivialOffsetCalculatorILi1EjESE_NS0_6memory15LoadWithoutCastENSF_16StoreWithoutCastEEEviS7_T0_T2_T3_T4_T5_, .Lfunc_end84-_ZN2at6native27unrolled_elementwise_kernelINS0_13BUnaryFunctorIlllZNS0_12_GLOBAL__N_121threshold_kernel_implIlEEvRNS_18TensorIteratorBaseET_S7_EUlllE_EESt5arrayIPcLm2EELi4E23TrivialOffsetCalculatorILi1EjESE_NS0_6memory15LoadWithoutCastENSF_16StoreWithoutCastEEEviS7_T0_T2_T3_T4_T5_
                                        ; -- End function
	.set _ZN2at6native27unrolled_elementwise_kernelINS0_13BUnaryFunctorIlllZNS0_12_GLOBAL__N_121threshold_kernel_implIlEEvRNS_18TensorIteratorBaseET_S7_EUlllE_EESt5arrayIPcLm2EELi4E23TrivialOffsetCalculatorILi1EjESE_NS0_6memory15LoadWithoutCastENSF_16StoreWithoutCastEEEviS7_T0_T2_T3_T4_T5_.num_vgpr, 19
	.set _ZN2at6native27unrolled_elementwise_kernelINS0_13BUnaryFunctorIlllZNS0_12_GLOBAL__N_121threshold_kernel_implIlEEvRNS_18TensorIteratorBaseET_S7_EUlllE_EESt5arrayIPcLm2EELi4E23TrivialOffsetCalculatorILi1EjESE_NS0_6memory15LoadWithoutCastENSF_16StoreWithoutCastEEEviS7_T0_T2_T3_T4_T5_.num_agpr, 0
	.set _ZN2at6native27unrolled_elementwise_kernelINS0_13BUnaryFunctorIlllZNS0_12_GLOBAL__N_121threshold_kernel_implIlEEvRNS_18TensorIteratorBaseET_S7_EUlllE_EESt5arrayIPcLm2EELi4E23TrivialOffsetCalculatorILi1EjESE_NS0_6memory15LoadWithoutCastENSF_16StoreWithoutCastEEEviS7_T0_T2_T3_T4_T5_.numbered_sgpr, 18
	.set _ZN2at6native27unrolled_elementwise_kernelINS0_13BUnaryFunctorIlllZNS0_12_GLOBAL__N_121threshold_kernel_implIlEEvRNS_18TensorIteratorBaseET_S7_EUlllE_EESt5arrayIPcLm2EELi4E23TrivialOffsetCalculatorILi1EjESE_NS0_6memory15LoadWithoutCastENSF_16StoreWithoutCastEEEviS7_T0_T2_T3_T4_T5_.num_named_barrier, 0
	.set _ZN2at6native27unrolled_elementwise_kernelINS0_13BUnaryFunctorIlllZNS0_12_GLOBAL__N_121threshold_kernel_implIlEEvRNS_18TensorIteratorBaseET_S7_EUlllE_EESt5arrayIPcLm2EELi4E23TrivialOffsetCalculatorILi1EjESE_NS0_6memory15LoadWithoutCastENSF_16StoreWithoutCastEEEviS7_T0_T2_T3_T4_T5_.private_seg_size, 0
	.set _ZN2at6native27unrolled_elementwise_kernelINS0_13BUnaryFunctorIlllZNS0_12_GLOBAL__N_121threshold_kernel_implIlEEvRNS_18TensorIteratorBaseET_S7_EUlllE_EESt5arrayIPcLm2EELi4E23TrivialOffsetCalculatorILi1EjESE_NS0_6memory15LoadWithoutCastENSF_16StoreWithoutCastEEEviS7_T0_T2_T3_T4_T5_.uses_vcc, 1
	.set _ZN2at6native27unrolled_elementwise_kernelINS0_13BUnaryFunctorIlllZNS0_12_GLOBAL__N_121threshold_kernel_implIlEEvRNS_18TensorIteratorBaseET_S7_EUlllE_EESt5arrayIPcLm2EELi4E23TrivialOffsetCalculatorILi1EjESE_NS0_6memory15LoadWithoutCastENSF_16StoreWithoutCastEEEviS7_T0_T2_T3_T4_T5_.uses_flat_scratch, 0
	.set _ZN2at6native27unrolled_elementwise_kernelINS0_13BUnaryFunctorIlllZNS0_12_GLOBAL__N_121threshold_kernel_implIlEEvRNS_18TensorIteratorBaseET_S7_EUlllE_EESt5arrayIPcLm2EELi4E23TrivialOffsetCalculatorILi1EjESE_NS0_6memory15LoadWithoutCastENSF_16StoreWithoutCastEEEviS7_T0_T2_T3_T4_T5_.has_dyn_sized_stack, 0
	.set _ZN2at6native27unrolled_elementwise_kernelINS0_13BUnaryFunctorIlllZNS0_12_GLOBAL__N_121threshold_kernel_implIlEEvRNS_18TensorIteratorBaseET_S7_EUlllE_EESt5arrayIPcLm2EELi4E23TrivialOffsetCalculatorILi1EjESE_NS0_6memory15LoadWithoutCastENSF_16StoreWithoutCastEEEviS7_T0_T2_T3_T4_T5_.has_recursion, 0
	.set _ZN2at6native27unrolled_elementwise_kernelINS0_13BUnaryFunctorIlllZNS0_12_GLOBAL__N_121threshold_kernel_implIlEEvRNS_18TensorIteratorBaseET_S7_EUlllE_EESt5arrayIPcLm2EELi4E23TrivialOffsetCalculatorILi1EjESE_NS0_6memory15LoadWithoutCastENSF_16StoreWithoutCastEEEviS7_T0_T2_T3_T4_T5_.has_indirect_call, 0
	.section	.AMDGPU.csdata,"",@progbits
; Kernel info:
; codeLenInByte = 848
; TotalNumSgprs: 22
; NumVgprs: 19
; ScratchSize: 0
; MemoryBound: 0
; FloatMode: 240
; IeeeMode: 1
; LDSByteSize: 0 bytes/workgroup (compile time only)
; SGPRBlocks: 2
; VGPRBlocks: 4
; NumSGPRsForWavesPerEU: 22
; NumVGPRsForWavesPerEU: 19
; Occupancy: 10
; WaveLimiterHint : 0
; COMPUTE_PGM_RSRC2:SCRATCH_EN: 0
; COMPUTE_PGM_RSRC2:USER_SGPR: 6
; COMPUTE_PGM_RSRC2:TRAP_HANDLER: 0
; COMPUTE_PGM_RSRC2:TGID_X_EN: 1
; COMPUTE_PGM_RSRC2:TGID_Y_EN: 0
; COMPUTE_PGM_RSRC2:TGID_Z_EN: 0
; COMPUTE_PGM_RSRC2:TIDIG_COMP_CNT: 0
	.section	.text._ZN2at6native32elementwise_kernel_manual_unrollILi128ELi4EZNS0_22gpu_kernel_impl_nocastINS0_13BUnaryFunctorIlllZNS0_12_GLOBAL__N_121threshold_kernel_implIlEEvRNS_18TensorIteratorBaseET_S8_EUlllE_EEEEvS7_RKS8_EUlibE_EEviT1_,"axG",@progbits,_ZN2at6native32elementwise_kernel_manual_unrollILi128ELi4EZNS0_22gpu_kernel_impl_nocastINS0_13BUnaryFunctorIlllZNS0_12_GLOBAL__N_121threshold_kernel_implIlEEvRNS_18TensorIteratorBaseET_S8_EUlllE_EEEEvS7_RKS8_EUlibE_EEviT1_,comdat
	.globl	_ZN2at6native32elementwise_kernel_manual_unrollILi128ELi4EZNS0_22gpu_kernel_impl_nocastINS0_13BUnaryFunctorIlllZNS0_12_GLOBAL__N_121threshold_kernel_implIlEEvRNS_18TensorIteratorBaseET_S8_EUlllE_EEEEvS7_RKS8_EUlibE_EEviT1_ ; -- Begin function _ZN2at6native32elementwise_kernel_manual_unrollILi128ELi4EZNS0_22gpu_kernel_impl_nocastINS0_13BUnaryFunctorIlllZNS0_12_GLOBAL__N_121threshold_kernel_implIlEEvRNS_18TensorIteratorBaseET_S8_EUlllE_EEEEvS7_RKS8_EUlibE_EEviT1_
	.p2align	8
	.type	_ZN2at6native32elementwise_kernel_manual_unrollILi128ELi4EZNS0_22gpu_kernel_impl_nocastINS0_13BUnaryFunctorIlllZNS0_12_GLOBAL__N_121threshold_kernel_implIlEEvRNS_18TensorIteratorBaseET_S8_EUlllE_EEEEvS7_RKS8_EUlibE_EEviT1_,@function
_ZN2at6native32elementwise_kernel_manual_unrollILi128ELi4EZNS0_22gpu_kernel_impl_nocastINS0_13BUnaryFunctorIlllZNS0_12_GLOBAL__N_121threshold_kernel_implIlEEvRNS_18TensorIteratorBaseET_S8_EUlllE_EEEEvS7_RKS8_EUlibE_EEviT1_: ; @_ZN2at6native32elementwise_kernel_manual_unrollILi128ELi4EZNS0_22gpu_kernel_impl_nocastINS0_13BUnaryFunctorIlllZNS0_12_GLOBAL__N_121threshold_kernel_implIlEEvRNS_18TensorIteratorBaseET_S8_EUlllE_EEEEvS7_RKS8_EUlibE_EEviT1_
; %bb.0:
	s_load_dword s61, s[4:5], 0x0
	s_load_dword s33, s[4:5], 0x8
	s_add_u32 s34, s4, 8
	s_addc_u32 s35, s5, 0
	v_lshl_or_b32 v7, s6, 9, v0
	v_or_b32_e32 v13, 0x180, v7
	s_waitcnt lgkmcnt(0)
	s_add_i32 s60, s33, -1
	s_cmp_gt_u32 s60, 1
	v_cmp_le_i32_e32 vcc, s61, v13
	s_cselect_b64 s[40:41], -1, 0
	s_and_saveexec_b64 s[0:1], vcc
	s_xor_b64 s[42:43], exec, s[0:1]
	s_cbranch_execz .LBB85_7
; %bb.1:
	s_load_dwordx4 s[28:31], s[34:35], 0x4
	s_load_dwordx2 s[46:47], s[34:35], 0x14
	s_load_dwordx4 s[24:27], s[34:35], 0xc4
	s_load_dwordx2 s[44:45], s[34:35], 0x168
	s_load_dwordx8 s[0:7], s[34:35], 0x148
	s_cmp_lg_u32 s33, 0
	s_cselect_b64 s[52:53], -1, 0
	s_add_u32 s50, s34, 0xc4
	s_addc_u32 s51, s35, 0
	s_min_u32 s62, s60, 15
	s_cmp_gt_u32 s33, 1
	s_cselect_b64 s[48:49], -1, 0
	v_cmp_gt_i32_e32 vcc, s61, v7
	s_and_saveexec_b64 s[54:55], vcc
	s_cbranch_execz .LBB85_14
; %bb.2:
	s_andn2_b64 vcc, exec, s[40:41]
	s_cbranch_vccnz .LBB85_21
; %bb.3:
	s_andn2_b64 vcc, exec, s[52:53]
	s_cbranch_vccnz .LBB85_73
; %bb.4:
	s_add_i32 s64, s62, 1
	s_cmp_eq_u32 s60, 2
	s_cbranch_scc1 .LBB85_75
; %bb.5:
	s_and_b32 s63, s64, 28
	v_mov_b32_e32 v2, 0
	s_mov_b32 s65, 0
	s_mov_b64 s[56:57], s[34:35]
	s_mov_b64 s[58:59], s[50:51]
	v_mov_b32_e32 v0, 0
	v_mov_b32_e32 v1, v7
.LBB85_6:                               ; =>This Inner Loop Header: Depth=1
	s_load_dwordx8 s[16:23], s[56:57], 0x4
	s_load_dwordx4 s[36:39], s[56:57], 0x24
	s_load_dwordx8 s[8:15], s[58:59], 0x0
	s_add_u32 s56, s56, 48
	s_addc_u32 s57, s57, 0
	s_waitcnt lgkmcnt(0)
	v_mul_hi_u32 v3, s17, v1
	s_add_i32 s65, s65, 4
	s_add_u32 s58, s58, 32
	s_addc_u32 s59, s59, 0
	v_add_u32_e32 v3, v1, v3
	v_lshrrev_b32_e32 v3, s18, v3
	v_mul_lo_u32 v4, v3, s16
	v_mul_hi_u32 v5, s20, v3
	s_cmp_lg_u32 s63, s65
	v_sub_u32_e32 v1, v1, v4
	v_add_u32_e32 v4, v3, v5
	v_mul_lo_u32 v5, v1, s8
	v_mul_lo_u32 v6, v1, s9
	v_lshrrev_b32_e32 v1, s21, v4
	v_mul_lo_u32 v4, v1, s19
	v_mul_hi_u32 v8, s23, v1
	v_sub_u32_e32 v3, v3, v4
	v_add_u32_e32 v4, v1, v8
	v_lshrrev_b32_e32 v4, s36, v4
	v_mul_hi_u32 v9, s38, v4
	v_mul_lo_u32 v10, v4, s22
	v_mul_lo_u32 v8, v3, s10
	;; [unrolled: 1-line block ×3, first 2 shown]
	v_sub_u32_e32 v10, v1, v10
	v_add_u32_e32 v1, v4, v9
	v_lshrrev_b32_e32 v1, s39, v1
	v_mul_lo_u32 v9, v1, s37
	v_mul_lo_u32 v11, v10, s12
	;; [unrolled: 1-line block ×3, first 2 shown]
	v_add3_u32 v0, v5, v0, v8
	v_sub_u32_e32 v4, v4, v9
	v_mul_lo_u32 v9, v4, s14
	v_mul_lo_u32 v4, v4, s15
	v_add3_u32 v2, v6, v2, v3
	v_add3_u32 v0, v11, v0, v9
	;; [unrolled: 1-line block ×3, first 2 shown]
	s_cbranch_scc1 .LBB85_6
	s_branch .LBB85_76
.LBB85_7:
	s_andn2_saveexec_b64 s[0:1], s[42:43]
	s_cbranch_execz .LBB85_101
.LBB85_8:
	v_cndmask_b32_e64 v0, 0, 1, s[40:41]
	v_cmp_ne_u32_e64 s[0:1], 1, v0
	s_andn2_b64 vcc, exec, s[40:41]
	s_cbranch_vccnz .LBB85_20
; %bb.9:
	s_cmp_lg_u32 s33, 0
	s_mov_b32 s26, 0
	s_cbranch_scc0 .LBB85_23
; %bb.10:
	s_min_u32 s27, s60, 15
	s_add_i32 s27, s27, 1
	s_cmp_eq_u32 s60, 2
	s_cbranch_scc1 .LBB85_24
; %bb.11:
	s_and_b32 s26, s27, 28
	s_add_u32 s2, s34, 0xc4
	s_addc_u32 s3, s35, 0
	v_mov_b32_e32 v2, 0
	s_mov_b32 s28, 0
	s_mov_b64 s[24:25], s[34:35]
	v_mov_b32_e32 v0, 0
	v_mov_b32_e32 v1, v7
.LBB85_12:                              ; =>This Inner Loop Header: Depth=1
	s_load_dwordx8 s[12:19], s[24:25], 0x4
	s_load_dwordx4 s[20:23], s[24:25], 0x24
	s_load_dwordx8 s[4:11], s[2:3], 0x0
	s_add_u32 s24, s24, 48
	s_addc_u32 s25, s25, 0
	s_waitcnt lgkmcnt(0)
	v_mul_hi_u32 v3, s13, v1
	s_add_i32 s28, s28, 4
	s_add_u32 s2, s2, 32
	s_addc_u32 s3, s3, 0
	v_add_u32_e32 v3, v1, v3
	v_lshrrev_b32_e32 v3, s14, v3
	v_mul_lo_u32 v4, v3, s12
	v_mul_hi_u32 v5, s16, v3
	s_cmp_lg_u32 s26, s28
	v_sub_u32_e32 v1, v1, v4
	v_add_u32_e32 v4, v3, v5
	v_mul_lo_u32 v5, v1, s4
	v_mul_lo_u32 v6, v1, s5
	v_lshrrev_b32_e32 v1, s17, v4
	v_mul_lo_u32 v4, v1, s15
	v_mul_hi_u32 v8, s19, v1
	v_sub_u32_e32 v3, v3, v4
	v_add_u32_e32 v4, v1, v8
	v_lshrrev_b32_e32 v4, s20, v4
	v_mul_hi_u32 v9, s22, v4
	v_mul_lo_u32 v10, v4, s18
	v_mul_lo_u32 v8, v3, s6
	;; [unrolled: 1-line block ×3, first 2 shown]
	v_sub_u32_e32 v10, v1, v10
	v_add_u32_e32 v1, v4, v9
	v_lshrrev_b32_e32 v1, s23, v1
	v_mul_lo_u32 v9, v1, s21
	v_mul_lo_u32 v11, v10, s8
	;; [unrolled: 1-line block ×3, first 2 shown]
	v_add3_u32 v0, v5, v0, v8
	v_sub_u32_e32 v4, v4, v9
	v_mul_lo_u32 v9, v4, s10
	v_mul_lo_u32 v4, v4, s11
	v_add3_u32 v2, v6, v2, v3
	v_add3_u32 v0, v11, v0, v9
	;; [unrolled: 1-line block ×3, first 2 shown]
	s_cbranch_scc1 .LBB85_12
; %bb.13:
	s_and_b32 s6, s27, 3
	s_cmp_eq_u32 s6, 0
	s_cbranch_scc0 .LBB85_25
	s_branch .LBB85_27
.LBB85_14:
	s_or_b64 exec, exec, s[54:55]
	v_cmp_gt_i32_e32 vcc, s61, v7
	s_and_saveexec_b64 s[54:55], vcc
	s_cbranch_execz .LBB85_83
.LBB85_15:
	s_andn2_b64 vcc, exec, s[40:41]
	s_cbranch_vccnz .LBB85_22
; %bb.16:
	s_andn2_b64 vcc, exec, s[52:53]
	s_cbranch_vccnz .LBB85_74
; %bb.17:
	s_add_i32 s64, s62, 1
	s_cmp_eq_u32 s60, 2
	s_cbranch_scc1 .LBB85_91
; %bb.18:
	s_and_b32 s63, s64, 28
	v_mov_b32_e32 v2, 0
	s_mov_b32 s65, 0
	s_mov_b64 s[56:57], s[34:35]
	s_mov_b64 s[58:59], s[50:51]
	v_mov_b32_e32 v0, 0
	v_mov_b32_e32 v1, v7
.LBB85_19:                              ; =>This Inner Loop Header: Depth=1
	s_load_dwordx8 s[16:23], s[56:57], 0x4
	s_load_dwordx4 s[36:39], s[56:57], 0x24
	s_load_dwordx8 s[8:15], s[58:59], 0x0
	s_add_u32 s56, s56, 48
	s_addc_u32 s57, s57, 0
	s_waitcnt lgkmcnt(0)
	v_mul_hi_u32 v3, s17, v1
	s_add_i32 s65, s65, 4
	s_add_u32 s58, s58, 32
	s_addc_u32 s59, s59, 0
	v_add_u32_e32 v3, v1, v3
	v_lshrrev_b32_e32 v3, s18, v3
	v_mul_lo_u32 v4, v3, s16
	v_mul_hi_u32 v5, s20, v3
	s_cmp_eq_u32 s63, s65
	v_sub_u32_e32 v1, v1, v4
	v_add_u32_e32 v4, v3, v5
	v_mul_lo_u32 v5, v1, s8
	v_mul_lo_u32 v6, v1, s9
	v_lshrrev_b32_e32 v1, s21, v4
	v_mul_lo_u32 v4, v1, s19
	v_mul_hi_u32 v8, s23, v1
	v_sub_u32_e32 v3, v3, v4
	v_add_u32_e32 v4, v1, v8
	v_lshrrev_b32_e32 v4, s36, v4
	v_mul_hi_u32 v9, s38, v4
	v_mul_lo_u32 v10, v4, s22
	v_mul_lo_u32 v8, v3, s10
	;; [unrolled: 1-line block ×3, first 2 shown]
	v_sub_u32_e32 v10, v1, v10
	v_add_u32_e32 v1, v4, v9
	v_lshrrev_b32_e32 v1, s39, v1
	v_mul_lo_u32 v9, v1, s37
	v_mul_lo_u32 v11, v10, s12
	;; [unrolled: 1-line block ×3, first 2 shown]
	v_add3_u32 v0, v5, v0, v8
	v_sub_u32_e32 v4, v4, v9
	v_mul_lo_u32 v9, v4, s14
	v_mul_lo_u32 v4, v4, s15
	v_add3_u32 v2, v6, v2, v3
	v_add3_u32 v0, v11, v0, v9
	;; [unrolled: 1-line block ×3, first 2 shown]
	s_cbranch_scc0 .LBB85_19
	s_branch .LBB85_92
.LBB85_20:
                                        ; implicit-def: $vgpr0
                                        ; implicit-def: $vgpr2
	s_branch .LBB85_28
.LBB85_21:
                                        ; implicit-def: $vgpr0
                                        ; implicit-def: $vgpr2
	s_branch .LBB85_80
.LBB85_22:
                                        ; implicit-def: $vgpr0
                                        ; implicit-def: $vgpr2
	s_branch .LBB85_96
.LBB85_23:
	v_mov_b32_e32 v0, 0
	v_mov_b32_e32 v2, 0
	s_branch .LBB85_27
.LBB85_24:
	v_mov_b32_e32 v0, 0
	v_mov_b32_e32 v2, 0
	;; [unrolled: 1-line block ×3, first 2 shown]
	s_and_b32 s6, s27, 3
	s_cmp_eq_u32 s6, 0
	s_cbranch_scc1 .LBB85_27
.LBB85_25:
	s_lshl_b32 s2, s26, 3
	s_add_u32 s2, s34, s2
	s_addc_u32 s3, s35, 0
	s_add_u32 s2, s2, 0xc4
	s_addc_u32 s3, s3, 0
	s_mul_i32 s4, s26, 12
	s_add_u32 s4, s34, s4
	s_addc_u32 s5, s35, 0
.LBB85_26:                              ; =>This Inner Loop Header: Depth=1
	s_load_dwordx2 s[8:9], s[4:5], 0x4
	s_load_dword s7, s[4:5], 0xc
	s_load_dwordx2 s[10:11], s[2:3], 0x0
	s_add_u32 s4, s4, 12
	s_addc_u32 s5, s5, 0
	s_waitcnt lgkmcnt(0)
	v_mul_hi_u32 v4, s9, v1
	s_add_u32 s2, s2, 8
	s_addc_u32 s3, s3, 0
	s_add_i32 s6, s6, -1
	v_add_u32_e32 v4, v1, v4
	v_lshrrev_b32_e32 v4, s7, v4
	v_mul_lo_u32 v5, v4, s8
	s_cmp_lg_u32 s6, 0
	v_sub_u32_e32 v5, v1, v5
	v_mad_u64_u32 v[0:1], s[8:9], v5, s10, v[0:1]
	v_mad_u64_u32 v[2:3], s[8:9], v5, s11, v[2:3]
	v_mov_b32_e32 v1, v4
	s_cbranch_scc1 .LBB85_26
.LBB85_27:
	s_cbranch_execnz .LBB85_30
.LBB85_28:
	s_load_dwordx4 s[4:7], s[34:35], 0x4
	s_load_dwordx2 s[2:3], s[34:35], 0xc4
	s_cmp_lt_u32 s33, 2
	s_waitcnt lgkmcnt(0)
	v_mul_hi_u32 v0, s5, v7
	v_add_u32_e32 v0, v7, v0
	v_lshrrev_b32_e32 v1, s6, v0
	v_mul_lo_u32 v0, v1, s4
	v_sub_u32_e32 v2, v7, v0
	v_mul_lo_u32 v0, v2, s2
	v_mul_lo_u32 v2, v2, s3
	s_cbranch_scc1 .LBB85_30
; %bb.29:
	s_load_dwordx4 s[4:7], s[34:35], 0x10
	s_load_dwordx2 s[2:3], s[34:35], 0xcc
	s_waitcnt lgkmcnt(0)
	v_mul_hi_u32 v3, s5, v1
	v_add_u32_e32 v3, v1, v3
	v_lshrrev_b32_e32 v3, s6, v3
	v_mul_lo_u32 v3, v3, s4
	v_sub_u32_e32 v3, v1, v3
	v_mad_u64_u32 v[0:1], s[4:5], v3, s2, v[0:1]
	v_mad_u64_u32 v[2:3], s[2:3], v3, s3, v[2:3]
.LBB85_30:
	s_and_b64 vcc, exec, s[0:1]
	v_add_u32_e32 v1, 0x80, v7
	s_cbranch_vccnz .LBB85_36
; %bb.31:
	s_cmp_lg_u32 s33, 0
	s_mov_b32 s26, 0
	s_cbranch_scc0 .LBB85_37
; %bb.32:
	s_min_u32 s27, s60, 15
	s_add_i32 s27, s27, 1
	s_cmp_eq_u32 s60, 2
	s_cbranch_scc1 .LBB85_38
; %bb.33:
	s_and_b32 s26, s27, 28
	s_add_u32 s2, s34, 0xc4
	s_addc_u32 s3, s35, 0
	v_mov_b32_e32 v5, 0
	s_mov_b32 s28, 0
	s_mov_b64 s[24:25], s[34:35]
	v_mov_b32_e32 v3, 0
	v_mov_b32_e32 v4, v1
.LBB85_34:                              ; =>This Inner Loop Header: Depth=1
	s_load_dwordx8 s[12:19], s[24:25], 0x4
	s_load_dwordx4 s[20:23], s[24:25], 0x24
	s_load_dwordx8 s[4:11], s[2:3], 0x0
	s_add_u32 s24, s24, 48
	s_addc_u32 s25, s25, 0
	s_waitcnt lgkmcnt(0)
	v_mul_hi_u32 v6, s13, v4
	s_add_i32 s28, s28, 4
	s_add_u32 s2, s2, 32
	s_addc_u32 s3, s3, 0
	v_add_u32_e32 v6, v4, v6
	v_lshrrev_b32_e32 v6, s14, v6
	v_mul_lo_u32 v8, v6, s12
	v_mul_hi_u32 v9, s16, v6
	s_cmp_lg_u32 s26, s28
	v_sub_u32_e32 v4, v4, v8
	v_add_u32_e32 v8, v6, v9
	v_mul_lo_u32 v9, v4, s4
	v_mul_lo_u32 v10, v4, s5
	v_lshrrev_b32_e32 v4, s17, v8
	v_mul_lo_u32 v8, v4, s15
	v_mul_hi_u32 v11, s19, v4
	v_sub_u32_e32 v6, v6, v8
	v_add_u32_e32 v8, v4, v11
	v_lshrrev_b32_e32 v8, s20, v8
	v_mul_hi_u32 v12, s22, v8
	v_mul_lo_u32 v14, v8, s18
	v_mul_lo_u32 v11, v6, s6
	;; [unrolled: 1-line block ×3, first 2 shown]
	v_sub_u32_e32 v14, v4, v14
	v_add_u32_e32 v4, v8, v12
	v_lshrrev_b32_e32 v4, s23, v4
	v_mul_lo_u32 v12, v4, s21
	v_mul_lo_u32 v15, v14, s8
	;; [unrolled: 1-line block ×3, first 2 shown]
	v_add3_u32 v3, v9, v3, v11
	v_sub_u32_e32 v8, v8, v12
	v_mul_lo_u32 v12, v8, s10
	v_mul_lo_u32 v8, v8, s11
	v_add3_u32 v5, v10, v5, v6
	v_add3_u32 v3, v15, v3, v12
	;; [unrolled: 1-line block ×3, first 2 shown]
	s_cbranch_scc1 .LBB85_34
; %bb.35:
	s_and_b32 s6, s27, 3
	s_cmp_eq_u32 s6, 0
	s_cbranch_scc0 .LBB85_39
	s_branch .LBB85_41
.LBB85_36:
                                        ; implicit-def: $vgpr3
                                        ; implicit-def: $vgpr5
	s_branch .LBB85_42
.LBB85_37:
	v_mov_b32_e32 v3, 0
	v_mov_b32_e32 v5, 0
	s_branch .LBB85_41
.LBB85_38:
	v_mov_b32_e32 v3, 0
	v_mov_b32_e32 v5, 0
	v_mov_b32_e32 v4, v1
	s_and_b32 s6, s27, 3
	s_cmp_eq_u32 s6, 0
	s_cbranch_scc1 .LBB85_41
.LBB85_39:
	s_lshl_b32 s2, s26, 3
	s_add_u32 s2, s34, s2
	s_addc_u32 s3, s35, 0
	s_add_u32 s2, s2, 0xc4
	s_addc_u32 s3, s3, 0
	s_mul_i32 s4, s26, 12
	s_add_u32 s4, s34, s4
	s_addc_u32 s5, s35, 0
.LBB85_40:                              ; =>This Inner Loop Header: Depth=1
	s_load_dwordx2 s[8:9], s[4:5], 0x4
	s_load_dword s7, s[4:5], 0xc
	s_load_dwordx2 s[10:11], s[2:3], 0x0
	s_add_u32 s4, s4, 12
	s_addc_u32 s5, s5, 0
	s_waitcnt lgkmcnt(0)
	v_mul_hi_u32 v8, s9, v4
	s_add_u32 s2, s2, 8
	s_addc_u32 s3, s3, 0
	s_add_i32 s6, s6, -1
	v_add_u32_e32 v8, v4, v8
	v_lshrrev_b32_e32 v8, s7, v8
	v_mul_lo_u32 v9, v8, s8
	s_cmp_lg_u32 s6, 0
	v_sub_u32_e32 v9, v4, v9
	v_mad_u64_u32 v[3:4], s[8:9], v9, s10, v[3:4]
	v_mad_u64_u32 v[5:6], s[8:9], v9, s11, v[5:6]
	v_mov_b32_e32 v4, v8
	s_cbranch_scc1 .LBB85_40
.LBB85_41:
	s_cbranch_execnz .LBB85_44
.LBB85_42:
	s_load_dwordx4 s[4:7], s[34:35], 0x4
	s_load_dwordx2 s[2:3], s[34:35], 0xc4
	s_cmp_lt_u32 s33, 2
	s_waitcnt lgkmcnt(0)
	v_mul_hi_u32 v3, s5, v1
	v_add_u32_e32 v3, v1, v3
	v_lshrrev_b32_e32 v4, s6, v3
	v_mul_lo_u32 v3, v4, s4
	v_sub_u32_e32 v1, v1, v3
	v_mul_lo_u32 v3, v1, s2
	v_mul_lo_u32 v5, v1, s3
	s_cbranch_scc1 .LBB85_44
; %bb.43:
	s_load_dwordx4 s[4:7], s[34:35], 0x10
	s_load_dwordx2 s[2:3], s[34:35], 0xcc
	s_waitcnt lgkmcnt(0)
	v_mul_hi_u32 v1, s5, v4
	v_add_u32_e32 v1, v4, v1
	v_lshrrev_b32_e32 v1, s6, v1
	v_mul_lo_u32 v1, v1, s4
	v_sub_u32_e32 v1, v4, v1
	v_mad_u64_u32 v[3:4], s[4:5], v1, s2, v[3:4]
	v_mad_u64_u32 v[5:6], s[2:3], v1, s3, v[5:6]
.LBB85_44:
	s_and_b64 vcc, exec, s[0:1]
	v_add_u32_e32 v1, 0x100, v7
	s_cbranch_vccnz .LBB85_50
; %bb.45:
	s_cmp_lg_u32 s33, 0
	s_mov_b32 s26, 0
	s_cbranch_scc0 .LBB85_51
; %bb.46:
	s_min_u32 s27, s60, 15
	s_add_i32 s27, s27, 1
	s_cmp_eq_u32 s60, 2
	s_cbranch_scc1 .LBB85_52
; %bb.47:
	s_and_b32 s26, s27, 28
	s_add_u32 s2, s34, 0xc4
	s_addc_u32 s3, s35, 0
	v_mov_b32_e32 v8, 0
	s_mov_b32 s28, 0
	s_mov_b64 s[24:25], s[34:35]
	v_mov_b32_e32 v6, 0
	v_mov_b32_e32 v4, v1
.LBB85_48:                              ; =>This Inner Loop Header: Depth=1
	s_load_dwordx8 s[12:19], s[24:25], 0x4
	s_load_dwordx4 s[20:23], s[24:25], 0x24
	s_load_dwordx8 s[4:11], s[2:3], 0x0
	s_add_u32 s24, s24, 48
	s_addc_u32 s25, s25, 0
	s_waitcnt lgkmcnt(0)
	v_mul_hi_u32 v7, s13, v4
	s_add_i32 s28, s28, 4
	s_add_u32 s2, s2, 32
	s_addc_u32 s3, s3, 0
	v_add_u32_e32 v7, v4, v7
	v_lshrrev_b32_e32 v7, s14, v7
	v_mul_lo_u32 v9, v7, s12
	v_mul_hi_u32 v10, s16, v7
	s_cmp_lg_u32 s26, s28
	v_sub_u32_e32 v4, v4, v9
	v_add_u32_e32 v9, v7, v10
	v_mul_lo_u32 v10, v4, s4
	v_mul_lo_u32 v11, v4, s5
	v_lshrrev_b32_e32 v4, s17, v9
	v_mul_lo_u32 v9, v4, s15
	v_mul_hi_u32 v12, s19, v4
	v_sub_u32_e32 v7, v7, v9
	v_add_u32_e32 v9, v4, v12
	v_lshrrev_b32_e32 v9, s20, v9
	v_mul_hi_u32 v14, s22, v9
	v_mul_lo_u32 v15, v9, s18
	v_mul_lo_u32 v12, v7, s6
	;; [unrolled: 1-line block ×3, first 2 shown]
	v_sub_u32_e32 v15, v4, v15
	v_add_u32_e32 v4, v9, v14
	v_lshrrev_b32_e32 v4, s23, v4
	v_mul_lo_u32 v14, v4, s21
	v_mul_lo_u32 v16, v15, s8
	;; [unrolled: 1-line block ×3, first 2 shown]
	v_add3_u32 v6, v10, v6, v12
	v_sub_u32_e32 v9, v9, v14
	v_mul_lo_u32 v14, v9, s10
	v_mul_lo_u32 v9, v9, s11
	v_add3_u32 v7, v11, v8, v7
	v_add3_u32 v6, v16, v6, v14
	;; [unrolled: 1-line block ×3, first 2 shown]
	s_cbranch_scc1 .LBB85_48
; %bb.49:
	s_and_b32 s6, s27, 3
	s_cmp_eq_u32 s6, 0
	s_cbranch_scc0 .LBB85_53
	s_branch .LBB85_55
.LBB85_50:
                                        ; implicit-def: $vgpr6
                                        ; implicit-def: $vgpr8
	s_branch .LBB85_56
.LBB85_51:
	v_mov_b32_e32 v6, 0
	v_mov_b32_e32 v8, 0
	s_branch .LBB85_55
.LBB85_52:
	v_mov_b32_e32 v6, 0
	v_mov_b32_e32 v8, 0
	;; [unrolled: 1-line block ×3, first 2 shown]
	s_and_b32 s6, s27, 3
	s_cmp_eq_u32 s6, 0
	s_cbranch_scc1 .LBB85_55
.LBB85_53:
	s_lshl_b32 s2, s26, 3
	s_add_u32 s2, s34, s2
	s_addc_u32 s3, s35, 0
	s_add_u32 s2, s2, 0xc4
	s_addc_u32 s3, s3, 0
	s_mul_i32 s4, s26, 12
	s_add_u32 s4, s34, s4
	s_addc_u32 s5, s35, 0
.LBB85_54:                              ; =>This Inner Loop Header: Depth=1
	s_load_dwordx2 s[8:9], s[4:5], 0x4
	s_load_dword s7, s[4:5], 0xc
	s_load_dwordx2 s[10:11], s[2:3], 0x0
	s_add_u32 s4, s4, 12
	s_addc_u32 s5, s5, 0
	s_waitcnt lgkmcnt(0)
	v_mul_hi_u32 v7, s9, v4
	s_add_u32 s2, s2, 8
	s_addc_u32 s3, s3, 0
	s_add_i32 s6, s6, -1
	v_add_u32_e32 v7, v4, v7
	v_lshrrev_b32_e32 v10, s7, v7
	v_mul_lo_u32 v7, v10, s8
	s_cmp_lg_u32 s6, 0
	v_sub_u32_e32 v4, v4, v7
	v_mad_u64_u32 v[6:7], s[8:9], v4, s10, v[6:7]
	v_mad_u64_u32 v[8:9], s[8:9], v4, s11, v[8:9]
	v_mov_b32_e32 v4, v10
	s_cbranch_scc1 .LBB85_54
.LBB85_55:
	s_cbranch_execnz .LBB85_58
.LBB85_56:
	s_load_dwordx4 s[4:7], s[34:35], 0x4
	s_load_dwordx2 s[2:3], s[34:35], 0xc4
	s_cmp_lt_u32 s33, 2
	s_waitcnt lgkmcnt(0)
	v_mul_hi_u32 v4, s5, v1
	v_add_u32_e32 v4, v1, v4
	v_lshrrev_b32_e32 v4, s6, v4
	v_mul_lo_u32 v6, v4, s4
	v_sub_u32_e32 v1, v1, v6
	v_mul_lo_u32 v6, v1, s2
	v_mul_lo_u32 v8, v1, s3
	s_cbranch_scc1 .LBB85_58
; %bb.57:
	s_load_dwordx4 s[4:7], s[34:35], 0x10
	s_load_dwordx2 s[2:3], s[34:35], 0xcc
	s_waitcnt lgkmcnt(0)
	v_mul_hi_u32 v1, s5, v4
	v_add_u32_e32 v1, v4, v1
	v_lshrrev_b32_e32 v1, s6, v1
	v_mul_lo_u32 v1, v1, s4
	v_sub_u32_e32 v1, v4, v1
	v_mad_u64_u32 v[6:7], s[4:5], v1, s2, v[6:7]
	v_mad_u64_u32 v[8:9], s[2:3], v1, s3, v[8:9]
.LBB85_58:
	s_and_b64 vcc, exec, s[0:1]
	s_cbranch_vccnz .LBB85_64
; %bb.59:
	s_cmp_lg_u32 s33, 0
	s_mov_b32 s24, 0
	s_cbranch_scc0 .LBB85_65
; %bb.60:
	s_min_u32 s25, s60, 15
	s_add_i32 s25, s25, 1
	s_cmp_eq_u32 s60, 2
	s_cbranch_scc1 .LBB85_66
; %bb.61:
	s_and_b32 s24, s25, 28
	s_add_u32 s20, s34, 0xc4
	s_addc_u32 s21, s35, 0
	v_mov_b32_e32 v11, 0
	s_mov_b32 s26, 0
	s_mov_b64 s[22:23], s[34:35]
	v_mov_b32_e32 v9, 0
	v_mov_b32_e32 v1, v13
.LBB85_62:                              ; =>This Inner Loop Header: Depth=1
	s_load_dwordx8 s[8:15], s[22:23], 0x4
	s_load_dwordx4 s[16:19], s[22:23], 0x24
	s_load_dwordx8 s[0:7], s[20:21], 0x0
	s_add_u32 s22, s22, 48
	s_addc_u32 s23, s23, 0
	s_waitcnt lgkmcnt(0)
	v_mul_hi_u32 v4, s9, v1
	s_add_i32 s26, s26, 4
	s_add_u32 s20, s20, 32
	s_addc_u32 s21, s21, 0
	v_add_u32_e32 v4, v1, v4
	v_lshrrev_b32_e32 v4, s10, v4
	v_mul_lo_u32 v7, v4, s8
	v_mul_hi_u32 v10, s12, v4
	s_cmp_lg_u32 s24, s26
	v_sub_u32_e32 v1, v1, v7
	v_add_u32_e32 v7, v4, v10
	v_mul_lo_u32 v10, v1, s0
	v_mul_lo_u32 v12, v1, s1
	v_lshrrev_b32_e32 v1, s13, v7
	v_mul_lo_u32 v7, v1, s11
	v_mul_hi_u32 v14, s15, v1
	v_sub_u32_e32 v4, v4, v7
	v_add_u32_e32 v7, v1, v14
	v_lshrrev_b32_e32 v7, s16, v7
	v_mul_hi_u32 v15, s18, v7
	v_mul_lo_u32 v16, v7, s14
	v_mul_lo_u32 v14, v4, s2
	;; [unrolled: 1-line block ×3, first 2 shown]
	v_sub_u32_e32 v16, v1, v16
	v_add_u32_e32 v1, v7, v15
	v_lshrrev_b32_e32 v1, s19, v1
	v_mul_lo_u32 v15, v1, s17
	v_mul_lo_u32 v17, v16, s4
	;; [unrolled: 1-line block ×3, first 2 shown]
	v_add3_u32 v9, v10, v9, v14
	v_sub_u32_e32 v7, v7, v15
	v_mul_lo_u32 v15, v7, s6
	v_mul_lo_u32 v7, v7, s7
	v_add3_u32 v4, v12, v11, v4
	v_add3_u32 v9, v17, v9, v15
	;; [unrolled: 1-line block ×3, first 2 shown]
	s_cbranch_scc1 .LBB85_62
; %bb.63:
	s_and_b32 s4, s25, 3
	s_cmp_eq_u32 s4, 0
	s_cbranch_scc0 .LBB85_67
	s_branch .LBB85_69
.LBB85_64:
                                        ; implicit-def: $vgpr9
                                        ; implicit-def: $vgpr11
	s_branch .LBB85_70
.LBB85_65:
	v_mov_b32_e32 v9, 0
	v_mov_b32_e32 v11, 0
	s_branch .LBB85_69
.LBB85_66:
	v_mov_b32_e32 v9, 0
	v_mov_b32_e32 v11, 0
	;; [unrolled: 1-line block ×3, first 2 shown]
	s_and_b32 s4, s25, 3
	s_cmp_eq_u32 s4, 0
	s_cbranch_scc1 .LBB85_69
.LBB85_67:
	s_lshl_b32 s0, s24, 3
	s_add_u32 s0, s34, s0
	s_addc_u32 s1, s35, 0
	s_add_u32 s0, s0, 0xc4
	s_addc_u32 s1, s1, 0
	s_mul_i32 s2, s24, 12
	s_add_u32 s2, s34, s2
	s_addc_u32 s3, s35, 0
.LBB85_68:                              ; =>This Inner Loop Header: Depth=1
	s_load_dwordx2 s[6:7], s[2:3], 0x4
	s_load_dword s5, s[2:3], 0xc
	s_load_dwordx2 s[8:9], s[0:1], 0x0
	s_add_u32 s2, s2, 12
	s_addc_u32 s3, s3, 0
	s_waitcnt lgkmcnt(0)
	v_mul_hi_u32 v4, s7, v1
	s_add_u32 s0, s0, 8
	s_addc_u32 s1, s1, 0
	s_add_i32 s4, s4, -1
	v_add_u32_e32 v4, v1, v4
	v_lshrrev_b32_e32 v4, s5, v4
	v_mul_lo_u32 v7, v4, s6
	s_cmp_lg_u32 s4, 0
	v_sub_u32_e32 v1, v1, v7
	v_mad_u64_u32 v[9:10], s[6:7], v1, s8, v[9:10]
	v_mad_u64_u32 v[11:12], s[6:7], v1, s9, v[11:12]
	v_mov_b32_e32 v1, v4
	s_cbranch_scc1 .LBB85_68
.LBB85_69:
	s_cbranch_execnz .LBB85_72
.LBB85_70:
	s_load_dwordx4 s[0:3], s[34:35], 0x4
	s_load_dwordx2 s[4:5], s[34:35], 0xc4
	s_cmp_lt_u32 s33, 2
	s_waitcnt lgkmcnt(0)
	v_mul_hi_u32 v1, s1, v13
	v_add_u32_e32 v1, v13, v1
	v_lshrrev_b32_e32 v1, s2, v1
	v_mul_lo_u32 v4, v1, s0
	v_sub_u32_e32 v4, v13, v4
	v_mul_lo_u32 v9, v4, s4
	v_mul_lo_u32 v11, v4, s5
	s_cbranch_scc1 .LBB85_72
; %bb.71:
	s_load_dwordx4 s[0:3], s[34:35], 0x10
	s_load_dwordx2 s[4:5], s[34:35], 0xcc
	s_waitcnt lgkmcnt(0)
	v_mul_hi_u32 v4, s1, v1
	v_add_u32_e32 v4, v1, v4
	v_lshrrev_b32_e32 v4, s2, v4
	v_mul_lo_u32 v4, v4, s0
	v_sub_u32_e32 v1, v1, v4
	v_mad_u64_u32 v[9:10], s[0:1], v1, s4, v[9:10]
	v_mad_u64_u32 v[11:12], s[0:1], v1, s5, v[11:12]
.LBB85_72:
	s_load_dwordx8 s[8:15], s[34:35], 0x148
	s_load_dwordx2 s[0:1], s[34:35], 0x168
	s_waitcnt lgkmcnt(0)
	global_load_dwordx2 v[12:13], v2, s[10:11]
	global_load_dwordx2 v[14:15], v5, s[10:11]
	;; [unrolled: 1-line block ×4, first 2 shown]
	v_mov_b32_e32 v4, s1
	v_mov_b32_e32 v20, s0
	;; [unrolled: 1-line block ×4, first 2 shown]
	s_waitcnt vmcnt(3)
	v_cmp_lt_i64_e32 vcc, s[12:13], v[12:13]
	s_waitcnt vmcnt(2)
	v_cmp_lt_i64_e64 s[0:1], s[12:13], v[14:15]
	s_waitcnt vmcnt(1)
	v_cmp_lt_i64_e64 s[2:3], s[12:13], v[16:17]
	;; [unrolled: 2-line block ×3, first 2 shown]
	v_cndmask_b32_e32 v2, v1, v4, vcc
	v_cndmask_b32_e64 v5, v1, v4, s[0:1]
	v_cndmask_b32_e64 v8, v1, v4, s[2:3]
	;; [unrolled: 1-line block ×3, first 2 shown]
	v_cndmask_b32_e32 v1, v10, v20, vcc
	v_cndmask_b32_e64 v4, v10, v20, s[0:1]
	v_cndmask_b32_e64 v7, v10, v20, s[2:3]
	;; [unrolled: 1-line block ×3, first 2 shown]
	global_store_dwordx2 v0, v[1:2], s[8:9]
	global_store_dwordx2 v3, v[4:5], s[8:9]
	global_store_dwordx2 v6, v[7:8], s[8:9]
	global_store_dwordx2 v9, v[10:11], s[8:9]
	s_endpgm
.LBB85_73:
	v_mov_b32_e32 v0, 0
	v_mov_b32_e32 v2, 0
	s_branch .LBB85_79
.LBB85_74:
	v_mov_b32_e32 v0, 0
	v_mov_b32_e32 v2, 0
	s_branch .LBB85_95
.LBB85_75:
	s_mov_b32 s63, 0
	v_mov_b32_e32 v0, 0
	v_mov_b32_e32 v2, 0
	;; [unrolled: 1-line block ×3, first 2 shown]
.LBB85_76:
	s_and_b32 s12, s64, 3
	s_cmp_eq_u32 s12, 0
	s_cbranch_scc1 .LBB85_79
; %bb.77:
	s_lshl_b32 s8, s63, 3
	s_add_u32 s8, s34, s8
	s_addc_u32 s9, s35, 0
	s_add_u32 s8, s8, 0xc4
	s_addc_u32 s9, s9, 0
	s_mul_i32 s10, s63, 12
	s_add_u32 s10, s34, s10
	s_addc_u32 s11, s35, 0
.LBB85_78:                              ; =>This Inner Loop Header: Depth=1
	s_load_dwordx2 s[14:15], s[10:11], 0x4
	s_load_dword s13, s[10:11], 0xc
	s_load_dwordx2 s[16:17], s[8:9], 0x0
	s_add_u32 s10, s10, 12
	s_addc_u32 s11, s11, 0
	s_waitcnt lgkmcnt(0)
	v_mul_hi_u32 v3, s15, v1
	s_add_u32 s8, s8, 8
	s_addc_u32 s9, s9, 0
	s_add_i32 s12, s12, -1
	v_add_u32_e32 v3, v1, v3
	v_lshrrev_b32_e32 v4, s13, v3
	v_mul_lo_u32 v3, v4, s14
	s_cmp_lg_u32 s12, 0
	v_sub_u32_e32 v3, v1, v3
	v_mad_u64_u32 v[0:1], s[14:15], v3, s16, v[0:1]
	v_mad_u64_u32 v[2:3], s[14:15], v3, s17, v[2:3]
	v_mov_b32_e32 v1, v4
	s_cbranch_scc1 .LBB85_78
.LBB85_79:
	s_cbranch_execnz .LBB85_82
.LBB85_80:
	s_waitcnt lgkmcnt(0)
	v_mul_hi_u32 v0, s29, v7
	s_andn2_b64 vcc, exec, s[48:49]
	v_add_u32_e32 v0, v7, v0
	v_lshrrev_b32_e32 v1, s30, v0
	v_mul_lo_u32 v0, v1, s28
	v_sub_u32_e32 v2, v7, v0
	v_mul_lo_u32 v0, v2, s24
	v_mul_lo_u32 v2, v2, s25
	s_cbranch_vccnz .LBB85_82
; %bb.81:
	v_mul_hi_u32 v3, s46, v1
	v_add_u32_e32 v3, v1, v3
	v_lshrrev_b32_e32 v3, s47, v3
	v_mul_lo_u32 v3, v3, s31
	v_sub_u32_e32 v3, v1, v3
	v_mad_u64_u32 v[0:1], s[8:9], v3, s26, v[0:1]
	v_mad_u64_u32 v[2:3], s[8:9], v3, s27, v[2:3]
.LBB85_82:
	s_waitcnt lgkmcnt(0)
	global_load_dwordx2 v[1:2], v2, s[2:3]
	v_mov_b32_e32 v3, s7
	v_mov_b32_e32 v4, s45
	;; [unrolled: 1-line block ×4, first 2 shown]
	v_add_u32_e32 v7, 0x80, v7
	s_waitcnt vmcnt(0)
	v_cmp_lt_i64_e32 vcc, s[4:5], v[1:2]
	v_cndmask_b32_e32 v2, v3, v4, vcc
	v_cndmask_b32_e32 v1, v5, v6, vcc
	global_store_dwordx2 v0, v[1:2], s[0:1]
	s_or_b64 exec, exec, s[54:55]
	v_cmp_gt_i32_e32 vcc, s61, v7
	s_and_saveexec_b64 s[54:55], vcc
	s_cbranch_execnz .LBB85_15
.LBB85_83:
	s_or_b64 exec, exec, s[54:55]
	v_cmp_gt_i32_e32 vcc, s61, v7
	s_and_saveexec_b64 s[54:55], vcc
	s_cbranch_execz .LBB85_99
.LBB85_84:
	s_andn2_b64 vcc, exec, s[40:41]
	s_cbranch_vccnz .LBB85_89
; %bb.85:
	s_andn2_b64 vcc, exec, s[52:53]
	s_cbranch_vccnz .LBB85_90
; %bb.86:
	s_add_i32 s64, s62, 1
	s_cmp_eq_u32 s60, 2
	s_cbranch_scc1 .LBB85_102
; %bb.87:
	s_and_b32 s63, s64, 28
	v_mov_b32_e32 v2, 0
	s_mov_b32 s65, 0
	s_mov_b64 s[56:57], s[34:35]
	s_mov_b64 s[58:59], s[50:51]
	v_mov_b32_e32 v0, 0
	v_mov_b32_e32 v1, v7
.LBB85_88:                              ; =>This Inner Loop Header: Depth=1
	s_load_dwordx8 s[16:23], s[56:57], 0x4
	s_load_dwordx4 s[36:39], s[56:57], 0x24
	s_load_dwordx8 s[8:15], s[58:59], 0x0
	s_add_u32 s56, s56, 48
	s_addc_u32 s57, s57, 0
	s_waitcnt lgkmcnt(0)
	v_mul_hi_u32 v3, s17, v1
	s_add_i32 s65, s65, 4
	s_add_u32 s58, s58, 32
	s_addc_u32 s59, s59, 0
	v_add_u32_e32 v3, v1, v3
	v_lshrrev_b32_e32 v3, s18, v3
	v_mul_lo_u32 v4, v3, s16
	v_mul_hi_u32 v5, s20, v3
	s_cmp_eq_u32 s63, s65
	v_sub_u32_e32 v1, v1, v4
	v_add_u32_e32 v4, v3, v5
	v_mul_lo_u32 v5, v1, s8
	v_mul_lo_u32 v6, v1, s9
	v_lshrrev_b32_e32 v1, s21, v4
	v_mul_lo_u32 v4, v1, s19
	v_mul_hi_u32 v8, s23, v1
	v_sub_u32_e32 v3, v3, v4
	v_add_u32_e32 v4, v1, v8
	v_lshrrev_b32_e32 v4, s36, v4
	v_mul_hi_u32 v9, s38, v4
	v_mul_lo_u32 v10, v4, s22
	v_mul_lo_u32 v8, v3, s10
	;; [unrolled: 1-line block ×3, first 2 shown]
	v_sub_u32_e32 v10, v1, v10
	v_add_u32_e32 v1, v4, v9
	v_lshrrev_b32_e32 v1, s39, v1
	v_mul_lo_u32 v9, v1, s37
	v_mul_lo_u32 v11, v10, s12
	;; [unrolled: 1-line block ×3, first 2 shown]
	v_add3_u32 v0, v5, v0, v8
	v_sub_u32_e32 v4, v4, v9
	v_mul_lo_u32 v9, v4, s14
	v_mul_lo_u32 v4, v4, s15
	v_add3_u32 v2, v6, v2, v3
	v_add3_u32 v0, v11, v0, v9
	;; [unrolled: 1-line block ×3, first 2 shown]
	s_cbranch_scc0 .LBB85_88
	s_branch .LBB85_103
.LBB85_89:
                                        ; implicit-def: $vgpr0
                                        ; implicit-def: $vgpr2
	s_branch .LBB85_107
.LBB85_90:
	v_mov_b32_e32 v0, 0
	v_mov_b32_e32 v2, 0
	s_branch .LBB85_106
.LBB85_91:
	s_mov_b32 s63, 0
	v_mov_b32_e32 v0, 0
	v_mov_b32_e32 v2, 0
	;; [unrolled: 1-line block ×3, first 2 shown]
.LBB85_92:
	s_and_b32 s12, s64, 3
	s_cmp_eq_u32 s12, 0
	s_cbranch_scc1 .LBB85_95
; %bb.93:
	s_lshl_b32 s8, s63, 3
	s_add_u32 s8, s34, s8
	s_addc_u32 s9, s35, 0
	s_add_u32 s8, s8, 0xc4
	s_addc_u32 s9, s9, 0
	s_mul_i32 s10, s63, 12
	s_add_u32 s10, s34, s10
	s_addc_u32 s11, s35, 0
.LBB85_94:                              ; =>This Inner Loop Header: Depth=1
	s_load_dwordx2 s[14:15], s[10:11], 0x4
	s_load_dword s13, s[10:11], 0xc
	s_load_dwordx2 s[16:17], s[8:9], 0x0
	s_add_u32 s10, s10, 12
	s_addc_u32 s11, s11, 0
	s_waitcnt lgkmcnt(0)
	v_mul_hi_u32 v3, s15, v1
	s_add_u32 s8, s8, 8
	s_addc_u32 s9, s9, 0
	s_add_i32 s12, s12, -1
	v_add_u32_e32 v3, v1, v3
	v_lshrrev_b32_e32 v4, s13, v3
	v_mul_lo_u32 v3, v4, s14
	s_cmp_lg_u32 s12, 0
	v_sub_u32_e32 v3, v1, v3
	v_mad_u64_u32 v[0:1], s[14:15], v3, s16, v[0:1]
	v_mad_u64_u32 v[2:3], s[14:15], v3, s17, v[2:3]
	v_mov_b32_e32 v1, v4
	s_cbranch_scc1 .LBB85_94
.LBB85_95:
	s_cbranch_execnz .LBB85_98
.LBB85_96:
	s_waitcnt lgkmcnt(0)
	v_mul_hi_u32 v0, s29, v7
	s_andn2_b64 vcc, exec, s[48:49]
	v_add_u32_e32 v0, v7, v0
	v_lshrrev_b32_e32 v1, s30, v0
	v_mul_lo_u32 v0, v1, s28
	v_sub_u32_e32 v2, v7, v0
	v_mul_lo_u32 v0, v2, s24
	v_mul_lo_u32 v2, v2, s25
	s_cbranch_vccnz .LBB85_98
; %bb.97:
	v_mul_hi_u32 v3, s46, v1
	v_add_u32_e32 v3, v1, v3
	v_lshrrev_b32_e32 v3, s47, v3
	v_mul_lo_u32 v3, v3, s31
	v_sub_u32_e32 v3, v1, v3
	v_mad_u64_u32 v[0:1], s[8:9], v3, s26, v[0:1]
	v_mad_u64_u32 v[2:3], s[8:9], v3, s27, v[2:3]
.LBB85_98:
	s_waitcnt lgkmcnt(0)
	global_load_dwordx2 v[1:2], v2, s[2:3]
	v_mov_b32_e32 v3, s7
	v_mov_b32_e32 v4, s45
	;; [unrolled: 1-line block ×4, first 2 shown]
	v_add_u32_e32 v7, 0x80, v7
	s_waitcnt vmcnt(0)
	v_cmp_lt_i64_e32 vcc, s[4:5], v[1:2]
	v_cndmask_b32_e32 v2, v3, v4, vcc
	v_cndmask_b32_e32 v1, v5, v6, vcc
	global_store_dwordx2 v0, v[1:2], s[0:1]
	s_or_b64 exec, exec, s[54:55]
	v_cmp_gt_i32_e32 vcc, s61, v7
	s_and_saveexec_b64 s[54:55], vcc
	s_cbranch_execnz .LBB85_84
.LBB85_99:
	s_or_b64 exec, exec, s[54:55]
	v_cmp_gt_i32_e32 vcc, s61, v7
	s_and_saveexec_b64 s[54:55], vcc
	s_cbranch_execnz .LBB85_110
.LBB85_100:
	s_or_b64 exec, exec, s[54:55]
                                        ; implicit-def: $vgpr13
                                        ; implicit-def: $vgpr7
	s_waitcnt lgkmcnt(0)
	s_andn2_saveexec_b64 s[0:1], s[42:43]
	s_cbranch_execnz .LBB85_8
.LBB85_101:
	s_endpgm
.LBB85_102:
	s_mov_b32 s63, 0
	v_mov_b32_e32 v0, 0
	v_mov_b32_e32 v2, 0
	;; [unrolled: 1-line block ×3, first 2 shown]
.LBB85_103:
	s_and_b32 s12, s64, 3
	s_cmp_eq_u32 s12, 0
	s_cbranch_scc1 .LBB85_106
; %bb.104:
	s_lshl_b32 s8, s63, 3
	s_add_u32 s8, s34, s8
	s_addc_u32 s9, s35, 0
	s_add_u32 s8, s8, 0xc4
	s_addc_u32 s9, s9, 0
	s_mul_i32 s10, s63, 12
	s_add_u32 s10, s34, s10
	s_addc_u32 s11, s35, 0
.LBB85_105:                             ; =>This Inner Loop Header: Depth=1
	s_load_dwordx2 s[14:15], s[10:11], 0x4
	s_load_dword s13, s[10:11], 0xc
	s_load_dwordx2 s[16:17], s[8:9], 0x0
	s_add_u32 s10, s10, 12
	s_addc_u32 s11, s11, 0
	s_waitcnt lgkmcnt(0)
	v_mul_hi_u32 v3, s15, v1
	s_add_u32 s8, s8, 8
	s_addc_u32 s9, s9, 0
	s_add_i32 s12, s12, -1
	v_add_u32_e32 v3, v1, v3
	v_lshrrev_b32_e32 v4, s13, v3
	v_mul_lo_u32 v3, v4, s14
	s_cmp_lg_u32 s12, 0
	v_sub_u32_e32 v3, v1, v3
	v_mad_u64_u32 v[0:1], s[14:15], v3, s16, v[0:1]
	v_mad_u64_u32 v[2:3], s[14:15], v3, s17, v[2:3]
	v_mov_b32_e32 v1, v4
	s_cbranch_scc1 .LBB85_105
.LBB85_106:
	s_cbranch_execnz .LBB85_109
.LBB85_107:
	s_waitcnt lgkmcnt(0)
	v_mul_hi_u32 v0, s29, v7
	s_andn2_b64 vcc, exec, s[48:49]
	v_add_u32_e32 v0, v7, v0
	v_lshrrev_b32_e32 v1, s30, v0
	v_mul_lo_u32 v0, v1, s28
	v_sub_u32_e32 v2, v7, v0
	v_mul_lo_u32 v0, v2, s24
	v_mul_lo_u32 v2, v2, s25
	s_cbranch_vccnz .LBB85_109
; %bb.108:
	v_mul_hi_u32 v3, s46, v1
	v_add_u32_e32 v3, v1, v3
	v_lshrrev_b32_e32 v3, s47, v3
	v_mul_lo_u32 v3, v3, s31
	v_sub_u32_e32 v3, v1, v3
	v_mad_u64_u32 v[0:1], s[8:9], v3, s26, v[0:1]
	v_mad_u64_u32 v[2:3], s[8:9], v3, s27, v[2:3]
.LBB85_109:
	s_waitcnt lgkmcnt(0)
	global_load_dwordx2 v[1:2], v2, s[2:3]
	v_mov_b32_e32 v3, s7
	v_mov_b32_e32 v4, s45
	;; [unrolled: 1-line block ×4, first 2 shown]
	v_add_u32_e32 v7, 0x80, v7
	s_waitcnt vmcnt(0)
	v_cmp_lt_i64_e32 vcc, s[4:5], v[1:2]
	v_cndmask_b32_e32 v2, v3, v4, vcc
	v_cndmask_b32_e32 v1, v5, v6, vcc
	global_store_dwordx2 v0, v[1:2], s[0:1]
	s_or_b64 exec, exec, s[54:55]
	v_cmp_gt_i32_e32 vcc, s61, v7
	s_and_saveexec_b64 s[54:55], vcc
	s_cbranch_execz .LBB85_100
.LBB85_110:
	s_andn2_b64 vcc, exec, s[40:41]
	s_cbranch_vccnz .LBB85_115
; %bb.111:
	s_andn2_b64 vcc, exec, s[52:53]
	s_cbranch_vccnz .LBB85_116
; %bb.112:
	s_add_i32 s62, s62, 1
	s_cmp_eq_u32 s60, 2
	s_cbranch_scc1 .LBB85_117
; %bb.113:
	s_and_b32 s56, s62, 28
	v_mov_b32_e32 v2, 0
	s_mov_b32 s57, 0
	s_mov_b64 s[52:53], s[34:35]
	v_mov_b32_e32 v0, 0
	v_mov_b32_e32 v1, v7
.LBB85_114:                             ; =>This Inner Loop Header: Depth=1
	s_load_dwordx8 s[16:23], s[52:53], 0x4
	s_load_dwordx4 s[36:39], s[52:53], 0x24
	s_load_dwordx8 s[8:15], s[50:51], 0x0
	s_add_u32 s52, s52, 48
	s_addc_u32 s53, s53, 0
	s_waitcnt lgkmcnt(0)
	v_mul_hi_u32 v3, s17, v1
	s_add_i32 s57, s57, 4
	s_add_u32 s50, s50, 32
	s_addc_u32 s51, s51, 0
	v_add_u32_e32 v3, v1, v3
	v_lshrrev_b32_e32 v3, s18, v3
	v_mul_lo_u32 v4, v3, s16
	v_mul_hi_u32 v5, s20, v3
	s_cmp_eq_u32 s56, s57
	v_sub_u32_e32 v1, v1, v4
	v_add_u32_e32 v4, v3, v5
	v_mul_lo_u32 v5, v1, s8
	v_mul_lo_u32 v6, v1, s9
	v_lshrrev_b32_e32 v1, s21, v4
	v_mul_lo_u32 v4, v1, s19
	v_mul_hi_u32 v8, s23, v1
	v_sub_u32_e32 v3, v3, v4
	v_add_u32_e32 v4, v1, v8
	v_lshrrev_b32_e32 v4, s36, v4
	v_mul_hi_u32 v9, s38, v4
	v_mul_lo_u32 v10, v4, s22
	v_mul_lo_u32 v8, v3, s10
	v_mul_lo_u32 v3, v3, s11
	v_sub_u32_e32 v10, v1, v10
	v_add_u32_e32 v1, v4, v9
	v_lshrrev_b32_e32 v1, s39, v1
	v_mul_lo_u32 v9, v1, s37
	v_mul_lo_u32 v11, v10, s12
	;; [unrolled: 1-line block ×3, first 2 shown]
	v_add3_u32 v0, v5, v0, v8
	v_sub_u32_e32 v4, v4, v9
	v_mul_lo_u32 v9, v4, s14
	v_mul_lo_u32 v4, v4, s15
	v_add3_u32 v2, v6, v2, v3
	v_add3_u32 v0, v11, v0, v9
	;; [unrolled: 1-line block ×3, first 2 shown]
	s_cbranch_scc0 .LBB85_114
	s_branch .LBB85_118
.LBB85_115:
                                        ; implicit-def: $vgpr0
                                        ; implicit-def: $vgpr2
	s_branch .LBB85_122
.LBB85_116:
	v_mov_b32_e32 v0, 0
	v_mov_b32_e32 v2, 0
	s_branch .LBB85_121
.LBB85_117:
	s_mov_b32 s56, 0
	v_mov_b32_e32 v0, 0
	v_mov_b32_e32 v2, 0
	;; [unrolled: 1-line block ×3, first 2 shown]
.LBB85_118:
	s_and_b32 s12, s62, 3
	s_cmp_eq_u32 s12, 0
	s_cbranch_scc1 .LBB85_121
; %bb.119:
	s_lshl_b32 s8, s56, 3
	s_add_u32 s8, s34, s8
	s_addc_u32 s9, s35, 0
	s_add_u32 s8, s8, 0xc4
	s_addc_u32 s9, s9, 0
	s_mul_i32 s10, s56, 12
	s_add_u32 s10, s34, s10
	s_addc_u32 s11, s35, 0
.LBB85_120:                             ; =>This Inner Loop Header: Depth=1
	s_load_dwordx2 s[14:15], s[10:11], 0x4
	s_load_dword s13, s[10:11], 0xc
	s_load_dwordx2 s[16:17], s[8:9], 0x0
	s_add_u32 s10, s10, 12
	s_addc_u32 s11, s11, 0
	s_waitcnt lgkmcnt(0)
	v_mul_hi_u32 v3, s15, v1
	s_add_u32 s8, s8, 8
	s_addc_u32 s9, s9, 0
	s_add_i32 s12, s12, -1
	v_add_u32_e32 v3, v1, v3
	v_lshrrev_b32_e32 v4, s13, v3
	v_mul_lo_u32 v3, v4, s14
	s_cmp_lg_u32 s12, 0
	v_sub_u32_e32 v3, v1, v3
	v_mad_u64_u32 v[0:1], s[14:15], v3, s16, v[0:1]
	v_mad_u64_u32 v[2:3], s[14:15], v3, s17, v[2:3]
	v_mov_b32_e32 v1, v4
	s_cbranch_scc1 .LBB85_120
.LBB85_121:
	s_cbranch_execnz .LBB85_124
.LBB85_122:
	s_waitcnt lgkmcnt(0)
	v_mul_hi_u32 v0, s29, v7
	s_andn2_b64 vcc, exec, s[48:49]
	v_add_u32_e32 v0, v7, v0
	v_lshrrev_b32_e32 v1, s30, v0
	v_mul_lo_u32 v0, v1, s28
	v_sub_u32_e32 v2, v7, v0
	v_mul_lo_u32 v0, v2, s24
	v_mul_lo_u32 v2, v2, s25
	s_cbranch_vccnz .LBB85_124
; %bb.123:
	v_mul_hi_u32 v3, s46, v1
	v_add_u32_e32 v3, v1, v3
	v_lshrrev_b32_e32 v3, s47, v3
	v_mul_lo_u32 v3, v3, s31
	v_sub_u32_e32 v3, v1, v3
	v_mad_u64_u32 v[0:1], s[8:9], v3, s26, v[0:1]
	v_mad_u64_u32 v[2:3], s[8:9], v3, s27, v[2:3]
.LBB85_124:
	s_waitcnt lgkmcnt(0)
	global_load_dwordx2 v[1:2], v2, s[2:3]
	v_mov_b32_e32 v3, s7
	v_mov_b32_e32 v4, s45
	s_waitcnt vmcnt(0)
	v_cmp_lt_i64_e32 vcc, s[4:5], v[1:2]
	v_mov_b32_e32 v1, s6
	v_cndmask_b32_e32 v2, v3, v4, vcc
	v_mov_b32_e32 v3, s44
	v_cndmask_b32_e32 v1, v1, v3, vcc
	global_store_dwordx2 v0, v[1:2], s[0:1]
	s_or_b64 exec, exec, s[54:55]
                                        ; implicit-def: $vgpr13
                                        ; implicit-def: $vgpr7
	s_andn2_saveexec_b64 s[0:1], s[42:43]
	s_cbranch_execz .LBB85_101
	s_branch .LBB85_8
	.section	.rodata,"a",@progbits
	.p2align	6, 0x0
	.amdhsa_kernel _ZN2at6native32elementwise_kernel_manual_unrollILi128ELi4EZNS0_22gpu_kernel_impl_nocastINS0_13BUnaryFunctorIlllZNS0_12_GLOBAL__N_121threshold_kernel_implIlEEvRNS_18TensorIteratorBaseET_S8_EUlllE_EEEEvS7_RKS8_EUlibE_EEviT1_
		.amdhsa_group_segment_fixed_size 0
		.amdhsa_private_segment_fixed_size 0
		.amdhsa_kernarg_size 376
		.amdhsa_user_sgpr_count 6
		.amdhsa_user_sgpr_private_segment_buffer 1
		.amdhsa_user_sgpr_dispatch_ptr 0
		.amdhsa_user_sgpr_queue_ptr 0
		.amdhsa_user_sgpr_kernarg_segment_ptr 1
		.amdhsa_user_sgpr_dispatch_id 0
		.amdhsa_user_sgpr_flat_scratch_init 0
		.amdhsa_user_sgpr_private_segment_size 0
		.amdhsa_uses_dynamic_stack 0
		.amdhsa_system_sgpr_private_segment_wavefront_offset 0
		.amdhsa_system_sgpr_workgroup_id_x 1
		.amdhsa_system_sgpr_workgroup_id_y 0
		.amdhsa_system_sgpr_workgroup_id_z 0
		.amdhsa_system_sgpr_workgroup_info 0
		.amdhsa_system_vgpr_workitem_id 0
		.amdhsa_next_free_vgpr 21
		.amdhsa_next_free_sgpr 66
		.amdhsa_reserve_vcc 1
		.amdhsa_reserve_flat_scratch 0
		.amdhsa_float_round_mode_32 0
		.amdhsa_float_round_mode_16_64 0
		.amdhsa_float_denorm_mode_32 3
		.amdhsa_float_denorm_mode_16_64 3
		.amdhsa_dx10_clamp 1
		.amdhsa_ieee_mode 1
		.amdhsa_fp16_overflow 0
		.amdhsa_exception_fp_ieee_invalid_op 0
		.amdhsa_exception_fp_denorm_src 0
		.amdhsa_exception_fp_ieee_div_zero 0
		.amdhsa_exception_fp_ieee_overflow 0
		.amdhsa_exception_fp_ieee_underflow 0
		.amdhsa_exception_fp_ieee_inexact 0
		.amdhsa_exception_int_div_zero 0
	.end_amdhsa_kernel
	.section	.text._ZN2at6native32elementwise_kernel_manual_unrollILi128ELi4EZNS0_22gpu_kernel_impl_nocastINS0_13BUnaryFunctorIlllZNS0_12_GLOBAL__N_121threshold_kernel_implIlEEvRNS_18TensorIteratorBaseET_S8_EUlllE_EEEEvS7_RKS8_EUlibE_EEviT1_,"axG",@progbits,_ZN2at6native32elementwise_kernel_manual_unrollILi128ELi4EZNS0_22gpu_kernel_impl_nocastINS0_13BUnaryFunctorIlllZNS0_12_GLOBAL__N_121threshold_kernel_implIlEEvRNS_18TensorIteratorBaseET_S8_EUlllE_EEEEvS7_RKS8_EUlibE_EEviT1_,comdat
.Lfunc_end85:
	.size	_ZN2at6native32elementwise_kernel_manual_unrollILi128ELi4EZNS0_22gpu_kernel_impl_nocastINS0_13BUnaryFunctorIlllZNS0_12_GLOBAL__N_121threshold_kernel_implIlEEvRNS_18TensorIteratorBaseET_S8_EUlllE_EEEEvS7_RKS8_EUlibE_EEviT1_, .Lfunc_end85-_ZN2at6native32elementwise_kernel_manual_unrollILi128ELi4EZNS0_22gpu_kernel_impl_nocastINS0_13BUnaryFunctorIlllZNS0_12_GLOBAL__N_121threshold_kernel_implIlEEvRNS_18TensorIteratorBaseET_S8_EUlllE_EEEEvS7_RKS8_EUlibE_EEviT1_
                                        ; -- End function
	.set _ZN2at6native32elementwise_kernel_manual_unrollILi128ELi4EZNS0_22gpu_kernel_impl_nocastINS0_13BUnaryFunctorIlllZNS0_12_GLOBAL__N_121threshold_kernel_implIlEEvRNS_18TensorIteratorBaseET_S8_EUlllE_EEEEvS7_RKS8_EUlibE_EEviT1_.num_vgpr, 21
	.set _ZN2at6native32elementwise_kernel_manual_unrollILi128ELi4EZNS0_22gpu_kernel_impl_nocastINS0_13BUnaryFunctorIlllZNS0_12_GLOBAL__N_121threshold_kernel_implIlEEvRNS_18TensorIteratorBaseET_S8_EUlllE_EEEEvS7_RKS8_EUlibE_EEviT1_.num_agpr, 0
	.set _ZN2at6native32elementwise_kernel_manual_unrollILi128ELi4EZNS0_22gpu_kernel_impl_nocastINS0_13BUnaryFunctorIlllZNS0_12_GLOBAL__N_121threshold_kernel_implIlEEvRNS_18TensorIteratorBaseET_S8_EUlllE_EEEEvS7_RKS8_EUlibE_EEviT1_.numbered_sgpr, 66
	.set _ZN2at6native32elementwise_kernel_manual_unrollILi128ELi4EZNS0_22gpu_kernel_impl_nocastINS0_13BUnaryFunctorIlllZNS0_12_GLOBAL__N_121threshold_kernel_implIlEEvRNS_18TensorIteratorBaseET_S8_EUlllE_EEEEvS7_RKS8_EUlibE_EEviT1_.num_named_barrier, 0
	.set _ZN2at6native32elementwise_kernel_manual_unrollILi128ELi4EZNS0_22gpu_kernel_impl_nocastINS0_13BUnaryFunctorIlllZNS0_12_GLOBAL__N_121threshold_kernel_implIlEEvRNS_18TensorIteratorBaseET_S8_EUlllE_EEEEvS7_RKS8_EUlibE_EEviT1_.private_seg_size, 0
	.set _ZN2at6native32elementwise_kernel_manual_unrollILi128ELi4EZNS0_22gpu_kernel_impl_nocastINS0_13BUnaryFunctorIlllZNS0_12_GLOBAL__N_121threshold_kernel_implIlEEvRNS_18TensorIteratorBaseET_S8_EUlllE_EEEEvS7_RKS8_EUlibE_EEviT1_.uses_vcc, 1
	.set _ZN2at6native32elementwise_kernel_manual_unrollILi128ELi4EZNS0_22gpu_kernel_impl_nocastINS0_13BUnaryFunctorIlllZNS0_12_GLOBAL__N_121threshold_kernel_implIlEEvRNS_18TensorIteratorBaseET_S8_EUlllE_EEEEvS7_RKS8_EUlibE_EEviT1_.uses_flat_scratch, 0
	.set _ZN2at6native32elementwise_kernel_manual_unrollILi128ELi4EZNS0_22gpu_kernel_impl_nocastINS0_13BUnaryFunctorIlllZNS0_12_GLOBAL__N_121threshold_kernel_implIlEEvRNS_18TensorIteratorBaseET_S8_EUlllE_EEEEvS7_RKS8_EUlibE_EEviT1_.has_dyn_sized_stack, 0
	.set _ZN2at6native32elementwise_kernel_manual_unrollILi128ELi4EZNS0_22gpu_kernel_impl_nocastINS0_13BUnaryFunctorIlllZNS0_12_GLOBAL__N_121threshold_kernel_implIlEEvRNS_18TensorIteratorBaseET_S8_EUlllE_EEEEvS7_RKS8_EUlibE_EEviT1_.has_recursion, 0
	.set _ZN2at6native32elementwise_kernel_manual_unrollILi128ELi4EZNS0_22gpu_kernel_impl_nocastINS0_13BUnaryFunctorIlllZNS0_12_GLOBAL__N_121threshold_kernel_implIlEEvRNS_18TensorIteratorBaseET_S8_EUlllE_EEEEvS7_RKS8_EUlibE_EEviT1_.has_indirect_call, 0
	.section	.AMDGPU.csdata,"",@progbits
; Kernel info:
; codeLenInByte = 5896
; TotalNumSgprs: 70
; NumVgprs: 21
; ScratchSize: 0
; MemoryBound: 0
; FloatMode: 240
; IeeeMode: 1
; LDSByteSize: 0 bytes/workgroup (compile time only)
; SGPRBlocks: 8
; VGPRBlocks: 5
; NumSGPRsForWavesPerEU: 70
; NumVGPRsForWavesPerEU: 21
; Occupancy: 10
; WaveLimiterHint : 1
; COMPUTE_PGM_RSRC2:SCRATCH_EN: 0
; COMPUTE_PGM_RSRC2:USER_SGPR: 6
; COMPUTE_PGM_RSRC2:TRAP_HANDLER: 0
; COMPUTE_PGM_RSRC2:TGID_X_EN: 1
; COMPUTE_PGM_RSRC2:TGID_Y_EN: 0
; COMPUTE_PGM_RSRC2:TGID_Z_EN: 0
; COMPUTE_PGM_RSRC2:TIDIG_COMP_CNT: 0
	.section	.text._ZN2at6native32elementwise_kernel_manual_unrollILi128ELi4EZNS0_15gpu_kernel_implINS0_13BUnaryFunctorIlllZNS0_12_GLOBAL__N_121threshold_kernel_implIlEEvRNS_18TensorIteratorBaseET_S8_EUlllE_EEEEvS7_RKS8_EUlibE_EEviT1_,"axG",@progbits,_ZN2at6native32elementwise_kernel_manual_unrollILi128ELi4EZNS0_15gpu_kernel_implINS0_13BUnaryFunctorIlllZNS0_12_GLOBAL__N_121threshold_kernel_implIlEEvRNS_18TensorIteratorBaseET_S8_EUlllE_EEEEvS7_RKS8_EUlibE_EEviT1_,comdat
	.globl	_ZN2at6native32elementwise_kernel_manual_unrollILi128ELi4EZNS0_15gpu_kernel_implINS0_13BUnaryFunctorIlllZNS0_12_GLOBAL__N_121threshold_kernel_implIlEEvRNS_18TensorIteratorBaseET_S8_EUlllE_EEEEvS7_RKS8_EUlibE_EEviT1_ ; -- Begin function _ZN2at6native32elementwise_kernel_manual_unrollILi128ELi4EZNS0_15gpu_kernel_implINS0_13BUnaryFunctorIlllZNS0_12_GLOBAL__N_121threshold_kernel_implIlEEvRNS_18TensorIteratorBaseET_S8_EUlllE_EEEEvS7_RKS8_EUlibE_EEviT1_
	.p2align	8
	.type	_ZN2at6native32elementwise_kernel_manual_unrollILi128ELi4EZNS0_15gpu_kernel_implINS0_13BUnaryFunctorIlllZNS0_12_GLOBAL__N_121threshold_kernel_implIlEEvRNS_18TensorIteratorBaseET_S8_EUlllE_EEEEvS7_RKS8_EUlibE_EEviT1_,@function
_ZN2at6native32elementwise_kernel_manual_unrollILi128ELi4EZNS0_15gpu_kernel_implINS0_13BUnaryFunctorIlllZNS0_12_GLOBAL__N_121threshold_kernel_implIlEEvRNS_18TensorIteratorBaseET_S8_EUlllE_EEEEvS7_RKS8_EUlibE_EEviT1_: ; @_ZN2at6native32elementwise_kernel_manual_unrollILi128ELi4EZNS0_15gpu_kernel_implINS0_13BUnaryFunctorIlllZNS0_12_GLOBAL__N_121threshold_kernel_implIlEEvRNS_18TensorIteratorBaseET_S8_EUlllE_EEEEvS7_RKS8_EUlibE_EEviT1_
; %bb.0:
	s_load_dwordx2 s[2:3], s[4:5], 0x30
	s_load_dword s33, s[4:5], 0x38
	s_load_dword s44, s[4:5], 0x0
	s_load_dwordx4 s[8:11], s[4:5], 0x8
	s_load_dwordx2 s[16:17], s[4:5], 0x18
	s_load_dwordx4 s[12:15], s[4:5], 0x20
	v_lshl_or_b32 v10, s6, 9, v0
	v_or_b32_e32 v0, 0x180, v10
	s_waitcnt lgkmcnt(0)
	s_bfe_u32 s48, s33, 0x80008
	v_cmp_le_i32_e32 vcc, s44, v0
	s_mov_b64 s[4:5], 0
	s_mov_b64 s[18:19], 0
	s_and_saveexec_b64 s[0:1], vcc
	s_xor_b64 s[6:7], exec, s[0:1]
	s_cbranch_execz .LBB86_1011
; %bb.1:
	v_cmp_gt_i32_e32 vcc, s44, v10
	s_mov_b64 s[24:25], -1
	s_mov_b64 s[26:27], 0
	s_mov_b64 s[20:21], 0
	s_and_saveexec_b64 s[22:23], vcc
	s_cbranch_execz .LBB86_248
; %bb.2:
	v_mul_lo_u32 v0, v10, s17
	v_mov_b32_e32 v1, s11
	s_and_b32 s24, 0xffff, s48
	s_cmp_lt_i32 s24, 11
	v_ashrrev_i32_e32 v2, 31, v0
	v_add_co_u32_e32 v0, vcc, s10, v0
	v_addc_co_u32_e32 v1, vcc, v1, v2, vcc
	s_cbranch_scc1 .LBB86_9
; %bb.3:
	s_cmp_gt_i32 s24, 25
	s_cbranch_scc0 .LBB86_18
; %bb.4:
	s_cmp_gt_i32 s24, 28
	s_cbranch_scc0 .LBB86_22
	;; [unrolled: 3-line block ×4, first 2 shown]
; %bb.7:
	s_cmp_eq_u32 s24, 46
	s_cbranch_scc0 .LBB86_28
; %bb.8:
	global_load_dword v2, v[0:1], off
	s_mov_b32 s0, 0x2f800000
	s_mov_b32 s1, 0xcf800000
	s_waitcnt vmcnt(0)
	v_lshlrev_b32_e32 v2, 16, v2
	v_trunc_f32_e32 v2, v2
	v_mul_f32_e64 v3, |v2|, s0
	v_floor_f32_e32 v3, v3
	v_fma_f32 v4, v3, s1, |v2|
	v_cvt_u32_f32_e32 v4, v4
	v_cvt_u32_f32_e32 v3, v3
	v_ashrrev_i32_e32 v5, 31, v2
	s_mov_b64 s[0:1], -1
	v_xor_b32_e32 v2, v4, v5
	v_xor_b32_e32 v3, v3, v5
	v_sub_co_u32_e32 v2, vcc, v2, v5
	v_subb_co_u32_e32 v3, vcc, v3, v5, vcc
	s_branch .LBB86_30
.LBB86_9:
                                        ; implicit-def: $vgpr2_vgpr3
	s_mov_b64 s[0:1], 0
	s_cbranch_execnz .LBB86_199
.LBB86_10:
	s_andn2_b64 vcc, exec, s[0:1]
	s_cbranch_vccnz .LBB86_246
.LBB86_11:
	s_waitcnt vmcnt(0)
	v_cmp_lt_i64_e32 vcc, s[12:13], v[2:3]
	v_mul_lo_u32 v2, v10, s16
	v_mov_b32_e32 v0, s15
	v_mov_b32_e32 v1, s3
	v_cndmask_b32_e32 v1, v0, v1, vcc
	v_mov_b32_e32 v0, s14
	v_mov_b32_e32 v3, s2
	v_cndmask_b32_e32 v0, v0, v3, vcc
	v_ashrrev_i32_e32 v3, 31, v2
	v_mov_b32_e32 v4, s9
	s_and_b32 s30, s33, 0xff
	v_add_co_u32_e32 v2, vcc, s8, v2
	s_cmp_lt_i32 s30, 11
	v_addc_co_u32_e32 v3, vcc, v4, v3, vcc
	s_cbranch_scc1 .LBB86_19
; %bb.12:
	s_and_b32 s31, 0xffff, s30
	s_cmp_gt_i32 s31, 25
	s_cbranch_scc0 .LBB86_23
; %bb.13:
	s_cmp_gt_i32 s31, 28
	s_cbranch_scc0 .LBB86_25
; %bb.14:
	;; [unrolled: 3-line block ×4, first 2 shown]
	s_mov_b64 s[24:25], 0
	s_mov_b64 s[0:1], -1
	s_cmp_eq_u32 s31, 46
	s_mov_b64 s[18:19], 0
	s_cbranch_scc0 .LBB86_34
; %bb.17:
	v_xor_b32_e32 v5, v0, v1
	v_ffbh_i32_e32 v4, v1
	v_ashrrev_i32_e32 v5, 31, v5
	v_add_u32_e32 v4, -1, v4
	v_add_u32_e32 v5, 32, v5
	v_min_u32_e32 v6, v4, v5
	v_lshlrev_b64 v[4:5], v6, v[0:1]
	s_movk_i32 s0, 0x7fff
	v_min_u32_e32 v4, 1, v4
	v_or_b32_e32 v4, v5, v4
	v_cvt_f32_i32_e32 v4, v4
	v_sub_u32_e32 v5, 32, v6
	s_mov_b64 s[18:19], -1
	v_ldexp_f32 v4, v4, v5
	v_bfe_u32 v5, v4, 16, 1
	v_add3_u32 v4, v4, v5, s0
	v_lshrrev_b32_e32 v4, 16, v4
	global_store_dword v[2:3], v4, off
	s_mov_b64 s[0:1], 0
	s_branch .LBB86_34
.LBB86_18:
	s_mov_b64 s[0:1], 0
                                        ; implicit-def: $vgpr2_vgpr3
	s_cbranch_execnz .LBB86_168
	s_branch .LBB86_198
.LBB86_19:
	s_mov_b64 s[0:1], 0
	s_mov_b64 s[18:19], 0
	s_cbranch_execnz .LBB86_103
.LBB86_20:
	s_andn2_b64 vcc, exec, s[18:19]
	s_cbranch_vccnz .LBB86_141
.LBB86_21:
	v_add_u32_e32 v10, 0x80, v10
	s_mov_b64 s[24:25], -1
	s_branch .LBB86_247
.LBB86_22:
	s_mov_b64 s[18:19], -1
	s_mov_b64 s[0:1], 0
                                        ; implicit-def: $vgpr2_vgpr3
	s_branch .LBB86_149
.LBB86_23:
	s_mov_b64 s[24:25], -1
	s_mov_b64 s[0:1], 0
	s_mov_b64 s[18:19], 0
	s_branch .LBB86_61
.LBB86_24:
	s_mov_b64 s[18:19], -1
	s_mov_b64 s[0:1], 0
                                        ; implicit-def: $vgpr2_vgpr3
	s_branch .LBB86_144
.LBB86_25:
	s_mov_b64 s[24:25], -1
	s_mov_b64 s[0:1], 0
	s_mov_b64 s[18:19], 0
	s_branch .LBB86_44
.LBB86_26:
	s_mov_b64 s[18:19], -1
	s_branch .LBB86_29
.LBB86_27:
	s_mov_b64 s[24:25], -1
	s_mov_b64 s[0:1], 0
	s_mov_b64 s[18:19], 0
	s_branch .LBB86_40
.LBB86_28:
	s_mov_b64 s[20:21], -1
.LBB86_29:
	s_mov_b64 s[0:1], 0
                                        ; implicit-def: $vgpr2_vgpr3
.LBB86_30:
	s_and_b64 vcc, exec, s[18:19]
	s_cbranch_vccz .LBB86_143
; %bb.31:
	s_cmp_eq_u32 s24, 44
	s_cbranch_scc0 .LBB86_142
; %bb.32:
	global_load_ubyte v2, v[0:1], off
	s_mov_b32 s0, 0x2f800000
	s_mov_b32 s1, 0xcf800000
	s_mov_b64 s[20:21], 0
	s_waitcnt vmcnt(0)
	v_lshlrev_b32_e32 v3, 23, v2
	v_trunc_f32_e32 v3, v3
	v_mul_f32_e64 v4, |v3|, s0
	v_floor_f32_e32 v4, v4
	v_fma_f32 v5, v4, s1, |v3|
	v_cvt_u32_f32_e32 v5, v5
	v_cvt_u32_f32_e32 v4, v4
	v_ashrrev_i32_e32 v3, 31, v3
	s_mov_b64 s[0:1], -1
	v_xor_b32_e32 v5, v5, v3
	v_xor_b32_e32 v4, v4, v3
	v_sub_co_u32_e32 v5, vcc, v5, v3
	v_subb_co_u32_e32 v3, vcc, v4, v3, vcc
	v_cmp_ne_u32_e32 vcc, 0, v2
	v_cndmask_b32_e32 v3, 0, v3, vcc
	v_cndmask_b32_e32 v2, 0, v5, vcc
	s_branch .LBB86_143
.LBB86_33:
	s_mov_b64 s[24:25], -1
	s_mov_b64 s[0:1], 0
	s_mov_b64 s[18:19], 0
.LBB86_34:
	s_and_b64 vcc, exec, s[24:25]
	s_cbranch_vccz .LBB86_39
; %bb.35:
	s_cmp_eq_u32 s31, 44
	s_mov_b64 s[0:1], -1
	s_cbranch_scc0 .LBB86_39
; %bb.36:
	v_xor_b32_e32 v5, v0, v1
	v_ffbh_i32_e32 v4, v1
	v_ashrrev_i32_e32 v5, 31, v5
	v_add_u32_e32 v4, -1, v4
	v_add_u32_e32 v5, 32, v5
	v_min_u32_e32 v6, v4, v5
	v_lshlrev_b64 v[4:5], v6, v[0:1]
	s_movk_i32 s0, 0xff
	v_min_u32_e32 v4, 1, v4
	v_or_b32_e32 v4, v5, v4
	v_cvt_f32_i32_e32 v4, v4
	v_sub_u32_e32 v5, 32, v6
	v_mov_b32_e32 v6, 0xff
	v_ldexp_f32 v4, v4, v5
	v_bfe_u32 v5, v4, 23, 8
	v_cmp_ne_u32_e32 vcc, s0, v5
	s_and_saveexec_b64 s[18:19], vcc
; %bb.37:
	s_mov_b32 s0, 0x3fffff
	v_lshrrev_b32_e32 v6, 23, v4
	v_and_b32_e32 v7, 0x400000, v4
	v_and_or_b32 v4, v4, s0, v5
	v_cmp_ne_u32_e32 vcc, 0, v7
	v_cmp_ne_u32_e64 s[0:1], 0, v4
	s_and_b64 s[0:1], vcc, s[0:1]
	v_cndmask_b32_e64 v4, 0, 1, s[0:1]
	v_add_u32_e32 v6, v6, v4
; %bb.38:
	s_or_b64 exec, exec, s[18:19]
	s_mov_b64 s[18:19], -1
	s_mov_b64 s[0:1], 0
	global_store_byte v[2:3], v6, off
.LBB86_39:
	s_mov_b64 s[24:25], 0
.LBB86_40:
	s_and_b64 vcc, exec, s[24:25]
	s_cbranch_vccz .LBB86_43
; %bb.41:
	s_cmp_eq_u32 s31, 29
	s_mov_b64 s[0:1], -1
	s_cbranch_scc0 .LBB86_43
; %bb.42:
	global_store_dwordx2 v[2:3], v[0:1], off
	s_mov_b64 s[18:19], -1
	s_mov_b64 s[0:1], 0
.LBB86_43:
	s_mov_b64 s[24:25], 0
.LBB86_44:
	s_and_b64 vcc, exec, s[24:25]
	s_cbranch_vccz .LBB86_60
; %bb.45:
	s_cmp_lt_i32 s31, 27
	s_mov_b64 s[18:19], -1
	s_cbranch_scc1 .LBB86_51
; %bb.46:
	s_cmp_gt_i32 s31, 27
	s_cbranch_scc0 .LBB86_48
; %bb.47:
	s_mov_b64 s[18:19], 0
	global_store_dword v[2:3], v0, off
.LBB86_48:
	s_andn2_b64 vcc, exec, s[18:19]
	s_cbranch_vccnz .LBB86_50
; %bb.49:
	global_store_short v[2:3], v0, off
.LBB86_50:
	s_mov_b64 s[18:19], 0
.LBB86_51:
	s_andn2_b64 vcc, exec, s[18:19]
	s_cbranch_vccnz .LBB86_59
; %bb.52:
	v_xor_b32_e32 v5, v0, v1
	v_ffbh_i32_e32 v4, v1
	v_ashrrev_i32_e32 v5, 31, v5
	v_add_u32_e32 v4, -1, v4
	v_add_u32_e32 v5, 32, v5
	v_min_u32_e32 v6, v4, v5
	v_lshlrev_b64 v[4:5], v6, v[0:1]
	s_mov_b32 s18, 0x43800000
	v_min_u32_e32 v4, 1, v4
	v_or_b32_e32 v4, v5, v4
	v_cvt_f32_i32_e32 v4, v4
	v_sub_u32_e32 v5, 32, v6
	v_mov_b32_e32 v6, 0x80
	v_ldexp_f32 v4, v4, v5
	v_and_b32_e32 v5, 0x7fffffff, v4
	v_cmp_gt_u32_e32 vcc, s18, v5
	s_and_saveexec_b64 s[18:19], vcc
	s_cbranch_execz .LBB86_58
; %bb.53:
	s_mov_b32 s24, 0x3bffffff
	v_cmp_lt_u32_e32 vcc, s24, v5
	s_mov_b64 s[24:25], 0
                                        ; implicit-def: $vgpr5
	s_and_saveexec_b64 s[28:29], vcc
	s_xor_b64 s[28:29], exec, s[28:29]
	s_cbranch_execz .LBB86_275
; %bb.54:
	v_bfe_u32 v5, v4, 20, 1
	s_mov_b32 s34, 0x487ffff
	v_add3_u32 v5, v4, v5, s34
	s_mov_b64 s[24:25], exec
	v_lshrrev_b32_e32 v5, 20, v5
	s_andn2_saveexec_b64 s[28:29], s[28:29]
	s_cbranch_execnz .LBB86_276
.LBB86_55:
	s_or_b64 exec, exec, s[28:29]
	v_mov_b32_e32 v6, 0
	s_and_saveexec_b64 s[28:29], s[24:25]
.LBB86_56:
	v_lshrrev_b32_e32 v4, 24, v4
	s_movk_i32 s24, 0x80
	v_and_or_b32 v6, v4, s24, v5
.LBB86_57:
	s_or_b64 exec, exec, s[28:29]
.LBB86_58:
	s_or_b64 exec, exec, s[18:19]
	global_store_byte v[2:3], v6, off
.LBB86_59:
	s_mov_b64 s[18:19], -1
.LBB86_60:
	s_mov_b64 s[24:25], 0
.LBB86_61:
	s_and_b64 vcc, exec, s[24:25]
	s_cbranch_vccz .LBB86_102
; %bb.62:
	s_cmp_gt_i32 s31, 22
	s_mov_b64 s[24:25], -1
	s_cbranch_scc0 .LBB86_94
; %bb.63:
	s_cmp_lt_i32 s31, 24
	s_mov_b64 s[18:19], -1
	s_cbranch_scc1 .LBB86_83
; %bb.64:
	s_cmp_gt_i32 s31, 24
	s_cbranch_scc0 .LBB86_72
; %bb.65:
	v_xor_b32_e32 v5, v0, v1
	v_ffbh_i32_e32 v4, v1
	v_ashrrev_i32_e32 v5, 31, v5
	v_add_u32_e32 v4, -1, v4
	v_add_u32_e32 v5, 32, v5
	v_min_u32_e32 v6, v4, v5
	v_lshlrev_b64 v[4:5], v6, v[0:1]
	s_mov_b32 s18, 0x47800000
	v_min_u32_e32 v4, 1, v4
	v_or_b32_e32 v4, v5, v4
	v_cvt_f32_i32_e32 v4, v4
	v_sub_u32_e32 v5, 32, v6
	v_mov_b32_e32 v6, 0x80
	v_ldexp_f32 v4, v4, v5
	v_and_b32_e32 v5, 0x7fffffff, v4
	v_cmp_gt_u32_e32 vcc, s18, v5
	s_and_saveexec_b64 s[18:19], vcc
	s_cbranch_execz .LBB86_71
; %bb.66:
	s_mov_b32 s24, 0x37ffffff
	v_cmp_lt_u32_e32 vcc, s24, v5
	s_mov_b64 s[24:25], 0
                                        ; implicit-def: $vgpr5
	s_and_saveexec_b64 s[28:29], vcc
	s_xor_b64 s[28:29], exec, s[28:29]
	s_cbranch_execz .LBB86_279
; %bb.67:
	v_bfe_u32 v5, v4, 21, 1
	s_mov_b32 s34, 0x88fffff
	v_add3_u32 v5, v4, v5, s34
	s_mov_b64 s[24:25], exec
	v_lshrrev_b32_e32 v5, 21, v5
	s_andn2_saveexec_b64 s[28:29], s[28:29]
	s_cbranch_execnz .LBB86_280
.LBB86_68:
	s_or_b64 exec, exec, s[28:29]
	v_mov_b32_e32 v6, 0
	s_and_saveexec_b64 s[28:29], s[24:25]
.LBB86_69:
	v_lshrrev_b32_e32 v4, 24, v4
	s_movk_i32 s24, 0x80
	v_and_or_b32 v6, v4, s24, v5
.LBB86_70:
	s_or_b64 exec, exec, s[28:29]
.LBB86_71:
	s_or_b64 exec, exec, s[18:19]
	s_mov_b64 s[18:19], 0
	global_store_byte v[2:3], v6, off
.LBB86_72:
	s_and_b64 vcc, exec, s[18:19]
	s_cbranch_vccz .LBB86_82
; %bb.73:
	v_xor_b32_e32 v5, v0, v1
	v_ffbh_i32_e32 v4, v1
	v_ashrrev_i32_e32 v5, 31, v5
	v_add_u32_e32 v4, -1, v4
	v_add_u32_e32 v5, 32, v5
	v_min_u32_e32 v6, v4, v5
	v_lshlrev_b64 v[4:5], v6, v[0:1]
	s_mov_b32 s18, 0x43f00000
	v_min_u32_e32 v4, 1, v4
	v_or_b32_e32 v4, v5, v4
	v_cvt_f32_i32_e32 v4, v4
	v_sub_u32_e32 v5, 32, v6
	v_ldexp_f32 v4, v4, v5
	v_and_b32_e32 v6, 0x7fffffff, v4
	v_cmp_gt_u32_e32 vcc, s18, v6
                                        ; implicit-def: $vgpr5
	s_and_saveexec_b64 s[18:19], vcc
	s_xor_b64 s[18:19], exec, s[18:19]
	s_cbranch_execz .LBB86_79
; %bb.74:
	s_mov_b32 s24, 0x3c7fffff
	v_cmp_lt_u32_e32 vcc, s24, v6
                                        ; implicit-def: $vgpr5
	s_and_saveexec_b64 s[24:25], vcc
	s_xor_b64 s[24:25], exec, s[24:25]
; %bb.75:
	v_bfe_u32 v5, v4, 20, 1
	s_mov_b32 s28, 0x407ffff
	v_add3_u32 v5, v4, v5, s28
	v_lshrrev_b32_e32 v6, 20, v5
	v_and_b32_e32 v5, 0xff00000, v5
	s_mov_b32 s28, 0x7f00000
	v_mov_b32_e32 v7, 0x7e
	v_cmp_ne_u32_e32 vcc, s28, v5
	v_cndmask_b32_e32 v5, v7, v6, vcc
; %bb.76:
	s_andn2_saveexec_b64 s[24:25], s[24:25]
; %bb.77:
	s_mov_b32 s28, 0x46800000
	v_add_f32_e64 v5, |v4|, s28
; %bb.78:
	s_or_b64 exec, exec, s[24:25]
                                        ; implicit-def: $vgpr6
.LBB86_79:
	s_andn2_saveexec_b64 s[18:19], s[18:19]
; %bb.80:
	s_mov_b32 s24, 0x7f800000
	v_mov_b32_e32 v5, 0x7e
	v_mov_b32_e32 v7, 0x7f
	v_cmp_lt_u32_e32 vcc, s24, v6
	v_cndmask_b32_e32 v5, v5, v7, vcc
; %bb.81:
	s_or_b64 exec, exec, s[18:19]
	v_lshrrev_b32_e32 v4, 24, v4
	s_movk_i32 s18, 0x80
	v_and_or_b32 v4, v4, s18, v5
	global_store_byte v[2:3], v4, off
.LBB86_82:
	s_mov_b64 s[18:19], 0
.LBB86_83:
	s_andn2_b64 vcc, exec, s[18:19]
	s_cbranch_vccnz .LBB86_93
; %bb.84:
	v_xor_b32_e32 v5, v0, v1
	v_ffbh_i32_e32 v4, v1
	v_ashrrev_i32_e32 v5, 31, v5
	v_add_u32_e32 v4, -1, v4
	v_add_u32_e32 v5, 32, v5
	v_min_u32_e32 v6, v4, v5
	v_lshlrev_b64 v[4:5], v6, v[0:1]
	s_mov_b32 s18, 0x47800000
	v_min_u32_e32 v4, 1, v4
	v_or_b32_e32 v4, v5, v4
	v_cvt_f32_i32_e32 v4, v4
	v_sub_u32_e32 v5, 32, v6
	v_ldexp_f32 v4, v4, v5
	v_and_b32_e32 v6, 0x7fffffff, v4
	v_cmp_gt_u32_e32 vcc, s18, v6
                                        ; implicit-def: $vgpr5
	s_and_saveexec_b64 s[18:19], vcc
	s_xor_b64 s[18:19], exec, s[18:19]
	s_cbranch_execz .LBB86_90
; %bb.85:
	s_mov_b32 s24, 0x387fffff
	v_cmp_lt_u32_e32 vcc, s24, v6
                                        ; implicit-def: $vgpr5
	s_and_saveexec_b64 s[24:25], vcc
	s_xor_b64 s[24:25], exec, s[24:25]
; %bb.86:
	v_bfe_u32 v5, v4, 21, 1
	s_mov_b32 s28, 0x80fffff
	v_add3_u32 v5, v4, v5, s28
	v_lshrrev_b32_e32 v5, 21, v5
; %bb.87:
	s_andn2_saveexec_b64 s[24:25], s[24:25]
; %bb.88:
	s_mov_b32 s28, 0x43000000
	v_add_f32_e64 v5, |v4|, s28
; %bb.89:
	s_or_b64 exec, exec, s[24:25]
                                        ; implicit-def: $vgpr6
.LBB86_90:
	s_andn2_saveexec_b64 s[18:19], s[18:19]
; %bb.91:
	s_mov_b32 s24, 0x7f800000
	v_mov_b32_e32 v5, 0x7c
	v_mov_b32_e32 v7, 0x7f
	v_cmp_lt_u32_e32 vcc, s24, v6
	v_cndmask_b32_e32 v5, v5, v7, vcc
; %bb.92:
	s_or_b64 exec, exec, s[18:19]
	v_lshrrev_b32_e32 v4, 24, v4
	s_movk_i32 s18, 0x80
	v_and_or_b32 v4, v4, s18, v5
	global_store_byte v[2:3], v4, off
.LBB86_93:
	s_mov_b64 s[24:25], 0
	s_mov_b64 s[18:19], -1
.LBB86_94:
	s_andn2_b64 vcc, exec, s[24:25]
	s_cbranch_vccnz .LBB86_102
; %bb.95:
	s_cmp_gt_i32 s31, 14
	s_mov_b64 s[24:25], -1
	s_cbranch_scc0 .LBB86_99
; %bb.96:
	s_cmp_eq_u32 s31, 15
	s_mov_b64 s[0:1], -1
	s_cbranch_scc0 .LBB86_98
; %bb.97:
	v_xor_b32_e32 v5, v0, v1
	v_ffbh_i32_e32 v4, v1
	v_ashrrev_i32_e32 v5, 31, v5
	v_add_u32_e32 v4, -1, v4
	v_add_u32_e32 v5, 32, v5
	v_min_u32_e32 v6, v4, v5
	v_lshlrev_b64 v[4:5], v6, v[0:1]
	s_movk_i32 s0, 0x7fff
	v_min_u32_e32 v4, 1, v4
	v_or_b32_e32 v4, v5, v4
	v_cvt_f32_i32_e32 v4, v4
	v_sub_u32_e32 v5, 32, v6
	s_mov_b64 s[18:19], -1
	v_ldexp_f32 v4, v4, v5
	v_bfe_u32 v5, v4, 16, 1
	v_add3_u32 v4, v4, v5, s0
	global_store_short_d16_hi v[2:3], v4, off
	s_mov_b64 s[0:1], 0
.LBB86_98:
	s_mov_b64 s[24:25], 0
.LBB86_99:
	s_and_b64 vcc, exec, s[24:25]
	s_cbranch_vccz .LBB86_102
; %bb.100:
	s_cmp_eq_u32 s31, 11
	s_mov_b64 s[0:1], -1
	s_cbranch_scc0 .LBB86_102
; %bb.101:
	v_cmp_ne_u64_e32 vcc, 0, v[0:1]
	s_mov_b64 s[0:1], 0
	v_cndmask_b32_e64 v4, 0, 1, vcc
	s_mov_b64 s[18:19], -1
	global_store_byte v[2:3], v4, off
.LBB86_102:
	s_branch .LBB86_20
.LBB86_103:
	s_and_b32 s24, 0xffff, s30
	s_cmp_lt_i32 s24, 5
	s_mov_b64 s[18:19], -1
	s_cbranch_scc1 .LBB86_124
; %bb.104:
	s_cmp_lt_i32 s24, 8
	s_cbranch_scc1 .LBB86_114
; %bb.105:
	s_cmp_lt_i32 s24, 9
	s_cbranch_scc1 .LBB86_111
; %bb.106:
	s_cmp_gt_i32 s24, 9
	s_cbranch_scc0 .LBB86_108
; %bb.107:
	v_cvt_f64_i32_e32 v[4:5], v1
	v_cvt_f64_u32_e32 v[6:7], v0
	s_mov_b64 s[18:19], 0
	v_ldexp_f64 v[4:5], v[4:5], 32
	v_add_f64 v[4:5], v[4:5], v[6:7]
	v_mov_b32_e32 v6, 0
	v_mov_b32_e32 v7, v6
	global_store_dwordx4 v[2:3], v[4:7], off
.LBB86_108:
	s_andn2_b64 vcc, exec, s[18:19]
	s_cbranch_vccnz .LBB86_110
; %bb.109:
	v_xor_b32_e32 v5, v0, v1
	v_ffbh_i32_e32 v4, v1
	v_ashrrev_i32_e32 v5, 31, v5
	v_add_u32_e32 v4, -1, v4
	v_add_u32_e32 v5, 32, v5
	v_min_u32_e32 v6, v4, v5
	v_lshlrev_b64 v[4:5], v6, v[0:1]
	v_min_u32_e32 v4, 1, v4
	v_or_b32_e32 v4, v5, v4
	v_cvt_f32_i32_e32 v4, v4
	v_sub_u32_e32 v5, 32, v6
	v_ldexp_f32 v4, v4, v5
	v_mov_b32_e32 v5, 0
	global_store_dwordx2 v[2:3], v[4:5], off
.LBB86_110:
	s_mov_b64 s[18:19], 0
.LBB86_111:
	s_andn2_b64 vcc, exec, s[18:19]
	s_cbranch_vccnz .LBB86_113
; %bb.112:
	v_xor_b32_e32 v5, v0, v1
	v_ffbh_i32_e32 v4, v1
	v_ashrrev_i32_e32 v5, 31, v5
	v_add_u32_e32 v4, -1, v4
	v_add_u32_e32 v5, 32, v5
	v_min_u32_e32 v6, v4, v5
	v_lshlrev_b64 v[4:5], v6, v[0:1]
	v_min_u32_e32 v4, 1, v4
	v_or_b32_e32 v4, v5, v4
	v_cvt_f32_i32_e32 v4, v4
	v_sub_u32_e32 v5, 32, v6
	v_ldexp_f32 v4, v4, v5
	v_cvt_f16_f32_e32 v4, v4
	global_store_dword v[2:3], v4, off
.LBB86_113:
	s_mov_b64 s[18:19], 0
.LBB86_114:
	s_andn2_b64 vcc, exec, s[18:19]
	s_cbranch_vccnz .LBB86_123
; %bb.115:
	s_cmp_lt_i32 s24, 6
	s_mov_b64 s[18:19], -1
	s_cbranch_scc1 .LBB86_121
; %bb.116:
	s_cmp_gt_i32 s24, 6
	s_cbranch_scc0 .LBB86_118
; %bb.117:
	v_cvt_f64_i32_e32 v[4:5], v1
	v_cvt_f64_u32_e32 v[6:7], v0
	s_mov_b64 s[18:19], 0
	v_ldexp_f64 v[4:5], v[4:5], 32
	v_add_f64 v[4:5], v[4:5], v[6:7]
	global_store_dwordx2 v[2:3], v[4:5], off
.LBB86_118:
	s_andn2_b64 vcc, exec, s[18:19]
	s_cbranch_vccnz .LBB86_120
; %bb.119:
	v_xor_b32_e32 v5, v0, v1
	v_ffbh_i32_e32 v4, v1
	v_ashrrev_i32_e32 v5, 31, v5
	v_add_u32_e32 v4, -1, v4
	v_add_u32_e32 v5, 32, v5
	v_min_u32_e32 v6, v4, v5
	v_lshlrev_b64 v[4:5], v6, v[0:1]
	v_min_u32_e32 v4, 1, v4
	v_or_b32_e32 v4, v5, v4
	v_cvt_f32_i32_e32 v4, v4
	v_sub_u32_e32 v5, 32, v6
	v_ldexp_f32 v4, v4, v5
	global_store_dword v[2:3], v4, off
.LBB86_120:
	s_mov_b64 s[18:19], 0
.LBB86_121:
	s_andn2_b64 vcc, exec, s[18:19]
	s_cbranch_vccnz .LBB86_123
; %bb.122:
	v_xor_b32_e32 v5, v0, v1
	v_ffbh_i32_e32 v4, v1
	v_ashrrev_i32_e32 v5, 31, v5
	v_add_u32_e32 v4, -1, v4
	v_add_u32_e32 v5, 32, v5
	v_min_u32_e32 v6, v4, v5
	v_lshlrev_b64 v[4:5], v6, v[0:1]
	v_min_u32_e32 v4, 1, v4
	v_or_b32_e32 v4, v5, v4
	v_cvt_f32_i32_e32 v4, v4
	v_sub_u32_e32 v5, 32, v6
	v_ldexp_f32 v4, v4, v5
	v_cvt_f16_f32_e32 v4, v4
	global_store_short v[2:3], v4, off
.LBB86_123:
	s_mov_b64 s[18:19], 0
.LBB86_124:
	s_andn2_b64 vcc, exec, s[18:19]
	s_cbranch_vccnz .LBB86_140
; %bb.125:
	s_cmp_lt_i32 s24, 2
	s_mov_b64 s[18:19], -1
	s_cbranch_scc1 .LBB86_135
; %bb.126:
	s_cmp_lt_i32 s24, 3
	s_cbranch_scc1 .LBB86_132
; %bb.127:
	s_cmp_gt_i32 s24, 3
	s_cbranch_scc0 .LBB86_129
; %bb.128:
	global_store_dwordx2 v[2:3], v[0:1], off
	s_mov_b64 s[18:19], 0
.LBB86_129:
	s_andn2_b64 vcc, exec, s[18:19]
	s_cbranch_vccnz .LBB86_131
; %bb.130:
	global_store_dword v[2:3], v0, off
.LBB86_131:
	s_mov_b64 s[18:19], 0
.LBB86_132:
	s_andn2_b64 vcc, exec, s[18:19]
	s_cbranch_vccnz .LBB86_134
; %bb.133:
	global_store_short v[2:3], v0, off
.LBB86_134:
	s_mov_b64 s[18:19], 0
.LBB86_135:
	s_andn2_b64 vcc, exec, s[18:19]
	s_cbranch_vccnz .LBB86_140
; %bb.136:
	s_cmp_gt_i32 s24, 0
	s_mov_b64 s[18:19], -1
	s_cbranch_scc0 .LBB86_138
; %bb.137:
	global_store_byte v[2:3], v0, off
	s_mov_b64 s[18:19], 0
.LBB86_138:
	s_andn2_b64 vcc, exec, s[18:19]
	s_cbranch_vccnz .LBB86_140
; %bb.139:
	global_store_byte v[2:3], v0, off
.LBB86_140:
	s_branch .LBB86_21
.LBB86_141:
	s_mov_b64 s[24:25], 0
                                        ; implicit-def: $vgpr10
	s_branch .LBB86_247
.LBB86_142:
	s_mov_b64 s[20:21], -1
                                        ; implicit-def: $vgpr2_vgpr3
.LBB86_143:
	s_mov_b64 s[18:19], 0
.LBB86_144:
	s_and_b64 vcc, exec, s[18:19]
	s_cbranch_vccz .LBB86_148
; %bb.145:
	s_cmp_eq_u32 s24, 29
	s_cbranch_scc0 .LBB86_147
; %bb.146:
	global_load_dwordx2 v[2:3], v[0:1], off
	s_mov_b64 s[0:1], -1
	s_mov_b64 s[20:21], 0
	s_branch .LBB86_148
.LBB86_147:
	s_mov_b64 s[20:21], -1
                                        ; implicit-def: $vgpr2_vgpr3
.LBB86_148:
	s_mov_b64 s[18:19], 0
.LBB86_149:
	s_and_b64 vcc, exec, s[18:19]
	s_cbranch_vccz .LBB86_167
; %bb.150:
	s_cmp_lt_i32 s24, 27
	s_cbranch_scc1 .LBB86_153
; %bb.151:
	s_cmp_gt_i32 s24, 27
	s_cbranch_scc0 .LBB86_154
; %bb.152:
	global_load_dword v2, v[0:1], off
	s_waitcnt vmcnt(1)
	v_mov_b32_e32 v3, 0
	s_mov_b64 s[0:1], 0
	s_branch .LBB86_155
.LBB86_153:
	s_mov_b64 s[0:1], -1
                                        ; implicit-def: $vgpr2_vgpr3
	s_branch .LBB86_158
.LBB86_154:
	s_mov_b64 s[0:1], -1
                                        ; implicit-def: $vgpr2_vgpr3
.LBB86_155:
	s_andn2_b64 vcc, exec, s[0:1]
	s_cbranch_vccnz .LBB86_157
; %bb.156:
	global_load_ushort v2, v[0:1], off
	s_mov_b32 s0, 0
	s_waitcnt vmcnt(1)
	v_mov_b32_e32 v3, s0
	s_waitcnt vmcnt(0)
	v_and_b32_e32 v2, 0xffff, v2
.LBB86_157:
	s_mov_b64 s[0:1], 0
.LBB86_158:
	s_andn2_b64 vcc, exec, s[0:1]
	s_cbranch_vccnz .LBB86_166
; %bb.159:
	global_load_ubyte v4, v[0:1], off
	s_movk_i32 s0, 0x7f
	s_mov_b64 s[18:19], 0
	s_waitcnt vmcnt(0)
	v_cmp_lt_i16_e32 vcc, s0, v4
	s_and_saveexec_b64 s[0:1], vcc
	s_xor_b64 s[0:1], exec, s[0:1]
; %bb.160:
	s_movk_i32 s18, 0x80
	v_cmp_ne_u16_e32 vcc, s18, v4
	s_and_b64 s[18:19], vcc, exec
; %bb.161:
	s_andn2_saveexec_b64 s[0:1], s[0:1]
; %bb.162:
	v_cmp_ne_u16_e32 vcc, 0, v4
	s_andn2_b64 s[18:19], s[18:19], exec
	s_and_b64 s[28:29], vcc, exec
	s_or_b64 s[18:19], s[18:19], s[28:29]
; %bb.163:
	s_or_b64 exec, exec, s[0:1]
	v_mov_b32_e32 v2, 0
	v_mov_b32_e32 v3, 0
	s_and_saveexec_b64 s[0:1], s[18:19]
	s_cbranch_execz .LBB86_165
; %bb.164:
	v_and_b32_e32 v3, 0xffff, v4
	v_lshlrev_b32_e32 v2, 24, v4
	v_and_b32_e32 v4, 7, v3
	v_ffbh_u32_e32 v6, v4
	v_min_u32_e32 v6, 32, v6
	v_subrev_u32_e32 v7, 28, v6
	v_bfe_u32 v5, v3, 3, 4
	v_lshlrev_b32_e32 v3, v7, v3
	v_sub_u32_e32 v6, 29, v6
	v_and_b32_e32 v3, 7, v3
	v_cmp_eq_u32_e32 vcc, 0, v5
	v_cndmask_b32_e32 v5, v5, v6, vcc
	v_cndmask_b32_e32 v3, v4, v3, vcc
	v_mov_b32_e32 v4, 0x3b800000
	v_lshlrev_b32_e32 v3, 20, v3
	v_and_b32_e32 v2, 0x80000000, v2
	v_lshl_add_u32 v4, v5, 23, v4
	v_or3_b32 v2, v2, v4, v3
	v_trunc_f32_e32 v2, v2
	s_mov_b32 s18, 0x2f800000
	v_mul_f32_e64 v3, |v2|, s18
	v_floor_f32_e32 v3, v3
	s_mov_b32 s18, 0xcf800000
	v_fma_f32 v4, v3, s18, |v2|
	v_cvt_u32_f32_e32 v4, v4
	v_cvt_u32_f32_e32 v3, v3
	v_ashrrev_i32_e32 v5, 31, v2
	v_xor_b32_e32 v2, v4, v5
	v_xor_b32_e32 v3, v3, v5
	v_sub_co_u32_e32 v2, vcc, v2, v5
	v_subb_co_u32_e32 v3, vcc, v3, v5, vcc
.LBB86_165:
	s_or_b64 exec, exec, s[0:1]
.LBB86_166:
	s_mov_b64 s[0:1], -1
.LBB86_167:
	s_branch .LBB86_198
.LBB86_168:
	s_cmp_gt_i32 s24, 22
	s_cbranch_scc0 .LBB86_178
; %bb.169:
	s_cmp_lt_i32 s24, 24
	s_cbranch_scc1 .LBB86_179
; %bb.170:
	s_cmp_gt_i32 s24, 24
	s_cbranch_scc0 .LBB86_180
; %bb.171:
	global_load_ubyte v4, v[0:1], off
	s_movk_i32 s0, 0x7f
	s_mov_b64 s[18:19], 0
	s_waitcnt vmcnt(0)
	v_cmp_lt_i16_e32 vcc, s0, v4
	s_and_saveexec_b64 s[0:1], vcc
	s_xor_b64 s[0:1], exec, s[0:1]
; %bb.172:
	s_movk_i32 s18, 0x80
	v_cmp_ne_u16_e32 vcc, s18, v4
	s_and_b64 s[18:19], vcc, exec
; %bb.173:
	s_andn2_saveexec_b64 s[0:1], s[0:1]
; %bb.174:
	v_cmp_ne_u16_e32 vcc, 0, v4
	s_andn2_b64 s[18:19], s[18:19], exec
	s_and_b64 s[28:29], vcc, exec
	s_or_b64 s[18:19], s[18:19], s[28:29]
; %bb.175:
	s_or_b64 exec, exec, s[0:1]
	v_mov_b32_e32 v2, 0
	v_mov_b32_e32 v3, 0
	s_and_saveexec_b64 s[0:1], s[18:19]
	s_cbranch_execz .LBB86_177
; %bb.176:
	v_and_b32_e32 v3, 0xffff, v4
	v_lshlrev_b32_e32 v2, 24, v4
	v_and_b32_e32 v4, 3, v3
	v_ffbh_u32_e32 v6, v4
	v_min_u32_e32 v6, 32, v6
	v_subrev_u32_e32 v7, 29, v6
	v_bfe_u32 v5, v3, 2, 5
	v_lshlrev_b32_e32 v3, v7, v3
	v_sub_u32_e32 v6, 30, v6
	v_and_b32_e32 v3, 3, v3
	v_cmp_eq_u32_e32 vcc, 0, v5
	v_cndmask_b32_e32 v5, v5, v6, vcc
	v_cndmask_b32_e32 v3, v4, v3, vcc
	v_mov_b32_e32 v4, 0x37800000
	v_lshlrev_b32_e32 v3, 21, v3
	v_and_b32_e32 v2, 0x80000000, v2
	v_lshl_add_u32 v4, v5, 23, v4
	v_or3_b32 v2, v2, v4, v3
	v_trunc_f32_e32 v2, v2
	s_mov_b32 s18, 0x2f800000
	v_mul_f32_e64 v3, |v2|, s18
	v_floor_f32_e32 v3, v3
	s_mov_b32 s18, 0xcf800000
	v_fma_f32 v4, v3, s18, |v2|
	v_cvt_u32_f32_e32 v4, v4
	v_cvt_u32_f32_e32 v3, v3
	v_ashrrev_i32_e32 v5, 31, v2
	v_xor_b32_e32 v2, v4, v5
	v_xor_b32_e32 v3, v3, v5
	v_sub_co_u32_e32 v2, vcc, v2, v5
	v_subb_co_u32_e32 v3, vcc, v3, v5, vcc
.LBB86_177:
	s_or_b64 exec, exec, s[0:1]
	s_mov_b64 s[0:1], 0
	s_branch .LBB86_181
.LBB86_178:
	s_mov_b64 s[18:19], -1
                                        ; implicit-def: $vgpr2_vgpr3
	s_branch .LBB86_187
.LBB86_179:
	s_mov_b64 s[0:1], -1
                                        ; implicit-def: $vgpr2_vgpr3
	s_branch .LBB86_184
.LBB86_180:
	s_mov_b64 s[0:1], -1
                                        ; implicit-def: $vgpr2_vgpr3
.LBB86_181:
	s_and_b64 vcc, exec, s[0:1]
	s_cbranch_vccz .LBB86_183
; %bb.182:
	global_load_ubyte v2, v[0:1], off
	s_mov_b32 s0, 0x7f800000
	s_brev_b32 s1, 1
	s_mov_b32 s18, 0x2f800000
	s_mov_b32 s19, 0xcf800000
	s_waitcnt vmcnt(0)
	v_lshlrev_b32_e32 v2, 24, v2
	v_and_b32_e32 v3, 0x7f000000, v2
	v_ffbh_u32_e32 v4, v3
	v_min_u32_e32 v4, 32, v4
	v_sub_u32_e64 v4, v4, 4 clamp
	v_lshlrev_b32_e32 v6, v4, v3
	v_lshlrev_b32_e32 v4, 23, v4
	v_lshrrev_b32_e32 v6, 4, v6
	v_add_u32_e32 v5, 0x1000000, v3
	v_sub_u32_e32 v4, v6, v4
	v_ashrrev_i32_e32 v5, 8, v5
	v_add_u32_e32 v4, 0x3c000000, v4
	v_and_or_b32 v4, v5, s0, v4
	v_cmp_ne_u32_e32 vcc, 0, v3
	v_cndmask_b32_e32 v3, 0, v4, vcc
	v_and_or_b32 v2, v2, s1, v3
	v_trunc_f32_e32 v2, v2
	v_mul_f32_e64 v3, |v2|, s18
	v_floor_f32_e32 v3, v3
	v_fma_f32 v4, v3, s19, |v2|
	v_cvt_u32_f32_e32 v4, v4
	v_cvt_u32_f32_e32 v3, v3
	v_ashrrev_i32_e32 v5, 31, v2
	v_xor_b32_e32 v2, v4, v5
	v_xor_b32_e32 v3, v3, v5
	v_sub_co_u32_e32 v2, vcc, v2, v5
	v_subb_co_u32_e32 v3, vcc, v3, v5, vcc
.LBB86_183:
	s_mov_b64 s[0:1], 0
.LBB86_184:
	s_andn2_b64 vcc, exec, s[0:1]
	s_cbranch_vccnz .LBB86_186
; %bb.185:
	global_load_ubyte v2, v[0:1], off
	s_movk_i32 s0, 0x7f00
	s_brev_b32 s1, 16
	s_brev_b32 s18, 1
	s_mov_b32 s19, 0x2f800000
	s_mov_b32 s25, 0xcf800000
	s_waitcnt vmcnt(0)
	v_lshlrev_b16_e32 v3, 8, v2
	v_lshlrev_b32_e32 v2, 25, v2
	v_lshrrev_b32_e32 v4, 4, v2
	v_and_or_b32 v5, v3, s0, 0.5
	v_or_b32_e32 v4, 0x70000000, v4
	v_add_f32_e32 v5, -0.5, v5
	v_mul_f32_e32 v4, 0x7800000, v4
	v_cmp_gt_u32_e32 vcc, s1, v2
	v_bfe_i32 v3, v3, 0, 16
	v_cndmask_b32_e32 v2, v4, v5, vcc
	v_and_or_b32 v2, v3, s18, v2
	v_trunc_f32_e32 v2, v2
	v_mul_f32_e64 v3, |v2|, s19
	v_floor_f32_e32 v3, v3
	v_fma_f32 v4, v3, s25, |v2|
	v_cvt_u32_f32_e32 v4, v4
	v_cvt_u32_f32_e32 v3, v3
	v_ashrrev_i32_e32 v5, 31, v2
	v_xor_b32_e32 v2, v4, v5
	v_xor_b32_e32 v3, v3, v5
	v_sub_co_u32_e32 v2, vcc, v2, v5
	v_subb_co_u32_e32 v3, vcc, v3, v5, vcc
.LBB86_186:
	s_mov_b64 s[18:19], 0
	s_mov_b64 s[0:1], -1
.LBB86_187:
	s_andn2_b64 vcc, exec, s[18:19]
	s_cbranch_vccnz .LBB86_198
; %bb.188:
	s_cmp_gt_i32 s24, 14
	s_cbranch_scc0 .LBB86_191
; %bb.189:
	s_cmp_eq_u32 s24, 15
	s_cbranch_scc0 .LBB86_192
; %bb.190:
	global_load_ushort v2, v[0:1], off
	s_mov_b32 s0, 0x2f800000
	s_mov_b32 s1, 0xcf800000
	s_mov_b64 s[20:21], 0
	s_waitcnt vmcnt(0)
	v_lshlrev_b32_e32 v2, 16, v2
	v_trunc_f32_e32 v2, v2
	v_mul_f32_e64 v3, |v2|, s0
	v_floor_f32_e32 v3, v3
	v_fma_f32 v4, v3, s1, |v2|
	v_cvt_u32_f32_e32 v4, v4
	v_cvt_u32_f32_e32 v3, v3
	v_ashrrev_i32_e32 v5, 31, v2
	s_mov_b64 s[0:1], -1
	v_xor_b32_e32 v2, v4, v5
	v_xor_b32_e32 v3, v3, v5
	v_sub_co_u32_e32 v2, vcc, v2, v5
	v_subb_co_u32_e32 v3, vcc, v3, v5, vcc
	s_branch .LBB86_193
.LBB86_191:
	s_mov_b64 s[18:19], -1
                                        ; implicit-def: $vgpr2_vgpr3
	s_branch .LBB86_194
.LBB86_192:
	s_mov_b64 s[20:21], -1
                                        ; implicit-def: $vgpr2_vgpr3
.LBB86_193:
	s_mov_b64 s[18:19], 0
.LBB86_194:
	s_and_b64 vcc, exec, s[18:19]
	s_cbranch_vccz .LBB86_198
; %bb.195:
	s_cmp_eq_u32 s24, 11
	s_cbranch_scc0 .LBB86_197
; %bb.196:
	global_load_ubyte v2, v[0:1], off
	s_mov_b32 s18, 0
	s_mov_b64 s[0:1], -1
	s_waitcnt vmcnt(1)
	v_mov_b32_e32 v3, s18
	s_mov_b64 s[20:21], 0
	s_waitcnt vmcnt(0)
	v_cmp_ne_u16_e32 vcc, 0, v2
	v_cndmask_b32_e64 v2, 0, 1, vcc
	s_branch .LBB86_198
.LBB86_197:
	s_mov_b64 s[20:21], -1
                                        ; implicit-def: $vgpr2_vgpr3
.LBB86_198:
	s_branch .LBB86_10
.LBB86_199:
	s_cmp_lt_i32 s24, 5
	s_cbranch_scc1 .LBB86_204
; %bb.200:
	s_cmp_lt_i32 s24, 8
	s_cbranch_scc1 .LBB86_205
; %bb.201:
	;; [unrolled: 3-line block ×3, first 2 shown]
	s_cmp_gt_i32 s24, 9
	s_cbranch_scc0 .LBB86_207
; %bb.203:
	global_load_dwordx2 v[2:3], v[0:1], off
	s_movk_i32 s0, 0xffe0
	s_waitcnt vmcnt(0)
	v_trunc_f64_e32 v[2:3], v[2:3]
	v_ldexp_f64 v[4:5], v[2:3], s0
	s_mov_b32 s0, 0
	s_mov_b32 s1, 0xc1f00000
	v_floor_f64_e32 v[4:5], v[4:5]
	v_fma_f64 v[6:7], v[4:5], s[0:1], v[2:3]
	v_cvt_i32_f64_e32 v3, v[4:5]
	s_mov_b64 s[0:1], 0
	v_cvt_u32_f64_e32 v2, v[6:7]
	s_branch .LBB86_208
.LBB86_204:
                                        ; implicit-def: $vgpr2_vgpr3
	s_branch .LBB86_226
.LBB86_205:
	s_mov_b64 s[0:1], -1
                                        ; implicit-def: $vgpr2_vgpr3
	s_branch .LBB86_214
.LBB86_206:
	s_mov_b64 s[0:1], -1
                                        ; implicit-def: $vgpr2_vgpr3
	s_branch .LBB86_211
.LBB86_207:
	s_mov_b64 s[0:1], -1
                                        ; implicit-def: $vgpr2_vgpr3
.LBB86_208:
	s_andn2_b64 vcc, exec, s[0:1]
	s_cbranch_vccnz .LBB86_210
; %bb.209:
	global_load_dword v2, v[0:1], off
	s_mov_b32 s0, 0x2f800000
	s_mov_b32 s1, 0xcf800000
	s_waitcnt vmcnt(0)
	v_trunc_f32_e32 v2, v2
	v_mul_f32_e64 v3, |v2|, s0
	v_floor_f32_e32 v3, v3
	v_cvt_u32_f32_e32 v4, v3
	v_fma_f32 v3, v3, s1, |v2|
	v_cvt_u32_f32_e32 v3, v3
	v_ashrrev_i32_e32 v5, 31, v2
	v_xor_b32_e32 v4, v4, v5
	v_xor_b32_e32 v2, v3, v5
	v_sub_co_u32_e32 v2, vcc, v2, v5
	v_subb_co_u32_e32 v3, vcc, v4, v5, vcc
.LBB86_210:
	s_mov_b64 s[0:1], 0
.LBB86_211:
	s_andn2_b64 vcc, exec, s[0:1]
	s_cbranch_vccnz .LBB86_213
; %bb.212:
	global_load_dword v2, v[0:1], off
	s_waitcnt vmcnt(0)
	v_cvt_f32_f16_e32 v2, v2
	v_cvt_i32_f32_e32 v2, v2
	v_ashrrev_i32_e32 v3, 31, v2
.LBB86_213:
	s_mov_b64 s[0:1], 0
.LBB86_214:
	s_andn2_b64 vcc, exec, s[0:1]
	s_cbranch_vccnz .LBB86_225
; %bb.215:
	s_cmp_lt_i32 s24, 6
	s_cbranch_scc1 .LBB86_218
; %bb.216:
	s_cmp_gt_i32 s24, 6
	s_cbranch_scc0 .LBB86_219
; %bb.217:
	global_load_dwordx2 v[2:3], v[0:1], off
	s_movk_i32 s0, 0xffe0
	s_waitcnt vmcnt(0)
	v_trunc_f64_e32 v[2:3], v[2:3]
	v_ldexp_f64 v[4:5], v[2:3], s0
	s_mov_b32 s0, 0
	s_mov_b32 s1, 0xc1f00000
	v_floor_f64_e32 v[4:5], v[4:5]
	v_fma_f64 v[6:7], v[4:5], s[0:1], v[2:3]
	v_cvt_i32_f64_e32 v3, v[4:5]
	s_mov_b64 s[0:1], 0
	v_cvt_u32_f64_e32 v2, v[6:7]
	s_branch .LBB86_220
.LBB86_218:
	s_mov_b64 s[0:1], -1
                                        ; implicit-def: $vgpr2_vgpr3
	s_branch .LBB86_223
.LBB86_219:
	s_mov_b64 s[0:1], -1
                                        ; implicit-def: $vgpr2_vgpr3
.LBB86_220:
	s_andn2_b64 vcc, exec, s[0:1]
	s_cbranch_vccnz .LBB86_222
; %bb.221:
	global_load_dword v2, v[0:1], off
	s_mov_b32 s0, 0x2f800000
	s_mov_b32 s1, 0xcf800000
	s_waitcnt vmcnt(0)
	v_trunc_f32_e32 v2, v2
	v_mul_f32_e64 v3, |v2|, s0
	v_floor_f32_e32 v3, v3
	v_cvt_u32_f32_e32 v4, v3
	v_fma_f32 v3, v3, s1, |v2|
	v_cvt_u32_f32_e32 v3, v3
	v_ashrrev_i32_e32 v5, 31, v2
	v_xor_b32_e32 v4, v4, v5
	v_xor_b32_e32 v2, v3, v5
	v_sub_co_u32_e32 v2, vcc, v2, v5
	v_subb_co_u32_e32 v3, vcc, v4, v5, vcc
.LBB86_222:
	s_mov_b64 s[0:1], 0
.LBB86_223:
	s_andn2_b64 vcc, exec, s[0:1]
	s_cbranch_vccnz .LBB86_225
; %bb.224:
	global_load_ushort v2, v[0:1], off
	s_waitcnt vmcnt(0)
	v_cvt_f32_f16_e32 v2, v2
	v_cvt_i32_f32_e32 v2, v2
	v_ashrrev_i32_e32 v3, 31, v2
.LBB86_225:
	s_cbranch_execnz .LBB86_245
.LBB86_226:
	s_cmp_lt_i32 s24, 2
	s_cbranch_scc1 .LBB86_230
; %bb.227:
	s_cmp_lt_i32 s24, 3
	s_cbranch_scc1 .LBB86_231
; %bb.228:
	s_cmp_gt_i32 s24, 3
	s_cbranch_scc0 .LBB86_232
; %bb.229:
	global_load_dwordx2 v[2:3], v[0:1], off
	s_mov_b64 s[0:1], 0
	s_branch .LBB86_233
.LBB86_230:
	s_mov_b64 s[0:1], -1
                                        ; implicit-def: $vgpr2_vgpr3
	s_branch .LBB86_239
.LBB86_231:
	s_mov_b64 s[0:1], -1
                                        ; implicit-def: $vgpr2_vgpr3
	s_branch .LBB86_236
.LBB86_232:
	s_mov_b64 s[0:1], -1
                                        ; implicit-def: $vgpr2_vgpr3
.LBB86_233:
	s_andn2_b64 vcc, exec, s[0:1]
	s_cbranch_vccnz .LBB86_235
; %bb.234:
	global_load_dword v2, v[0:1], off
	s_waitcnt vmcnt(0)
	v_ashrrev_i32_e32 v3, 31, v2
.LBB86_235:
	s_mov_b64 s[0:1], 0
.LBB86_236:
	s_andn2_b64 vcc, exec, s[0:1]
	s_cbranch_vccnz .LBB86_238
; %bb.237:
	global_load_ushort v2, v[0:1], off
	s_waitcnt vmcnt(0)
	v_bfe_i32 v2, v2, 0, 16
	v_ashrrev_i32_e32 v3, 31, v2
.LBB86_238:
	s_mov_b64 s[0:1], 0
.LBB86_239:
	s_andn2_b64 vcc, exec, s[0:1]
	s_cbranch_vccnz .LBB86_245
; %bb.240:
	s_cmp_gt_i32 s24, 0
	s_cbranch_scc0 .LBB86_242
; %bb.241:
	global_load_sbyte v2, v[0:1], off
	s_mov_b64 s[0:1], 0
	s_waitcnt vmcnt(0)
	v_bfe_i32 v2, v2, 0, 16
	v_ashrrev_i32_e32 v3, 31, v2
	s_branch .LBB86_243
.LBB86_242:
	s_mov_b64 s[0:1], -1
                                        ; implicit-def: $vgpr2_vgpr3
.LBB86_243:
	s_andn2_b64 vcc, exec, s[0:1]
	s_cbranch_vccnz .LBB86_245
; %bb.244:
	global_load_ubyte v0, v[0:1], off
	s_mov_b32 s0, 0
	s_waitcnt vmcnt(1)
	v_mov_b32_e32 v3, s0
	s_waitcnt vmcnt(0)
	v_and_b32_e32 v2, 0xffff, v0
.LBB86_245:
	s_branch .LBB86_11
.LBB86_246:
	s_mov_b64 s[0:1], 0
                                        ; implicit-def: $vgpr10
	s_mov_b64 s[24:25], 0
.LBB86_247:
	s_and_b64 s[18:19], s[0:1], exec
	s_and_b64 s[20:21], s[20:21], exec
	s_orn2_b64 s[24:25], s[24:25], exec
.LBB86_248:
	s_or_b64 exec, exec, s[22:23]
	s_mov_b64 s[28:29], 0
	s_mov_b64 s[0:1], 0
                                        ; implicit-def: $vgpr0_vgpr1
                                        ; implicit-def: $vgpr4_vgpr5
	s_and_saveexec_b64 s[22:23], s[24:25]
	s_cbranch_execz .LBB86_257
; %bb.249:
	v_cmp_gt_i32_e32 vcc, s44, v10
	s_mov_b64 s[0:1], -1
	s_mov_b64 s[24:25], s[20:21]
	s_mov_b64 s[26:27], s[18:19]
	s_and_saveexec_b64 s[28:29], vcc
	s_cbranch_execz .LBB86_505
; %bb.250:
	v_mul_lo_u32 v0, v10, s17
	v_mov_b32_e32 v1, s11
	s_and_b32 s30, 0xffff, s48
	s_cmp_lt_i32 s30, 11
	s_waitcnt vmcnt(0)
	v_ashrrev_i32_e32 v2, 31, v0
	v_add_co_u32_e32 v0, vcc, s10, v0
	v_addc_co_u32_e32 v1, vcc, v1, v2, vcc
	s_cbranch_scc1 .LBB86_260
; %bb.251:
	s_cmp_gt_i32 s30, 25
	s_cbranch_scc0 .LBB86_269
; %bb.252:
	s_cmp_gt_i32 s30, 28
	s_cbranch_scc0 .LBB86_271
	;; [unrolled: 3-line block ×4, first 2 shown]
; %bb.255:
	s_cmp_eq_u32 s30, 46
	s_mov_b64 s[26:27], 0
	s_cbranch_scc0 .LBB86_281
; %bb.256:
	global_load_dword v2, v[0:1], off
	s_mov_b32 s0, 0x2f800000
	s_mov_b32 s1, 0xcf800000
	s_mov_b64 s[24:25], 0
	s_waitcnt vmcnt(0)
	v_lshlrev_b32_e32 v2, 16, v2
	v_trunc_f32_e32 v2, v2
	v_mul_f32_e64 v3, |v2|, s0
	v_floor_f32_e32 v3, v3
	v_fma_f32 v4, v3, s1, |v2|
	v_cvt_u32_f32_e32 v4, v4
	v_cvt_u32_f32_e32 v3, v3
	v_ashrrev_i32_e32 v5, 31, v2
	s_mov_b64 s[0:1], -1
	v_xor_b32_e32 v2, v4, v5
	v_xor_b32_e32 v3, v3, v5
	v_sub_co_u32_e32 v2, vcc, v2, v5
	v_subb_co_u32_e32 v3, vcc, v3, v5, vcc
	s_branch .LBB86_282
.LBB86_257:
	s_or_b64 exec, exec, s[22:23]
	s_mov_b64 s[22:23], 0
	s_and_saveexec_b64 s[24:25], s[20:21]
	s_cbranch_execnz .LBB86_843
.LBB86_258:
	s_or_b64 exec, exec, s[24:25]
	s_and_saveexec_b64 s[20:21], s[26:27]
	s_xor_b64 s[20:21], exec, s[20:21]
	s_cbranch_execz .LBB86_844
.LBB86_259:
	global_load_ubyte v2, v[0:1], off
	s_mov_b32 s24, 0
	s_waitcnt vmcnt(1)
	v_mov_b32_e32 v5, s24
	s_or_b64 s[0:1], s[0:1], exec
	s_waitcnt vmcnt(0)
	v_cmp_ne_u16_e32 vcc, 0, v2
	v_cndmask_b32_e64 v4, 0, 1, vcc
	s_or_b64 exec, exec, s[20:21]
	s_and_saveexec_b64 s[20:21], s[28:29]
	s_cbranch_execz .LBB86_890
	s_branch .LBB86_845
.LBB86_260:
	s_mov_b64 s[0:1], 0
                                        ; implicit-def: $vgpr2_vgpr3
	s_mov_b64 s[24:25], s[20:21]
	s_cbranch_execnz .LBB86_455
.LBB86_261:
	s_andn2_b64 vcc, exec, s[0:1]
	s_cbranch_vccnz .LBB86_503
.LBB86_262:
	s_waitcnt vmcnt(0)
	v_cmp_lt_i64_e32 vcc, s[12:13], v[2:3]
	v_mul_lo_u32 v2, v10, s16
	v_mov_b32_e32 v0, s15
	v_mov_b32_e32 v1, s3
	v_cndmask_b32_e32 v1, v0, v1, vcc
	v_mov_b32_e32 v0, s14
	v_mov_b32_e32 v3, s2
	v_cndmask_b32_e32 v0, v0, v3, vcc
	v_ashrrev_i32_e32 v3, 31, v2
	v_mov_b32_e32 v4, s9
	s_and_b32 s36, s33, 0xff
	v_add_co_u32_e32 v2, vcc, s8, v2
	s_cmp_lt_i32 s36, 11
	v_addc_co_u32_e32 v3, vcc, v4, v3, vcc
	s_cbranch_scc1 .LBB86_270
; %bb.263:
	s_and_b32 s37, 0xffff, s36
	s_cmp_gt_i32 s37, 25
	s_cbranch_scc0 .LBB86_272
; %bb.264:
	s_cmp_gt_i32 s37, 28
	s_cbranch_scc0 .LBB86_274
; %bb.265:
	;; [unrolled: 3-line block ×4, first 2 shown]
	s_mov_b64 s[30:31], 0
	s_mov_b64 s[0:1], -1
	s_cmp_eq_u32 s37, 46
	s_mov_b64 s[26:27], 0
	s_cbranch_scc0 .LBB86_286
; %bb.268:
	v_xor_b32_e32 v5, v0, v1
	v_ffbh_i32_e32 v4, v1
	v_ashrrev_i32_e32 v5, 31, v5
	v_add_u32_e32 v4, -1, v4
	v_add_u32_e32 v5, 32, v5
	v_min_u32_e32 v6, v4, v5
	v_lshlrev_b64 v[4:5], v6, v[0:1]
	s_movk_i32 s0, 0x7fff
	v_min_u32_e32 v4, 1, v4
	v_or_b32_e32 v4, v5, v4
	v_cvt_f32_i32_e32 v4, v4
	v_sub_u32_e32 v5, 32, v6
	s_mov_b64 s[26:27], -1
	v_ldexp_f32 v4, v4, v5
	v_bfe_u32 v5, v4, 16, 1
	v_add3_u32 v4, v4, v5, s0
	v_lshrrev_b32_e32 v4, 16, v4
	global_store_dword v[2:3], v4, off
	s_mov_b64 s[0:1], 0
	s_branch .LBB86_286
.LBB86_269:
	s_mov_b64 s[26:27], -1
	s_mov_b64 s[0:1], 0
	s_mov_b64 s[24:25], s[20:21]
                                        ; implicit-def: $vgpr2_vgpr3
	s_branch .LBB86_423
.LBB86_270:
	s_mov_b64 s[30:31], -1
	s_mov_b64 s[26:27], 0
	s_mov_b64 s[0:1], s[18:19]
	s_branch .LBB86_355
.LBB86_271:
	s_mov_b64 s[26:27], -1
	s_mov_b64 s[0:1], 0
	s_mov_b64 s[24:25], s[20:21]
                                        ; implicit-def: $vgpr2_vgpr3
	s_branch .LBB86_404
.LBB86_272:
	s_mov_b64 s[30:31], -1
	s_mov_b64 s[26:27], 0
	s_mov_b64 s[0:1], s[18:19]
	s_branch .LBB86_313
.LBB86_273:
	s_mov_b64 s[26:27], -1
	s_mov_b64 s[0:1], 0
	s_mov_b64 s[24:25], s[20:21]
                                        ; implicit-def: $vgpr2_vgpr3
	s_branch .LBB86_399
.LBB86_274:
	s_mov_b64 s[30:31], -1
	s_mov_b64 s[26:27], 0
	s_mov_b64 s[0:1], s[18:19]
	s_branch .LBB86_296
.LBB86_275:
	s_andn2_saveexec_b64 s[28:29], s[28:29]
	s_cbranch_execz .LBB86_55
.LBB86_276:
	s_mov_b32 s34, 0x46000000
	v_add_f32_e64 v5, |v4|, s34
	v_and_b32_e32 v5, 0xff, v5
	v_cmp_ne_u32_e32 vcc, 0, v5
	s_andn2_b64 s[24:25], s[24:25], exec
	s_and_b64 s[34:35], vcc, exec
	s_or_b64 s[24:25], s[24:25], s[34:35]
	s_or_b64 exec, exec, s[28:29]
	v_mov_b32_e32 v6, 0
	s_and_saveexec_b64 s[28:29], s[24:25]
	s_cbranch_execnz .LBB86_56
	s_branch .LBB86_57
.LBB86_277:
	s_mov_b64 s[26:27], -1
	s_mov_b64 s[0:1], 0
	s_mov_b64 s[24:25], s[20:21]
                                        ; implicit-def: $vgpr2_vgpr3
	s_branch .LBB86_282
.LBB86_278:
	s_mov_b64 s[30:31], -1
	s_mov_b64 s[26:27], 0
	s_mov_b64 s[0:1], s[18:19]
	s_branch .LBB86_292
.LBB86_279:
	s_andn2_saveexec_b64 s[28:29], s[28:29]
	s_cbranch_execz .LBB86_68
.LBB86_280:
	s_mov_b32 s34, 0x42800000
	v_add_f32_e64 v5, |v4|, s34
	v_and_b32_e32 v5, 0xff, v5
	v_cmp_ne_u32_e32 vcc, 0, v5
	s_andn2_b64 s[24:25], s[24:25], exec
	s_and_b64 s[34:35], vcc, exec
	s_or_b64 s[24:25], s[24:25], s[34:35]
	s_or_b64 exec, exec, s[28:29]
	v_mov_b32_e32 v6, 0
	s_and_saveexec_b64 s[28:29], s[24:25]
	s_cbranch_execnz .LBB86_69
	s_branch .LBB86_70
.LBB86_281:
	s_mov_b64 s[24:25], -1
                                        ; implicit-def: $vgpr2_vgpr3
	s_mov_b64 s[0:1], 0
.LBB86_282:
	s_and_b64 vcc, exec, s[26:27]
	s_cbranch_vccz .LBB86_398
; %bb.283:
	s_cmp_eq_u32 s30, 44
	s_cbranch_scc0 .LBB86_397
; %bb.284:
	global_load_ubyte v2, v[0:1], off
	s_mov_b32 s0, 0x2f800000
	s_mov_b32 s1, 0xcf800000
	s_mov_b64 s[24:25], 0
	s_waitcnt vmcnt(0)
	v_lshlrev_b32_e32 v3, 23, v2
	v_trunc_f32_e32 v3, v3
	v_mul_f32_e64 v4, |v3|, s0
	v_floor_f32_e32 v4, v4
	v_fma_f32 v5, v4, s1, |v3|
	v_cvt_u32_f32_e32 v5, v5
	v_cvt_u32_f32_e32 v4, v4
	v_ashrrev_i32_e32 v3, 31, v3
	s_mov_b64 s[0:1], -1
	v_xor_b32_e32 v5, v5, v3
	v_xor_b32_e32 v4, v4, v3
	v_sub_co_u32_e32 v5, vcc, v5, v3
	v_subb_co_u32_e32 v3, vcc, v4, v3, vcc
	v_cmp_ne_u32_e32 vcc, 0, v2
	v_cndmask_b32_e32 v3, 0, v3, vcc
	v_cndmask_b32_e32 v2, 0, v5, vcc
	s_branch .LBB86_398
.LBB86_285:
	s_mov_b64 s[30:31], -1
	s_mov_b64 s[26:27], 0
	s_mov_b64 s[0:1], s[18:19]
.LBB86_286:
	s_and_b64 vcc, exec, s[30:31]
	s_cbranch_vccz .LBB86_291
; %bb.287:
	s_cmp_eq_u32 s37, 44
	s_mov_b64 s[0:1], -1
	s_cbranch_scc0 .LBB86_291
; %bb.288:
	v_xor_b32_e32 v5, v0, v1
	v_ffbh_i32_e32 v4, v1
	v_ashrrev_i32_e32 v5, 31, v5
	v_add_u32_e32 v4, -1, v4
	v_add_u32_e32 v5, 32, v5
	v_min_u32_e32 v6, v4, v5
	v_lshlrev_b64 v[4:5], v6, v[0:1]
	s_movk_i32 s0, 0xff
	v_min_u32_e32 v4, 1, v4
	v_or_b32_e32 v4, v5, v4
	v_cvt_f32_i32_e32 v4, v4
	v_sub_u32_e32 v5, 32, v6
	v_mov_b32_e32 v6, 0xff
	v_ldexp_f32 v4, v4, v5
	v_bfe_u32 v5, v4, 23, 8
	v_cmp_ne_u32_e32 vcc, s0, v5
	s_and_saveexec_b64 s[26:27], vcc
; %bb.289:
	s_mov_b32 s0, 0x3fffff
	v_lshrrev_b32_e32 v6, 23, v4
	v_and_b32_e32 v7, 0x400000, v4
	v_and_or_b32 v4, v4, s0, v5
	v_cmp_ne_u32_e32 vcc, 0, v7
	v_cmp_ne_u32_e64 s[0:1], 0, v4
	s_and_b64 s[0:1], vcc, s[0:1]
	v_cndmask_b32_e64 v4, 0, 1, s[0:1]
	v_add_u32_e32 v6, v6, v4
; %bb.290:
	s_or_b64 exec, exec, s[26:27]
	s_mov_b64 s[26:27], -1
	s_mov_b64 s[0:1], 0
	global_store_byte v[2:3], v6, off
.LBB86_291:
	s_mov_b64 s[30:31], 0
.LBB86_292:
	s_and_b64 vcc, exec, s[30:31]
	s_cbranch_vccz .LBB86_295
; %bb.293:
	s_cmp_eq_u32 s37, 29
	s_mov_b64 s[0:1], -1
	s_cbranch_scc0 .LBB86_295
; %bb.294:
	global_store_dwordx2 v[2:3], v[0:1], off
	s_mov_b64 s[26:27], -1
	s_mov_b64 s[0:1], 0
.LBB86_295:
	s_mov_b64 s[30:31], 0
.LBB86_296:
	s_and_b64 vcc, exec, s[30:31]
	s_cbranch_vccz .LBB86_312
; %bb.297:
	s_cmp_lt_i32 s37, 27
	s_mov_b64 s[26:27], -1
	s_cbranch_scc1 .LBB86_303
; %bb.298:
	s_cmp_gt_i32 s37, 27
	s_cbranch_scc0 .LBB86_300
; %bb.299:
	s_mov_b64 s[26:27], 0
	global_store_dword v[2:3], v0, off
.LBB86_300:
	s_andn2_b64 vcc, exec, s[26:27]
	s_cbranch_vccnz .LBB86_302
; %bb.301:
	global_store_short v[2:3], v0, off
.LBB86_302:
	s_mov_b64 s[26:27], 0
.LBB86_303:
	s_andn2_b64 vcc, exec, s[26:27]
	s_cbranch_vccnz .LBB86_311
; %bb.304:
	v_xor_b32_e32 v5, v0, v1
	v_ffbh_i32_e32 v4, v1
	v_ashrrev_i32_e32 v5, 31, v5
	v_add_u32_e32 v4, -1, v4
	v_add_u32_e32 v5, 32, v5
	v_min_u32_e32 v6, v4, v5
	v_lshlrev_b64 v[4:5], v6, v[0:1]
	s_mov_b32 s26, 0x43800000
	v_min_u32_e32 v4, 1, v4
	v_or_b32_e32 v4, v5, v4
	v_cvt_f32_i32_e32 v4, v4
	v_sub_u32_e32 v5, 32, v6
	v_mov_b32_e32 v6, 0x80
	v_ldexp_f32 v4, v4, v5
	v_and_b32_e32 v5, 0x7fffffff, v4
	v_cmp_gt_u32_e32 vcc, s26, v5
	s_and_saveexec_b64 s[26:27], vcc
	s_cbranch_execz .LBB86_310
; %bb.305:
	s_mov_b32 s30, 0x3bffffff
	v_cmp_lt_u32_e32 vcc, s30, v5
	s_mov_b64 s[30:31], 0
                                        ; implicit-def: $vgpr5
	s_and_saveexec_b64 s[34:35], vcc
	s_xor_b64 s[34:35], exec, s[34:35]
	s_cbranch_execz .LBB86_518
; %bb.306:
	v_bfe_u32 v5, v4, 20, 1
	s_mov_b32 s38, 0x487ffff
	v_add3_u32 v5, v4, v5, s38
	s_mov_b64 s[30:31], exec
	v_lshrrev_b32_e32 v5, 20, v5
	s_andn2_saveexec_b64 s[34:35], s[34:35]
	s_cbranch_execnz .LBB86_519
.LBB86_307:
	s_or_b64 exec, exec, s[34:35]
	v_mov_b32_e32 v6, 0
	s_and_saveexec_b64 s[34:35], s[30:31]
.LBB86_308:
	v_lshrrev_b32_e32 v4, 24, v4
	s_movk_i32 s30, 0x80
	v_and_or_b32 v6, v4, s30, v5
.LBB86_309:
	s_or_b64 exec, exec, s[34:35]
.LBB86_310:
	s_or_b64 exec, exec, s[26:27]
	global_store_byte v[2:3], v6, off
.LBB86_311:
	s_mov_b64 s[26:27], -1
.LBB86_312:
	s_mov_b64 s[30:31], 0
.LBB86_313:
	s_and_b64 vcc, exec, s[30:31]
	s_cbranch_vccz .LBB86_354
; %bb.314:
	s_cmp_gt_i32 s37, 22
	s_mov_b64 s[30:31], -1
	s_cbranch_scc0 .LBB86_346
; %bb.315:
	s_cmp_lt_i32 s37, 24
	s_mov_b64 s[26:27], -1
	s_cbranch_scc1 .LBB86_335
; %bb.316:
	s_cmp_gt_i32 s37, 24
	s_cbranch_scc0 .LBB86_324
; %bb.317:
	v_xor_b32_e32 v5, v0, v1
	v_ffbh_i32_e32 v4, v1
	v_ashrrev_i32_e32 v5, 31, v5
	v_add_u32_e32 v4, -1, v4
	v_add_u32_e32 v5, 32, v5
	v_min_u32_e32 v6, v4, v5
	v_lshlrev_b64 v[4:5], v6, v[0:1]
	s_mov_b32 s26, 0x47800000
	v_min_u32_e32 v4, 1, v4
	v_or_b32_e32 v4, v5, v4
	v_cvt_f32_i32_e32 v4, v4
	v_sub_u32_e32 v5, 32, v6
	v_mov_b32_e32 v6, 0x80
	v_ldexp_f32 v4, v4, v5
	v_and_b32_e32 v5, 0x7fffffff, v4
	v_cmp_gt_u32_e32 vcc, s26, v5
	s_and_saveexec_b64 s[26:27], vcc
	s_cbranch_execz .LBB86_323
; %bb.318:
	s_mov_b32 s30, 0x37ffffff
	v_cmp_lt_u32_e32 vcc, s30, v5
	s_mov_b64 s[30:31], 0
                                        ; implicit-def: $vgpr5
	s_and_saveexec_b64 s[34:35], vcc
	s_xor_b64 s[34:35], exec, s[34:35]
	s_cbranch_execz .LBB86_521
; %bb.319:
	v_bfe_u32 v5, v4, 21, 1
	s_mov_b32 s38, 0x88fffff
	v_add3_u32 v5, v4, v5, s38
	s_mov_b64 s[30:31], exec
	v_lshrrev_b32_e32 v5, 21, v5
	s_andn2_saveexec_b64 s[34:35], s[34:35]
	s_cbranch_execnz .LBB86_522
.LBB86_320:
	s_or_b64 exec, exec, s[34:35]
	v_mov_b32_e32 v6, 0
	s_and_saveexec_b64 s[34:35], s[30:31]
.LBB86_321:
	v_lshrrev_b32_e32 v4, 24, v4
	s_movk_i32 s30, 0x80
	v_and_or_b32 v6, v4, s30, v5
.LBB86_322:
	s_or_b64 exec, exec, s[34:35]
.LBB86_323:
	s_or_b64 exec, exec, s[26:27]
	s_mov_b64 s[26:27], 0
	global_store_byte v[2:3], v6, off
.LBB86_324:
	s_and_b64 vcc, exec, s[26:27]
	s_cbranch_vccz .LBB86_334
; %bb.325:
	v_xor_b32_e32 v5, v0, v1
	v_ffbh_i32_e32 v4, v1
	v_ashrrev_i32_e32 v5, 31, v5
	v_add_u32_e32 v4, -1, v4
	v_add_u32_e32 v5, 32, v5
	v_min_u32_e32 v6, v4, v5
	v_lshlrev_b64 v[4:5], v6, v[0:1]
	s_mov_b32 s26, 0x43f00000
	v_min_u32_e32 v4, 1, v4
	v_or_b32_e32 v4, v5, v4
	v_cvt_f32_i32_e32 v4, v4
	v_sub_u32_e32 v5, 32, v6
	v_ldexp_f32 v4, v4, v5
	v_and_b32_e32 v6, 0x7fffffff, v4
	v_cmp_gt_u32_e32 vcc, s26, v6
                                        ; implicit-def: $vgpr5
	s_and_saveexec_b64 s[26:27], vcc
	s_xor_b64 s[26:27], exec, s[26:27]
	s_cbranch_execz .LBB86_331
; %bb.326:
	s_mov_b32 s30, 0x3c7fffff
	v_cmp_lt_u32_e32 vcc, s30, v6
                                        ; implicit-def: $vgpr5
	s_and_saveexec_b64 s[30:31], vcc
	s_xor_b64 s[30:31], exec, s[30:31]
; %bb.327:
	v_bfe_u32 v5, v4, 20, 1
	s_mov_b32 s34, 0x407ffff
	v_add3_u32 v5, v4, v5, s34
	v_lshrrev_b32_e32 v6, 20, v5
	v_and_b32_e32 v5, 0xff00000, v5
	s_mov_b32 s34, 0x7f00000
	v_mov_b32_e32 v7, 0x7e
	v_cmp_ne_u32_e32 vcc, s34, v5
	v_cndmask_b32_e32 v5, v7, v6, vcc
; %bb.328:
	s_andn2_saveexec_b64 s[30:31], s[30:31]
; %bb.329:
	s_mov_b32 s34, 0x46800000
	v_add_f32_e64 v5, |v4|, s34
; %bb.330:
	s_or_b64 exec, exec, s[30:31]
                                        ; implicit-def: $vgpr6
.LBB86_331:
	s_andn2_saveexec_b64 s[26:27], s[26:27]
; %bb.332:
	s_mov_b32 s30, 0x7f800000
	v_mov_b32_e32 v5, 0x7e
	v_mov_b32_e32 v7, 0x7f
	v_cmp_lt_u32_e32 vcc, s30, v6
	v_cndmask_b32_e32 v5, v5, v7, vcc
; %bb.333:
	s_or_b64 exec, exec, s[26:27]
	v_lshrrev_b32_e32 v4, 24, v4
	s_movk_i32 s26, 0x80
	v_and_or_b32 v4, v4, s26, v5
	global_store_byte v[2:3], v4, off
.LBB86_334:
	s_mov_b64 s[26:27], 0
.LBB86_335:
	s_andn2_b64 vcc, exec, s[26:27]
	s_cbranch_vccnz .LBB86_345
; %bb.336:
	v_xor_b32_e32 v5, v0, v1
	v_ffbh_i32_e32 v4, v1
	v_ashrrev_i32_e32 v5, 31, v5
	v_add_u32_e32 v4, -1, v4
	v_add_u32_e32 v5, 32, v5
	v_min_u32_e32 v6, v4, v5
	v_lshlrev_b64 v[4:5], v6, v[0:1]
	s_mov_b32 s26, 0x47800000
	v_min_u32_e32 v4, 1, v4
	v_or_b32_e32 v4, v5, v4
	v_cvt_f32_i32_e32 v4, v4
	v_sub_u32_e32 v5, 32, v6
	v_ldexp_f32 v4, v4, v5
	v_and_b32_e32 v6, 0x7fffffff, v4
	v_cmp_gt_u32_e32 vcc, s26, v6
                                        ; implicit-def: $vgpr5
	s_and_saveexec_b64 s[26:27], vcc
	s_xor_b64 s[26:27], exec, s[26:27]
	s_cbranch_execz .LBB86_342
; %bb.337:
	s_mov_b32 s30, 0x387fffff
	v_cmp_lt_u32_e32 vcc, s30, v6
                                        ; implicit-def: $vgpr5
	s_and_saveexec_b64 s[30:31], vcc
	s_xor_b64 s[30:31], exec, s[30:31]
; %bb.338:
	v_bfe_u32 v5, v4, 21, 1
	s_mov_b32 s34, 0x80fffff
	v_add3_u32 v5, v4, v5, s34
	v_lshrrev_b32_e32 v5, 21, v5
; %bb.339:
	s_andn2_saveexec_b64 s[30:31], s[30:31]
; %bb.340:
	s_mov_b32 s34, 0x43000000
	v_add_f32_e64 v5, |v4|, s34
; %bb.341:
	s_or_b64 exec, exec, s[30:31]
                                        ; implicit-def: $vgpr6
.LBB86_342:
	s_andn2_saveexec_b64 s[26:27], s[26:27]
; %bb.343:
	s_mov_b32 s30, 0x7f800000
	v_mov_b32_e32 v5, 0x7c
	v_mov_b32_e32 v7, 0x7f
	v_cmp_lt_u32_e32 vcc, s30, v6
	v_cndmask_b32_e32 v5, v5, v7, vcc
; %bb.344:
	s_or_b64 exec, exec, s[26:27]
	v_lshrrev_b32_e32 v4, 24, v4
	s_movk_i32 s26, 0x80
	v_and_or_b32 v4, v4, s26, v5
	global_store_byte v[2:3], v4, off
.LBB86_345:
	s_mov_b64 s[30:31], 0
	s_mov_b64 s[26:27], -1
.LBB86_346:
	s_andn2_b64 vcc, exec, s[30:31]
	s_cbranch_vccnz .LBB86_354
; %bb.347:
	s_cmp_gt_i32 s37, 14
	s_mov_b64 s[30:31], -1
	s_cbranch_scc0 .LBB86_351
; %bb.348:
	s_cmp_eq_u32 s37, 15
	s_mov_b64 s[0:1], -1
	s_cbranch_scc0 .LBB86_350
; %bb.349:
	v_xor_b32_e32 v5, v0, v1
	v_ffbh_i32_e32 v4, v1
	v_ashrrev_i32_e32 v5, 31, v5
	v_add_u32_e32 v4, -1, v4
	v_add_u32_e32 v5, 32, v5
	v_min_u32_e32 v6, v4, v5
	v_lshlrev_b64 v[4:5], v6, v[0:1]
	s_movk_i32 s0, 0x7fff
	v_min_u32_e32 v4, 1, v4
	v_or_b32_e32 v4, v5, v4
	v_cvt_f32_i32_e32 v4, v4
	v_sub_u32_e32 v5, 32, v6
	s_mov_b64 s[26:27], -1
	v_ldexp_f32 v4, v4, v5
	v_bfe_u32 v5, v4, 16, 1
	v_add3_u32 v4, v4, v5, s0
	global_store_short_d16_hi v[2:3], v4, off
	s_mov_b64 s[0:1], 0
.LBB86_350:
	s_mov_b64 s[30:31], 0
.LBB86_351:
	s_and_b64 vcc, exec, s[30:31]
	s_cbranch_vccz .LBB86_354
; %bb.352:
	s_cmp_eq_u32 s37, 11
	s_mov_b64 s[0:1], -1
	s_cbranch_scc0 .LBB86_354
; %bb.353:
	v_cmp_ne_u64_e32 vcc, 0, v[0:1]
	s_mov_b64 s[0:1], 0
	v_cndmask_b32_e64 v4, 0, 1, vcc
	s_mov_b64 s[26:27], -1
	global_store_byte v[2:3], v4, off
.LBB86_354:
	s_mov_b64 s[30:31], 0
.LBB86_355:
	s_and_b64 vcc, exec, s[30:31]
	s_cbranch_vccz .LBB86_394
; %bb.356:
	s_and_b32 s30, 0xffff, s36
	s_cmp_lt_i32 s30, 5
	s_mov_b64 s[26:27], -1
	s_cbranch_scc1 .LBB86_377
; %bb.357:
	s_cmp_lt_i32 s30, 8
	s_cbranch_scc1 .LBB86_367
; %bb.358:
	s_cmp_lt_i32 s30, 9
	s_cbranch_scc1 .LBB86_364
; %bb.359:
	s_cmp_gt_i32 s30, 9
	s_cbranch_scc0 .LBB86_361
; %bb.360:
	v_cvt_f64_i32_e32 v[4:5], v1
	v_cvt_f64_u32_e32 v[6:7], v0
	s_mov_b64 s[26:27], 0
	v_ldexp_f64 v[4:5], v[4:5], 32
	v_add_f64 v[4:5], v[4:5], v[6:7]
	v_mov_b32_e32 v6, 0
	v_mov_b32_e32 v7, v6
	global_store_dwordx4 v[2:3], v[4:7], off
.LBB86_361:
	s_andn2_b64 vcc, exec, s[26:27]
	s_cbranch_vccnz .LBB86_363
; %bb.362:
	v_xor_b32_e32 v5, v0, v1
	v_ffbh_i32_e32 v4, v1
	v_ashrrev_i32_e32 v5, 31, v5
	v_add_u32_e32 v4, -1, v4
	v_add_u32_e32 v5, 32, v5
	v_min_u32_e32 v6, v4, v5
	v_lshlrev_b64 v[4:5], v6, v[0:1]
	v_min_u32_e32 v4, 1, v4
	v_or_b32_e32 v4, v5, v4
	v_cvt_f32_i32_e32 v4, v4
	v_sub_u32_e32 v5, 32, v6
	v_ldexp_f32 v4, v4, v5
	v_mov_b32_e32 v5, 0
	global_store_dwordx2 v[2:3], v[4:5], off
.LBB86_363:
	s_mov_b64 s[26:27], 0
.LBB86_364:
	s_andn2_b64 vcc, exec, s[26:27]
	s_cbranch_vccnz .LBB86_366
; %bb.365:
	v_xor_b32_e32 v5, v0, v1
	v_ffbh_i32_e32 v4, v1
	v_ashrrev_i32_e32 v5, 31, v5
	v_add_u32_e32 v4, -1, v4
	v_add_u32_e32 v5, 32, v5
	v_min_u32_e32 v6, v4, v5
	v_lshlrev_b64 v[4:5], v6, v[0:1]
	v_min_u32_e32 v4, 1, v4
	v_or_b32_e32 v4, v5, v4
	v_cvt_f32_i32_e32 v4, v4
	v_sub_u32_e32 v5, 32, v6
	v_ldexp_f32 v4, v4, v5
	v_cvt_f16_f32_e32 v4, v4
	global_store_dword v[2:3], v4, off
.LBB86_366:
	s_mov_b64 s[26:27], 0
.LBB86_367:
	s_andn2_b64 vcc, exec, s[26:27]
	s_cbranch_vccnz .LBB86_376
; %bb.368:
	s_cmp_lt_i32 s30, 6
	s_mov_b64 s[26:27], -1
	s_cbranch_scc1 .LBB86_374
; %bb.369:
	s_cmp_gt_i32 s30, 6
	s_cbranch_scc0 .LBB86_371
; %bb.370:
	v_cvt_f64_i32_e32 v[4:5], v1
	v_cvt_f64_u32_e32 v[6:7], v0
	s_mov_b64 s[26:27], 0
	v_ldexp_f64 v[4:5], v[4:5], 32
	v_add_f64 v[4:5], v[4:5], v[6:7]
	global_store_dwordx2 v[2:3], v[4:5], off
.LBB86_371:
	s_andn2_b64 vcc, exec, s[26:27]
	s_cbranch_vccnz .LBB86_373
; %bb.372:
	v_xor_b32_e32 v5, v0, v1
	v_ffbh_i32_e32 v4, v1
	v_ashrrev_i32_e32 v5, 31, v5
	v_add_u32_e32 v4, -1, v4
	v_add_u32_e32 v5, 32, v5
	v_min_u32_e32 v6, v4, v5
	v_lshlrev_b64 v[4:5], v6, v[0:1]
	v_min_u32_e32 v4, 1, v4
	v_or_b32_e32 v4, v5, v4
	v_cvt_f32_i32_e32 v4, v4
	v_sub_u32_e32 v5, 32, v6
	v_ldexp_f32 v4, v4, v5
	global_store_dword v[2:3], v4, off
.LBB86_373:
	s_mov_b64 s[26:27], 0
.LBB86_374:
	s_andn2_b64 vcc, exec, s[26:27]
	s_cbranch_vccnz .LBB86_376
; %bb.375:
	v_xor_b32_e32 v5, v0, v1
	v_ffbh_i32_e32 v4, v1
	v_ashrrev_i32_e32 v5, 31, v5
	v_add_u32_e32 v4, -1, v4
	v_add_u32_e32 v5, 32, v5
	v_min_u32_e32 v6, v4, v5
	v_lshlrev_b64 v[4:5], v6, v[0:1]
	v_min_u32_e32 v4, 1, v4
	v_or_b32_e32 v4, v5, v4
	v_cvt_f32_i32_e32 v4, v4
	v_sub_u32_e32 v5, 32, v6
	v_ldexp_f32 v4, v4, v5
	v_cvt_f16_f32_e32 v4, v4
	global_store_short v[2:3], v4, off
.LBB86_376:
	s_mov_b64 s[26:27], 0
.LBB86_377:
	s_andn2_b64 vcc, exec, s[26:27]
	s_cbranch_vccnz .LBB86_393
; %bb.378:
	s_cmp_lt_i32 s30, 2
	s_mov_b64 s[26:27], -1
	s_cbranch_scc1 .LBB86_388
; %bb.379:
	s_cmp_lt_i32 s30, 3
	s_cbranch_scc1 .LBB86_385
; %bb.380:
	s_cmp_gt_i32 s30, 3
	s_cbranch_scc0 .LBB86_382
; %bb.381:
	s_mov_b64 s[26:27], 0
	global_store_dwordx2 v[2:3], v[0:1], off
.LBB86_382:
	s_andn2_b64 vcc, exec, s[26:27]
	s_cbranch_vccnz .LBB86_384
; %bb.383:
	global_store_dword v[2:3], v0, off
.LBB86_384:
	s_mov_b64 s[26:27], 0
.LBB86_385:
	s_andn2_b64 vcc, exec, s[26:27]
	s_cbranch_vccnz .LBB86_387
; %bb.386:
	global_store_short v[2:3], v0, off
.LBB86_387:
	s_mov_b64 s[26:27], 0
.LBB86_388:
	s_andn2_b64 vcc, exec, s[26:27]
	s_cbranch_vccnz .LBB86_393
; %bb.389:
	s_cmp_gt_i32 s30, 0
	s_mov_b64 s[26:27], -1
	s_cbranch_scc0 .LBB86_391
; %bb.390:
	s_mov_b64 s[26:27], 0
	global_store_byte v[2:3], v0, off
.LBB86_391:
	s_andn2_b64 vcc, exec, s[26:27]
	s_cbranch_vccnz .LBB86_393
; %bb.392:
	global_store_byte v[2:3], v0, off
.LBB86_393:
	s_mov_b64 s[26:27], -1
.LBB86_394:
	s_andn2_b64 vcc, exec, s[26:27]
	s_cbranch_vccnz .LBB86_396
; %bb.395:
	v_add_u32_e32 v10, 0x80, v10
	s_mov_b64 s[30:31], -1
	s_branch .LBB86_504
.LBB86_396:
	s_mov_b64 s[30:31], 0
                                        ; implicit-def: $vgpr10
	s_branch .LBB86_504
.LBB86_397:
	s_mov_b64 s[24:25], -1
                                        ; implicit-def: $vgpr2_vgpr3
.LBB86_398:
	s_mov_b64 s[26:27], 0
.LBB86_399:
	s_and_b64 vcc, exec, s[26:27]
	s_cbranch_vccz .LBB86_403
; %bb.400:
	s_cmp_eq_u32 s30, 29
	s_cbranch_scc0 .LBB86_402
; %bb.401:
	global_load_dwordx2 v[2:3], v[0:1], off
	s_mov_b64 s[0:1], -1
	s_mov_b64 s[24:25], 0
	s_branch .LBB86_403
.LBB86_402:
	s_mov_b64 s[24:25], -1
                                        ; implicit-def: $vgpr2_vgpr3
.LBB86_403:
	s_mov_b64 s[26:27], 0
.LBB86_404:
	s_and_b64 vcc, exec, s[26:27]
	s_cbranch_vccz .LBB86_422
; %bb.405:
	s_cmp_lt_i32 s30, 27
	s_cbranch_scc1 .LBB86_408
; %bb.406:
	s_cmp_gt_i32 s30, 27
	s_cbranch_scc0 .LBB86_409
; %bb.407:
	global_load_dword v2, v[0:1], off
	s_waitcnt vmcnt(1)
	v_mov_b32_e32 v3, 0
	s_mov_b64 s[0:1], 0
	s_branch .LBB86_410
.LBB86_408:
	s_mov_b64 s[0:1], -1
                                        ; implicit-def: $vgpr2_vgpr3
	s_branch .LBB86_413
.LBB86_409:
	s_mov_b64 s[0:1], -1
                                        ; implicit-def: $vgpr2_vgpr3
.LBB86_410:
	s_andn2_b64 vcc, exec, s[0:1]
	s_cbranch_vccnz .LBB86_412
; %bb.411:
	global_load_ushort v2, v[0:1], off
	s_mov_b32 s0, 0
	s_waitcnt vmcnt(1)
	v_mov_b32_e32 v3, s0
	s_waitcnt vmcnt(0)
	v_and_b32_e32 v2, 0xffff, v2
.LBB86_412:
	s_mov_b64 s[0:1], 0
.LBB86_413:
	s_andn2_b64 vcc, exec, s[0:1]
	s_cbranch_vccnz .LBB86_421
; %bb.414:
	global_load_ubyte v4, v[0:1], off
	s_movk_i32 s0, 0x7f
	s_mov_b64 s[26:27], 0
	s_waitcnt vmcnt(0)
	v_cmp_lt_i16_e32 vcc, s0, v4
	s_and_saveexec_b64 s[0:1], vcc
	s_xor_b64 s[0:1], exec, s[0:1]
; %bb.415:
	s_movk_i32 s26, 0x80
	v_cmp_ne_u16_e32 vcc, s26, v4
	s_and_b64 s[26:27], vcc, exec
; %bb.416:
	s_andn2_saveexec_b64 s[0:1], s[0:1]
; %bb.417:
	v_cmp_ne_u16_e32 vcc, 0, v4
	s_andn2_b64 s[26:27], s[26:27], exec
	s_and_b64 s[34:35], vcc, exec
	s_or_b64 s[26:27], s[26:27], s[34:35]
; %bb.418:
	s_or_b64 exec, exec, s[0:1]
	v_mov_b32_e32 v2, 0
	v_mov_b32_e32 v3, 0
	s_and_saveexec_b64 s[0:1], s[26:27]
	s_cbranch_execz .LBB86_420
; %bb.419:
	v_and_b32_e32 v3, 0xffff, v4
	v_lshlrev_b32_e32 v2, 24, v4
	v_and_b32_e32 v4, 7, v3
	v_ffbh_u32_e32 v6, v4
	v_min_u32_e32 v6, 32, v6
	v_subrev_u32_e32 v7, 28, v6
	v_bfe_u32 v5, v3, 3, 4
	v_lshlrev_b32_e32 v3, v7, v3
	v_sub_u32_e32 v6, 29, v6
	v_and_b32_e32 v3, 7, v3
	v_cmp_eq_u32_e32 vcc, 0, v5
	v_cndmask_b32_e32 v5, v5, v6, vcc
	v_cndmask_b32_e32 v3, v4, v3, vcc
	v_mov_b32_e32 v4, 0x3b800000
	v_lshlrev_b32_e32 v3, 20, v3
	v_and_b32_e32 v2, 0x80000000, v2
	v_lshl_add_u32 v4, v5, 23, v4
	v_or3_b32 v2, v2, v4, v3
	v_trunc_f32_e32 v2, v2
	s_mov_b32 s26, 0x2f800000
	v_mul_f32_e64 v3, |v2|, s26
	v_floor_f32_e32 v3, v3
	s_mov_b32 s26, 0xcf800000
	v_fma_f32 v4, v3, s26, |v2|
	v_cvt_u32_f32_e32 v4, v4
	v_cvt_u32_f32_e32 v3, v3
	v_ashrrev_i32_e32 v5, 31, v2
	v_xor_b32_e32 v2, v4, v5
	v_xor_b32_e32 v3, v3, v5
	v_sub_co_u32_e32 v2, vcc, v2, v5
	v_subb_co_u32_e32 v3, vcc, v3, v5, vcc
.LBB86_420:
	s_or_b64 exec, exec, s[0:1]
.LBB86_421:
	s_mov_b64 s[0:1], -1
.LBB86_422:
	s_mov_b64 s[26:27], 0
.LBB86_423:
	s_and_b64 vcc, exec, s[26:27]
	s_cbranch_vccz .LBB86_454
; %bb.424:
	s_cmp_gt_i32 s30, 22
	s_cbranch_scc0 .LBB86_434
; %bb.425:
	s_cmp_lt_i32 s30, 24
	s_cbranch_scc1 .LBB86_435
; %bb.426:
	s_cmp_gt_i32 s30, 24
	s_cbranch_scc0 .LBB86_436
; %bb.427:
	global_load_ubyte v4, v[0:1], off
	s_movk_i32 s0, 0x7f
	s_mov_b64 s[26:27], 0
	s_waitcnt vmcnt(0)
	v_cmp_lt_i16_e32 vcc, s0, v4
	s_and_saveexec_b64 s[0:1], vcc
	s_xor_b64 s[0:1], exec, s[0:1]
; %bb.428:
	s_movk_i32 s26, 0x80
	v_cmp_ne_u16_e32 vcc, s26, v4
	s_and_b64 s[26:27], vcc, exec
; %bb.429:
	s_andn2_saveexec_b64 s[0:1], s[0:1]
; %bb.430:
	v_cmp_ne_u16_e32 vcc, 0, v4
	s_andn2_b64 s[26:27], s[26:27], exec
	s_and_b64 s[34:35], vcc, exec
	s_or_b64 s[26:27], s[26:27], s[34:35]
; %bb.431:
	s_or_b64 exec, exec, s[0:1]
	v_mov_b32_e32 v2, 0
	v_mov_b32_e32 v3, 0
	s_and_saveexec_b64 s[0:1], s[26:27]
	s_cbranch_execz .LBB86_433
; %bb.432:
	v_and_b32_e32 v3, 0xffff, v4
	v_lshlrev_b32_e32 v2, 24, v4
	v_and_b32_e32 v4, 3, v3
	v_ffbh_u32_e32 v6, v4
	v_min_u32_e32 v6, 32, v6
	v_subrev_u32_e32 v7, 29, v6
	v_bfe_u32 v5, v3, 2, 5
	v_lshlrev_b32_e32 v3, v7, v3
	v_sub_u32_e32 v6, 30, v6
	v_and_b32_e32 v3, 3, v3
	v_cmp_eq_u32_e32 vcc, 0, v5
	v_cndmask_b32_e32 v5, v5, v6, vcc
	v_cndmask_b32_e32 v3, v4, v3, vcc
	v_mov_b32_e32 v4, 0x37800000
	v_lshlrev_b32_e32 v3, 21, v3
	v_and_b32_e32 v2, 0x80000000, v2
	v_lshl_add_u32 v4, v5, 23, v4
	v_or3_b32 v2, v2, v4, v3
	v_trunc_f32_e32 v2, v2
	s_mov_b32 s26, 0x2f800000
	v_mul_f32_e64 v3, |v2|, s26
	v_floor_f32_e32 v3, v3
	s_mov_b32 s26, 0xcf800000
	v_fma_f32 v4, v3, s26, |v2|
	v_cvt_u32_f32_e32 v4, v4
	v_cvt_u32_f32_e32 v3, v3
	v_ashrrev_i32_e32 v5, 31, v2
	v_xor_b32_e32 v2, v4, v5
	v_xor_b32_e32 v3, v3, v5
	v_sub_co_u32_e32 v2, vcc, v2, v5
	v_subb_co_u32_e32 v3, vcc, v3, v5, vcc
.LBB86_433:
	s_or_b64 exec, exec, s[0:1]
	s_mov_b64 s[0:1], 0
	s_branch .LBB86_437
.LBB86_434:
	s_mov_b64 s[26:27], -1
                                        ; implicit-def: $vgpr2_vgpr3
	s_branch .LBB86_443
.LBB86_435:
	s_mov_b64 s[0:1], -1
                                        ; implicit-def: $vgpr2_vgpr3
	s_branch .LBB86_440
.LBB86_436:
	s_mov_b64 s[0:1], -1
                                        ; implicit-def: $vgpr2_vgpr3
.LBB86_437:
	s_and_b64 vcc, exec, s[0:1]
	s_cbranch_vccz .LBB86_439
; %bb.438:
	global_load_ubyte v2, v[0:1], off
	s_mov_b32 s0, 0x7f800000
	s_brev_b32 s1, 1
	s_mov_b32 s26, 0x2f800000
	s_mov_b32 s27, 0xcf800000
	s_waitcnt vmcnt(0)
	v_lshlrev_b32_e32 v2, 24, v2
	v_and_b32_e32 v3, 0x7f000000, v2
	v_ffbh_u32_e32 v4, v3
	v_min_u32_e32 v4, 32, v4
	v_sub_u32_e64 v4, v4, 4 clamp
	v_lshlrev_b32_e32 v6, v4, v3
	v_lshlrev_b32_e32 v4, 23, v4
	v_lshrrev_b32_e32 v6, 4, v6
	v_add_u32_e32 v5, 0x1000000, v3
	v_sub_u32_e32 v4, v6, v4
	v_ashrrev_i32_e32 v5, 8, v5
	v_add_u32_e32 v4, 0x3c000000, v4
	v_and_or_b32 v4, v5, s0, v4
	v_cmp_ne_u32_e32 vcc, 0, v3
	v_cndmask_b32_e32 v3, 0, v4, vcc
	v_and_or_b32 v2, v2, s1, v3
	v_trunc_f32_e32 v2, v2
	v_mul_f32_e64 v3, |v2|, s26
	v_floor_f32_e32 v3, v3
	v_fma_f32 v4, v3, s27, |v2|
	v_cvt_u32_f32_e32 v4, v4
	v_cvt_u32_f32_e32 v3, v3
	v_ashrrev_i32_e32 v5, 31, v2
	v_xor_b32_e32 v2, v4, v5
	v_xor_b32_e32 v3, v3, v5
	v_sub_co_u32_e32 v2, vcc, v2, v5
	v_subb_co_u32_e32 v3, vcc, v3, v5, vcc
.LBB86_439:
	s_mov_b64 s[0:1], 0
.LBB86_440:
	s_andn2_b64 vcc, exec, s[0:1]
	s_cbranch_vccnz .LBB86_442
; %bb.441:
	global_load_ubyte v2, v[0:1], off
	s_movk_i32 s0, 0x7f00
	s_brev_b32 s1, 16
	s_brev_b32 s26, 1
	s_mov_b32 s27, 0x2f800000
	s_mov_b32 s31, 0xcf800000
	s_waitcnt vmcnt(0)
	v_lshlrev_b16_e32 v3, 8, v2
	v_lshlrev_b32_e32 v2, 25, v2
	v_lshrrev_b32_e32 v4, 4, v2
	v_and_or_b32 v5, v3, s0, 0.5
	v_or_b32_e32 v4, 0x70000000, v4
	v_add_f32_e32 v5, -0.5, v5
	v_mul_f32_e32 v4, 0x7800000, v4
	v_cmp_gt_u32_e32 vcc, s1, v2
	v_bfe_i32 v3, v3, 0, 16
	v_cndmask_b32_e32 v2, v4, v5, vcc
	v_and_or_b32 v2, v3, s26, v2
	v_trunc_f32_e32 v2, v2
	v_mul_f32_e64 v3, |v2|, s27
	v_floor_f32_e32 v3, v3
	v_fma_f32 v4, v3, s31, |v2|
	v_cvt_u32_f32_e32 v4, v4
	v_cvt_u32_f32_e32 v3, v3
	v_ashrrev_i32_e32 v5, 31, v2
	v_xor_b32_e32 v2, v4, v5
	v_xor_b32_e32 v3, v3, v5
	v_sub_co_u32_e32 v2, vcc, v2, v5
	v_subb_co_u32_e32 v3, vcc, v3, v5, vcc
.LBB86_442:
	s_mov_b64 s[26:27], 0
	s_mov_b64 s[0:1], -1
.LBB86_443:
	s_andn2_b64 vcc, exec, s[26:27]
	s_cbranch_vccnz .LBB86_454
; %bb.444:
	s_cmp_gt_i32 s30, 14
	s_cbranch_scc0 .LBB86_447
; %bb.445:
	s_cmp_eq_u32 s30, 15
	s_cbranch_scc0 .LBB86_448
; %bb.446:
	global_load_ushort v2, v[0:1], off
	s_mov_b32 s0, 0x2f800000
	s_mov_b32 s1, 0xcf800000
	s_mov_b64 s[24:25], 0
	s_waitcnt vmcnt(0)
	v_lshlrev_b32_e32 v2, 16, v2
	v_trunc_f32_e32 v2, v2
	v_mul_f32_e64 v3, |v2|, s0
	v_floor_f32_e32 v3, v3
	v_fma_f32 v4, v3, s1, |v2|
	v_cvt_u32_f32_e32 v4, v4
	v_cvt_u32_f32_e32 v3, v3
	v_ashrrev_i32_e32 v5, 31, v2
	s_mov_b64 s[0:1], -1
	v_xor_b32_e32 v2, v4, v5
	v_xor_b32_e32 v3, v3, v5
	v_sub_co_u32_e32 v2, vcc, v2, v5
	v_subb_co_u32_e32 v3, vcc, v3, v5, vcc
	s_branch .LBB86_449
.LBB86_447:
	s_mov_b64 s[26:27], -1
                                        ; implicit-def: $vgpr2_vgpr3
	s_branch .LBB86_450
.LBB86_448:
	s_mov_b64 s[24:25], -1
                                        ; implicit-def: $vgpr2_vgpr3
.LBB86_449:
	s_mov_b64 s[26:27], 0
.LBB86_450:
	s_and_b64 vcc, exec, s[26:27]
	s_cbranch_vccz .LBB86_454
; %bb.451:
	s_cmp_eq_u32 s30, 11
	s_cbranch_scc0 .LBB86_453
; %bb.452:
	global_load_ubyte v2, v[0:1], off
	s_mov_b32 s24, 0
	s_mov_b64 s[0:1], -1
	s_waitcnt vmcnt(1)
	v_mov_b32_e32 v3, s24
	s_mov_b64 s[24:25], 0
	s_waitcnt vmcnt(0)
	v_cmp_ne_u16_e32 vcc, 0, v2
	v_cndmask_b32_e64 v2, 0, 1, vcc
	s_branch .LBB86_454
.LBB86_453:
	s_mov_b64 s[24:25], -1
                                        ; implicit-def: $vgpr2_vgpr3
.LBB86_454:
	s_branch .LBB86_261
.LBB86_455:
	s_cmp_lt_i32 s30, 5
	s_cbranch_scc1 .LBB86_460
; %bb.456:
	s_cmp_lt_i32 s30, 8
	s_cbranch_scc1 .LBB86_461
; %bb.457:
	;; [unrolled: 3-line block ×3, first 2 shown]
	s_cmp_gt_i32 s30, 9
	s_cbranch_scc0 .LBB86_463
; %bb.459:
	global_load_dwordx2 v[2:3], v[0:1], off
	s_movk_i32 s0, 0xffe0
	s_waitcnt vmcnt(0)
	v_trunc_f64_e32 v[2:3], v[2:3]
	v_ldexp_f64 v[4:5], v[2:3], s0
	s_mov_b32 s0, 0
	s_mov_b32 s1, 0xc1f00000
	v_floor_f64_e32 v[4:5], v[4:5]
	v_fma_f64 v[6:7], v[4:5], s[0:1], v[2:3]
	v_cvt_i32_f64_e32 v3, v[4:5]
	s_mov_b64 s[0:1], 0
	v_cvt_u32_f64_e32 v2, v[6:7]
	s_branch .LBB86_464
.LBB86_460:
	s_mov_b64 s[0:1], -1
                                        ; implicit-def: $vgpr2_vgpr3
	s_branch .LBB86_482
.LBB86_461:
	s_mov_b64 s[0:1], -1
                                        ; implicit-def: $vgpr2_vgpr3
	s_branch .LBB86_470
.LBB86_462:
	s_mov_b64 s[0:1], -1
                                        ; implicit-def: $vgpr2_vgpr3
	s_branch .LBB86_467
.LBB86_463:
	s_mov_b64 s[0:1], -1
                                        ; implicit-def: $vgpr2_vgpr3
.LBB86_464:
	s_andn2_b64 vcc, exec, s[0:1]
	s_cbranch_vccnz .LBB86_466
; %bb.465:
	global_load_dword v2, v[0:1], off
	s_mov_b32 s0, 0x2f800000
	s_mov_b32 s1, 0xcf800000
	s_waitcnt vmcnt(0)
	v_trunc_f32_e32 v2, v2
	v_mul_f32_e64 v3, |v2|, s0
	v_floor_f32_e32 v3, v3
	v_cvt_u32_f32_e32 v4, v3
	v_fma_f32 v3, v3, s1, |v2|
	v_cvt_u32_f32_e32 v3, v3
	v_ashrrev_i32_e32 v5, 31, v2
	v_xor_b32_e32 v4, v4, v5
	v_xor_b32_e32 v2, v3, v5
	v_sub_co_u32_e32 v2, vcc, v2, v5
	v_subb_co_u32_e32 v3, vcc, v4, v5, vcc
.LBB86_466:
	s_mov_b64 s[0:1], 0
.LBB86_467:
	s_andn2_b64 vcc, exec, s[0:1]
	s_cbranch_vccnz .LBB86_469
; %bb.468:
	global_load_dword v2, v[0:1], off
	s_waitcnt vmcnt(0)
	v_cvt_f32_f16_e32 v2, v2
	v_cvt_i32_f32_e32 v2, v2
	v_ashrrev_i32_e32 v3, 31, v2
.LBB86_469:
	s_mov_b64 s[0:1], 0
.LBB86_470:
	s_andn2_b64 vcc, exec, s[0:1]
	s_cbranch_vccnz .LBB86_481
; %bb.471:
	s_cmp_lt_i32 s30, 6
	s_cbranch_scc1 .LBB86_474
; %bb.472:
	s_cmp_gt_i32 s30, 6
	s_cbranch_scc0 .LBB86_475
; %bb.473:
	global_load_dwordx2 v[2:3], v[0:1], off
	s_movk_i32 s0, 0xffe0
	s_waitcnt vmcnt(0)
	v_trunc_f64_e32 v[2:3], v[2:3]
	v_ldexp_f64 v[4:5], v[2:3], s0
	s_mov_b32 s0, 0
	s_mov_b32 s1, 0xc1f00000
	v_floor_f64_e32 v[4:5], v[4:5]
	v_fma_f64 v[6:7], v[4:5], s[0:1], v[2:3]
	v_cvt_i32_f64_e32 v3, v[4:5]
	s_mov_b64 s[0:1], 0
	v_cvt_u32_f64_e32 v2, v[6:7]
	s_branch .LBB86_476
.LBB86_474:
	s_mov_b64 s[0:1], -1
                                        ; implicit-def: $vgpr2_vgpr3
	s_branch .LBB86_479
.LBB86_475:
	s_mov_b64 s[0:1], -1
                                        ; implicit-def: $vgpr2_vgpr3
.LBB86_476:
	s_andn2_b64 vcc, exec, s[0:1]
	s_cbranch_vccnz .LBB86_478
; %bb.477:
	global_load_dword v2, v[0:1], off
	s_mov_b32 s0, 0x2f800000
	s_mov_b32 s1, 0xcf800000
	s_waitcnt vmcnt(0)
	v_trunc_f32_e32 v2, v2
	v_mul_f32_e64 v3, |v2|, s0
	v_floor_f32_e32 v3, v3
	v_cvt_u32_f32_e32 v4, v3
	v_fma_f32 v3, v3, s1, |v2|
	v_cvt_u32_f32_e32 v3, v3
	v_ashrrev_i32_e32 v5, 31, v2
	v_xor_b32_e32 v4, v4, v5
	v_xor_b32_e32 v2, v3, v5
	v_sub_co_u32_e32 v2, vcc, v2, v5
	v_subb_co_u32_e32 v3, vcc, v4, v5, vcc
.LBB86_478:
	s_mov_b64 s[0:1], 0
.LBB86_479:
	s_andn2_b64 vcc, exec, s[0:1]
	s_cbranch_vccnz .LBB86_481
; %bb.480:
	global_load_ushort v2, v[0:1], off
	s_waitcnt vmcnt(0)
	v_cvt_f32_f16_e32 v2, v2
	v_cvt_i32_f32_e32 v2, v2
	v_ashrrev_i32_e32 v3, 31, v2
.LBB86_481:
	s_mov_b64 s[0:1], 0
.LBB86_482:
	s_andn2_b64 vcc, exec, s[0:1]
	s_cbranch_vccnz .LBB86_502
; %bb.483:
	s_cmp_lt_i32 s30, 2
	s_cbranch_scc1 .LBB86_487
; %bb.484:
	s_cmp_lt_i32 s30, 3
	s_cbranch_scc1 .LBB86_488
; %bb.485:
	s_cmp_gt_i32 s30, 3
	s_cbranch_scc0 .LBB86_489
; %bb.486:
	global_load_dwordx2 v[2:3], v[0:1], off
	s_mov_b64 s[0:1], 0
	s_branch .LBB86_490
.LBB86_487:
	s_mov_b64 s[0:1], -1
                                        ; implicit-def: $vgpr2_vgpr3
	s_branch .LBB86_496
.LBB86_488:
	s_mov_b64 s[0:1], -1
                                        ; implicit-def: $vgpr2_vgpr3
	s_branch .LBB86_493
.LBB86_489:
	s_mov_b64 s[0:1], -1
                                        ; implicit-def: $vgpr2_vgpr3
.LBB86_490:
	s_andn2_b64 vcc, exec, s[0:1]
	s_cbranch_vccnz .LBB86_492
; %bb.491:
	global_load_dword v2, v[0:1], off
	s_waitcnt vmcnt(0)
	v_ashrrev_i32_e32 v3, 31, v2
.LBB86_492:
	s_mov_b64 s[0:1], 0
.LBB86_493:
	s_andn2_b64 vcc, exec, s[0:1]
	s_cbranch_vccnz .LBB86_495
; %bb.494:
	global_load_ushort v2, v[0:1], off
	s_waitcnt vmcnt(0)
	v_bfe_i32 v2, v2, 0, 16
	v_ashrrev_i32_e32 v3, 31, v2
.LBB86_495:
	s_mov_b64 s[0:1], 0
.LBB86_496:
	s_andn2_b64 vcc, exec, s[0:1]
	s_cbranch_vccnz .LBB86_502
; %bb.497:
	s_cmp_gt_i32 s30, 0
	s_cbranch_scc0 .LBB86_499
; %bb.498:
	global_load_sbyte v2, v[0:1], off
	s_mov_b64 s[0:1], 0
	s_waitcnt vmcnt(0)
	v_bfe_i32 v2, v2, 0, 16
	v_ashrrev_i32_e32 v3, 31, v2
	s_branch .LBB86_500
.LBB86_499:
	s_mov_b64 s[0:1], -1
                                        ; implicit-def: $vgpr2_vgpr3
.LBB86_500:
	s_andn2_b64 vcc, exec, s[0:1]
	s_cbranch_vccnz .LBB86_502
; %bb.501:
	global_load_ubyte v0, v[0:1], off
	s_mov_b32 s0, 0
	s_waitcnt vmcnt(1)
	v_mov_b32_e32 v3, s0
	s_waitcnt vmcnt(0)
	v_and_b32_e32 v2, 0xffff, v0
.LBB86_502:
	s_branch .LBB86_262
.LBB86_503:
	s_mov_b64 s[30:31], 0
                                        ; implicit-def: $vgpr10
	s_mov_b64 s[0:1], s[18:19]
.LBB86_504:
	s_andn2_b64 s[26:27], s[18:19], exec
	s_and_b64 s[0:1], s[0:1], exec
	s_or_b64 s[26:27], s[26:27], s[0:1]
	s_andn2_b64 s[0:1], s[20:21], exec
	s_and_b64 s[24:25], s[24:25], exec
	s_or_b64 s[24:25], s[0:1], s[24:25]
	s_orn2_b64 s[0:1], s[30:31], exec
.LBB86_505:
	s_or_b64 exec, exec, s[28:29]
	s_mov_b64 s[30:31], 0
	s_mov_b64 s[34:35], 0
	;; [unrolled: 1-line block ×3, first 2 shown]
                                        ; implicit-def: $vgpr0_vgpr1
                                        ; implicit-def: $vgpr4_vgpr5
	s_and_saveexec_b64 s[28:29], s[0:1]
	s_cbranch_execz .LBB86_842
; %bb.506:
	v_cmp_gt_i32_e32 vcc, s44, v10
	s_mov_b64 s[40:41], -1
	s_mov_b64 s[0:1], s[24:25]
	s_mov_b64 s[36:37], s[26:27]
	s_and_saveexec_b64 s[30:31], vcc
	s_cbranch_execz .LBB86_760
; %bb.507:
	v_mul_lo_u32 v0, v10, s17
	v_mov_b32_e32 v1, s11
	s_and_b32 s38, 0xffff, s48
	s_cmp_lt_i32 s38, 11
	s_waitcnt vmcnt(0)
	v_ashrrev_i32_e32 v2, 31, v0
	v_add_co_u32_e32 v0, vcc, s10, v0
	v_addc_co_u32_e32 v1, vcc, v1, v2, vcc
	s_cbranch_scc1 .LBB86_514
; %bb.508:
	s_cmp_gt_i32 s38, 25
	s_cbranch_scc0 .LBB86_515
; %bb.509:
	s_cmp_gt_i32 s38, 28
	s_cbranch_scc0 .LBB86_516
	;; [unrolled: 3-line block ×4, first 2 shown]
; %bb.512:
	s_cmp_eq_u32 s38, 46
	s_mov_b64 s[36:37], 0
	s_cbranch_scc0 .LBB86_523
; %bb.513:
	global_load_dword v2, v[0:1], off
	s_mov_b32 s0, 0x2f800000
	s_mov_b32 s1, 0xcf800000
	s_waitcnt vmcnt(0)
	v_lshlrev_b32_e32 v2, 16, v2
	v_trunc_f32_e32 v2, v2
	v_mul_f32_e64 v3, |v2|, s0
	v_floor_f32_e32 v3, v3
	v_fma_f32 v4, v3, s1, |v2|
	v_cvt_u32_f32_e32 v4, v4
	v_cvt_u32_f32_e32 v3, v3
	v_ashrrev_i32_e32 v5, 31, v2
	s_mov_b64 s[0:1], -1
	v_xor_b32_e32 v2, v4, v5
	v_xor_b32_e32 v3, v3, v5
	v_sub_co_u32_e32 v2, vcc, v2, v5
	v_subb_co_u32_e32 v3, vcc, v3, v5, vcc
	s_branch .LBB86_524
.LBB86_514:
	s_mov_b64 s[36:37], -1
	s_mov_b64 s[0:1], 0
                                        ; implicit-def: $vgpr2_vgpr3
	s_mov_b64 s[34:35], s[24:25]
	s_branch .LBB86_585
.LBB86_515:
	s_mov_b64 s[36:37], -1
	s_mov_b64 s[0:1], 0
	s_mov_b64 s[34:35], s[24:25]
                                        ; implicit-def: $vgpr2_vgpr3
	s_branch .LBB86_553
.LBB86_516:
	s_mov_b64 s[36:37], -1
	s_mov_b64 s[0:1], 0
	s_mov_b64 s[34:35], s[24:25]
                                        ; implicit-def: $vgpr2_vgpr3
	s_branch .LBB86_534
.LBB86_517:
	s_mov_b64 s[36:37], -1
	s_mov_b64 s[0:1], 0
	s_mov_b64 s[34:35], s[24:25]
                                        ; implicit-def: $vgpr2_vgpr3
	s_branch .LBB86_529
.LBB86_518:
	s_andn2_saveexec_b64 s[34:35], s[34:35]
	s_cbranch_execz .LBB86_307
.LBB86_519:
	s_mov_b32 s38, 0x46000000
	v_add_f32_e64 v5, |v4|, s38
	v_and_b32_e32 v5, 0xff, v5
	v_cmp_ne_u32_e32 vcc, 0, v5
	s_andn2_b64 s[30:31], s[30:31], exec
	s_and_b64 s[38:39], vcc, exec
	s_or_b64 s[30:31], s[30:31], s[38:39]
	s_or_b64 exec, exec, s[34:35]
	v_mov_b32_e32 v6, 0
	s_and_saveexec_b64 s[34:35], s[30:31]
	s_cbranch_execnz .LBB86_308
	s_branch .LBB86_309
.LBB86_520:
	s_mov_b64 s[36:37], -1
	s_mov_b64 s[0:1], 0
	s_mov_b64 s[34:35], s[24:25]
                                        ; implicit-def: $vgpr2_vgpr3
	s_branch .LBB86_524
.LBB86_521:
	s_andn2_saveexec_b64 s[34:35], s[34:35]
	s_cbranch_execz .LBB86_320
.LBB86_522:
	s_mov_b32 s38, 0x42800000
	v_add_f32_e64 v5, |v4|, s38
	v_and_b32_e32 v5, 0xff, v5
	v_cmp_ne_u32_e32 vcc, 0, v5
	s_andn2_b64 s[30:31], s[30:31], exec
	s_and_b64 s[38:39], vcc, exec
	s_or_b64 s[30:31], s[30:31], s[38:39]
	s_or_b64 exec, exec, s[34:35]
	v_mov_b32_e32 v6, 0
	s_and_saveexec_b64 s[34:35], s[30:31]
	s_cbranch_execnz .LBB86_321
	s_branch .LBB86_322
.LBB86_523:
	s_mov_b64 s[34:35], -1
                                        ; implicit-def: $vgpr2_vgpr3
	s_mov_b64 s[0:1], 0
.LBB86_524:
	s_and_b64 vcc, exec, s[36:37]
	s_cbranch_vccz .LBB86_528
; %bb.525:
	s_cmp_eq_u32 s38, 44
	s_cbranch_scc0 .LBB86_527
; %bb.526:
	global_load_ubyte v2, v[0:1], off
	s_mov_b32 s0, 0x2f800000
	s_mov_b32 s1, 0xcf800000
	s_mov_b64 s[34:35], 0
	s_waitcnt vmcnt(0)
	v_lshlrev_b32_e32 v3, 23, v2
	v_trunc_f32_e32 v3, v3
	v_mul_f32_e64 v4, |v3|, s0
	v_floor_f32_e32 v4, v4
	v_fma_f32 v5, v4, s1, |v3|
	v_cvt_u32_f32_e32 v5, v5
	v_cvt_u32_f32_e32 v4, v4
	v_ashrrev_i32_e32 v3, 31, v3
	s_mov_b64 s[0:1], -1
	v_xor_b32_e32 v5, v5, v3
	v_xor_b32_e32 v4, v4, v3
	v_sub_co_u32_e32 v5, vcc, v5, v3
	v_subb_co_u32_e32 v3, vcc, v4, v3, vcc
	v_cmp_ne_u32_e32 vcc, 0, v2
	v_cndmask_b32_e32 v3, 0, v3, vcc
	v_cndmask_b32_e32 v2, 0, v5, vcc
	s_branch .LBB86_528
.LBB86_527:
	s_mov_b64 s[34:35], -1
                                        ; implicit-def: $vgpr2_vgpr3
.LBB86_528:
	s_mov_b64 s[36:37], 0
.LBB86_529:
	s_and_b64 vcc, exec, s[36:37]
	s_cbranch_vccz .LBB86_533
; %bb.530:
	s_cmp_eq_u32 s38, 29
	s_cbranch_scc0 .LBB86_532
; %bb.531:
	global_load_dwordx2 v[2:3], v[0:1], off
	s_mov_b64 s[0:1], -1
	s_mov_b64 s[34:35], 0
	s_branch .LBB86_533
.LBB86_532:
	s_mov_b64 s[34:35], -1
                                        ; implicit-def: $vgpr2_vgpr3
.LBB86_533:
	s_mov_b64 s[36:37], 0
.LBB86_534:
	s_and_b64 vcc, exec, s[36:37]
	s_cbranch_vccz .LBB86_552
; %bb.535:
	s_cmp_lt_i32 s38, 27
	s_cbranch_scc1 .LBB86_538
; %bb.536:
	s_cmp_gt_i32 s38, 27
	s_cbranch_scc0 .LBB86_539
; %bb.537:
	global_load_dword v2, v[0:1], off
	s_waitcnt vmcnt(1)
	v_mov_b32_e32 v3, 0
	s_mov_b64 s[0:1], 0
	s_branch .LBB86_540
.LBB86_538:
	s_mov_b64 s[0:1], -1
                                        ; implicit-def: $vgpr2_vgpr3
	s_branch .LBB86_543
.LBB86_539:
	s_mov_b64 s[0:1], -1
                                        ; implicit-def: $vgpr2_vgpr3
.LBB86_540:
	s_andn2_b64 vcc, exec, s[0:1]
	s_cbranch_vccnz .LBB86_542
; %bb.541:
	global_load_ushort v2, v[0:1], off
	s_mov_b32 s0, 0
	s_waitcnt vmcnt(1)
	v_mov_b32_e32 v3, s0
	s_waitcnt vmcnt(0)
	v_and_b32_e32 v2, 0xffff, v2
.LBB86_542:
	s_mov_b64 s[0:1], 0
.LBB86_543:
	s_andn2_b64 vcc, exec, s[0:1]
	s_cbranch_vccnz .LBB86_551
; %bb.544:
	global_load_ubyte v4, v[0:1], off
	s_movk_i32 s0, 0x7f
	s_mov_b64 s[36:37], 0
	s_waitcnt vmcnt(0)
	v_cmp_lt_i16_e32 vcc, s0, v4
	s_and_saveexec_b64 s[0:1], vcc
	s_xor_b64 s[0:1], exec, s[0:1]
; %bb.545:
	s_movk_i32 s36, 0x80
	v_cmp_ne_u16_e32 vcc, s36, v4
	s_and_b64 s[36:37], vcc, exec
; %bb.546:
	s_andn2_saveexec_b64 s[0:1], s[0:1]
; %bb.547:
	v_cmp_ne_u16_e32 vcc, 0, v4
	s_andn2_b64 s[36:37], s[36:37], exec
	s_and_b64 s[40:41], vcc, exec
	s_or_b64 s[36:37], s[36:37], s[40:41]
; %bb.548:
	s_or_b64 exec, exec, s[0:1]
	v_mov_b32_e32 v2, 0
	v_mov_b32_e32 v3, 0
	s_and_saveexec_b64 s[0:1], s[36:37]
	s_cbranch_execz .LBB86_550
; %bb.549:
	v_and_b32_e32 v3, 0xffff, v4
	v_lshlrev_b32_e32 v2, 24, v4
	v_and_b32_e32 v4, 7, v3
	v_ffbh_u32_e32 v6, v4
	v_min_u32_e32 v6, 32, v6
	v_subrev_u32_e32 v7, 28, v6
	v_bfe_u32 v5, v3, 3, 4
	v_lshlrev_b32_e32 v3, v7, v3
	v_sub_u32_e32 v6, 29, v6
	v_and_b32_e32 v3, 7, v3
	v_cmp_eq_u32_e32 vcc, 0, v5
	v_cndmask_b32_e32 v5, v5, v6, vcc
	v_cndmask_b32_e32 v3, v4, v3, vcc
	v_mov_b32_e32 v4, 0x3b800000
	v_lshlrev_b32_e32 v3, 20, v3
	v_and_b32_e32 v2, 0x80000000, v2
	v_lshl_add_u32 v4, v5, 23, v4
	v_or3_b32 v2, v2, v4, v3
	v_trunc_f32_e32 v2, v2
	s_mov_b32 s36, 0x2f800000
	v_mul_f32_e64 v3, |v2|, s36
	v_floor_f32_e32 v3, v3
	s_mov_b32 s36, 0xcf800000
	v_fma_f32 v4, v3, s36, |v2|
	v_cvt_u32_f32_e32 v4, v4
	v_cvt_u32_f32_e32 v3, v3
	v_ashrrev_i32_e32 v5, 31, v2
	v_xor_b32_e32 v2, v4, v5
	v_xor_b32_e32 v3, v3, v5
	v_sub_co_u32_e32 v2, vcc, v2, v5
	v_subb_co_u32_e32 v3, vcc, v3, v5, vcc
.LBB86_550:
	s_or_b64 exec, exec, s[0:1]
.LBB86_551:
	s_mov_b64 s[0:1], -1
.LBB86_552:
	s_mov_b64 s[36:37], 0
.LBB86_553:
	s_and_b64 vcc, exec, s[36:37]
	s_cbranch_vccz .LBB86_584
; %bb.554:
	s_cmp_gt_i32 s38, 22
	s_cbranch_scc0 .LBB86_564
; %bb.555:
	s_cmp_lt_i32 s38, 24
	s_cbranch_scc1 .LBB86_565
; %bb.556:
	s_cmp_gt_i32 s38, 24
	s_cbranch_scc0 .LBB86_566
; %bb.557:
	global_load_ubyte v4, v[0:1], off
	s_movk_i32 s0, 0x7f
	s_mov_b64 s[36:37], 0
	s_waitcnt vmcnt(0)
	v_cmp_lt_i16_e32 vcc, s0, v4
	s_and_saveexec_b64 s[0:1], vcc
	s_xor_b64 s[0:1], exec, s[0:1]
; %bb.558:
	s_movk_i32 s36, 0x80
	v_cmp_ne_u16_e32 vcc, s36, v4
	s_and_b64 s[36:37], vcc, exec
; %bb.559:
	s_andn2_saveexec_b64 s[0:1], s[0:1]
; %bb.560:
	v_cmp_ne_u16_e32 vcc, 0, v4
	s_andn2_b64 s[36:37], s[36:37], exec
	s_and_b64 s[40:41], vcc, exec
	s_or_b64 s[36:37], s[36:37], s[40:41]
; %bb.561:
	s_or_b64 exec, exec, s[0:1]
	v_mov_b32_e32 v2, 0
	v_mov_b32_e32 v3, 0
	s_and_saveexec_b64 s[0:1], s[36:37]
	s_cbranch_execz .LBB86_563
; %bb.562:
	v_and_b32_e32 v3, 0xffff, v4
	v_lshlrev_b32_e32 v2, 24, v4
	v_and_b32_e32 v4, 3, v3
	v_ffbh_u32_e32 v6, v4
	v_min_u32_e32 v6, 32, v6
	v_subrev_u32_e32 v7, 29, v6
	v_bfe_u32 v5, v3, 2, 5
	v_lshlrev_b32_e32 v3, v7, v3
	v_sub_u32_e32 v6, 30, v6
	v_and_b32_e32 v3, 3, v3
	v_cmp_eq_u32_e32 vcc, 0, v5
	v_cndmask_b32_e32 v5, v5, v6, vcc
	v_cndmask_b32_e32 v3, v4, v3, vcc
	v_mov_b32_e32 v4, 0x37800000
	v_lshlrev_b32_e32 v3, 21, v3
	v_and_b32_e32 v2, 0x80000000, v2
	v_lshl_add_u32 v4, v5, 23, v4
	v_or3_b32 v2, v2, v4, v3
	v_trunc_f32_e32 v2, v2
	s_mov_b32 s36, 0x2f800000
	v_mul_f32_e64 v3, |v2|, s36
	v_floor_f32_e32 v3, v3
	s_mov_b32 s36, 0xcf800000
	v_fma_f32 v4, v3, s36, |v2|
	v_cvt_u32_f32_e32 v4, v4
	v_cvt_u32_f32_e32 v3, v3
	v_ashrrev_i32_e32 v5, 31, v2
	v_xor_b32_e32 v2, v4, v5
	v_xor_b32_e32 v3, v3, v5
	v_sub_co_u32_e32 v2, vcc, v2, v5
	v_subb_co_u32_e32 v3, vcc, v3, v5, vcc
.LBB86_563:
	s_or_b64 exec, exec, s[0:1]
	s_mov_b64 s[0:1], 0
	s_branch .LBB86_567
.LBB86_564:
	s_mov_b64 s[36:37], -1
                                        ; implicit-def: $vgpr2_vgpr3
	s_branch .LBB86_573
.LBB86_565:
	s_mov_b64 s[0:1], -1
                                        ; implicit-def: $vgpr2_vgpr3
	s_branch .LBB86_570
.LBB86_566:
	s_mov_b64 s[0:1], -1
                                        ; implicit-def: $vgpr2_vgpr3
.LBB86_567:
	s_and_b64 vcc, exec, s[0:1]
	s_cbranch_vccz .LBB86_569
; %bb.568:
	global_load_ubyte v2, v[0:1], off
	s_mov_b32 s0, 0x7f800000
	s_brev_b32 s1, 1
	s_mov_b32 s36, 0x2f800000
	s_mov_b32 s37, 0xcf800000
	s_waitcnt vmcnt(0)
	v_lshlrev_b32_e32 v2, 24, v2
	v_and_b32_e32 v3, 0x7f000000, v2
	v_ffbh_u32_e32 v4, v3
	v_min_u32_e32 v4, 32, v4
	v_sub_u32_e64 v4, v4, 4 clamp
	v_lshlrev_b32_e32 v6, v4, v3
	v_lshlrev_b32_e32 v4, 23, v4
	v_lshrrev_b32_e32 v6, 4, v6
	v_add_u32_e32 v5, 0x1000000, v3
	v_sub_u32_e32 v4, v6, v4
	v_ashrrev_i32_e32 v5, 8, v5
	v_add_u32_e32 v4, 0x3c000000, v4
	v_and_or_b32 v4, v5, s0, v4
	v_cmp_ne_u32_e32 vcc, 0, v3
	v_cndmask_b32_e32 v3, 0, v4, vcc
	v_and_or_b32 v2, v2, s1, v3
	v_trunc_f32_e32 v2, v2
	v_mul_f32_e64 v3, |v2|, s36
	v_floor_f32_e32 v3, v3
	v_fma_f32 v4, v3, s37, |v2|
	v_cvt_u32_f32_e32 v4, v4
	v_cvt_u32_f32_e32 v3, v3
	v_ashrrev_i32_e32 v5, 31, v2
	v_xor_b32_e32 v2, v4, v5
	v_xor_b32_e32 v3, v3, v5
	v_sub_co_u32_e32 v2, vcc, v2, v5
	v_subb_co_u32_e32 v3, vcc, v3, v5, vcc
.LBB86_569:
	s_mov_b64 s[0:1], 0
.LBB86_570:
	s_andn2_b64 vcc, exec, s[0:1]
	s_cbranch_vccnz .LBB86_572
; %bb.571:
	global_load_ubyte v2, v[0:1], off
	s_movk_i32 s0, 0x7f00
	s_brev_b32 s1, 16
	s_brev_b32 s36, 1
	s_mov_b32 s37, 0x2f800000
	s_mov_b32 s39, 0xcf800000
	s_waitcnt vmcnt(0)
	v_lshlrev_b16_e32 v3, 8, v2
	v_lshlrev_b32_e32 v2, 25, v2
	v_lshrrev_b32_e32 v4, 4, v2
	v_and_or_b32 v5, v3, s0, 0.5
	v_or_b32_e32 v4, 0x70000000, v4
	v_add_f32_e32 v5, -0.5, v5
	v_mul_f32_e32 v4, 0x7800000, v4
	v_cmp_gt_u32_e32 vcc, s1, v2
	v_bfe_i32 v3, v3, 0, 16
	v_cndmask_b32_e32 v2, v4, v5, vcc
	v_and_or_b32 v2, v3, s36, v2
	v_trunc_f32_e32 v2, v2
	v_mul_f32_e64 v3, |v2|, s37
	v_floor_f32_e32 v3, v3
	v_fma_f32 v4, v3, s39, |v2|
	v_cvt_u32_f32_e32 v4, v4
	v_cvt_u32_f32_e32 v3, v3
	v_ashrrev_i32_e32 v5, 31, v2
	v_xor_b32_e32 v2, v4, v5
	v_xor_b32_e32 v3, v3, v5
	v_sub_co_u32_e32 v2, vcc, v2, v5
	v_subb_co_u32_e32 v3, vcc, v3, v5, vcc
.LBB86_572:
	s_mov_b64 s[36:37], 0
	s_mov_b64 s[0:1], -1
.LBB86_573:
	s_andn2_b64 vcc, exec, s[36:37]
	s_cbranch_vccnz .LBB86_584
; %bb.574:
	s_cmp_gt_i32 s38, 14
	s_cbranch_scc0 .LBB86_577
; %bb.575:
	s_cmp_eq_u32 s38, 15
	s_cbranch_scc0 .LBB86_578
; %bb.576:
	global_load_ushort v2, v[0:1], off
	s_mov_b32 s0, 0x2f800000
	s_mov_b32 s1, 0xcf800000
	s_mov_b64 s[34:35], 0
	s_waitcnt vmcnt(0)
	v_lshlrev_b32_e32 v2, 16, v2
	v_trunc_f32_e32 v2, v2
	v_mul_f32_e64 v3, |v2|, s0
	v_floor_f32_e32 v3, v3
	v_fma_f32 v4, v3, s1, |v2|
	v_cvt_u32_f32_e32 v4, v4
	v_cvt_u32_f32_e32 v3, v3
	v_ashrrev_i32_e32 v5, 31, v2
	s_mov_b64 s[0:1], -1
	v_xor_b32_e32 v2, v4, v5
	v_xor_b32_e32 v3, v3, v5
	v_sub_co_u32_e32 v2, vcc, v2, v5
	v_subb_co_u32_e32 v3, vcc, v3, v5, vcc
	s_branch .LBB86_579
.LBB86_577:
	s_mov_b64 s[36:37], -1
                                        ; implicit-def: $vgpr2_vgpr3
	s_branch .LBB86_580
.LBB86_578:
	s_mov_b64 s[34:35], -1
                                        ; implicit-def: $vgpr2_vgpr3
.LBB86_579:
	s_mov_b64 s[36:37], 0
.LBB86_580:
	s_and_b64 vcc, exec, s[36:37]
	s_cbranch_vccz .LBB86_584
; %bb.581:
	s_cmp_eq_u32 s38, 11
	s_cbranch_scc0 .LBB86_583
; %bb.582:
	global_load_ubyte v2, v[0:1], off
	s_mov_b32 s34, 0
	s_mov_b64 s[0:1], -1
	s_waitcnt vmcnt(1)
	v_mov_b32_e32 v3, s34
	s_mov_b64 s[34:35], 0
	s_waitcnt vmcnt(0)
	v_cmp_ne_u16_e32 vcc, 0, v2
	v_cndmask_b32_e64 v2, 0, 1, vcc
	s_branch .LBB86_584
.LBB86_583:
	s_mov_b64 s[34:35], -1
                                        ; implicit-def: $vgpr2_vgpr3
.LBB86_584:
	s_mov_b64 s[36:37], 0
.LBB86_585:
	s_and_b64 vcc, exec, s[36:37]
	s_cbranch_vccz .LBB86_634
; %bb.586:
	s_cmp_lt_i32 s38, 5
	s_cbranch_scc1 .LBB86_591
; %bb.587:
	s_cmp_lt_i32 s38, 8
	s_cbranch_scc1 .LBB86_592
	;; [unrolled: 3-line block ×3, first 2 shown]
; %bb.589:
	s_cmp_gt_i32 s38, 9
	s_cbranch_scc0 .LBB86_594
; %bb.590:
	global_load_dwordx2 v[2:3], v[0:1], off
	s_movk_i32 s0, 0xffe0
	s_waitcnt vmcnt(0)
	v_trunc_f64_e32 v[2:3], v[2:3]
	v_ldexp_f64 v[4:5], v[2:3], s0
	s_mov_b32 s0, 0
	s_mov_b32 s1, 0xc1f00000
	v_floor_f64_e32 v[4:5], v[4:5]
	v_fma_f64 v[6:7], v[4:5], s[0:1], v[2:3]
	v_cvt_i32_f64_e32 v3, v[4:5]
	s_mov_b64 s[0:1], 0
	v_cvt_u32_f64_e32 v2, v[6:7]
	s_branch .LBB86_595
.LBB86_591:
	s_mov_b64 s[0:1], -1
                                        ; implicit-def: $vgpr2_vgpr3
	s_branch .LBB86_613
.LBB86_592:
	s_mov_b64 s[0:1], -1
                                        ; implicit-def: $vgpr2_vgpr3
	s_branch .LBB86_601
.LBB86_593:
	s_mov_b64 s[0:1], -1
                                        ; implicit-def: $vgpr2_vgpr3
	s_branch .LBB86_598
.LBB86_594:
	s_mov_b64 s[0:1], -1
                                        ; implicit-def: $vgpr2_vgpr3
.LBB86_595:
	s_andn2_b64 vcc, exec, s[0:1]
	s_cbranch_vccnz .LBB86_597
; %bb.596:
	global_load_dword v2, v[0:1], off
	s_mov_b32 s0, 0x2f800000
	s_mov_b32 s1, 0xcf800000
	s_waitcnt vmcnt(0)
	v_trunc_f32_e32 v2, v2
	v_mul_f32_e64 v3, |v2|, s0
	v_floor_f32_e32 v3, v3
	v_cvt_u32_f32_e32 v4, v3
	v_fma_f32 v3, v3, s1, |v2|
	v_cvt_u32_f32_e32 v3, v3
	v_ashrrev_i32_e32 v5, 31, v2
	v_xor_b32_e32 v4, v4, v5
	v_xor_b32_e32 v2, v3, v5
	v_sub_co_u32_e32 v2, vcc, v2, v5
	v_subb_co_u32_e32 v3, vcc, v4, v5, vcc
.LBB86_597:
	s_mov_b64 s[0:1], 0
.LBB86_598:
	s_andn2_b64 vcc, exec, s[0:1]
	s_cbranch_vccnz .LBB86_600
; %bb.599:
	global_load_dword v2, v[0:1], off
	s_waitcnt vmcnt(0)
	v_cvt_f32_f16_e32 v2, v2
	v_cvt_i32_f32_e32 v2, v2
	v_ashrrev_i32_e32 v3, 31, v2
.LBB86_600:
	s_mov_b64 s[0:1], 0
.LBB86_601:
	s_andn2_b64 vcc, exec, s[0:1]
	s_cbranch_vccnz .LBB86_612
; %bb.602:
	s_cmp_lt_i32 s38, 6
	s_cbranch_scc1 .LBB86_605
; %bb.603:
	s_cmp_gt_i32 s38, 6
	s_cbranch_scc0 .LBB86_606
; %bb.604:
	global_load_dwordx2 v[2:3], v[0:1], off
	s_movk_i32 s0, 0xffe0
	s_waitcnt vmcnt(0)
	v_trunc_f64_e32 v[2:3], v[2:3]
	v_ldexp_f64 v[4:5], v[2:3], s0
	s_mov_b32 s0, 0
	s_mov_b32 s1, 0xc1f00000
	v_floor_f64_e32 v[4:5], v[4:5]
	v_fma_f64 v[6:7], v[4:5], s[0:1], v[2:3]
	v_cvt_i32_f64_e32 v3, v[4:5]
	s_mov_b64 s[0:1], 0
	v_cvt_u32_f64_e32 v2, v[6:7]
	s_branch .LBB86_607
.LBB86_605:
	s_mov_b64 s[0:1], -1
                                        ; implicit-def: $vgpr2_vgpr3
	s_branch .LBB86_610
.LBB86_606:
	s_mov_b64 s[0:1], -1
                                        ; implicit-def: $vgpr2_vgpr3
.LBB86_607:
	s_andn2_b64 vcc, exec, s[0:1]
	s_cbranch_vccnz .LBB86_609
; %bb.608:
	global_load_dword v2, v[0:1], off
	s_mov_b32 s0, 0x2f800000
	s_mov_b32 s1, 0xcf800000
	s_waitcnt vmcnt(0)
	v_trunc_f32_e32 v2, v2
	v_mul_f32_e64 v3, |v2|, s0
	v_floor_f32_e32 v3, v3
	v_cvt_u32_f32_e32 v4, v3
	v_fma_f32 v3, v3, s1, |v2|
	v_cvt_u32_f32_e32 v3, v3
	v_ashrrev_i32_e32 v5, 31, v2
	v_xor_b32_e32 v4, v4, v5
	v_xor_b32_e32 v2, v3, v5
	v_sub_co_u32_e32 v2, vcc, v2, v5
	v_subb_co_u32_e32 v3, vcc, v4, v5, vcc
.LBB86_609:
	s_mov_b64 s[0:1], 0
.LBB86_610:
	s_andn2_b64 vcc, exec, s[0:1]
	s_cbranch_vccnz .LBB86_612
; %bb.611:
	global_load_ushort v2, v[0:1], off
	s_waitcnt vmcnt(0)
	v_cvt_f32_f16_e32 v2, v2
	v_cvt_i32_f32_e32 v2, v2
	v_ashrrev_i32_e32 v3, 31, v2
.LBB86_612:
	s_mov_b64 s[0:1], 0
.LBB86_613:
	s_andn2_b64 vcc, exec, s[0:1]
	s_cbranch_vccnz .LBB86_633
; %bb.614:
	s_cmp_lt_i32 s38, 2
	s_cbranch_scc1 .LBB86_618
; %bb.615:
	s_cmp_lt_i32 s38, 3
	s_cbranch_scc1 .LBB86_619
; %bb.616:
	s_cmp_gt_i32 s38, 3
	s_cbranch_scc0 .LBB86_620
; %bb.617:
	global_load_dwordx2 v[2:3], v[0:1], off
	s_mov_b64 s[0:1], 0
	s_branch .LBB86_621
.LBB86_618:
	s_mov_b64 s[0:1], -1
                                        ; implicit-def: $vgpr2_vgpr3
	s_branch .LBB86_627
.LBB86_619:
	s_mov_b64 s[0:1], -1
                                        ; implicit-def: $vgpr2_vgpr3
	s_branch .LBB86_624
.LBB86_620:
	s_mov_b64 s[0:1], -1
                                        ; implicit-def: $vgpr2_vgpr3
.LBB86_621:
	s_andn2_b64 vcc, exec, s[0:1]
	s_cbranch_vccnz .LBB86_623
; %bb.622:
	global_load_dword v2, v[0:1], off
	s_waitcnt vmcnt(0)
	v_ashrrev_i32_e32 v3, 31, v2
.LBB86_623:
	s_mov_b64 s[0:1], 0
.LBB86_624:
	s_andn2_b64 vcc, exec, s[0:1]
	s_cbranch_vccnz .LBB86_626
; %bb.625:
	global_load_ushort v2, v[0:1], off
	s_waitcnt vmcnt(0)
	v_bfe_i32 v2, v2, 0, 16
	v_ashrrev_i32_e32 v3, 31, v2
.LBB86_626:
	s_mov_b64 s[0:1], 0
.LBB86_627:
	s_andn2_b64 vcc, exec, s[0:1]
	s_cbranch_vccnz .LBB86_633
; %bb.628:
	s_cmp_gt_i32 s38, 0
	s_cbranch_scc0 .LBB86_630
; %bb.629:
	global_load_sbyte v2, v[0:1], off
	s_mov_b64 s[0:1], 0
	s_waitcnt vmcnt(0)
	v_bfe_i32 v2, v2, 0, 16
	v_ashrrev_i32_e32 v3, 31, v2
	s_branch .LBB86_631
.LBB86_630:
	s_mov_b64 s[0:1], -1
                                        ; implicit-def: $vgpr2_vgpr3
.LBB86_631:
	s_andn2_b64 vcc, exec, s[0:1]
	s_cbranch_vccnz .LBB86_633
; %bb.632:
	global_load_ubyte v0, v[0:1], off
	s_mov_b32 s0, 0
	s_waitcnt vmcnt(1)
	v_mov_b32_e32 v3, s0
	s_waitcnt vmcnt(0)
	v_and_b32_e32 v2, 0xffff, v0
.LBB86_633:
	s_mov_b64 s[0:1], -1
.LBB86_634:
	s_andn2_b64 vcc, exec, s[0:1]
	s_cbranch_vccnz .LBB86_642
; %bb.635:
	s_waitcnt vmcnt(0)
	v_cmp_lt_i64_e32 vcc, s[12:13], v[2:3]
	v_mul_lo_u32 v2, v10, s16
	v_mov_b32_e32 v0, s15
	v_mov_b32_e32 v1, s3
	v_cndmask_b32_e32 v1, v0, v1, vcc
	v_mov_b32_e32 v0, s14
	v_mov_b32_e32 v3, s2
	v_cndmask_b32_e32 v0, v0, v3, vcc
	v_ashrrev_i32_e32 v3, 31, v2
	v_mov_b32_e32 v4, s9
	s_and_b32 s42, s33, 0xff
	v_add_co_u32_e32 v2, vcc, s8, v2
	s_cmp_lt_i32 s42, 11
	v_addc_co_u32_e32 v3, vcc, v4, v3, vcc
	s_cbranch_scc1 .LBB86_643
; %bb.636:
	s_and_b32 s43, 0xffff, s42
	s_cmp_gt_i32 s43, 25
	s_cbranch_scc0 .LBB86_644
; %bb.637:
	s_cmp_gt_i32 s43, 28
	s_cbranch_scc0 .LBB86_645
; %bb.638:
	;; [unrolled: 3-line block ×4, first 2 shown]
	s_mov_b64 s[38:39], 0
	s_mov_b64 s[0:1], -1
	s_cmp_eq_u32 s43, 46
	s_mov_b64 s[36:37], 0
	s_cbranch_scc0 .LBB86_648
; %bb.641:
	v_xor_b32_e32 v5, v0, v1
	v_ffbh_i32_e32 v4, v1
	v_ashrrev_i32_e32 v5, 31, v5
	v_add_u32_e32 v4, -1, v4
	v_add_u32_e32 v5, 32, v5
	v_min_u32_e32 v6, v4, v5
	v_lshlrev_b64 v[4:5], v6, v[0:1]
	s_movk_i32 s0, 0x7fff
	v_min_u32_e32 v4, 1, v4
	v_or_b32_e32 v4, v5, v4
	v_cvt_f32_i32_e32 v4, v4
	v_sub_u32_e32 v5, 32, v6
	s_mov_b64 s[36:37], -1
	v_ldexp_f32 v4, v4, v5
	v_bfe_u32 v5, v4, 16, 1
	v_add3_u32 v4, v4, v5, s0
	v_lshrrev_b32_e32 v4, 16, v4
	global_store_dword v[2:3], v4, off
	s_mov_b64 s[0:1], 0
	s_branch .LBB86_648
.LBB86_642:
	s_mov_b64 s[38:39], 0
                                        ; implicit-def: $vgpr10
	s_mov_b64 s[0:1], s[26:27]
	s_branch .LBB86_759
.LBB86_643:
	s_mov_b64 s[38:39], -1
	s_mov_b64 s[36:37], 0
	s_mov_b64 s[0:1], s[26:27]
	s_branch .LBB86_717
.LBB86_644:
	s_mov_b64 s[38:39], -1
	s_mov_b64 s[36:37], 0
	s_mov_b64 s[0:1], s[26:27]
	s_branch .LBB86_675
.LBB86_645:
	s_mov_b64 s[38:39], -1
	s_mov_b64 s[36:37], 0
	s_mov_b64 s[0:1], s[26:27]
	s_branch .LBB86_658
.LBB86_646:
	s_mov_b64 s[38:39], -1
	s_mov_b64 s[36:37], 0
	s_mov_b64 s[0:1], s[26:27]
	s_branch .LBB86_654
.LBB86_647:
	s_mov_b64 s[38:39], -1
	s_mov_b64 s[36:37], 0
	s_mov_b64 s[0:1], s[26:27]
.LBB86_648:
	s_and_b64 vcc, exec, s[38:39]
	s_cbranch_vccz .LBB86_653
; %bb.649:
	s_cmp_eq_u32 s43, 44
	s_mov_b64 s[0:1], -1
	s_cbranch_scc0 .LBB86_653
; %bb.650:
	v_xor_b32_e32 v5, v0, v1
	v_ffbh_i32_e32 v4, v1
	v_ashrrev_i32_e32 v5, 31, v5
	v_add_u32_e32 v4, -1, v4
	v_add_u32_e32 v5, 32, v5
	v_min_u32_e32 v6, v4, v5
	v_lshlrev_b64 v[4:5], v6, v[0:1]
	s_movk_i32 s0, 0xff
	v_min_u32_e32 v4, 1, v4
	v_or_b32_e32 v4, v5, v4
	v_cvt_f32_i32_e32 v4, v4
	v_sub_u32_e32 v5, 32, v6
	v_mov_b32_e32 v6, 0xff
	v_ldexp_f32 v4, v4, v5
	v_bfe_u32 v5, v4, 23, 8
	v_cmp_ne_u32_e32 vcc, s0, v5
	s_and_saveexec_b64 s[36:37], vcc
; %bb.651:
	s_mov_b32 s0, 0x3fffff
	v_lshrrev_b32_e32 v6, 23, v4
	v_and_b32_e32 v7, 0x400000, v4
	v_and_or_b32 v4, v4, s0, v5
	v_cmp_ne_u32_e32 vcc, 0, v7
	v_cmp_ne_u32_e64 s[0:1], 0, v4
	s_and_b64 s[0:1], vcc, s[0:1]
	v_cndmask_b32_e64 v4, 0, 1, s[0:1]
	v_add_u32_e32 v6, v6, v4
; %bb.652:
	s_or_b64 exec, exec, s[36:37]
	s_mov_b64 s[36:37], -1
	s_mov_b64 s[0:1], 0
	global_store_byte v[2:3], v6, off
.LBB86_653:
	s_mov_b64 s[38:39], 0
.LBB86_654:
	s_and_b64 vcc, exec, s[38:39]
	s_cbranch_vccz .LBB86_657
; %bb.655:
	s_cmp_eq_u32 s43, 29
	s_mov_b64 s[0:1], -1
	s_cbranch_scc0 .LBB86_657
; %bb.656:
	global_store_dwordx2 v[2:3], v[0:1], off
	s_mov_b64 s[36:37], -1
	s_mov_b64 s[0:1], 0
.LBB86_657:
	s_mov_b64 s[38:39], 0
.LBB86_658:
	s_and_b64 vcc, exec, s[38:39]
	s_cbranch_vccz .LBB86_674
; %bb.659:
	s_cmp_lt_i32 s43, 27
	s_mov_b64 s[36:37], -1
	s_cbranch_scc1 .LBB86_665
; %bb.660:
	s_cmp_gt_i32 s43, 27
	s_cbranch_scc0 .LBB86_662
; %bb.661:
	s_mov_b64 s[36:37], 0
	global_store_dword v[2:3], v0, off
.LBB86_662:
	s_andn2_b64 vcc, exec, s[36:37]
	s_cbranch_vccnz .LBB86_664
; %bb.663:
	global_store_short v[2:3], v0, off
.LBB86_664:
	s_mov_b64 s[36:37], 0
.LBB86_665:
	s_andn2_b64 vcc, exec, s[36:37]
	s_cbranch_vccnz .LBB86_673
; %bb.666:
	v_xor_b32_e32 v5, v0, v1
	v_ffbh_i32_e32 v4, v1
	v_ashrrev_i32_e32 v5, 31, v5
	v_add_u32_e32 v4, -1, v4
	v_add_u32_e32 v5, 32, v5
	v_min_u32_e32 v6, v4, v5
	v_lshlrev_b64 v[4:5], v6, v[0:1]
	s_mov_b32 s36, 0x43800000
	v_min_u32_e32 v4, 1, v4
	v_or_b32_e32 v4, v5, v4
	v_cvt_f32_i32_e32 v4, v4
	v_sub_u32_e32 v5, 32, v6
	v_mov_b32_e32 v6, 0x80
	v_ldexp_f32 v4, v4, v5
	v_and_b32_e32 v5, 0x7fffffff, v4
	v_cmp_gt_u32_e32 vcc, s36, v5
	s_and_saveexec_b64 s[36:37], vcc
	s_cbranch_execz .LBB86_672
; %bb.667:
	s_mov_b32 s38, 0x3bffffff
	v_cmp_lt_u32_e32 vcc, s38, v5
	s_mov_b64 s[38:39], 0
                                        ; implicit-def: $vgpr5
	s_and_saveexec_b64 s[40:41], vcc
	s_xor_b64 s[40:41], exec, s[40:41]
	s_cbranch_execz .LBB86_773
; %bb.668:
	v_bfe_u32 v5, v4, 20, 1
	s_mov_b32 s45, 0x487ffff
	v_add3_u32 v5, v4, v5, s45
	s_mov_b64 s[38:39], exec
	v_lshrrev_b32_e32 v5, 20, v5
	s_andn2_saveexec_b64 s[40:41], s[40:41]
	s_cbranch_execnz .LBB86_774
.LBB86_669:
	s_or_b64 exec, exec, s[40:41]
	v_mov_b32_e32 v6, 0
	s_and_saveexec_b64 s[40:41], s[38:39]
.LBB86_670:
	v_lshrrev_b32_e32 v4, 24, v4
	s_movk_i32 s38, 0x80
	v_and_or_b32 v6, v4, s38, v5
.LBB86_671:
	s_or_b64 exec, exec, s[40:41]
.LBB86_672:
	s_or_b64 exec, exec, s[36:37]
	global_store_byte v[2:3], v6, off
.LBB86_673:
	s_mov_b64 s[36:37], -1
.LBB86_674:
	s_mov_b64 s[38:39], 0
.LBB86_675:
	s_and_b64 vcc, exec, s[38:39]
	s_cbranch_vccz .LBB86_716
; %bb.676:
	s_cmp_gt_i32 s43, 22
	s_mov_b64 s[38:39], -1
	s_cbranch_scc0 .LBB86_708
; %bb.677:
	s_cmp_lt_i32 s43, 24
	s_mov_b64 s[36:37], -1
	s_cbranch_scc1 .LBB86_697
; %bb.678:
	s_cmp_gt_i32 s43, 24
	s_cbranch_scc0 .LBB86_686
; %bb.679:
	v_xor_b32_e32 v5, v0, v1
	v_ffbh_i32_e32 v4, v1
	v_ashrrev_i32_e32 v5, 31, v5
	v_add_u32_e32 v4, -1, v4
	v_add_u32_e32 v5, 32, v5
	v_min_u32_e32 v6, v4, v5
	v_lshlrev_b64 v[4:5], v6, v[0:1]
	s_mov_b32 s36, 0x47800000
	v_min_u32_e32 v4, 1, v4
	v_or_b32_e32 v4, v5, v4
	v_cvt_f32_i32_e32 v4, v4
	v_sub_u32_e32 v5, 32, v6
	v_mov_b32_e32 v6, 0x80
	v_ldexp_f32 v4, v4, v5
	v_and_b32_e32 v5, 0x7fffffff, v4
	v_cmp_gt_u32_e32 vcc, s36, v5
	s_and_saveexec_b64 s[36:37], vcc
	s_cbranch_execz .LBB86_685
; %bb.680:
	s_mov_b32 s38, 0x37ffffff
	v_cmp_lt_u32_e32 vcc, s38, v5
	s_mov_b64 s[38:39], 0
                                        ; implicit-def: $vgpr5
	s_and_saveexec_b64 s[40:41], vcc
	s_xor_b64 s[40:41], exec, s[40:41]
	s_cbranch_execz .LBB86_776
; %bb.681:
	v_bfe_u32 v5, v4, 21, 1
	s_mov_b32 s45, 0x88fffff
	v_add3_u32 v5, v4, v5, s45
	s_mov_b64 s[38:39], exec
	v_lshrrev_b32_e32 v5, 21, v5
	s_andn2_saveexec_b64 s[40:41], s[40:41]
	s_cbranch_execnz .LBB86_777
.LBB86_682:
	s_or_b64 exec, exec, s[40:41]
	v_mov_b32_e32 v6, 0
	s_and_saveexec_b64 s[40:41], s[38:39]
.LBB86_683:
	v_lshrrev_b32_e32 v4, 24, v4
	s_movk_i32 s38, 0x80
	v_and_or_b32 v6, v4, s38, v5
.LBB86_684:
	s_or_b64 exec, exec, s[40:41]
.LBB86_685:
	s_or_b64 exec, exec, s[36:37]
	s_mov_b64 s[36:37], 0
	global_store_byte v[2:3], v6, off
.LBB86_686:
	s_and_b64 vcc, exec, s[36:37]
	s_cbranch_vccz .LBB86_696
; %bb.687:
	v_xor_b32_e32 v5, v0, v1
	v_ffbh_i32_e32 v4, v1
	v_ashrrev_i32_e32 v5, 31, v5
	v_add_u32_e32 v4, -1, v4
	v_add_u32_e32 v5, 32, v5
	v_min_u32_e32 v6, v4, v5
	v_lshlrev_b64 v[4:5], v6, v[0:1]
	s_mov_b32 s36, 0x43f00000
	v_min_u32_e32 v4, 1, v4
	v_or_b32_e32 v4, v5, v4
	v_cvt_f32_i32_e32 v4, v4
	v_sub_u32_e32 v5, 32, v6
	v_ldexp_f32 v4, v4, v5
	v_and_b32_e32 v6, 0x7fffffff, v4
	v_cmp_gt_u32_e32 vcc, s36, v6
                                        ; implicit-def: $vgpr5
	s_and_saveexec_b64 s[36:37], vcc
	s_xor_b64 s[36:37], exec, s[36:37]
	s_cbranch_execz .LBB86_693
; %bb.688:
	s_mov_b32 s38, 0x3c7fffff
	v_cmp_lt_u32_e32 vcc, s38, v6
                                        ; implicit-def: $vgpr5
	s_and_saveexec_b64 s[38:39], vcc
	s_xor_b64 s[38:39], exec, s[38:39]
; %bb.689:
	v_bfe_u32 v5, v4, 20, 1
	s_mov_b32 s40, 0x407ffff
	v_add3_u32 v5, v4, v5, s40
	v_lshrrev_b32_e32 v6, 20, v5
	v_and_b32_e32 v5, 0xff00000, v5
	s_mov_b32 s40, 0x7f00000
	v_mov_b32_e32 v7, 0x7e
	v_cmp_ne_u32_e32 vcc, s40, v5
	v_cndmask_b32_e32 v5, v7, v6, vcc
; %bb.690:
	s_andn2_saveexec_b64 s[38:39], s[38:39]
; %bb.691:
	s_mov_b32 s40, 0x46800000
	v_add_f32_e64 v5, |v4|, s40
; %bb.692:
	s_or_b64 exec, exec, s[38:39]
                                        ; implicit-def: $vgpr6
.LBB86_693:
	s_andn2_saveexec_b64 s[36:37], s[36:37]
; %bb.694:
	s_mov_b32 s38, 0x7f800000
	v_mov_b32_e32 v5, 0x7e
	v_mov_b32_e32 v7, 0x7f
	v_cmp_lt_u32_e32 vcc, s38, v6
	v_cndmask_b32_e32 v5, v5, v7, vcc
; %bb.695:
	s_or_b64 exec, exec, s[36:37]
	v_lshrrev_b32_e32 v4, 24, v4
	s_movk_i32 s36, 0x80
	v_and_or_b32 v4, v4, s36, v5
	global_store_byte v[2:3], v4, off
.LBB86_696:
	s_mov_b64 s[36:37], 0
.LBB86_697:
	s_andn2_b64 vcc, exec, s[36:37]
	s_cbranch_vccnz .LBB86_707
; %bb.698:
	v_xor_b32_e32 v5, v0, v1
	v_ffbh_i32_e32 v4, v1
	v_ashrrev_i32_e32 v5, 31, v5
	v_add_u32_e32 v4, -1, v4
	v_add_u32_e32 v5, 32, v5
	v_min_u32_e32 v6, v4, v5
	v_lshlrev_b64 v[4:5], v6, v[0:1]
	s_mov_b32 s36, 0x47800000
	v_min_u32_e32 v4, 1, v4
	v_or_b32_e32 v4, v5, v4
	v_cvt_f32_i32_e32 v4, v4
	v_sub_u32_e32 v5, 32, v6
	v_ldexp_f32 v4, v4, v5
	v_and_b32_e32 v6, 0x7fffffff, v4
	v_cmp_gt_u32_e32 vcc, s36, v6
                                        ; implicit-def: $vgpr5
	s_and_saveexec_b64 s[36:37], vcc
	s_xor_b64 s[36:37], exec, s[36:37]
	s_cbranch_execz .LBB86_704
; %bb.699:
	s_mov_b32 s38, 0x387fffff
	v_cmp_lt_u32_e32 vcc, s38, v6
                                        ; implicit-def: $vgpr5
	s_and_saveexec_b64 s[38:39], vcc
	s_xor_b64 s[38:39], exec, s[38:39]
; %bb.700:
	v_bfe_u32 v5, v4, 21, 1
	s_mov_b32 s40, 0x80fffff
	v_add3_u32 v5, v4, v5, s40
	v_lshrrev_b32_e32 v5, 21, v5
; %bb.701:
	s_andn2_saveexec_b64 s[38:39], s[38:39]
; %bb.702:
	s_mov_b32 s40, 0x43000000
	v_add_f32_e64 v5, |v4|, s40
; %bb.703:
	s_or_b64 exec, exec, s[38:39]
                                        ; implicit-def: $vgpr6
.LBB86_704:
	s_andn2_saveexec_b64 s[36:37], s[36:37]
; %bb.705:
	s_mov_b32 s38, 0x7f800000
	v_mov_b32_e32 v5, 0x7c
	v_mov_b32_e32 v7, 0x7f
	v_cmp_lt_u32_e32 vcc, s38, v6
	v_cndmask_b32_e32 v5, v5, v7, vcc
; %bb.706:
	s_or_b64 exec, exec, s[36:37]
	v_lshrrev_b32_e32 v4, 24, v4
	s_movk_i32 s36, 0x80
	v_and_or_b32 v4, v4, s36, v5
	global_store_byte v[2:3], v4, off
.LBB86_707:
	s_mov_b64 s[38:39], 0
	s_mov_b64 s[36:37], -1
.LBB86_708:
	s_andn2_b64 vcc, exec, s[38:39]
	s_cbranch_vccnz .LBB86_716
; %bb.709:
	s_cmp_gt_i32 s43, 14
	s_mov_b64 s[38:39], -1
	s_cbranch_scc0 .LBB86_713
; %bb.710:
	s_cmp_eq_u32 s43, 15
	s_mov_b64 s[0:1], -1
	s_cbranch_scc0 .LBB86_712
; %bb.711:
	v_xor_b32_e32 v5, v0, v1
	v_ffbh_i32_e32 v4, v1
	v_ashrrev_i32_e32 v5, 31, v5
	v_add_u32_e32 v4, -1, v4
	v_add_u32_e32 v5, 32, v5
	v_min_u32_e32 v6, v4, v5
	v_lshlrev_b64 v[4:5], v6, v[0:1]
	s_movk_i32 s0, 0x7fff
	v_min_u32_e32 v4, 1, v4
	v_or_b32_e32 v4, v5, v4
	v_cvt_f32_i32_e32 v4, v4
	v_sub_u32_e32 v5, 32, v6
	s_mov_b64 s[36:37], -1
	v_ldexp_f32 v4, v4, v5
	v_bfe_u32 v5, v4, 16, 1
	v_add3_u32 v4, v4, v5, s0
	global_store_short_d16_hi v[2:3], v4, off
	s_mov_b64 s[0:1], 0
.LBB86_712:
	s_mov_b64 s[38:39], 0
.LBB86_713:
	s_and_b64 vcc, exec, s[38:39]
	s_cbranch_vccz .LBB86_716
; %bb.714:
	s_cmp_eq_u32 s43, 11
	s_mov_b64 s[0:1], -1
	s_cbranch_scc0 .LBB86_716
; %bb.715:
	v_cmp_ne_u64_e32 vcc, 0, v[0:1]
	s_mov_b64 s[0:1], 0
	v_cndmask_b32_e64 v4, 0, 1, vcc
	s_mov_b64 s[36:37], -1
	global_store_byte v[2:3], v4, off
.LBB86_716:
	s_mov_b64 s[38:39], 0
.LBB86_717:
	s_and_b64 vcc, exec, s[38:39]
	s_cbranch_vccz .LBB86_756
; %bb.718:
	s_and_b32 s38, 0xffff, s42
	s_cmp_lt_i32 s38, 5
	s_mov_b64 s[36:37], -1
	s_cbranch_scc1 .LBB86_739
; %bb.719:
	s_cmp_lt_i32 s38, 8
	s_cbranch_scc1 .LBB86_729
; %bb.720:
	s_cmp_lt_i32 s38, 9
	s_cbranch_scc1 .LBB86_726
; %bb.721:
	s_cmp_gt_i32 s38, 9
	s_cbranch_scc0 .LBB86_723
; %bb.722:
	v_cvt_f64_i32_e32 v[4:5], v1
	v_cvt_f64_u32_e32 v[6:7], v0
	s_mov_b64 s[36:37], 0
	v_ldexp_f64 v[4:5], v[4:5], 32
	v_add_f64 v[4:5], v[4:5], v[6:7]
	v_mov_b32_e32 v6, 0
	v_mov_b32_e32 v7, v6
	global_store_dwordx4 v[2:3], v[4:7], off
.LBB86_723:
	s_andn2_b64 vcc, exec, s[36:37]
	s_cbranch_vccnz .LBB86_725
; %bb.724:
	v_xor_b32_e32 v5, v0, v1
	v_ffbh_i32_e32 v4, v1
	v_ashrrev_i32_e32 v5, 31, v5
	v_add_u32_e32 v4, -1, v4
	v_add_u32_e32 v5, 32, v5
	v_min_u32_e32 v6, v4, v5
	v_lshlrev_b64 v[4:5], v6, v[0:1]
	v_min_u32_e32 v4, 1, v4
	v_or_b32_e32 v4, v5, v4
	v_cvt_f32_i32_e32 v4, v4
	v_sub_u32_e32 v5, 32, v6
	v_ldexp_f32 v4, v4, v5
	v_mov_b32_e32 v5, 0
	global_store_dwordx2 v[2:3], v[4:5], off
.LBB86_725:
	s_mov_b64 s[36:37], 0
.LBB86_726:
	s_andn2_b64 vcc, exec, s[36:37]
	s_cbranch_vccnz .LBB86_728
; %bb.727:
	v_xor_b32_e32 v5, v0, v1
	v_ffbh_i32_e32 v4, v1
	v_ashrrev_i32_e32 v5, 31, v5
	v_add_u32_e32 v4, -1, v4
	v_add_u32_e32 v5, 32, v5
	v_min_u32_e32 v6, v4, v5
	v_lshlrev_b64 v[4:5], v6, v[0:1]
	v_min_u32_e32 v4, 1, v4
	v_or_b32_e32 v4, v5, v4
	v_cvt_f32_i32_e32 v4, v4
	v_sub_u32_e32 v5, 32, v6
	v_ldexp_f32 v4, v4, v5
	v_cvt_f16_f32_e32 v4, v4
	global_store_dword v[2:3], v4, off
.LBB86_728:
	s_mov_b64 s[36:37], 0
.LBB86_729:
	s_andn2_b64 vcc, exec, s[36:37]
	s_cbranch_vccnz .LBB86_738
; %bb.730:
	s_cmp_lt_i32 s38, 6
	s_mov_b64 s[36:37], -1
	s_cbranch_scc1 .LBB86_736
; %bb.731:
	s_cmp_gt_i32 s38, 6
	s_cbranch_scc0 .LBB86_733
; %bb.732:
	v_cvt_f64_i32_e32 v[4:5], v1
	v_cvt_f64_u32_e32 v[6:7], v0
	s_mov_b64 s[36:37], 0
	v_ldexp_f64 v[4:5], v[4:5], 32
	v_add_f64 v[4:5], v[4:5], v[6:7]
	global_store_dwordx2 v[2:3], v[4:5], off
.LBB86_733:
	s_andn2_b64 vcc, exec, s[36:37]
	s_cbranch_vccnz .LBB86_735
; %bb.734:
	v_xor_b32_e32 v5, v0, v1
	v_ffbh_i32_e32 v4, v1
	v_ashrrev_i32_e32 v5, 31, v5
	v_add_u32_e32 v4, -1, v4
	v_add_u32_e32 v5, 32, v5
	v_min_u32_e32 v6, v4, v5
	v_lshlrev_b64 v[4:5], v6, v[0:1]
	v_min_u32_e32 v4, 1, v4
	v_or_b32_e32 v4, v5, v4
	v_cvt_f32_i32_e32 v4, v4
	v_sub_u32_e32 v5, 32, v6
	v_ldexp_f32 v4, v4, v5
	global_store_dword v[2:3], v4, off
.LBB86_735:
	s_mov_b64 s[36:37], 0
.LBB86_736:
	s_andn2_b64 vcc, exec, s[36:37]
	s_cbranch_vccnz .LBB86_738
; %bb.737:
	v_xor_b32_e32 v5, v0, v1
	v_ffbh_i32_e32 v4, v1
	v_ashrrev_i32_e32 v5, 31, v5
	v_add_u32_e32 v4, -1, v4
	v_add_u32_e32 v5, 32, v5
	v_min_u32_e32 v6, v4, v5
	v_lshlrev_b64 v[4:5], v6, v[0:1]
	v_min_u32_e32 v4, 1, v4
	v_or_b32_e32 v4, v5, v4
	v_cvt_f32_i32_e32 v4, v4
	v_sub_u32_e32 v5, 32, v6
	v_ldexp_f32 v4, v4, v5
	v_cvt_f16_f32_e32 v4, v4
	global_store_short v[2:3], v4, off
.LBB86_738:
	s_mov_b64 s[36:37], 0
.LBB86_739:
	s_andn2_b64 vcc, exec, s[36:37]
	s_cbranch_vccnz .LBB86_755
; %bb.740:
	s_cmp_lt_i32 s38, 2
	s_mov_b64 s[36:37], -1
	s_cbranch_scc1 .LBB86_750
; %bb.741:
	s_cmp_lt_i32 s38, 3
	s_cbranch_scc1 .LBB86_747
; %bb.742:
	s_cmp_gt_i32 s38, 3
	s_cbranch_scc0 .LBB86_744
; %bb.743:
	s_mov_b64 s[36:37], 0
	global_store_dwordx2 v[2:3], v[0:1], off
.LBB86_744:
	s_andn2_b64 vcc, exec, s[36:37]
	s_cbranch_vccnz .LBB86_746
; %bb.745:
	global_store_dword v[2:3], v0, off
.LBB86_746:
	s_mov_b64 s[36:37], 0
.LBB86_747:
	s_andn2_b64 vcc, exec, s[36:37]
	s_cbranch_vccnz .LBB86_749
; %bb.748:
	global_store_short v[2:3], v0, off
.LBB86_749:
	s_mov_b64 s[36:37], 0
.LBB86_750:
	s_andn2_b64 vcc, exec, s[36:37]
	s_cbranch_vccnz .LBB86_755
; %bb.751:
	s_cmp_gt_i32 s38, 0
	s_mov_b64 s[36:37], -1
	s_cbranch_scc0 .LBB86_753
; %bb.752:
	s_mov_b64 s[36:37], 0
	global_store_byte v[2:3], v0, off
.LBB86_753:
	s_andn2_b64 vcc, exec, s[36:37]
	s_cbranch_vccnz .LBB86_755
; %bb.754:
	global_store_byte v[2:3], v0, off
.LBB86_755:
	s_mov_b64 s[36:37], -1
.LBB86_756:
	s_andn2_b64 vcc, exec, s[36:37]
	s_cbranch_vccnz .LBB86_758
; %bb.757:
	v_add_u32_e32 v10, 0x80, v10
	s_mov_b64 s[38:39], -1
	s_branch .LBB86_759
.LBB86_758:
	s_mov_b64 s[38:39], 0
                                        ; implicit-def: $vgpr10
.LBB86_759:
	s_andn2_b64 s[36:37], s[26:27], exec
	s_and_b64 s[0:1], s[0:1], exec
	s_or_b64 s[36:37], s[36:37], s[0:1]
	s_andn2_b64 s[0:1], s[24:25], exec
	s_and_b64 s[34:35], s[34:35], exec
	s_or_b64 s[0:1], s[0:1], s[34:35]
	s_orn2_b64 s[40:41], s[38:39], exec
.LBB86_760:
	s_or_b64 exec, exec, s[30:31]
	s_mov_b64 s[38:39], 0
	s_mov_b64 s[34:35], 0
	;; [unrolled: 1-line block ×3, first 2 shown]
                                        ; implicit-def: $vgpr0_vgpr1
                                        ; implicit-def: $vgpr4_vgpr5
	s_and_saveexec_b64 s[30:31], s[40:41]
	s_cbranch_execz .LBB86_841
; %bb.761:
	v_cmp_gt_i32_e32 vcc, s44, v10
	s_mov_b64 s[40:41], 0
	s_mov_b64 s[44:45], s[0:1]
	;; [unrolled: 1-line block ×3, first 2 shown]
                                        ; implicit-def: $vgpr0_vgpr1
                                        ; implicit-def: $vgpr4_vgpr5
	s_and_saveexec_b64 s[34:35], vcc
	s_cbranch_execz .LBB86_840
; %bb.762:
	v_mul_lo_u32 v0, v10, s17
	v_mov_b32_e32 v1, s11
	s_and_b32 s46, 0xffff, s48
	s_cmp_lt_i32 s46, 11
	s_waitcnt vmcnt(0)
	v_ashrrev_i32_e32 v2, 31, v0
	v_add_co_u32_e32 v0, vcc, s10, v0
	v_addc_co_u32_e32 v1, vcc, v1, v2, vcc
	s_cbranch_scc1 .LBB86_769
; %bb.763:
	s_cmp_gt_i32 s46, 25
	s_cbranch_scc0 .LBB86_770
; %bb.764:
	s_cmp_gt_i32 s46, 28
	s_cbranch_scc0 .LBB86_771
	;; [unrolled: 3-line block ×4, first 2 shown]
; %bb.767:
	s_cmp_eq_u32 s46, 46
	s_mov_b64 s[44:45], 0
	s_cbranch_scc0 .LBB86_778
; %bb.768:
	global_load_dword v2, v[0:1], off
	s_mov_b32 s38, 0x2f800000
	s_mov_b32 s39, 0xcf800000
	s_mov_b64 s[42:43], -1
	s_waitcnt vmcnt(0)
	v_lshlrev_b32_e32 v2, 16, v2
	v_trunc_f32_e32 v2, v2
	v_mul_f32_e64 v3, |v2|, s38
	v_floor_f32_e32 v3, v3
	v_fma_f32 v4, v3, s39, |v2|
	v_cvt_u32_f32_e32 v4, v4
	v_cvt_u32_f32_e32 v3, v3
	v_ashrrev_i32_e32 v2, 31, v2
	s_mov_b64 s[38:39], 0
	v_xor_b32_e32 v4, v4, v2
	v_xor_b32_e32 v3, v3, v2
	v_sub_co_u32_e32 v4, vcc, v4, v2
	v_subb_co_u32_e32 v5, vcc, v3, v2, vcc
	s_branch .LBB86_780
.LBB86_769:
	s_mov_b64 s[44:45], -1
                                        ; implicit-def: $vgpr4_vgpr5
	s_mov_b64 s[38:39], s[0:1]
	s_branch .LBB86_839
.LBB86_770:
	s_mov_b64 s[44:45], -1
	s_mov_b64 s[38:39], s[0:1]
                                        ; implicit-def: $vgpr4_vgpr5
	s_branch .LBB86_809
.LBB86_771:
	s_mov_b64 s[44:45], -1
	s_mov_b64 s[38:39], s[0:1]
                                        ; implicit-def: $vgpr4_vgpr5
	s_branch .LBB86_790
.LBB86_772:
	s_mov_b64 s[44:45], -1
	s_mov_b64 s[38:39], s[0:1]
                                        ; implicit-def: $vgpr4_vgpr5
	s_branch .LBB86_785
.LBB86_773:
	s_andn2_saveexec_b64 s[40:41], s[40:41]
	s_cbranch_execz .LBB86_669
.LBB86_774:
	s_mov_b32 s45, 0x46000000
	v_add_f32_e64 v5, |v4|, s45
	v_and_b32_e32 v5, 0xff, v5
	v_cmp_ne_u32_e32 vcc, 0, v5
	s_andn2_b64 s[38:39], s[38:39], exec
	s_and_b64 s[46:47], vcc, exec
	s_or_b64 s[38:39], s[38:39], s[46:47]
	s_or_b64 exec, exec, s[40:41]
	v_mov_b32_e32 v6, 0
	s_and_saveexec_b64 s[40:41], s[38:39]
	s_cbranch_execnz .LBB86_670
	s_branch .LBB86_671
.LBB86_775:
	s_mov_b64 s[44:45], -1
	s_mov_b64 s[38:39], s[0:1]
	s_branch .LBB86_779
.LBB86_776:
	s_andn2_saveexec_b64 s[40:41], s[40:41]
	s_cbranch_execz .LBB86_682
.LBB86_777:
	s_mov_b32 s45, 0x42800000
	v_add_f32_e64 v5, |v4|, s45
	v_and_b32_e32 v5, 0xff, v5
	v_cmp_ne_u32_e32 vcc, 0, v5
	s_andn2_b64 s[38:39], s[38:39], exec
	s_and_b64 s[46:47], vcc, exec
	s_or_b64 s[38:39], s[38:39], s[46:47]
	s_or_b64 exec, exec, s[40:41]
	v_mov_b32_e32 v6, 0
	s_and_saveexec_b64 s[40:41], s[38:39]
	s_cbranch_execnz .LBB86_683
	s_branch .LBB86_684
.LBB86_778:
	s_mov_b64 s[38:39], -1
.LBB86_779:
                                        ; implicit-def: $vgpr4_vgpr5
.LBB86_780:
	s_and_b64 vcc, exec, s[44:45]
	s_cbranch_vccz .LBB86_784
; %bb.781:
	s_cmp_eq_u32 s46, 44
	s_cbranch_scc0 .LBB86_783
; %bb.782:
	global_load_ubyte v2, v[0:1], off
	s_mov_b32 s38, 0x2f800000
	s_mov_b32 s39, 0xcf800000
	s_mov_b64 s[42:43], -1
	s_waitcnt vmcnt(0)
	v_lshlrev_b32_e32 v3, 23, v2
	v_trunc_f32_e32 v3, v3
	v_mul_f32_e64 v4, |v3|, s38
	v_floor_f32_e32 v4, v4
	v_fma_f32 v5, v4, s39, |v3|
	v_cvt_u32_f32_e32 v5, v5
	v_cvt_u32_f32_e32 v4, v4
	v_ashrrev_i32_e32 v3, 31, v3
	s_mov_b64 s[38:39], 0
	v_xor_b32_e32 v5, v5, v3
	v_xor_b32_e32 v4, v4, v3
	v_sub_co_u32_e32 v6, vcc, v5, v3
	v_subb_co_u32_e32 v3, vcc, v4, v3, vcc
	v_cmp_ne_u32_e32 vcc, 0, v2
	v_cndmask_b32_e32 v5, 0, v3, vcc
	v_cndmask_b32_e32 v4, 0, v6, vcc
	s_branch .LBB86_784
.LBB86_783:
	s_mov_b64 s[38:39], -1
                                        ; implicit-def: $vgpr4_vgpr5
.LBB86_784:
	s_mov_b64 s[44:45], 0
.LBB86_785:
	s_and_b64 vcc, exec, s[44:45]
	s_cbranch_vccz .LBB86_789
; %bb.786:
	s_cmp_eq_u32 s46, 29
	s_cbranch_scc0 .LBB86_788
; %bb.787:
	global_load_dwordx2 v[4:5], v[0:1], off
	s_mov_b64 s[38:39], 0
	s_mov_b64 s[42:43], -1
	s_branch .LBB86_789
.LBB86_788:
	s_mov_b64 s[38:39], -1
                                        ; implicit-def: $vgpr4_vgpr5
.LBB86_789:
	s_mov_b64 s[44:45], 0
.LBB86_790:
	s_and_b64 vcc, exec, s[44:45]
	s_cbranch_vccz .LBB86_808
; %bb.791:
	s_cmp_lt_i32 s46, 27
	s_cbranch_scc1 .LBB86_794
; %bb.792:
	s_cmp_gt_i32 s46, 27
	s_cbranch_scc0 .LBB86_795
; %bb.793:
	global_load_dword v4, v[0:1], off
	s_waitcnt vmcnt(1)
	v_mov_b32_e32 v5, 0
	s_mov_b64 s[42:43], 0
	s_branch .LBB86_796
.LBB86_794:
	s_mov_b64 s[42:43], -1
                                        ; implicit-def: $vgpr4_vgpr5
	s_branch .LBB86_799
.LBB86_795:
	s_mov_b64 s[42:43], -1
                                        ; implicit-def: $vgpr4_vgpr5
.LBB86_796:
	s_andn2_b64 vcc, exec, s[42:43]
	s_cbranch_vccnz .LBB86_798
; %bb.797:
	global_load_ushort v2, v[0:1], off
	s_mov_b32 s42, 0
	s_waitcnt vmcnt(1)
	v_mov_b32_e32 v5, s42
	s_waitcnt vmcnt(0)
	v_and_b32_e32 v4, 0xffff, v2
.LBB86_798:
	s_mov_b64 s[42:43], 0
.LBB86_799:
	s_andn2_b64 vcc, exec, s[42:43]
	s_cbranch_vccnz .LBB86_807
; %bb.800:
	global_load_ubyte v2, v[0:1], off
	s_movk_i32 s42, 0x7f
	s_mov_b64 s[44:45], 0
	s_waitcnt vmcnt(0)
	v_cmp_lt_i16_e32 vcc, s42, v2
	s_and_saveexec_b64 s[42:43], vcc
	s_xor_b64 s[42:43], exec, s[42:43]
; %bb.801:
	s_movk_i32 s44, 0x80
	v_cmp_ne_u16_e32 vcc, s44, v2
	s_and_b64 s[44:45], vcc, exec
; %bb.802:
	s_andn2_saveexec_b64 s[42:43], s[42:43]
; %bb.803:
	v_cmp_ne_u16_e32 vcc, 0, v2
	s_andn2_b64 s[44:45], s[44:45], exec
	s_and_b64 s[50:51], vcc, exec
	s_or_b64 s[44:45], s[44:45], s[50:51]
; %bb.804:
	s_or_b64 exec, exec, s[42:43]
	v_mov_b32_e32 v4, 0
	v_mov_b32_e32 v5, 0
	s_and_saveexec_b64 s[42:43], s[44:45]
	s_cbranch_execz .LBB86_806
; %bb.805:
	v_lshlrev_b32_e32 v3, 24, v2
	v_and_b32_e32 v2, 0xffff, v2
	v_and_b32_e32 v4, 7, v2
	v_ffbh_u32_e32 v6, v4
	v_min_u32_e32 v6, 32, v6
	v_subrev_u32_e32 v7, 28, v6
	v_bfe_u32 v5, v2, 3, 4
	v_lshlrev_b32_e32 v2, v7, v2
	v_sub_u32_e32 v6, 29, v6
	v_and_b32_e32 v2, 7, v2
	v_cmp_eq_u32_e32 vcc, 0, v5
	v_cndmask_b32_e32 v5, v5, v6, vcc
	v_cndmask_b32_e32 v2, v4, v2, vcc
	v_mov_b32_e32 v4, 0x3b800000
	v_lshlrev_b32_e32 v2, 20, v2
	v_and_b32_e32 v3, 0x80000000, v3
	v_lshl_add_u32 v4, v5, 23, v4
	v_or3_b32 v2, v3, v4, v2
	v_trunc_f32_e32 v2, v2
	s_mov_b32 s44, 0x2f800000
	v_mul_f32_e64 v3, |v2|, s44
	v_floor_f32_e32 v3, v3
	s_mov_b32 s44, 0xcf800000
	v_fma_f32 v4, v3, s44, |v2|
	v_cvt_u32_f32_e32 v4, v4
	v_cvt_u32_f32_e32 v3, v3
	v_ashrrev_i32_e32 v2, 31, v2
	v_xor_b32_e32 v4, v4, v2
	v_xor_b32_e32 v3, v3, v2
	v_sub_co_u32_e32 v4, vcc, v4, v2
	v_subb_co_u32_e32 v5, vcc, v3, v2, vcc
.LBB86_806:
	s_or_b64 exec, exec, s[42:43]
.LBB86_807:
	s_mov_b64 s[42:43], -1
.LBB86_808:
	s_mov_b64 s[44:45], 0
.LBB86_809:
	s_and_b64 vcc, exec, s[44:45]
	s_cbranch_vccz .LBB86_838
; %bb.810:
	s_cmp_gt_i32 s46, 22
	s_cbranch_scc0 .LBB86_820
; %bb.811:
	s_cmp_lt_i32 s46, 24
	s_cbranch_scc1 .LBB86_821
; %bb.812:
	s_cmp_gt_i32 s46, 24
	s_cbranch_scc0 .LBB86_822
; %bb.813:
	global_load_ubyte v2, v[0:1], off
	s_movk_i32 s40, 0x7f
	s_mov_b64 s[42:43], 0
	s_waitcnt vmcnt(0)
	v_cmp_lt_i16_e32 vcc, s40, v2
	s_and_saveexec_b64 s[40:41], vcc
	s_xor_b64 s[40:41], exec, s[40:41]
; %bb.814:
	s_movk_i32 s42, 0x80
	v_cmp_ne_u16_e32 vcc, s42, v2
	s_and_b64 s[42:43], vcc, exec
; %bb.815:
	s_andn2_saveexec_b64 s[40:41], s[40:41]
; %bb.816:
	v_cmp_ne_u16_e32 vcc, 0, v2
	s_andn2_b64 s[42:43], s[42:43], exec
	s_and_b64 s[44:45], vcc, exec
	s_or_b64 s[42:43], s[42:43], s[44:45]
; %bb.817:
	s_or_b64 exec, exec, s[40:41]
	v_mov_b32_e32 v4, 0
	v_mov_b32_e32 v5, 0
	s_and_saveexec_b64 s[40:41], s[42:43]
	s_cbranch_execz .LBB86_819
; %bb.818:
	v_lshlrev_b32_e32 v3, 24, v2
	v_and_b32_e32 v2, 0xffff, v2
	v_and_b32_e32 v4, 3, v2
	v_ffbh_u32_e32 v6, v4
	v_min_u32_e32 v6, 32, v6
	v_subrev_u32_e32 v7, 29, v6
	v_bfe_u32 v5, v2, 2, 5
	v_lshlrev_b32_e32 v2, v7, v2
	v_sub_u32_e32 v6, 30, v6
	v_and_b32_e32 v2, 3, v2
	v_cmp_eq_u32_e32 vcc, 0, v5
	v_cndmask_b32_e32 v5, v5, v6, vcc
	v_cndmask_b32_e32 v2, v4, v2, vcc
	v_mov_b32_e32 v4, 0x37800000
	v_lshlrev_b32_e32 v2, 21, v2
	v_and_b32_e32 v3, 0x80000000, v3
	v_lshl_add_u32 v4, v5, 23, v4
	v_or3_b32 v2, v3, v4, v2
	v_trunc_f32_e32 v2, v2
	s_mov_b32 s42, 0x2f800000
	v_mul_f32_e64 v3, |v2|, s42
	v_floor_f32_e32 v3, v3
	s_mov_b32 s42, 0xcf800000
	v_fma_f32 v4, v3, s42, |v2|
	v_cvt_u32_f32_e32 v4, v4
	v_cvt_u32_f32_e32 v3, v3
	v_ashrrev_i32_e32 v2, 31, v2
	v_xor_b32_e32 v4, v4, v2
	v_xor_b32_e32 v3, v3, v2
	v_sub_co_u32_e32 v4, vcc, v4, v2
	v_subb_co_u32_e32 v5, vcc, v3, v2, vcc
.LBB86_819:
	s_or_b64 exec, exec, s[40:41]
	s_mov_b64 s[40:41], 0
	s_branch .LBB86_823
.LBB86_820:
	s_mov_b64 s[40:41], -1
                                        ; implicit-def: $vgpr4_vgpr5
	s_branch .LBB86_829
.LBB86_821:
	s_mov_b64 s[40:41], -1
                                        ; implicit-def: $vgpr4_vgpr5
	s_branch .LBB86_826
.LBB86_822:
	s_mov_b64 s[40:41], -1
                                        ; implicit-def: $vgpr4_vgpr5
.LBB86_823:
	s_and_b64 vcc, exec, s[40:41]
	s_cbranch_vccz .LBB86_825
; %bb.824:
	global_load_ubyte v2, v[0:1], off
	s_mov_b32 s40, 0x7f800000
	s_brev_b32 s41, 1
	s_mov_b32 s42, 0x2f800000
	s_mov_b32 s43, 0xcf800000
	s_waitcnt vmcnt(0)
	v_lshlrev_b32_e32 v2, 24, v2
	v_and_b32_e32 v3, 0x7f000000, v2
	v_ffbh_u32_e32 v4, v3
	v_min_u32_e32 v4, 32, v4
	v_sub_u32_e64 v4, v4, 4 clamp
	v_lshlrev_b32_e32 v6, v4, v3
	v_lshlrev_b32_e32 v4, 23, v4
	v_lshrrev_b32_e32 v6, 4, v6
	v_add_u32_e32 v5, 0x1000000, v3
	v_sub_u32_e32 v4, v6, v4
	v_ashrrev_i32_e32 v5, 8, v5
	v_add_u32_e32 v4, 0x3c000000, v4
	v_and_or_b32 v4, v5, s40, v4
	v_cmp_ne_u32_e32 vcc, 0, v3
	v_cndmask_b32_e32 v3, 0, v4, vcc
	v_and_or_b32 v2, v2, s41, v3
	v_trunc_f32_e32 v2, v2
	v_mul_f32_e64 v3, |v2|, s42
	v_floor_f32_e32 v3, v3
	v_fma_f32 v4, v3, s43, |v2|
	v_cvt_u32_f32_e32 v4, v4
	v_cvt_u32_f32_e32 v3, v3
	v_ashrrev_i32_e32 v2, 31, v2
	v_xor_b32_e32 v4, v4, v2
	v_xor_b32_e32 v3, v3, v2
	v_sub_co_u32_e32 v4, vcc, v4, v2
	v_subb_co_u32_e32 v5, vcc, v3, v2, vcc
.LBB86_825:
	s_mov_b64 s[40:41], 0
.LBB86_826:
	s_andn2_b64 vcc, exec, s[40:41]
	s_cbranch_vccnz .LBB86_828
; %bb.827:
	global_load_ubyte v2, v[0:1], off
	s_movk_i32 s40, 0x7f00
	s_brev_b32 s41, 16
	s_brev_b32 s42, 1
	s_mov_b32 s43, 0x2f800000
	s_mov_b32 s44, 0xcf800000
	s_waitcnt vmcnt(0)
	v_lshlrev_b16_e32 v3, 8, v2
	v_lshlrev_b32_e32 v2, 25, v2
	v_lshrrev_b32_e32 v4, 4, v2
	v_and_or_b32 v5, v3, s40, 0.5
	v_or_b32_e32 v4, 0x70000000, v4
	v_add_f32_e32 v5, -0.5, v5
	v_mul_f32_e32 v4, 0x7800000, v4
	v_cmp_gt_u32_e32 vcc, s41, v2
	v_bfe_i32 v3, v3, 0, 16
	v_cndmask_b32_e32 v2, v4, v5, vcc
	v_and_or_b32 v2, v3, s42, v2
	v_trunc_f32_e32 v2, v2
	v_mul_f32_e64 v3, |v2|, s43
	v_floor_f32_e32 v3, v3
	v_fma_f32 v4, v3, s44, |v2|
	v_cvt_u32_f32_e32 v4, v4
	v_cvt_u32_f32_e32 v3, v3
	v_ashrrev_i32_e32 v2, 31, v2
	v_xor_b32_e32 v4, v4, v2
	v_xor_b32_e32 v3, v3, v2
	v_sub_co_u32_e32 v4, vcc, v4, v2
	v_subb_co_u32_e32 v5, vcc, v3, v2, vcc
.LBB86_828:
	s_mov_b64 s[40:41], 0
	s_mov_b64 s[42:43], -1
.LBB86_829:
	s_andn2_b64 vcc, exec, s[40:41]
	s_mov_b64 s[40:41], 0
	s_cbranch_vccnz .LBB86_838
; %bb.830:
	s_cmp_gt_i32 s46, 14
	s_cbranch_scc0 .LBB86_833
; %bb.831:
	s_cmp_eq_u32 s46, 15
	s_cbranch_scc0 .LBB86_834
; %bb.832:
	global_load_ushort v2, v[0:1], off
	s_mov_b32 s38, 0x2f800000
	s_mov_b32 s39, 0xcf800000
	s_mov_b64 s[42:43], -1
	s_waitcnt vmcnt(0)
	v_lshlrev_b32_e32 v2, 16, v2
	v_trunc_f32_e32 v2, v2
	v_mul_f32_e64 v3, |v2|, s38
	v_floor_f32_e32 v3, v3
	v_fma_f32 v4, v3, s39, |v2|
	v_cvt_u32_f32_e32 v4, v4
	v_cvt_u32_f32_e32 v3, v3
	v_ashrrev_i32_e32 v2, 31, v2
	s_mov_b64 s[38:39], 0
	v_xor_b32_e32 v4, v4, v2
	v_xor_b32_e32 v3, v3, v2
	v_sub_co_u32_e32 v4, vcc, v4, v2
	v_subb_co_u32_e32 v5, vcc, v3, v2, vcc
	s_branch .LBB86_835
.LBB86_833:
	s_mov_b64 s[44:45], -1
                                        ; implicit-def: $vgpr4_vgpr5
	s_branch .LBB86_836
.LBB86_834:
	s_mov_b64 s[38:39], -1
                                        ; implicit-def: $vgpr4_vgpr5
.LBB86_835:
	s_mov_b64 s[44:45], 0
.LBB86_836:
	s_and_b64 vcc, exec, s[44:45]
	s_cbranch_vccz .LBB86_838
; %bb.837:
	s_cmp_lg_u32 s46, 11
	s_cselect_b64 s[44:45], -1, 0
	s_andn2_b64 s[38:39], s[38:39], exec
	s_and_b64 s[44:45], s[44:45], exec
	s_mov_b64 s[40:41], -1
	s_or_b64 s[38:39], s[38:39], s[44:45]
.LBB86_838:
	s_mov_b64 s[44:45], 0
.LBB86_839:
	s_and_b64 s[46:47], s[44:45], exec
	s_andn2_b64 s[44:45], s[0:1], exec
	s_and_b64 s[38:39], s[38:39], exec
	s_and_b64 s[42:43], s[42:43], exec
	;; [unrolled: 1-line block ×3, first 2 shown]
	s_or_b64 s[44:45], s[44:45], s[38:39]
.LBB86_840:
	s_or_b64 exec, exec, s[34:35]
	s_and_b64 s[38:39], s[40:41], exec
	s_andn2_b64 s[0:1], s[0:1], exec
	s_and_b64 s[40:41], s[44:45], exec
	s_and_b64 s[42:43], s[42:43], exec
	;; [unrolled: 1-line block ×3, first 2 shown]
	s_or_b64 s[0:1], s[0:1], s[40:41]
.LBB86_841:
	s_or_b64 exec, exec, s[30:31]
	s_andn2_b64 s[26:27], s[26:27], exec
	s_and_b64 s[30:31], s[36:37], exec
	s_andn2_b64 s[24:25], s[24:25], exec
	s_and_b64 s[0:1], s[0:1], exec
	s_or_b64 s[26:27], s[26:27], s[30:31]
	s_and_b64 s[36:37], s[42:43], exec
	s_and_b64 s[34:35], s[34:35], exec
	;; [unrolled: 1-line block ×3, first 2 shown]
	s_or_b64 s[24:25], s[24:25], s[0:1]
.LBB86_842:
	s_or_b64 exec, exec, s[28:29]
	s_andn2_b64 s[0:1], s[18:19], exec
	s_and_b64 s[18:19], s[26:27], exec
	s_andn2_b64 s[20:21], s[20:21], exec
	s_and_b64 s[24:25], s[24:25], exec
	s_or_b64 s[18:19], s[0:1], s[18:19]
	s_and_b64 s[0:1], s[36:37], exec
	s_and_b64 s[28:29], s[34:35], exec
	;; [unrolled: 1-line block ×3, first 2 shown]
	s_or_b64 s[20:21], s[20:21], s[24:25]
	s_or_b64 exec, exec, s[22:23]
	s_mov_b64 s[22:23], 0
	s_and_saveexec_b64 s[24:25], s[20:21]
	s_cbranch_execz .LBB86_258
.LBB86_843:
	s_mov_b64 s[22:23], exec
	s_andn2_b64 s[26:27], s[26:27], exec
	s_trap 2
	s_or_b64 exec, exec, s[24:25]
	s_and_saveexec_b64 s[20:21], s[26:27]
	s_xor_b64 s[20:21], exec, s[20:21]
	s_cbranch_execnz .LBB86_259
.LBB86_844:
	s_or_b64 exec, exec, s[20:21]
	s_and_saveexec_b64 s[20:21], s[28:29]
	s_cbranch_execz .LBB86_890
.LBB86_845:
	s_sext_i32_i16 s24, s48
	s_cmp_lt_i32 s24, 5
	s_cbranch_scc1 .LBB86_850
; %bb.846:
	s_cmp_lt_i32 s24, 8
	s_cbranch_scc1 .LBB86_851
; %bb.847:
	;; [unrolled: 3-line block ×3, first 2 shown]
	s_cmp_gt_i32 s24, 9
	s_cbranch_scc0 .LBB86_853
; %bb.849:
	global_load_dwordx2 v[2:3], v[0:1], off
	s_movk_i32 s24, 0xffe0
	s_waitcnt vmcnt(0)
	v_trunc_f64_e32 v[2:3], v[2:3]
	v_ldexp_f64 v[4:5], v[2:3], s24
	s_mov_b32 s24, 0
	s_mov_b32 s25, 0xc1f00000
	v_floor_f64_e32 v[4:5], v[4:5]
	v_fma_f64 v[2:3], v[4:5], s[24:25], v[2:3]
	v_cvt_i32_f64_e32 v5, v[4:5]
	s_mov_b64 s[24:25], 0
	v_cvt_u32_f64_e32 v4, v[2:3]
	s_branch .LBB86_854
.LBB86_850:
                                        ; implicit-def: $vgpr4_vgpr5
	s_branch .LBB86_871
.LBB86_851:
                                        ; implicit-def: $vgpr4_vgpr5
	s_branch .LBB86_860
.LBB86_852:
	s_mov_b64 s[24:25], -1
                                        ; implicit-def: $vgpr4_vgpr5
	s_branch .LBB86_857
.LBB86_853:
	s_mov_b64 s[24:25], -1
                                        ; implicit-def: $vgpr4_vgpr5
.LBB86_854:
	s_andn2_b64 vcc, exec, s[24:25]
	s_cbranch_vccnz .LBB86_856
; %bb.855:
	global_load_dword v2, v[0:1], off
	s_mov_b32 s24, 0x2f800000
	s_mov_b32 s25, 0xcf800000
	s_waitcnt vmcnt(0)
	v_trunc_f32_e32 v2, v2
	v_mul_f32_e64 v3, |v2|, s24
	v_floor_f32_e32 v3, v3
	v_cvt_u32_f32_e32 v4, v3
	v_fma_f32 v3, v3, s25, |v2|
	v_cvt_u32_f32_e32 v3, v3
	v_ashrrev_i32_e32 v2, 31, v2
	v_xor_b32_e32 v5, v4, v2
	v_xor_b32_e32 v3, v3, v2
	v_sub_co_u32_e32 v4, vcc, v3, v2
	v_subb_co_u32_e32 v5, vcc, v5, v2, vcc
.LBB86_856:
	s_mov_b64 s[24:25], 0
.LBB86_857:
	s_andn2_b64 vcc, exec, s[24:25]
	s_cbranch_vccnz .LBB86_859
; %bb.858:
	global_load_dword v2, v[0:1], off
	s_waitcnt vmcnt(0)
	v_cvt_f32_f16_e32 v2, v2
	v_cvt_i32_f32_e32 v4, v2
	v_ashrrev_i32_e32 v5, 31, v4
.LBB86_859:
	s_cbranch_execnz .LBB86_870
.LBB86_860:
	s_sext_i32_i16 s24, s48
	s_cmp_lt_i32 s24, 6
	s_cbranch_scc1 .LBB86_863
; %bb.861:
	s_cmp_gt_i32 s24, 6
	s_cbranch_scc0 .LBB86_864
; %bb.862:
	global_load_dwordx2 v[2:3], v[0:1], off
	s_movk_i32 s24, 0xffe0
	s_waitcnt vmcnt(0)
	v_trunc_f64_e32 v[2:3], v[2:3]
	v_ldexp_f64 v[4:5], v[2:3], s24
	s_mov_b32 s24, 0
	s_mov_b32 s25, 0xc1f00000
	v_floor_f64_e32 v[4:5], v[4:5]
	v_fma_f64 v[2:3], v[4:5], s[24:25], v[2:3]
	v_cvt_i32_f64_e32 v5, v[4:5]
	s_mov_b64 s[24:25], 0
	v_cvt_u32_f64_e32 v4, v[2:3]
	s_branch .LBB86_865
.LBB86_863:
	s_mov_b64 s[24:25], -1
                                        ; implicit-def: $vgpr4_vgpr5
	s_branch .LBB86_868
.LBB86_864:
	s_mov_b64 s[24:25], -1
                                        ; implicit-def: $vgpr4_vgpr5
.LBB86_865:
	s_andn2_b64 vcc, exec, s[24:25]
	s_cbranch_vccnz .LBB86_867
; %bb.866:
	global_load_dword v2, v[0:1], off
	s_mov_b32 s24, 0x2f800000
	s_mov_b32 s25, 0xcf800000
	s_waitcnt vmcnt(0)
	v_trunc_f32_e32 v2, v2
	v_mul_f32_e64 v3, |v2|, s24
	v_floor_f32_e32 v3, v3
	v_cvt_u32_f32_e32 v4, v3
	v_fma_f32 v3, v3, s25, |v2|
	v_cvt_u32_f32_e32 v3, v3
	v_ashrrev_i32_e32 v2, 31, v2
	v_xor_b32_e32 v5, v4, v2
	v_xor_b32_e32 v3, v3, v2
	v_sub_co_u32_e32 v4, vcc, v3, v2
	v_subb_co_u32_e32 v5, vcc, v5, v2, vcc
.LBB86_867:
	s_mov_b64 s[24:25], 0
.LBB86_868:
	s_andn2_b64 vcc, exec, s[24:25]
	s_cbranch_vccnz .LBB86_870
; %bb.869:
	global_load_ushort v2, v[0:1], off
	s_waitcnt vmcnt(0)
	v_cvt_f32_f16_e32 v2, v2
	v_cvt_i32_f32_e32 v4, v2
	v_ashrrev_i32_e32 v5, 31, v4
.LBB86_870:
	s_cbranch_execnz .LBB86_889
.LBB86_871:
	s_sext_i32_i16 s24, s48
	s_cmp_lt_i32 s24, 2
	s_cbranch_scc1 .LBB86_875
; %bb.872:
	s_cmp_lt_i32 s24, 3
	s_cbranch_scc1 .LBB86_876
; %bb.873:
	s_cmp_gt_i32 s24, 3
	s_cbranch_scc0 .LBB86_877
; %bb.874:
	global_load_dwordx2 v[4:5], v[0:1], off
	s_mov_b64 s[24:25], 0
	s_branch .LBB86_878
.LBB86_875:
                                        ; implicit-def: $vgpr4_vgpr5
	s_branch .LBB86_884
.LBB86_876:
	s_mov_b64 s[24:25], -1
                                        ; implicit-def: $vgpr4_vgpr5
	s_branch .LBB86_881
.LBB86_877:
	s_mov_b64 s[24:25], -1
                                        ; implicit-def: $vgpr4_vgpr5
.LBB86_878:
	s_andn2_b64 vcc, exec, s[24:25]
	s_cbranch_vccnz .LBB86_880
; %bb.879:
	global_load_dword v4, v[0:1], off
	s_waitcnt vmcnt(0)
	v_ashrrev_i32_e32 v5, 31, v4
.LBB86_880:
	s_mov_b64 s[24:25], 0
.LBB86_881:
	s_andn2_b64 vcc, exec, s[24:25]
	s_cbranch_vccnz .LBB86_883
; %bb.882:
	global_load_ushort v2, v[0:1], off
	s_waitcnt vmcnt(0)
	v_bfe_i32 v4, v2, 0, 16
	v_ashrrev_i32_e32 v5, 31, v4
.LBB86_883:
	s_cbranch_execnz .LBB86_889
.LBB86_884:
	s_sext_i32_i16 s24, s48
	s_cmp_gt_i32 s24, 0
	s_cbranch_scc0 .LBB86_886
; %bb.885:
	global_load_sbyte v2, v[0:1], off
	s_mov_b64 s[24:25], 0
	s_waitcnt vmcnt(0)
	v_bfe_i32 v4, v2, 0, 16
	v_ashrrev_i32_e32 v5, 31, v4
	s_branch .LBB86_887
.LBB86_886:
	s_mov_b64 s[24:25], -1
                                        ; implicit-def: $vgpr4_vgpr5
.LBB86_887:
	s_andn2_b64 vcc, exec, s[24:25]
	s_cbranch_vccnz .LBB86_889
; %bb.888:
	global_load_ubyte v0, v[0:1], off
	s_mov_b32 s24, 0
	s_waitcnt vmcnt(1)
	v_mov_b32_e32 v5, s24
	s_waitcnt vmcnt(0)
	v_and_b32_e32 v4, 0xffff, v0
.LBB86_889:
	s_or_b64 s[0:1], s[0:1], exec
.LBB86_890:
	s_or_b64 exec, exec, s[20:21]
	s_mov_b64 s[26:27], 0
	s_mov_b64 s[24:25], 0
                                        ; implicit-def: $sgpr34
                                        ; implicit-def: $vgpr2_vgpr3
                                        ; implicit-def: $vgpr0_vgpr1
	s_and_saveexec_b64 s[20:21], s[0:1]
	s_cbranch_execz .LBB86_898
; %bb.891:
	s_waitcnt vmcnt(0)
	v_mul_lo_u32 v2, v10, s16
	v_cmp_lt_i64_e32 vcc, s[12:13], v[4:5]
	v_mov_b32_e32 v0, s15
	v_mov_b32_e32 v1, s3
	v_cndmask_b32_e32 v1, v0, v1, vcc
	v_mov_b32_e32 v0, s14
	v_mov_b32_e32 v3, s2
	v_cndmask_b32_e32 v0, v0, v3, vcc
	v_ashrrev_i32_e32 v3, 31, v2
	v_mov_b32_e32 v4, s9
	s_and_b32 s34, s33, 0xff
	v_add_co_u32_e32 v2, vcc, s8, v2
	s_cmp_lt_i32 s34, 11
	v_addc_co_u32_e32 v3, vcc, v4, v3, vcc
	s_cbranch_scc1 .LBB86_901
; %bb.892:
	s_and_b32 s35, 0xffff, s34
	s_mov_b64 s[26:27], -1
	s_cmp_gt_i32 s35, 25
	s_mov_b64 s[0:1], s[18:19]
	s_cbranch_scc0 .LBB86_929
; %bb.893:
	s_mov_b64 s[24:25], -1
	s_cmp_gt_i32 s35, 28
	s_mov_b64 s[0:1], s[18:19]
	s_cbranch_scc0 .LBB86_913
; %bb.894:
	s_cmp_gt_i32 s35, 43
	s_mov_b64 s[0:1], s[18:19]
	s_cbranch_scc0 .LBB86_909
; %bb.895:
	;; [unrolled: 4-line block ×3, first 2 shown]
	s_cmp_eq_u32 s35, 46
	s_mov_b64 s[0:1], -1
	s_cbranch_scc0 .LBB86_902
; %bb.897:
	v_xor_b32_e32 v5, v0, v1
	v_ffbh_i32_e32 v4, v1
	v_ashrrev_i32_e32 v5, 31, v5
	v_add_u32_e32 v4, -1, v4
	v_add_u32_e32 v5, 32, v5
	v_min_u32_e32 v6, v4, v5
	v_lshlrev_b64 v[4:5], v6, v[0:1]
	s_movk_i32 s0, 0x7fff
	v_min_u32_e32 v4, 1, v4
	v_or_b32_e32 v4, v5, v4
	v_cvt_f32_i32_e32 v4, v4
	v_sub_u32_e32 v5, 32, v6
	s_mov_b64 s[24:25], 0
	v_ldexp_f32 v4, v4, v5
	v_bfe_u32 v5, v4, 16, 1
	v_add3_u32 v4, v4, v5, s0
	v_lshrrev_b32_e32 v4, 16, v4
	global_store_dword v[2:3], v4, off
	s_mov_b64 s[0:1], 0
	s_branch .LBB86_903
.LBB86_898:
	s_or_b64 exec, exec, s[20:21]
	s_and_saveexec_b64 s[0:1], s[18:19]
	s_cbranch_execnz .LBB86_971
.LBB86_899:
	s_or_b64 exec, exec, s[0:1]
	s_and_saveexec_b64 s[0:1], s[26:27]
	s_xor_b64 s[0:1], exec, s[0:1]
	s_cbranch_execz .LBB86_972
.LBB86_900:
	v_cmp_ne_u64_e32 vcc, 0, v[0:1]
	s_waitcnt vmcnt(0)
	v_cndmask_b32_e64 v4, 0, 1, vcc
	global_store_byte v[2:3], v4, off
	s_or_b64 exec, exec, s[0:1]
	s_and_saveexec_b64 s[0:1], s[24:25]
	s_xor_b64 s[0:1], exec, s[0:1]
	s_cbranch_execz .LBB86_1010
	s_branch .LBB86_973
.LBB86_901:
	s_mov_b64 s[24:25], -1
	s_mov_b64 s[0:1], s[18:19]
	s_branch .LBB86_970
.LBB86_902:
	s_mov_b64 s[24:25], 0
.LBB86_903:
	s_and_b64 vcc, exec, s[24:25]
	s_cbranch_vccz .LBB86_908
; %bb.904:
	s_cmp_eq_u32 s35, 44
	s_mov_b64 s[0:1], -1
	s_cbranch_scc0 .LBB86_908
; %bb.905:
	v_xor_b32_e32 v5, v0, v1
	v_ffbh_i32_e32 v4, v1
	v_ashrrev_i32_e32 v5, 31, v5
	v_add_u32_e32 v4, -1, v4
	v_add_u32_e32 v5, 32, v5
	v_min_u32_e32 v6, v4, v5
	v_lshlrev_b64 v[4:5], v6, v[0:1]
	s_movk_i32 s0, 0xff
	v_min_u32_e32 v4, 1, v4
	v_or_b32_e32 v4, v5, v4
	v_cvt_f32_i32_e32 v4, v4
	v_sub_u32_e32 v5, 32, v6
	v_mov_b32_e32 v6, 0xff
	v_ldexp_f32 v4, v4, v5
	v_bfe_u32 v5, v4, 23, 8
	v_cmp_ne_u32_e32 vcc, s0, v5
	s_and_saveexec_b64 s[24:25], vcc
; %bb.906:
	s_mov_b32 s0, 0x3fffff
	v_lshrrev_b32_e32 v6, 23, v4
	v_and_b32_e32 v7, 0x400000, v4
	v_and_or_b32 v4, v4, s0, v5
	v_cmp_ne_u32_e32 vcc, 0, v7
	v_cmp_ne_u32_e64 s[0:1], 0, v4
	s_and_b64 s[0:1], vcc, s[0:1]
	v_cndmask_b32_e64 v4, 0, 1, s[0:1]
	v_add_u32_e32 v6, v6, v4
; %bb.907:
	s_or_b64 exec, exec, s[24:25]
	s_mov_b64 s[0:1], 0
	global_store_byte v[2:3], v6, off
.LBB86_908:
	s_mov_b64 s[24:25], 0
.LBB86_909:
	s_and_b64 vcc, exec, s[24:25]
	s_cbranch_vccz .LBB86_912
; %bb.910:
	s_cmp_eq_u32 s35, 29
	s_mov_b64 s[0:1], -1
	s_cbranch_scc0 .LBB86_912
; %bb.911:
	global_store_dwordx2 v[2:3], v[0:1], off
	s_mov_b64 s[0:1], 0
.LBB86_912:
	s_mov_b64 s[24:25], 0
.LBB86_913:
	s_and_b64 vcc, exec, s[24:25]
	s_cbranch_vccz .LBB86_928
; %bb.914:
	s_cmp_lt_i32 s35, 27
	s_mov_b64 s[24:25], -1
	s_cbranch_scc1 .LBB86_920
; %bb.915:
	s_cmp_gt_i32 s35, 27
	s_cbranch_scc0 .LBB86_917
; %bb.916:
	s_mov_b64 s[24:25], 0
	global_store_dword v[2:3], v0, off
.LBB86_917:
	s_andn2_b64 vcc, exec, s[24:25]
	s_cbranch_vccnz .LBB86_919
; %bb.918:
	global_store_short v[2:3], v0, off
.LBB86_919:
	s_mov_b64 s[24:25], 0
.LBB86_920:
	s_andn2_b64 vcc, exec, s[24:25]
	s_cbranch_vccnz .LBB86_928
; %bb.921:
	v_xor_b32_e32 v5, v0, v1
	v_ffbh_i32_e32 v4, v1
	v_ashrrev_i32_e32 v5, 31, v5
	v_add_u32_e32 v4, -1, v4
	v_add_u32_e32 v5, 32, v5
	v_min_u32_e32 v6, v4, v5
	v_lshlrev_b64 v[4:5], v6, v[0:1]
	s_mov_b32 s24, 0x43800000
	v_min_u32_e32 v4, 1, v4
	v_or_b32_e32 v4, v5, v4
	v_cvt_f32_i32_e32 v4, v4
	v_sub_u32_e32 v5, 32, v6
	v_mov_b32_e32 v6, 0x80
	v_ldexp_f32 v4, v4, v5
	v_and_b32_e32 v5, 0x7fffffff, v4
	v_cmp_gt_u32_e32 vcc, s24, v5
	s_and_saveexec_b64 s[24:25], vcc
	s_cbranch_execz .LBB86_927
; %bb.922:
	s_mov_b32 s26, 0x3bffffff
	v_cmp_lt_u32_e32 vcc, s26, v5
	s_mov_b64 s[26:27], 0
                                        ; implicit-def: $vgpr5
	s_and_saveexec_b64 s[28:29], vcc
	s_xor_b64 s[28:29], exec, s[28:29]
	s_cbranch_execz .LBB86_1025
; %bb.923:
	v_bfe_u32 v5, v4, 20, 1
	s_mov_b32 s30, 0x487ffff
	v_add3_u32 v5, v4, v5, s30
	s_mov_b64 s[26:27], exec
	v_lshrrev_b32_e32 v5, 20, v5
	s_andn2_saveexec_b64 s[28:29], s[28:29]
	s_cbranch_execnz .LBB86_1026
.LBB86_924:
	s_or_b64 exec, exec, s[28:29]
	v_mov_b32_e32 v6, 0
	s_and_saveexec_b64 s[28:29], s[26:27]
.LBB86_925:
	v_lshrrev_b32_e32 v4, 24, v4
	s_movk_i32 s26, 0x80
	v_and_or_b32 v6, v4, s26, v5
.LBB86_926:
	s_or_b64 exec, exec, s[28:29]
.LBB86_927:
	s_or_b64 exec, exec, s[24:25]
	global_store_byte v[2:3], v6, off
.LBB86_928:
	s_mov_b64 s[26:27], 0
.LBB86_929:
	s_mov_b64 s[24:25], 0
	s_and_b64 vcc, exec, s[26:27]
	s_cbranch_vccz .LBB86_969
; %bb.930:
	s_cmp_gt_i32 s35, 22
	s_mov_b64 s[26:27], -1
	s_cbranch_scc0 .LBB86_962
; %bb.931:
	s_cmp_lt_i32 s35, 24
	s_cbranch_scc1 .LBB86_951
; %bb.932:
	s_cmp_gt_i32 s35, 24
	s_cbranch_scc0 .LBB86_940
; %bb.933:
	v_xor_b32_e32 v5, v0, v1
	v_ffbh_i32_e32 v4, v1
	v_ashrrev_i32_e32 v5, 31, v5
	v_add_u32_e32 v4, -1, v4
	v_add_u32_e32 v5, 32, v5
	v_min_u32_e32 v6, v4, v5
	v_lshlrev_b64 v[4:5], v6, v[0:1]
	s_mov_b32 s26, 0x47800000
	v_min_u32_e32 v4, 1, v4
	v_or_b32_e32 v4, v5, v4
	v_cvt_f32_i32_e32 v4, v4
	v_sub_u32_e32 v5, 32, v6
	v_mov_b32_e32 v6, 0x80
	v_ldexp_f32 v4, v4, v5
	v_and_b32_e32 v5, 0x7fffffff, v4
	v_cmp_gt_u32_e32 vcc, s26, v5
	s_and_saveexec_b64 s[26:27], vcc
	s_cbranch_execz .LBB86_939
; %bb.934:
	s_mov_b32 s28, 0x37ffffff
	v_cmp_lt_u32_e32 vcc, s28, v5
	s_mov_b64 s[28:29], 0
                                        ; implicit-def: $vgpr5
	s_and_saveexec_b64 s[30:31], vcc
	s_xor_b64 s[30:31], exec, s[30:31]
	s_cbranch_execz .LBB86_1145
; %bb.935:
	v_bfe_u32 v5, v4, 21, 1
	s_mov_b32 s36, 0x88fffff
	v_add3_u32 v5, v4, v5, s36
	s_mov_b64 s[28:29], exec
	v_lshrrev_b32_e32 v5, 21, v5
	s_andn2_saveexec_b64 s[30:31], s[30:31]
	s_cbranch_execnz .LBB86_1146
.LBB86_936:
	s_or_b64 exec, exec, s[30:31]
	v_mov_b32_e32 v6, 0
	s_and_saveexec_b64 s[30:31], s[28:29]
.LBB86_937:
	v_lshrrev_b32_e32 v4, 24, v4
	s_movk_i32 s28, 0x80
	v_and_or_b32 v6, v4, s28, v5
.LBB86_938:
	s_or_b64 exec, exec, s[30:31]
.LBB86_939:
	s_or_b64 exec, exec, s[26:27]
	s_mov_b64 s[26:27], 0
	global_store_byte v[2:3], v6, off
.LBB86_940:
	s_and_b64 vcc, exec, s[26:27]
	s_cbranch_vccz .LBB86_950
; %bb.941:
	v_xor_b32_e32 v5, v0, v1
	v_ffbh_i32_e32 v4, v1
	v_ashrrev_i32_e32 v5, 31, v5
	v_add_u32_e32 v4, -1, v4
	v_add_u32_e32 v5, 32, v5
	v_min_u32_e32 v6, v4, v5
	v_lshlrev_b64 v[4:5], v6, v[0:1]
	s_mov_b32 s26, 0x43f00000
	v_min_u32_e32 v4, 1, v4
	v_or_b32_e32 v4, v5, v4
	v_cvt_f32_i32_e32 v4, v4
	v_sub_u32_e32 v5, 32, v6
	v_ldexp_f32 v4, v4, v5
	v_and_b32_e32 v6, 0x7fffffff, v4
	v_cmp_gt_u32_e32 vcc, s26, v6
                                        ; implicit-def: $vgpr5
	s_and_saveexec_b64 s[26:27], vcc
	s_xor_b64 s[26:27], exec, s[26:27]
	s_cbranch_execz .LBB86_947
; %bb.942:
	s_mov_b32 s28, 0x3c7fffff
	v_cmp_lt_u32_e32 vcc, s28, v6
                                        ; implicit-def: $vgpr5
	s_and_saveexec_b64 s[28:29], vcc
	s_xor_b64 s[28:29], exec, s[28:29]
; %bb.943:
	v_bfe_u32 v5, v4, 20, 1
	s_mov_b32 s30, 0x407ffff
	v_add3_u32 v5, v4, v5, s30
	v_lshrrev_b32_e32 v6, 20, v5
	v_and_b32_e32 v5, 0xff00000, v5
	s_mov_b32 s30, 0x7f00000
	v_mov_b32_e32 v7, 0x7e
	v_cmp_ne_u32_e32 vcc, s30, v5
	v_cndmask_b32_e32 v5, v7, v6, vcc
; %bb.944:
	s_andn2_saveexec_b64 s[28:29], s[28:29]
; %bb.945:
	s_mov_b32 s30, 0x46800000
	v_add_f32_e64 v5, |v4|, s30
; %bb.946:
	s_or_b64 exec, exec, s[28:29]
                                        ; implicit-def: $vgpr6
.LBB86_947:
	s_andn2_saveexec_b64 s[26:27], s[26:27]
; %bb.948:
	s_mov_b32 s28, 0x7f800000
	v_mov_b32_e32 v5, 0x7e
	v_mov_b32_e32 v7, 0x7f
	v_cmp_lt_u32_e32 vcc, s28, v6
	v_cndmask_b32_e32 v5, v5, v7, vcc
; %bb.949:
	s_or_b64 exec, exec, s[26:27]
	v_lshrrev_b32_e32 v4, 24, v4
	s_movk_i32 s26, 0x80
	v_and_or_b32 v4, v4, s26, v5
	global_store_byte v[2:3], v4, off
.LBB86_950:
	s_mov_b64 s[26:27], 0
.LBB86_951:
	s_andn2_b64 vcc, exec, s[26:27]
	s_cbranch_vccnz .LBB86_961
; %bb.952:
	v_xor_b32_e32 v5, v0, v1
	v_ffbh_i32_e32 v4, v1
	v_ashrrev_i32_e32 v5, 31, v5
	v_add_u32_e32 v4, -1, v4
	v_add_u32_e32 v5, 32, v5
	v_min_u32_e32 v6, v4, v5
	v_lshlrev_b64 v[4:5], v6, v[0:1]
	s_mov_b32 s26, 0x47800000
	v_min_u32_e32 v4, 1, v4
	v_or_b32_e32 v4, v5, v4
	v_cvt_f32_i32_e32 v4, v4
	v_sub_u32_e32 v5, 32, v6
	v_ldexp_f32 v4, v4, v5
	v_and_b32_e32 v6, 0x7fffffff, v4
	v_cmp_gt_u32_e32 vcc, s26, v6
                                        ; implicit-def: $vgpr5
	s_and_saveexec_b64 s[26:27], vcc
	s_xor_b64 s[26:27], exec, s[26:27]
	s_cbranch_execz .LBB86_958
; %bb.953:
	s_mov_b32 s28, 0x387fffff
	v_cmp_lt_u32_e32 vcc, s28, v6
                                        ; implicit-def: $vgpr5
	s_and_saveexec_b64 s[28:29], vcc
	s_xor_b64 s[28:29], exec, s[28:29]
; %bb.954:
	v_bfe_u32 v5, v4, 21, 1
	s_mov_b32 s30, 0x80fffff
	v_add3_u32 v5, v4, v5, s30
	v_lshrrev_b32_e32 v5, 21, v5
; %bb.955:
	s_andn2_saveexec_b64 s[28:29], s[28:29]
; %bb.956:
	s_mov_b32 s30, 0x43000000
	v_add_f32_e64 v5, |v4|, s30
; %bb.957:
	s_or_b64 exec, exec, s[28:29]
                                        ; implicit-def: $vgpr6
.LBB86_958:
	s_andn2_saveexec_b64 s[26:27], s[26:27]
; %bb.959:
	s_mov_b32 s28, 0x7f800000
	v_mov_b32_e32 v5, 0x7c
	v_mov_b32_e32 v7, 0x7f
	v_cmp_lt_u32_e32 vcc, s28, v6
	v_cndmask_b32_e32 v5, v5, v7, vcc
; %bb.960:
	s_or_b64 exec, exec, s[26:27]
	v_lshrrev_b32_e32 v4, 24, v4
	s_movk_i32 s26, 0x80
	v_and_or_b32 v4, v4, s26, v5
	global_store_byte v[2:3], v4, off
.LBB86_961:
	s_mov_b64 s[26:27], 0
.LBB86_962:
	s_andn2_b64 vcc, exec, s[26:27]
	s_mov_b64 s[26:27], 0
	s_cbranch_vccnz .LBB86_970
; %bb.963:
	s_cmp_gt_i32 s35, 14
	s_mov_b64 s[28:29], -1
	s_cbranch_scc0 .LBB86_967
; %bb.964:
	s_cmp_eq_u32 s35, 15
	s_mov_b64 s[0:1], -1
	s_cbranch_scc0 .LBB86_966
; %bb.965:
	v_xor_b32_e32 v5, v0, v1
	v_ffbh_i32_e32 v4, v1
	v_ashrrev_i32_e32 v5, 31, v5
	v_add_u32_e32 v4, -1, v4
	v_add_u32_e32 v5, 32, v5
	v_min_u32_e32 v6, v4, v5
	v_lshlrev_b64 v[4:5], v6, v[0:1]
	s_movk_i32 s0, 0x7fff
	v_min_u32_e32 v4, 1, v4
	v_or_b32_e32 v4, v5, v4
	v_cvt_f32_i32_e32 v4, v4
	v_sub_u32_e32 v5, 32, v6
	v_ldexp_f32 v4, v4, v5
	v_bfe_u32 v5, v4, 16, 1
	v_add3_u32 v4, v4, v5, s0
	global_store_short_d16_hi v[2:3], v4, off
	s_mov_b64 s[0:1], 0
.LBB86_966:
	s_mov_b64 s[28:29], 0
.LBB86_967:
	s_and_b64 vcc, exec, s[28:29]
	s_cbranch_vccz .LBB86_970
; %bb.968:
	s_cmp_lg_u32 s35, 11
	s_cselect_b64 s[28:29], -1, 0
	s_andn2_b64 s[0:1], s[0:1], exec
	s_and_b64 s[28:29], s[28:29], exec
	s_mov_b64 s[26:27], -1
	s_or_b64 s[0:1], s[0:1], s[28:29]
	s_branch .LBB86_970
.LBB86_969:
	s_mov_b64 s[26:27], 0
.LBB86_970:
	s_andn2_b64 s[18:19], s[18:19], exec
	s_and_b64 s[0:1], s[0:1], exec
	s_and_b64 s[24:25], s[24:25], exec
	;; [unrolled: 1-line block ×3, first 2 shown]
	s_or_b64 s[18:19], s[18:19], s[0:1]
	s_or_b64 exec, exec, s[20:21]
	s_and_saveexec_b64 s[0:1], s[18:19]
	s_cbranch_execz .LBB86_899
.LBB86_971:
	s_or_b64 s[22:23], s[22:23], exec
	s_andn2_b64 s[26:27], s[26:27], exec
	s_trap 2
	s_or_b64 exec, exec, s[0:1]
	s_and_saveexec_b64 s[0:1], s[26:27]
	s_xor_b64 s[0:1], exec, s[0:1]
	s_cbranch_execnz .LBB86_900
.LBB86_972:
	s_or_b64 exec, exec, s[0:1]
	s_and_saveexec_b64 s[0:1], s[24:25]
	s_xor_b64 s[0:1], exec, s[0:1]
	s_cbranch_execz .LBB86_1010
.LBB86_973:
	s_sext_i32_i16 s20, s34
	s_cmp_lt_i32 s20, 5
	s_mov_b64 s[18:19], -1
	s_cbranch_scc1 .LBB86_994
; %bb.974:
	s_cmp_lt_i32 s20, 8
	s_cbranch_scc1 .LBB86_984
; %bb.975:
	s_cmp_lt_i32 s20, 9
	s_cbranch_scc1 .LBB86_981
; %bb.976:
	s_cmp_gt_i32 s20, 9
	s_cbranch_scc0 .LBB86_978
; %bb.977:
	s_waitcnt vmcnt(0)
	v_cvt_f64_i32_e32 v[4:5], v1
	v_cvt_f64_u32_e32 v[6:7], v0
	s_mov_b64 s[18:19], 0
	v_ldexp_f64 v[4:5], v[4:5], 32
	v_add_f64 v[4:5], v[4:5], v[6:7]
	v_mov_b32_e32 v6, 0
	v_mov_b32_e32 v7, v6
	global_store_dwordx4 v[2:3], v[4:7], off
.LBB86_978:
	s_andn2_b64 vcc, exec, s[18:19]
	s_cbranch_vccnz .LBB86_980
; %bb.979:
	s_waitcnt vmcnt(0)
	v_xor_b32_e32 v5, v0, v1
	v_ffbh_i32_e32 v4, v1
	v_ashrrev_i32_e32 v5, 31, v5
	v_add_u32_e32 v4, -1, v4
	v_add_u32_e32 v5, 32, v5
	v_min_u32_e32 v6, v4, v5
	v_lshlrev_b64 v[4:5], v6, v[0:1]
	v_min_u32_e32 v4, 1, v4
	v_or_b32_e32 v4, v5, v4
	v_cvt_f32_i32_e32 v4, v4
	v_sub_u32_e32 v5, 32, v6
	v_ldexp_f32 v4, v4, v5
	v_mov_b32_e32 v5, 0
	global_store_dwordx2 v[2:3], v[4:5], off
.LBB86_980:
	s_mov_b64 s[18:19], 0
.LBB86_981:
	s_andn2_b64 vcc, exec, s[18:19]
	s_cbranch_vccnz .LBB86_983
; %bb.982:
	s_waitcnt vmcnt(0)
	v_xor_b32_e32 v5, v0, v1
	v_ffbh_i32_e32 v4, v1
	v_ashrrev_i32_e32 v5, 31, v5
	v_add_u32_e32 v4, -1, v4
	v_add_u32_e32 v5, 32, v5
	v_min_u32_e32 v6, v4, v5
	v_lshlrev_b64 v[4:5], v6, v[0:1]
	v_min_u32_e32 v4, 1, v4
	v_or_b32_e32 v4, v5, v4
	v_cvt_f32_i32_e32 v4, v4
	v_sub_u32_e32 v5, 32, v6
	v_ldexp_f32 v4, v4, v5
	v_cvt_f16_f32_e32 v4, v4
	global_store_dword v[2:3], v4, off
.LBB86_983:
	s_mov_b64 s[18:19], 0
.LBB86_984:
	s_andn2_b64 vcc, exec, s[18:19]
	s_cbranch_vccnz .LBB86_993
; %bb.985:
	s_sext_i32_i16 s20, s34
	s_cmp_lt_i32 s20, 6
	s_mov_b64 s[18:19], -1
	s_cbranch_scc1 .LBB86_991
; %bb.986:
	s_cmp_gt_i32 s20, 6
	s_cbranch_scc0 .LBB86_988
; %bb.987:
	s_waitcnt vmcnt(0)
	v_cvt_f64_i32_e32 v[4:5], v1
	v_cvt_f64_u32_e32 v[6:7], v0
	s_mov_b64 s[18:19], 0
	v_ldexp_f64 v[4:5], v[4:5], 32
	v_add_f64 v[4:5], v[4:5], v[6:7]
	global_store_dwordx2 v[2:3], v[4:5], off
.LBB86_988:
	s_andn2_b64 vcc, exec, s[18:19]
	s_cbranch_vccnz .LBB86_990
; %bb.989:
	s_waitcnt vmcnt(0)
	v_xor_b32_e32 v5, v0, v1
	v_ffbh_i32_e32 v4, v1
	v_ashrrev_i32_e32 v5, 31, v5
	v_add_u32_e32 v4, -1, v4
	v_add_u32_e32 v5, 32, v5
	v_min_u32_e32 v6, v4, v5
	v_lshlrev_b64 v[4:5], v6, v[0:1]
	v_min_u32_e32 v4, 1, v4
	v_or_b32_e32 v4, v5, v4
	v_cvt_f32_i32_e32 v4, v4
	v_sub_u32_e32 v5, 32, v6
	v_ldexp_f32 v4, v4, v5
	global_store_dword v[2:3], v4, off
.LBB86_990:
	s_mov_b64 s[18:19], 0
.LBB86_991:
	s_andn2_b64 vcc, exec, s[18:19]
	s_cbranch_vccnz .LBB86_993
; %bb.992:
	s_waitcnt vmcnt(0)
	v_xor_b32_e32 v5, v0, v1
	v_ffbh_i32_e32 v4, v1
	v_ashrrev_i32_e32 v5, 31, v5
	v_add_u32_e32 v4, -1, v4
	v_add_u32_e32 v5, 32, v5
	v_min_u32_e32 v6, v4, v5
	v_lshlrev_b64 v[4:5], v6, v[0:1]
	v_min_u32_e32 v4, 1, v4
	v_or_b32_e32 v4, v5, v4
	v_cvt_f32_i32_e32 v4, v4
	v_sub_u32_e32 v5, 32, v6
	v_ldexp_f32 v4, v4, v5
	v_cvt_f16_f32_e32 v4, v4
	global_store_short v[2:3], v4, off
.LBB86_993:
	s_mov_b64 s[18:19], 0
.LBB86_994:
	s_andn2_b64 vcc, exec, s[18:19]
	s_cbranch_vccnz .LBB86_1010
; %bb.995:
	s_sext_i32_i16 s20, s34
	s_cmp_lt_i32 s20, 2
	s_mov_b64 s[18:19], -1
	s_cbranch_scc1 .LBB86_1005
; %bb.996:
	s_cmp_lt_i32 s20, 3
	s_cbranch_scc1 .LBB86_1002
; %bb.997:
	s_cmp_gt_i32 s20, 3
	s_cbranch_scc0 .LBB86_999
; %bb.998:
	s_mov_b64 s[18:19], 0
	s_waitcnt vmcnt(0)
	global_store_dwordx2 v[2:3], v[0:1], off
.LBB86_999:
	s_andn2_b64 vcc, exec, s[18:19]
	s_cbranch_vccnz .LBB86_1001
; %bb.1000:
	s_waitcnt vmcnt(0)
	global_store_dword v[2:3], v0, off
.LBB86_1001:
	s_mov_b64 s[18:19], 0
.LBB86_1002:
	s_andn2_b64 vcc, exec, s[18:19]
	s_cbranch_vccnz .LBB86_1004
; %bb.1003:
	s_waitcnt vmcnt(0)
	global_store_short v[2:3], v0, off
.LBB86_1004:
	s_mov_b64 s[18:19], 0
.LBB86_1005:
	s_andn2_b64 vcc, exec, s[18:19]
	s_cbranch_vccnz .LBB86_1010
; %bb.1006:
	s_sext_i32_i16 s18, s34
	s_cmp_gt_i32 s18, 0
	s_mov_b64 s[18:19], -1
	s_cbranch_scc0 .LBB86_1008
; %bb.1007:
	s_mov_b64 s[18:19], 0
	s_waitcnt vmcnt(0)
	global_store_byte v[2:3], v0, off
.LBB86_1008:
	s_andn2_b64 vcc, exec, s[18:19]
	s_cbranch_vccnz .LBB86_1010
; %bb.1009:
	s_waitcnt vmcnt(0)
	global_store_byte v[2:3], v0, off
.LBB86_1010:
	s_or_b64 exec, exec, s[0:1]
	s_and_b64 s[18:19], s[22:23], exec
                                        ; implicit-def: $vgpr10
.LBB86_1011:
	s_or_saveexec_b64 s[6:7], s[6:7]
	s_mov_b64 s[0:1], 0
                                        ; implicit-def: $sgpr26
                                        ; implicit-def: $vgpr2_vgpr3
                                        ; implicit-def: $vgpr0_vgpr1
	s_xor_b64 exec, exec, s[6:7]
	s_cbranch_execz .LBB86_1942
; %bb.1012:
	s_waitcnt vmcnt(0)
	v_mul_lo_u32 v4, s17, v10
	v_mov_b32_e32 v0, s11
	s_and_b32 s26, 0xffff, s48
	s_cmp_lt_i32 s26, 11
	v_ashrrev_i32_e32 v1, 31, v4
	v_add_co_u32_e32 v2, vcc, s10, v4
	v_addc_co_u32_e32 v3, vcc, v0, v1, vcc
	s_cbranch_scc1 .LBB86_1019
; %bb.1013:
	s_cmp_gt_i32 s26, 25
	s_cbranch_scc0 .LBB86_1021
; %bb.1014:
	s_cmp_gt_i32 s26, 28
	s_cbranch_scc0 .LBB86_1022
; %bb.1015:
	s_cmp_gt_i32 s26, 43
	s_cbranch_scc0 .LBB86_1023
; %bb.1016:
	s_cmp_gt_i32 s26, 45
	s_cbranch_scc0 .LBB86_1024
; %bb.1017:
	s_cmp_eq_u32 s26, 46
	s_mov_b64 s[20:21], 0
	s_cbranch_scc0 .LBB86_1027
; %bb.1018:
	global_load_dword v0, v[2:3], off
	s_mov_b32 s0, 0x2f800000
	s_mov_b32 s1, 0xcf800000
	s_mov_b64 s[22:23], -1
	s_waitcnt vmcnt(0)
	v_lshlrev_b32_e32 v0, 16, v0
	v_trunc_f32_e32 v0, v0
	v_mul_f32_e64 v1, |v0|, s0
	v_floor_f32_e32 v1, v1
	v_fma_f32 v5, v1, s1, |v0|
	v_cvt_u32_f32_e32 v5, v5
	v_cvt_u32_f32_e32 v1, v1
	v_ashrrev_i32_e32 v6, 31, v0
	s_mov_b64 s[0:1], 0
	v_xor_b32_e32 v0, v5, v6
	v_xor_b32_e32 v1, v1, v6
	v_sub_co_u32_e32 v0, vcc, v0, v6
	v_subb_co_u32_e32 v1, vcc, v1, v6, vcc
	s_branch .LBB86_1028
.LBB86_1019:
	s_mov_b64 s[22:23], 0
                                        ; implicit-def: $vgpr0_vgpr1
	s_mov_b64 s[20:21], s[18:19]
	s_cbranch_execnz .LBB86_1086
.LBB86_1020:
	s_andn2_b64 vcc, exec, s[22:23]
	s_cbranch_vccz .LBB86_1131
	s_branch .LBB86_1940
.LBB86_1021:
	s_mov_b64 s[22:23], 0
                                        ; implicit-def: $vgpr0_vgpr1
	s_cbranch_execnz .LBB86_1055
	s_branch .LBB86_1082
.LBB86_1022:
	s_mov_b64 s[22:23], 0
                                        ; implicit-def: $vgpr0_vgpr1
	s_cbranch_execz .LBB86_1054
	s_branch .LBB86_1037
.LBB86_1023:
	s_mov_b64 s[22:23], 0
                                        ; implicit-def: $vgpr0_vgpr1
	s_cbranch_execnz .LBB86_1033
	s_branch .LBB86_1036
.LBB86_1024:
	s_mov_b64 s[20:21], -1
	s_mov_b64 s[22:23], 0
                                        ; implicit-def: $vgpr0_vgpr1
	s_branch .LBB86_1028
.LBB86_1025:
	s_andn2_saveexec_b64 s[28:29], s[28:29]
	s_cbranch_execz .LBB86_924
.LBB86_1026:
	s_mov_b32 s30, 0x46000000
	v_add_f32_e64 v5, |v4|, s30
	v_and_b32_e32 v5, 0xff, v5
	v_cmp_ne_u32_e32 vcc, 0, v5
	s_andn2_b64 s[26:27], s[26:27], exec
	s_and_b64 s[30:31], vcc, exec
	s_or_b64 s[26:27], s[26:27], s[30:31]
	s_or_b64 exec, exec, s[28:29]
	v_mov_b32_e32 v6, 0
	s_and_saveexec_b64 s[28:29], s[26:27]
	s_cbranch_execnz .LBB86_925
	s_branch .LBB86_926
.LBB86_1027:
	s_mov_b64 s[0:1], -1
                                        ; implicit-def: $vgpr0_vgpr1
	s_mov_b64 s[22:23], 0
.LBB86_1028:
	s_and_b64 vcc, exec, s[20:21]
	s_cbranch_vccz .LBB86_1031
; %bb.1029:
	s_cmp_eq_u32 s26, 44
	s_cbranch_scc0 .LBB86_1032
; %bb.1030:
	global_load_ubyte v0, v[2:3], off
	s_mov_b32 s0, 0x2f800000
	s_mov_b32 s1, 0xcf800000
	s_mov_b64 s[22:23], -1
	s_waitcnt vmcnt(0)
	v_lshlrev_b32_e32 v1, 23, v0
	v_trunc_f32_e32 v1, v1
	v_mul_f32_e64 v5, |v1|, s0
	v_floor_f32_e32 v5, v5
	v_fma_f32 v6, v5, s1, |v1|
	v_cvt_u32_f32_e32 v6, v6
	v_cvt_u32_f32_e32 v5, v5
	v_ashrrev_i32_e32 v1, 31, v1
	s_mov_b64 s[0:1], 0
	v_xor_b32_e32 v6, v6, v1
	v_xor_b32_e32 v5, v5, v1
	v_sub_co_u32_e32 v6, vcc, v6, v1
	v_subb_co_u32_e32 v1, vcc, v5, v1, vcc
	v_cmp_ne_u32_e32 vcc, 0, v0
	v_cndmask_b32_e32 v1, 0, v1, vcc
	v_cndmask_b32_e32 v0, 0, v6, vcc
.LBB86_1031:
	s_branch .LBB86_1036
.LBB86_1032:
	s_mov_b64 s[0:1], -1
                                        ; implicit-def: $vgpr0_vgpr1
	s_branch .LBB86_1036
.LBB86_1033:
	s_cmp_eq_u32 s26, 29
	s_cbranch_scc0 .LBB86_1035
; %bb.1034:
	global_load_dwordx2 v[0:1], v[2:3], off
	s_mov_b64 s[0:1], 0
	s_mov_b64 s[22:23], -1
	s_branch .LBB86_1036
.LBB86_1035:
	s_mov_b64 s[0:1], -1
                                        ; implicit-def: $vgpr0_vgpr1
.LBB86_1036:
	s_branch .LBB86_1054
.LBB86_1037:
	s_cmp_lt_i32 s26, 27
	s_cbranch_scc1 .LBB86_1040
; %bb.1038:
	s_cmp_gt_i32 s26, 27
	s_cbranch_scc0 .LBB86_1041
; %bb.1039:
	global_load_dword v0, v[2:3], off
	s_waitcnt vmcnt(1)
	v_mov_b32_e32 v1, 0
	s_mov_b64 s[20:21], 0
	s_branch .LBB86_1042
.LBB86_1040:
	s_mov_b64 s[20:21], -1
                                        ; implicit-def: $vgpr0_vgpr1
	s_branch .LBB86_1045
.LBB86_1041:
	s_mov_b64 s[20:21], -1
                                        ; implicit-def: $vgpr0_vgpr1
.LBB86_1042:
	s_andn2_b64 vcc, exec, s[20:21]
	s_cbranch_vccnz .LBB86_1044
; %bb.1043:
	global_load_ushort v0, v[2:3], off
	s_mov_b32 s20, 0
	s_waitcnt vmcnt(1)
	v_mov_b32_e32 v1, s20
	s_waitcnt vmcnt(0)
	v_and_b32_e32 v0, 0xffff, v0
.LBB86_1044:
	s_mov_b64 s[20:21], 0
.LBB86_1045:
	s_andn2_b64 vcc, exec, s[20:21]
	s_cbranch_vccnz .LBB86_1053
; %bb.1046:
	global_load_ubyte v5, v[2:3], off
	s_movk_i32 s20, 0x7f
	s_mov_b64 s[22:23], 0
	s_waitcnt vmcnt(0)
	v_cmp_lt_i16_e32 vcc, s20, v5
	s_and_saveexec_b64 s[20:21], vcc
	s_xor_b64 s[20:21], exec, s[20:21]
; %bb.1047:
	s_movk_i32 s22, 0x80
	v_cmp_ne_u16_e32 vcc, s22, v5
	s_and_b64 s[22:23], vcc, exec
; %bb.1048:
	s_andn2_saveexec_b64 s[20:21], s[20:21]
; %bb.1049:
	v_cmp_ne_u16_e32 vcc, 0, v5
	s_andn2_b64 s[22:23], s[22:23], exec
	s_and_b64 s[24:25], vcc, exec
	s_or_b64 s[22:23], s[22:23], s[24:25]
; %bb.1050:
	s_or_b64 exec, exec, s[20:21]
	v_mov_b32_e32 v0, 0
	v_mov_b32_e32 v1, 0
	s_and_saveexec_b64 s[20:21], s[22:23]
	s_cbranch_execz .LBB86_1052
; %bb.1051:
	v_and_b32_e32 v1, 0xffff, v5
	v_lshlrev_b32_e32 v0, 24, v5
	v_and_b32_e32 v5, 7, v1
	v_ffbh_u32_e32 v7, v5
	v_min_u32_e32 v7, 32, v7
	v_subrev_u32_e32 v8, 28, v7
	v_bfe_u32 v6, v1, 3, 4
	v_lshlrev_b32_e32 v1, v8, v1
	v_sub_u32_e32 v7, 29, v7
	v_and_b32_e32 v1, 7, v1
	v_cmp_eq_u32_e32 vcc, 0, v6
	v_cndmask_b32_e32 v6, v6, v7, vcc
	v_cndmask_b32_e32 v1, v5, v1, vcc
	v_mov_b32_e32 v5, 0x3b800000
	v_lshlrev_b32_e32 v1, 20, v1
	v_and_b32_e32 v0, 0x80000000, v0
	v_lshl_add_u32 v5, v6, 23, v5
	v_or3_b32 v0, v0, v5, v1
	v_trunc_f32_e32 v0, v0
	s_mov_b32 s22, 0x2f800000
	v_mul_f32_e64 v1, |v0|, s22
	v_floor_f32_e32 v1, v1
	s_mov_b32 s22, 0xcf800000
	v_fma_f32 v5, v1, s22, |v0|
	v_cvt_u32_f32_e32 v5, v5
	v_cvt_u32_f32_e32 v1, v1
	v_ashrrev_i32_e32 v6, 31, v0
	v_xor_b32_e32 v0, v5, v6
	v_xor_b32_e32 v1, v1, v6
	v_sub_co_u32_e32 v0, vcc, v0, v6
	v_subb_co_u32_e32 v1, vcc, v1, v6, vcc
.LBB86_1052:
	s_or_b64 exec, exec, s[20:21]
.LBB86_1053:
	s_mov_b64 s[22:23], -1
.LBB86_1054:
	s_branch .LBB86_1082
.LBB86_1055:
	s_cmp_gt_i32 s26, 22
	s_cbranch_scc0 .LBB86_1065
; %bb.1056:
	s_cmp_lt_i32 s26, 24
	s_cbranch_scc1 .LBB86_1066
; %bb.1057:
	s_cmp_gt_i32 s26, 24
	s_cbranch_scc0 .LBB86_1067
; %bb.1058:
	global_load_ubyte v5, v[2:3], off
	s_movk_i32 s4, 0x7f
	s_mov_b64 s[20:21], 0
	s_waitcnt vmcnt(0)
	v_cmp_lt_i16_e32 vcc, s4, v5
	s_and_saveexec_b64 s[4:5], vcc
	s_xor_b64 s[4:5], exec, s[4:5]
; %bb.1059:
	s_movk_i32 s20, 0x80
	v_cmp_ne_u16_e32 vcc, s20, v5
	s_and_b64 s[20:21], vcc, exec
; %bb.1060:
	s_andn2_saveexec_b64 s[4:5], s[4:5]
; %bb.1061:
	v_cmp_ne_u16_e32 vcc, 0, v5
	s_andn2_b64 s[20:21], s[20:21], exec
	s_and_b64 s[22:23], vcc, exec
	s_or_b64 s[20:21], s[20:21], s[22:23]
; %bb.1062:
	s_or_b64 exec, exec, s[4:5]
	v_mov_b32_e32 v0, 0
	v_mov_b32_e32 v1, 0
	s_and_saveexec_b64 s[4:5], s[20:21]
	s_cbranch_execz .LBB86_1064
; %bb.1063:
	v_and_b32_e32 v1, 0xffff, v5
	v_lshlrev_b32_e32 v0, 24, v5
	v_and_b32_e32 v5, 3, v1
	v_ffbh_u32_e32 v7, v5
	v_min_u32_e32 v7, 32, v7
	v_subrev_u32_e32 v8, 29, v7
	v_bfe_u32 v6, v1, 2, 5
	v_lshlrev_b32_e32 v1, v8, v1
	v_sub_u32_e32 v7, 30, v7
	v_and_b32_e32 v1, 3, v1
	v_cmp_eq_u32_e32 vcc, 0, v6
	v_cndmask_b32_e32 v6, v6, v7, vcc
	v_cndmask_b32_e32 v1, v5, v1, vcc
	v_mov_b32_e32 v5, 0x37800000
	v_lshlrev_b32_e32 v1, 21, v1
	v_and_b32_e32 v0, 0x80000000, v0
	v_lshl_add_u32 v5, v6, 23, v5
	v_or3_b32 v0, v0, v5, v1
	v_trunc_f32_e32 v0, v0
	s_mov_b32 s20, 0x2f800000
	v_mul_f32_e64 v1, |v0|, s20
	v_floor_f32_e32 v1, v1
	s_mov_b32 s20, 0xcf800000
	v_fma_f32 v5, v1, s20, |v0|
	v_cvt_u32_f32_e32 v5, v5
	v_cvt_u32_f32_e32 v1, v1
	v_ashrrev_i32_e32 v6, 31, v0
	v_xor_b32_e32 v0, v5, v6
	v_xor_b32_e32 v1, v1, v6
	v_sub_co_u32_e32 v0, vcc, v0, v6
	v_subb_co_u32_e32 v1, vcc, v1, v6, vcc
.LBB86_1064:
	s_or_b64 exec, exec, s[4:5]
	s_mov_b64 s[4:5], 0
	s_branch .LBB86_1068
.LBB86_1065:
                                        ; implicit-def: $vgpr0_vgpr1
	s_mov_b64 s[4:5], 0
	s_branch .LBB86_1074
.LBB86_1066:
	s_mov_b64 s[4:5], -1
                                        ; implicit-def: $vgpr0_vgpr1
	s_branch .LBB86_1071
.LBB86_1067:
	s_mov_b64 s[4:5], -1
                                        ; implicit-def: $vgpr0_vgpr1
.LBB86_1068:
	s_and_b64 vcc, exec, s[4:5]
	s_cbranch_vccz .LBB86_1070
; %bb.1069:
	global_load_ubyte v0, v[2:3], off
	s_mov_b32 s4, 0x7f800000
	s_brev_b32 s5, 1
	s_mov_b32 s20, 0x2f800000
	s_mov_b32 s21, 0xcf800000
	s_waitcnt vmcnt(0)
	v_lshlrev_b32_e32 v0, 24, v0
	v_and_b32_e32 v1, 0x7f000000, v0
	v_ffbh_u32_e32 v5, v1
	v_min_u32_e32 v5, 32, v5
	v_sub_u32_e64 v5, v5, 4 clamp
	v_lshlrev_b32_e32 v7, v5, v1
	v_lshlrev_b32_e32 v5, 23, v5
	v_lshrrev_b32_e32 v7, 4, v7
	v_add_u32_e32 v6, 0x1000000, v1
	v_sub_u32_e32 v5, v7, v5
	v_ashrrev_i32_e32 v6, 8, v6
	v_add_u32_e32 v5, 0x3c000000, v5
	v_and_or_b32 v5, v6, s4, v5
	v_cmp_ne_u32_e32 vcc, 0, v1
	v_cndmask_b32_e32 v1, 0, v5, vcc
	v_and_or_b32 v0, v0, s5, v1
	v_trunc_f32_e32 v0, v0
	v_mul_f32_e64 v1, |v0|, s20
	v_floor_f32_e32 v1, v1
	v_fma_f32 v5, v1, s21, |v0|
	v_cvt_u32_f32_e32 v5, v5
	v_cvt_u32_f32_e32 v1, v1
	v_ashrrev_i32_e32 v6, 31, v0
	v_xor_b32_e32 v0, v5, v6
	v_xor_b32_e32 v1, v1, v6
	v_sub_co_u32_e32 v0, vcc, v0, v6
	v_subb_co_u32_e32 v1, vcc, v1, v6, vcc
.LBB86_1070:
	s_mov_b64 s[4:5], 0
.LBB86_1071:
	s_andn2_b64 vcc, exec, s[4:5]
	s_cbranch_vccnz .LBB86_1073
; %bb.1072:
	global_load_ubyte v0, v[2:3], off
	s_movk_i32 s4, 0x7f00
	s_brev_b32 s5, 16
	s_brev_b32 s20, 1
	s_mov_b32 s21, 0x2f800000
	s_mov_b32 s22, 0xcf800000
	s_waitcnt vmcnt(0)
	v_lshlrev_b16_e32 v1, 8, v0
	v_lshlrev_b32_e32 v0, 25, v0
	v_lshrrev_b32_e32 v5, 4, v0
	v_and_or_b32 v6, v1, s4, 0.5
	v_or_b32_e32 v5, 0x70000000, v5
	v_add_f32_e32 v6, -0.5, v6
	v_mul_f32_e32 v5, 0x7800000, v5
	v_cmp_gt_u32_e32 vcc, s5, v0
	v_bfe_i32 v1, v1, 0, 16
	v_cndmask_b32_e32 v0, v5, v6, vcc
	v_and_or_b32 v0, v1, s20, v0
	v_trunc_f32_e32 v0, v0
	v_mul_f32_e64 v1, |v0|, s21
	v_floor_f32_e32 v1, v1
	v_fma_f32 v5, v1, s22, |v0|
	v_cvt_u32_f32_e32 v5, v5
	v_cvt_u32_f32_e32 v1, v1
	v_ashrrev_i32_e32 v6, 31, v0
	v_xor_b32_e32 v0, v5, v6
	v_xor_b32_e32 v1, v1, v6
	v_sub_co_u32_e32 v0, vcc, v0, v6
	v_subb_co_u32_e32 v1, vcc, v1, v6, vcc
.LBB86_1073:
	s_mov_b64 s[22:23], -1
	s_mov_b64 s[4:5], 0
	s_cbranch_execnz .LBB86_1082
.LBB86_1074:
	s_cmp_gt_i32 s26, 14
	s_cbranch_scc0 .LBB86_1077
; %bb.1075:
	s_cmp_eq_u32 s26, 15
	s_cbranch_scc0 .LBB86_1078
; %bb.1076:
	global_load_ushort v0, v[2:3], off
	s_mov_b32 s0, 0x2f800000
	s_mov_b32 s1, 0xcf800000
	s_mov_b64 s[22:23], -1
	s_waitcnt vmcnt(0)
	v_lshlrev_b32_e32 v0, 16, v0
	v_trunc_f32_e32 v0, v0
	v_mul_f32_e64 v1, |v0|, s0
	v_floor_f32_e32 v1, v1
	v_fma_f32 v5, v1, s1, |v0|
	v_cvt_u32_f32_e32 v5, v5
	v_cvt_u32_f32_e32 v1, v1
	v_ashrrev_i32_e32 v6, 31, v0
	s_mov_b64 s[0:1], 0
	v_xor_b32_e32 v0, v5, v6
	v_xor_b32_e32 v1, v1, v6
	v_sub_co_u32_e32 v0, vcc, v0, v6
	v_subb_co_u32_e32 v1, vcc, v1, v6, vcc
	s_branch .LBB86_1079
.LBB86_1077:
	s_mov_b64 s[20:21], -1
                                        ; implicit-def: $vgpr0_vgpr1
	s_branch .LBB86_1080
.LBB86_1078:
	s_mov_b64 s[0:1], -1
                                        ; implicit-def: $vgpr0_vgpr1
.LBB86_1079:
	s_mov_b64 s[20:21], 0
.LBB86_1080:
	s_and_b64 vcc, exec, s[20:21]
	s_cbranch_vccz .LBB86_1082
; %bb.1081:
	s_cmp_lg_u32 s26, 11
	s_mov_b64 s[4:5], -1
	s_cselect_b64 s[0:1], -1, 0
.LBB86_1082:
	s_and_b64 vcc, exec, s[0:1]
	s_mov_b64 s[20:21], s[18:19]
	s_cbranch_vccnz .LBB86_1143
; %bb.1083:
	s_andn2_b64 vcc, exec, s[4:5]
	s_cbranch_vccnz .LBB86_1085
.LBB86_1084:
	global_load_ubyte v0, v[2:3], off
	s_mov_b32 s0, 0
	s_waitcnt vmcnt(1)
	v_mov_b32_e32 v1, s0
	s_mov_b64 s[22:23], -1
	s_waitcnt vmcnt(0)
	v_cmp_ne_u16_e32 vcc, 0, v0
	v_cndmask_b32_e64 v0, 0, 1, vcc
.LBB86_1085:
	s_branch .LBB86_1020
.LBB86_1086:
	s_cmp_lt_i32 s26, 5
	s_cbranch_scc1 .LBB86_1091
; %bb.1087:
	s_cmp_lt_i32 s26, 8
	s_cbranch_scc1 .LBB86_1092
; %bb.1088:
	;; [unrolled: 3-line block ×3, first 2 shown]
	s_cmp_gt_i32 s26, 9
	s_cbranch_scc0 .LBB86_1094
; %bb.1090:
	global_load_dwordx2 v[0:1], v[2:3], off
	s_movk_i32 s0, 0xffe0
	s_waitcnt vmcnt(0)
	v_trunc_f64_e32 v[0:1], v[0:1]
	v_ldexp_f64 v[5:6], v[0:1], s0
	s_mov_b32 s0, 0
	s_mov_b32 s1, 0xc1f00000
	v_floor_f64_e32 v[5:6], v[5:6]
	v_fma_f64 v[7:8], v[5:6], s[0:1], v[0:1]
	v_cvt_i32_f64_e32 v1, v[5:6]
	s_mov_b64 s[0:1], 0
	v_cvt_u32_f64_e32 v0, v[7:8]
	s_branch .LBB86_1095
.LBB86_1091:
                                        ; implicit-def: $vgpr0_vgpr1
	s_branch .LBB86_1112
.LBB86_1092:
                                        ; implicit-def: $vgpr0_vgpr1
	s_branch .LBB86_1101
.LBB86_1093:
	s_mov_b64 s[0:1], -1
                                        ; implicit-def: $vgpr0_vgpr1
	s_branch .LBB86_1098
.LBB86_1094:
	s_mov_b64 s[0:1], -1
                                        ; implicit-def: $vgpr0_vgpr1
.LBB86_1095:
	s_andn2_b64 vcc, exec, s[0:1]
	s_cbranch_vccnz .LBB86_1097
; %bb.1096:
	global_load_dword v0, v[2:3], off
	s_mov_b32 s0, 0x2f800000
	s_mov_b32 s1, 0xcf800000
	s_waitcnt vmcnt(0)
	v_trunc_f32_e32 v0, v0
	v_mul_f32_e64 v1, |v0|, s0
	v_floor_f32_e32 v1, v1
	v_cvt_u32_f32_e32 v5, v1
	v_fma_f32 v1, v1, s1, |v0|
	v_cvt_u32_f32_e32 v1, v1
	v_ashrrev_i32_e32 v6, 31, v0
	v_xor_b32_e32 v5, v5, v6
	v_xor_b32_e32 v0, v1, v6
	v_sub_co_u32_e32 v0, vcc, v0, v6
	v_subb_co_u32_e32 v1, vcc, v5, v6, vcc
.LBB86_1097:
	s_mov_b64 s[0:1], 0
.LBB86_1098:
	s_andn2_b64 vcc, exec, s[0:1]
	s_cbranch_vccnz .LBB86_1100
; %bb.1099:
	global_load_dword v0, v[2:3], off
	s_waitcnt vmcnt(0)
	v_cvt_f32_f16_e32 v0, v0
	v_cvt_i32_f32_e32 v0, v0
	v_ashrrev_i32_e32 v1, 31, v0
.LBB86_1100:
	s_cbranch_execnz .LBB86_1111
.LBB86_1101:
	s_cmp_lt_i32 s26, 6
	s_cbranch_scc1 .LBB86_1104
; %bb.1102:
	s_cmp_gt_i32 s26, 6
	s_cbranch_scc0 .LBB86_1105
; %bb.1103:
	global_load_dwordx2 v[0:1], v[2:3], off
	s_movk_i32 s0, 0xffe0
	s_waitcnt vmcnt(0)
	v_trunc_f64_e32 v[0:1], v[0:1]
	v_ldexp_f64 v[5:6], v[0:1], s0
	s_mov_b32 s0, 0
	s_mov_b32 s1, 0xc1f00000
	v_floor_f64_e32 v[5:6], v[5:6]
	v_fma_f64 v[7:8], v[5:6], s[0:1], v[0:1]
	v_cvt_i32_f64_e32 v1, v[5:6]
	s_mov_b64 s[0:1], 0
	v_cvt_u32_f64_e32 v0, v[7:8]
	s_branch .LBB86_1106
.LBB86_1104:
	s_mov_b64 s[0:1], -1
                                        ; implicit-def: $vgpr0_vgpr1
	s_branch .LBB86_1109
.LBB86_1105:
	s_mov_b64 s[0:1], -1
                                        ; implicit-def: $vgpr0_vgpr1
.LBB86_1106:
	s_andn2_b64 vcc, exec, s[0:1]
	s_cbranch_vccnz .LBB86_1108
; %bb.1107:
	global_load_dword v0, v[2:3], off
	s_mov_b32 s0, 0x2f800000
	s_mov_b32 s1, 0xcf800000
	s_waitcnt vmcnt(0)
	v_trunc_f32_e32 v0, v0
	v_mul_f32_e64 v1, |v0|, s0
	v_floor_f32_e32 v1, v1
	v_cvt_u32_f32_e32 v5, v1
	v_fma_f32 v1, v1, s1, |v0|
	v_cvt_u32_f32_e32 v1, v1
	v_ashrrev_i32_e32 v6, 31, v0
	v_xor_b32_e32 v5, v5, v6
	v_xor_b32_e32 v0, v1, v6
	v_sub_co_u32_e32 v0, vcc, v0, v6
	v_subb_co_u32_e32 v1, vcc, v5, v6, vcc
.LBB86_1108:
	s_mov_b64 s[0:1], 0
.LBB86_1109:
	s_andn2_b64 vcc, exec, s[0:1]
	s_cbranch_vccnz .LBB86_1111
; %bb.1110:
	global_load_ushort v0, v[2:3], off
	s_waitcnt vmcnt(0)
	v_cvt_f32_f16_e32 v0, v0
	v_cvt_i32_f32_e32 v0, v0
	v_ashrrev_i32_e32 v1, 31, v0
.LBB86_1111:
	s_cbranch_execnz .LBB86_1130
.LBB86_1112:
	s_cmp_lt_i32 s26, 2
	s_cbranch_scc1 .LBB86_1116
; %bb.1113:
	s_cmp_lt_i32 s26, 3
	s_cbranch_scc1 .LBB86_1117
; %bb.1114:
	s_cmp_gt_i32 s26, 3
	s_cbranch_scc0 .LBB86_1118
; %bb.1115:
	global_load_dwordx2 v[0:1], v[2:3], off
	s_mov_b64 s[0:1], 0
	s_branch .LBB86_1119
.LBB86_1116:
                                        ; implicit-def: $vgpr0_vgpr1
	s_branch .LBB86_1125
.LBB86_1117:
	s_mov_b64 s[0:1], -1
                                        ; implicit-def: $vgpr0_vgpr1
	s_branch .LBB86_1122
.LBB86_1118:
	s_mov_b64 s[0:1], -1
                                        ; implicit-def: $vgpr0_vgpr1
.LBB86_1119:
	s_andn2_b64 vcc, exec, s[0:1]
	s_cbranch_vccnz .LBB86_1121
; %bb.1120:
	global_load_dword v0, v[2:3], off
	s_waitcnt vmcnt(0)
	v_ashrrev_i32_e32 v1, 31, v0
.LBB86_1121:
	s_mov_b64 s[0:1], 0
.LBB86_1122:
	s_andn2_b64 vcc, exec, s[0:1]
	s_cbranch_vccnz .LBB86_1124
; %bb.1123:
	global_load_ushort v0, v[2:3], off
	s_waitcnt vmcnt(0)
	v_bfe_i32 v0, v0, 0, 16
	v_ashrrev_i32_e32 v1, 31, v0
.LBB86_1124:
	s_cbranch_execnz .LBB86_1130
.LBB86_1125:
	s_cmp_gt_i32 s26, 0
	s_cbranch_scc0 .LBB86_1127
; %bb.1126:
	global_load_sbyte v0, v[2:3], off
	s_mov_b64 s[0:1], 0
	s_waitcnt vmcnt(0)
	v_bfe_i32 v0, v0, 0, 16
	v_ashrrev_i32_e32 v1, 31, v0
	s_branch .LBB86_1128
.LBB86_1127:
	s_mov_b64 s[0:1], -1
                                        ; implicit-def: $vgpr0_vgpr1
.LBB86_1128:
	s_andn2_b64 vcc, exec, s[0:1]
	s_cbranch_vccnz .LBB86_1130
; %bb.1129:
	global_load_ubyte v0, v[2:3], off
	s_mov_b32 s0, 0
	s_waitcnt vmcnt(1)
	v_mov_b32_e32 v1, s0
	s_waitcnt vmcnt(0)
	v_and_b32_e32 v0, 0xffff, v0
.LBB86_1130:
.LBB86_1131:
	s_lshl_b32 s17, s17, 7
	v_add_u32_e32 v6, s17, v4
	v_ashrrev_i32_e32 v2, 31, v6
	v_mov_b32_e32 v3, s11
	v_add_co_u32_e32 v4, vcc, s10, v6
	s_cmp_lt_i32 s26, 11
	v_addc_co_u32_e32 v5, vcc, v3, v2, vcc
	s_cbranch_scc1 .LBB86_1138
; %bb.1132:
	s_cmp_gt_i32 s26, 25
	s_mov_b64 s[4:5], 0
	s_cbranch_scc0 .LBB86_1140
; %bb.1133:
	s_cmp_gt_i32 s26, 28
	s_cbranch_scc0 .LBB86_1141
; %bb.1134:
	s_cmp_gt_i32 s26, 43
	;; [unrolled: 3-line block ×3, first 2 shown]
	s_cbranch_scc0 .LBB86_1144
; %bb.1136:
	s_cmp_eq_u32 s26, 46
	s_mov_b64 s[24:25], 0
	s_cbranch_scc0 .LBB86_1147
; %bb.1137:
	global_load_dword v2, v[4:5], off
	s_mov_b32 s0, 0x2f800000
	s_mov_b32 s1, 0xcf800000
	s_mov_b64 s[22:23], -1
	s_waitcnt vmcnt(0)
	v_lshlrev_b32_e32 v2, 16, v2
	v_trunc_f32_e32 v2, v2
	v_mul_f32_e64 v3, |v2|, s0
	v_floor_f32_e32 v3, v3
	v_fma_f32 v7, v3, s1, |v2|
	v_cvt_u32_f32_e32 v7, v7
	v_cvt_u32_f32_e32 v3, v3
	v_ashrrev_i32_e32 v8, 31, v2
	s_mov_b64 s[0:1], 0
	v_xor_b32_e32 v2, v7, v8
	v_xor_b32_e32 v3, v3, v8
	v_sub_co_u32_e32 v2, vcc, v2, v8
	v_subb_co_u32_e32 v3, vcc, v3, v8, vcc
	s_branch .LBB86_1148
.LBB86_1138:
	s_mov_b64 s[22:23], 0
                                        ; implicit-def: $vgpr2_vgpr3
	s_cbranch_execnz .LBB86_1209
.LBB86_1139:
	s_andn2_b64 vcc, exec, s[22:23]
	s_cbranch_vccnz .LBB86_1940
	s_branch .LBB86_1256
.LBB86_1140:
	s_mov_b64 s[22:23], 0
	s_mov_b64 s[0:1], 0
                                        ; implicit-def: $vgpr2_vgpr3
	s_cbranch_execnz .LBB86_1177
	s_branch .LBB86_1205
.LBB86_1141:
	s_mov_b64 s[24:25], -1
	s_mov_b64 s[22:23], 0
	s_mov_b64 s[0:1], 0
                                        ; implicit-def: $vgpr2_vgpr3
	s_branch .LBB86_1158
.LBB86_1142:
	s_mov_b64 s[24:25], -1
	s_mov_b64 s[22:23], 0
	s_mov_b64 s[0:1], 0
                                        ; implicit-def: $vgpr2_vgpr3
	s_branch .LBB86_1153
.LBB86_1143:
	s_or_b64 s[20:21], s[18:19], exec
	s_trap 2
	s_cbranch_execz .LBB86_1084
	s_branch .LBB86_1085
.LBB86_1144:
	s_mov_b64 s[24:25], -1
	s_mov_b64 s[22:23], 0
	s_mov_b64 s[0:1], 0
                                        ; implicit-def: $vgpr2_vgpr3
	s_branch .LBB86_1148
.LBB86_1145:
	s_andn2_saveexec_b64 s[30:31], s[30:31]
	s_cbranch_execz .LBB86_936
.LBB86_1146:
	s_mov_b32 s36, 0x42800000
	v_add_f32_e64 v5, |v4|, s36
	v_and_b32_e32 v5, 0xff, v5
	v_cmp_ne_u32_e32 vcc, 0, v5
	s_andn2_b64 s[28:29], s[28:29], exec
	s_and_b64 s[36:37], vcc, exec
	s_or_b64 s[28:29], s[28:29], s[36:37]
	s_or_b64 exec, exec, s[30:31]
	v_mov_b32_e32 v6, 0
	s_and_saveexec_b64 s[30:31], s[28:29]
	s_cbranch_execnz .LBB86_937
	s_branch .LBB86_938
.LBB86_1147:
	s_mov_b64 s[0:1], -1
                                        ; implicit-def: $vgpr2_vgpr3
	s_mov_b64 s[22:23], 0
.LBB86_1148:
	s_and_b64 vcc, exec, s[24:25]
	s_cbranch_vccz .LBB86_1152
; %bb.1149:
	s_cmp_eq_u32 s26, 44
	s_cbranch_scc0 .LBB86_1151
; %bb.1150:
	global_load_ubyte v2, v[4:5], off
	s_mov_b32 s0, 0x2f800000
	s_mov_b32 s1, 0xcf800000
	s_mov_b64 s[22:23], -1
	s_waitcnt vmcnt(0)
	v_lshlrev_b32_e32 v3, 23, v2
	v_trunc_f32_e32 v3, v3
	v_mul_f32_e64 v7, |v3|, s0
	v_floor_f32_e32 v7, v7
	v_fma_f32 v8, v7, s1, |v3|
	v_cvt_u32_f32_e32 v8, v8
	v_cvt_u32_f32_e32 v7, v7
	v_ashrrev_i32_e32 v3, 31, v3
	s_mov_b64 s[0:1], 0
	v_xor_b32_e32 v8, v8, v3
	v_xor_b32_e32 v7, v7, v3
	v_sub_co_u32_e32 v8, vcc, v8, v3
	v_subb_co_u32_e32 v3, vcc, v7, v3, vcc
	v_cmp_ne_u32_e32 vcc, 0, v2
	v_cndmask_b32_e32 v3, 0, v3, vcc
	v_cndmask_b32_e32 v2, 0, v8, vcc
	s_branch .LBB86_1152
.LBB86_1151:
	s_mov_b64 s[0:1], -1
                                        ; implicit-def: $vgpr2_vgpr3
.LBB86_1152:
	s_mov_b64 s[24:25], 0
.LBB86_1153:
	s_and_b64 vcc, exec, s[24:25]
	s_cbranch_vccz .LBB86_1157
; %bb.1154:
	s_cmp_eq_u32 s26, 29
	s_cbranch_scc0 .LBB86_1156
; %bb.1155:
	global_load_dwordx2 v[2:3], v[4:5], off
	s_mov_b64 s[0:1], 0
	s_mov_b64 s[22:23], -1
	s_branch .LBB86_1157
.LBB86_1156:
	s_mov_b64 s[0:1], -1
                                        ; implicit-def: $vgpr2_vgpr3
.LBB86_1157:
	s_mov_b64 s[24:25], 0
.LBB86_1158:
	s_and_b64 vcc, exec, s[24:25]
	s_cbranch_vccz .LBB86_1176
; %bb.1159:
	s_cmp_lt_i32 s26, 27
	s_cbranch_scc1 .LBB86_1162
; %bb.1160:
	s_cmp_gt_i32 s26, 27
	s_cbranch_scc0 .LBB86_1163
; %bb.1161:
	global_load_dword v2, v[4:5], off
	s_waitcnt vmcnt(1)
	v_mov_b32_e32 v3, 0
	s_mov_b64 s[22:23], 0
	s_branch .LBB86_1164
.LBB86_1162:
	s_mov_b64 s[22:23], -1
                                        ; implicit-def: $vgpr2_vgpr3
	s_branch .LBB86_1167
.LBB86_1163:
	s_mov_b64 s[22:23], -1
                                        ; implicit-def: $vgpr2_vgpr3
.LBB86_1164:
	s_andn2_b64 vcc, exec, s[22:23]
	s_cbranch_vccnz .LBB86_1166
; %bb.1165:
	global_load_ushort v2, v[4:5], off
	s_mov_b32 s22, 0
	s_waitcnt vmcnt(1)
	v_mov_b32_e32 v3, s22
	s_waitcnt vmcnt(0)
	v_and_b32_e32 v2, 0xffff, v2
.LBB86_1166:
	s_mov_b64 s[22:23], 0
.LBB86_1167:
	s_andn2_b64 vcc, exec, s[22:23]
	s_cbranch_vccnz .LBB86_1175
; %bb.1168:
	global_load_ubyte v7, v[4:5], off
	s_movk_i32 s22, 0x7f
	s_mov_b64 s[24:25], 0
	s_waitcnt vmcnt(0)
	v_cmp_lt_i16_e32 vcc, s22, v7
	s_and_saveexec_b64 s[22:23], vcc
	s_xor_b64 s[22:23], exec, s[22:23]
; %bb.1169:
	s_movk_i32 s24, 0x80
	v_cmp_ne_u16_e32 vcc, s24, v7
	s_and_b64 s[24:25], vcc, exec
; %bb.1170:
	s_andn2_saveexec_b64 s[22:23], s[22:23]
; %bb.1171:
	v_cmp_ne_u16_e32 vcc, 0, v7
	s_andn2_b64 s[24:25], s[24:25], exec
	s_and_b64 s[28:29], vcc, exec
	s_or_b64 s[24:25], s[24:25], s[28:29]
; %bb.1172:
	s_or_b64 exec, exec, s[22:23]
	v_mov_b32_e32 v2, 0
	v_mov_b32_e32 v3, 0
	s_and_saveexec_b64 s[22:23], s[24:25]
	s_cbranch_execz .LBB86_1174
; %bb.1173:
	v_and_b32_e32 v3, 0xffff, v7
	v_lshlrev_b32_e32 v2, 24, v7
	v_and_b32_e32 v7, 7, v3
	v_ffbh_u32_e32 v9, v7
	v_min_u32_e32 v9, 32, v9
	v_subrev_u32_e32 v11, 28, v9
	v_bfe_u32 v8, v3, 3, 4
	v_lshlrev_b32_e32 v3, v11, v3
	v_sub_u32_e32 v9, 29, v9
	v_and_b32_e32 v3, 7, v3
	v_cmp_eq_u32_e32 vcc, 0, v8
	v_cndmask_b32_e32 v8, v8, v9, vcc
	v_cndmask_b32_e32 v3, v7, v3, vcc
	v_mov_b32_e32 v7, 0x3b800000
	v_lshlrev_b32_e32 v3, 20, v3
	v_and_b32_e32 v2, 0x80000000, v2
	v_lshl_add_u32 v7, v8, 23, v7
	v_or3_b32 v2, v2, v7, v3
	v_trunc_f32_e32 v2, v2
	s_mov_b32 s24, 0x2f800000
	v_mul_f32_e64 v3, |v2|, s24
	v_floor_f32_e32 v3, v3
	s_mov_b32 s24, 0xcf800000
	v_fma_f32 v7, v3, s24, |v2|
	v_cvt_u32_f32_e32 v7, v7
	v_cvt_u32_f32_e32 v3, v3
	v_ashrrev_i32_e32 v8, 31, v2
	v_xor_b32_e32 v2, v7, v8
	v_xor_b32_e32 v3, v3, v8
	v_sub_co_u32_e32 v2, vcc, v2, v8
	v_subb_co_u32_e32 v3, vcc, v3, v8, vcc
.LBB86_1174:
	s_or_b64 exec, exec, s[22:23]
.LBB86_1175:
	s_mov_b64 s[22:23], -1
.LBB86_1176:
	s_branch .LBB86_1205
.LBB86_1177:
	s_cmp_gt_i32 s26, 22
	s_cbranch_scc0 .LBB86_1187
; %bb.1178:
	s_cmp_lt_i32 s26, 24
	s_cbranch_scc1 .LBB86_1188
; %bb.1179:
	s_cmp_gt_i32 s26, 24
	s_cbranch_scc0 .LBB86_1189
; %bb.1180:
	global_load_ubyte v7, v[4:5], off
	s_movk_i32 s4, 0x7f
	s_mov_b64 s[22:23], 0
	s_waitcnt vmcnt(0)
	v_cmp_lt_i16_e32 vcc, s4, v7
	s_and_saveexec_b64 s[4:5], vcc
	s_xor_b64 s[4:5], exec, s[4:5]
; %bb.1181:
	s_movk_i32 s22, 0x80
	v_cmp_ne_u16_e32 vcc, s22, v7
	s_and_b64 s[22:23], vcc, exec
; %bb.1182:
	s_andn2_saveexec_b64 s[4:5], s[4:5]
; %bb.1183:
	v_cmp_ne_u16_e32 vcc, 0, v7
	s_andn2_b64 s[22:23], s[22:23], exec
	s_and_b64 s[24:25], vcc, exec
	s_or_b64 s[22:23], s[22:23], s[24:25]
; %bb.1184:
	s_or_b64 exec, exec, s[4:5]
	v_mov_b32_e32 v2, 0
	v_mov_b32_e32 v3, 0
	s_and_saveexec_b64 s[4:5], s[22:23]
	s_cbranch_execz .LBB86_1186
; %bb.1185:
	v_and_b32_e32 v3, 0xffff, v7
	v_lshlrev_b32_e32 v2, 24, v7
	v_and_b32_e32 v7, 3, v3
	v_ffbh_u32_e32 v9, v7
	v_min_u32_e32 v9, 32, v9
	v_subrev_u32_e32 v11, 29, v9
	v_bfe_u32 v8, v3, 2, 5
	v_lshlrev_b32_e32 v3, v11, v3
	v_sub_u32_e32 v9, 30, v9
	v_and_b32_e32 v3, 3, v3
	v_cmp_eq_u32_e32 vcc, 0, v8
	v_cndmask_b32_e32 v8, v8, v9, vcc
	v_cndmask_b32_e32 v3, v7, v3, vcc
	v_mov_b32_e32 v7, 0x37800000
	v_lshlrev_b32_e32 v3, 21, v3
	v_and_b32_e32 v2, 0x80000000, v2
	v_lshl_add_u32 v7, v8, 23, v7
	v_or3_b32 v2, v2, v7, v3
	v_trunc_f32_e32 v2, v2
	s_mov_b32 s22, 0x2f800000
	v_mul_f32_e64 v3, |v2|, s22
	v_floor_f32_e32 v3, v3
	s_mov_b32 s22, 0xcf800000
	v_fma_f32 v7, v3, s22, |v2|
	v_cvt_u32_f32_e32 v7, v7
	v_cvt_u32_f32_e32 v3, v3
	v_ashrrev_i32_e32 v8, 31, v2
	v_xor_b32_e32 v2, v7, v8
	v_xor_b32_e32 v3, v3, v8
	v_sub_co_u32_e32 v2, vcc, v2, v8
	v_subb_co_u32_e32 v3, vcc, v3, v8, vcc
.LBB86_1186:
	s_or_b64 exec, exec, s[4:5]
	s_mov_b64 s[4:5], 0
	s_branch .LBB86_1190
.LBB86_1187:
	s_mov_b64 s[4:5], -1
                                        ; implicit-def: $vgpr2_vgpr3
	s_branch .LBB86_1196
.LBB86_1188:
	s_mov_b64 s[4:5], -1
                                        ; implicit-def: $vgpr2_vgpr3
	s_branch .LBB86_1193
.LBB86_1189:
	s_mov_b64 s[4:5], -1
                                        ; implicit-def: $vgpr2_vgpr3
.LBB86_1190:
	s_and_b64 vcc, exec, s[4:5]
	s_cbranch_vccz .LBB86_1192
; %bb.1191:
	global_load_ubyte v2, v[4:5], off
	s_mov_b32 s4, 0x7f800000
	s_brev_b32 s5, 1
	s_mov_b32 s22, 0x2f800000
	s_mov_b32 s23, 0xcf800000
	s_waitcnt vmcnt(0)
	v_lshlrev_b32_e32 v2, 24, v2
	v_and_b32_e32 v3, 0x7f000000, v2
	v_ffbh_u32_e32 v7, v3
	v_min_u32_e32 v7, 32, v7
	v_sub_u32_e64 v7, v7, 4 clamp
	v_lshlrev_b32_e32 v9, v7, v3
	v_lshlrev_b32_e32 v7, 23, v7
	v_lshrrev_b32_e32 v9, 4, v9
	v_add_u32_e32 v8, 0x1000000, v3
	v_sub_u32_e32 v7, v9, v7
	v_ashrrev_i32_e32 v8, 8, v8
	v_add_u32_e32 v7, 0x3c000000, v7
	v_and_or_b32 v7, v8, s4, v7
	v_cmp_ne_u32_e32 vcc, 0, v3
	v_cndmask_b32_e32 v3, 0, v7, vcc
	v_and_or_b32 v2, v2, s5, v3
	v_trunc_f32_e32 v2, v2
	v_mul_f32_e64 v3, |v2|, s22
	v_floor_f32_e32 v3, v3
	v_fma_f32 v7, v3, s23, |v2|
	v_cvt_u32_f32_e32 v7, v7
	v_cvt_u32_f32_e32 v3, v3
	v_ashrrev_i32_e32 v8, 31, v2
	v_xor_b32_e32 v2, v7, v8
	v_xor_b32_e32 v3, v3, v8
	v_sub_co_u32_e32 v2, vcc, v2, v8
	v_subb_co_u32_e32 v3, vcc, v3, v8, vcc
.LBB86_1192:
	s_mov_b64 s[4:5], 0
.LBB86_1193:
	s_andn2_b64 vcc, exec, s[4:5]
	s_cbranch_vccnz .LBB86_1195
; %bb.1194:
	global_load_ubyte v2, v[4:5], off
	s_movk_i32 s4, 0x7f00
	s_brev_b32 s5, 16
	s_brev_b32 s22, 1
	s_mov_b32 s23, 0x2f800000
	s_mov_b32 s24, 0xcf800000
	s_waitcnt vmcnt(0)
	v_lshlrev_b16_e32 v3, 8, v2
	v_lshlrev_b32_e32 v2, 25, v2
	v_lshrrev_b32_e32 v7, 4, v2
	v_and_or_b32 v8, v3, s4, 0.5
	v_or_b32_e32 v7, 0x70000000, v7
	v_add_f32_e32 v8, -0.5, v8
	v_mul_f32_e32 v7, 0x7800000, v7
	v_cmp_gt_u32_e32 vcc, s5, v2
	v_bfe_i32 v3, v3, 0, 16
	v_cndmask_b32_e32 v2, v7, v8, vcc
	v_and_or_b32 v2, v3, s22, v2
	v_trunc_f32_e32 v2, v2
	v_mul_f32_e64 v3, |v2|, s23
	v_floor_f32_e32 v3, v3
	v_fma_f32 v7, v3, s24, |v2|
	v_cvt_u32_f32_e32 v7, v7
	v_cvt_u32_f32_e32 v3, v3
	v_ashrrev_i32_e32 v8, 31, v2
	v_xor_b32_e32 v2, v7, v8
	v_xor_b32_e32 v3, v3, v8
	v_sub_co_u32_e32 v2, vcc, v2, v8
	v_subb_co_u32_e32 v3, vcc, v3, v8, vcc
.LBB86_1195:
	s_mov_b64 s[4:5], 0
	s_mov_b64 s[22:23], -1
.LBB86_1196:
	s_andn2_b64 vcc, exec, s[4:5]
	s_mov_b64 s[4:5], 0
	s_cbranch_vccnz .LBB86_1205
; %bb.1197:
	s_cmp_gt_i32 s26, 14
	s_cbranch_scc0 .LBB86_1200
; %bb.1198:
	s_cmp_eq_u32 s26, 15
	s_cbranch_scc0 .LBB86_1201
; %bb.1199:
	global_load_ushort v2, v[4:5], off
	s_mov_b32 s0, 0x2f800000
	s_mov_b32 s1, 0xcf800000
	s_mov_b64 s[22:23], -1
	s_waitcnt vmcnt(0)
	v_lshlrev_b32_e32 v2, 16, v2
	v_trunc_f32_e32 v2, v2
	v_mul_f32_e64 v3, |v2|, s0
	v_floor_f32_e32 v3, v3
	v_fma_f32 v7, v3, s1, |v2|
	v_cvt_u32_f32_e32 v7, v7
	v_cvt_u32_f32_e32 v3, v3
	v_ashrrev_i32_e32 v8, 31, v2
	s_mov_b64 s[0:1], 0
	v_xor_b32_e32 v2, v7, v8
	v_xor_b32_e32 v3, v3, v8
	v_sub_co_u32_e32 v2, vcc, v2, v8
	v_subb_co_u32_e32 v3, vcc, v3, v8, vcc
	s_branch .LBB86_1202
.LBB86_1200:
	s_mov_b64 s[24:25], -1
                                        ; implicit-def: $vgpr2_vgpr3
	s_branch .LBB86_1203
.LBB86_1201:
	s_mov_b64 s[0:1], -1
                                        ; implicit-def: $vgpr2_vgpr3
.LBB86_1202:
	s_mov_b64 s[24:25], 0
.LBB86_1203:
	s_and_b64 vcc, exec, s[24:25]
	s_cbranch_vccz .LBB86_1205
; %bb.1204:
	s_cmp_lg_u32 s26, 11
	s_mov_b64 s[4:5], -1
	s_cselect_b64 s[0:1], -1, 0
.LBB86_1205:
	s_and_b64 vcc, exec, s[0:1]
	s_cbranch_vccnz .LBB86_1268
; %bb.1206:
	s_andn2_b64 vcc, exec, s[4:5]
	s_cbranch_vccnz .LBB86_1208
.LBB86_1207:
	global_load_ubyte v2, v[4:5], off
	s_mov_b32 s0, 0
	s_waitcnt vmcnt(1)
	v_mov_b32_e32 v3, s0
	s_mov_b64 s[22:23], -1
	s_waitcnt vmcnt(0)
	v_cmp_ne_u16_e32 vcc, 0, v2
	v_cndmask_b32_e64 v2, 0, 1, vcc
.LBB86_1208:
	s_branch .LBB86_1139
.LBB86_1209:
	s_cmp_lt_i32 s26, 5
	s_cbranch_scc1 .LBB86_1214
; %bb.1210:
	s_cmp_lt_i32 s26, 8
	s_cbranch_scc1 .LBB86_1215
; %bb.1211:
	;; [unrolled: 3-line block ×3, first 2 shown]
	s_cmp_gt_i32 s26, 9
	s_cbranch_scc0 .LBB86_1217
; %bb.1213:
	global_load_dwordx2 v[2:3], v[4:5], off
	s_movk_i32 s0, 0xffe0
	s_waitcnt vmcnt(0)
	v_trunc_f64_e32 v[2:3], v[2:3]
	v_ldexp_f64 v[7:8], v[2:3], s0
	s_mov_b32 s0, 0
	s_mov_b32 s1, 0xc1f00000
	v_floor_f64_e32 v[7:8], v[7:8]
	v_fma_f64 v[11:12], v[7:8], s[0:1], v[2:3]
	v_cvt_i32_f64_e32 v3, v[7:8]
	s_mov_b64 s[0:1], 0
	v_cvt_u32_f64_e32 v2, v[11:12]
	s_branch .LBB86_1218
.LBB86_1214:
                                        ; implicit-def: $vgpr2_vgpr3
	s_branch .LBB86_1236
.LBB86_1215:
	s_mov_b64 s[0:1], -1
                                        ; implicit-def: $vgpr2_vgpr3
	s_branch .LBB86_1224
.LBB86_1216:
	s_mov_b64 s[0:1], -1
                                        ; implicit-def: $vgpr2_vgpr3
	s_branch .LBB86_1221
.LBB86_1217:
	s_mov_b64 s[0:1], -1
                                        ; implicit-def: $vgpr2_vgpr3
.LBB86_1218:
	s_andn2_b64 vcc, exec, s[0:1]
	s_cbranch_vccnz .LBB86_1220
; %bb.1219:
	global_load_dword v2, v[4:5], off
	s_mov_b32 s0, 0x2f800000
	s_mov_b32 s1, 0xcf800000
	s_waitcnt vmcnt(0)
	v_trunc_f32_e32 v2, v2
	v_mul_f32_e64 v3, |v2|, s0
	v_floor_f32_e32 v3, v3
	v_cvt_u32_f32_e32 v7, v3
	v_fma_f32 v3, v3, s1, |v2|
	v_cvt_u32_f32_e32 v3, v3
	v_ashrrev_i32_e32 v8, 31, v2
	v_xor_b32_e32 v7, v7, v8
	v_xor_b32_e32 v2, v3, v8
	v_sub_co_u32_e32 v2, vcc, v2, v8
	v_subb_co_u32_e32 v3, vcc, v7, v8, vcc
.LBB86_1220:
	s_mov_b64 s[0:1], 0
.LBB86_1221:
	s_andn2_b64 vcc, exec, s[0:1]
	s_cbranch_vccnz .LBB86_1223
; %bb.1222:
	global_load_dword v2, v[4:5], off
	s_waitcnt vmcnt(0)
	v_cvt_f32_f16_e32 v2, v2
	v_cvt_i32_f32_e32 v2, v2
	v_ashrrev_i32_e32 v3, 31, v2
.LBB86_1223:
	s_mov_b64 s[0:1], 0
.LBB86_1224:
	s_andn2_b64 vcc, exec, s[0:1]
	s_cbranch_vccnz .LBB86_1235
; %bb.1225:
	s_cmp_lt_i32 s26, 6
	s_cbranch_scc1 .LBB86_1228
; %bb.1226:
	s_cmp_gt_i32 s26, 6
	s_cbranch_scc0 .LBB86_1229
; %bb.1227:
	global_load_dwordx2 v[2:3], v[4:5], off
	s_movk_i32 s0, 0xffe0
	s_waitcnt vmcnt(0)
	v_trunc_f64_e32 v[2:3], v[2:3]
	v_ldexp_f64 v[7:8], v[2:3], s0
	s_mov_b32 s0, 0
	s_mov_b32 s1, 0xc1f00000
	v_floor_f64_e32 v[7:8], v[7:8]
	v_fma_f64 v[11:12], v[7:8], s[0:1], v[2:3]
	v_cvt_i32_f64_e32 v3, v[7:8]
	s_mov_b64 s[0:1], 0
	v_cvt_u32_f64_e32 v2, v[11:12]
	s_branch .LBB86_1230
.LBB86_1228:
	s_mov_b64 s[0:1], -1
                                        ; implicit-def: $vgpr2_vgpr3
	s_branch .LBB86_1233
.LBB86_1229:
	s_mov_b64 s[0:1], -1
                                        ; implicit-def: $vgpr2_vgpr3
.LBB86_1230:
	s_andn2_b64 vcc, exec, s[0:1]
	s_cbranch_vccnz .LBB86_1232
; %bb.1231:
	global_load_dword v2, v[4:5], off
	s_mov_b32 s0, 0x2f800000
	s_mov_b32 s1, 0xcf800000
	s_waitcnt vmcnt(0)
	v_trunc_f32_e32 v2, v2
	v_mul_f32_e64 v3, |v2|, s0
	v_floor_f32_e32 v3, v3
	v_cvt_u32_f32_e32 v7, v3
	v_fma_f32 v3, v3, s1, |v2|
	v_cvt_u32_f32_e32 v3, v3
	v_ashrrev_i32_e32 v8, 31, v2
	v_xor_b32_e32 v7, v7, v8
	v_xor_b32_e32 v2, v3, v8
	v_sub_co_u32_e32 v2, vcc, v2, v8
	v_subb_co_u32_e32 v3, vcc, v7, v8, vcc
.LBB86_1232:
	s_mov_b64 s[0:1], 0
.LBB86_1233:
	s_andn2_b64 vcc, exec, s[0:1]
	s_cbranch_vccnz .LBB86_1235
; %bb.1234:
	global_load_ushort v2, v[4:5], off
	s_waitcnt vmcnt(0)
	v_cvt_f32_f16_e32 v2, v2
	v_cvt_i32_f32_e32 v2, v2
	v_ashrrev_i32_e32 v3, 31, v2
.LBB86_1235:
	s_cbranch_execnz .LBB86_1255
.LBB86_1236:
	s_cmp_lt_i32 s26, 2
	s_cbranch_scc1 .LBB86_1240
; %bb.1237:
	s_cmp_lt_i32 s26, 3
	s_cbranch_scc1 .LBB86_1241
; %bb.1238:
	s_cmp_gt_i32 s26, 3
	s_cbranch_scc0 .LBB86_1242
; %bb.1239:
	global_load_dwordx2 v[2:3], v[4:5], off
	s_mov_b64 s[0:1], 0
	s_branch .LBB86_1243
.LBB86_1240:
	s_mov_b64 s[0:1], -1
                                        ; implicit-def: $vgpr2_vgpr3
	s_branch .LBB86_1249
.LBB86_1241:
	s_mov_b64 s[0:1], -1
                                        ; implicit-def: $vgpr2_vgpr3
	s_branch .LBB86_1246
.LBB86_1242:
	s_mov_b64 s[0:1], -1
                                        ; implicit-def: $vgpr2_vgpr3
.LBB86_1243:
	s_andn2_b64 vcc, exec, s[0:1]
	s_cbranch_vccnz .LBB86_1245
; %bb.1244:
	global_load_dword v2, v[4:5], off
	s_waitcnt vmcnt(0)
	v_ashrrev_i32_e32 v3, 31, v2
.LBB86_1245:
	s_mov_b64 s[0:1], 0
.LBB86_1246:
	s_andn2_b64 vcc, exec, s[0:1]
	s_cbranch_vccnz .LBB86_1248
; %bb.1247:
	global_load_ushort v2, v[4:5], off
	s_waitcnt vmcnt(0)
	v_bfe_i32 v2, v2, 0, 16
	v_ashrrev_i32_e32 v3, 31, v2
.LBB86_1248:
	s_mov_b64 s[0:1], 0
.LBB86_1249:
	s_andn2_b64 vcc, exec, s[0:1]
	s_cbranch_vccnz .LBB86_1255
; %bb.1250:
	s_cmp_gt_i32 s26, 0
	s_cbranch_scc0 .LBB86_1252
; %bb.1251:
	global_load_sbyte v2, v[4:5], off
	s_mov_b64 s[0:1], 0
	s_waitcnt vmcnt(0)
	v_bfe_i32 v2, v2, 0, 16
	v_ashrrev_i32_e32 v3, 31, v2
	s_branch .LBB86_1253
.LBB86_1252:
	s_mov_b64 s[0:1], -1
                                        ; implicit-def: $vgpr2_vgpr3
.LBB86_1253:
	s_andn2_b64 vcc, exec, s[0:1]
	s_cbranch_vccnz .LBB86_1255
; %bb.1254:
	global_load_ubyte v2, v[4:5], off
	s_mov_b32 s0, 0
	s_waitcnt vmcnt(1)
	v_mov_b32_e32 v3, s0
	s_waitcnt vmcnt(0)
	v_and_b32_e32 v2, 0xffff, v2
.LBB86_1255:
.LBB86_1256:
	v_add_u32_e32 v8, s17, v6
	v_ashrrev_i32_e32 v4, 31, v8
	v_mov_b32_e32 v5, s11
	v_add_co_u32_e32 v6, vcc, s10, v8
	s_cmp_lt_i32 s26, 11
	v_addc_co_u32_e32 v7, vcc, v5, v4, vcc
	s_cbranch_scc1 .LBB86_1263
; %bb.1257:
	s_cmp_gt_i32 s26, 25
	s_mov_b64 s[4:5], 0
	s_cbranch_scc0 .LBB86_1265
; %bb.1258:
	s_cmp_gt_i32 s26, 28
	s_cbranch_scc0 .LBB86_1266
; %bb.1259:
	s_cmp_gt_i32 s26, 43
	;; [unrolled: 3-line block ×3, first 2 shown]
	s_cbranch_scc0 .LBB86_1269
; %bb.1261:
	s_cmp_eq_u32 s26, 46
	s_mov_b64 s[24:25], 0
	s_cbranch_scc0 .LBB86_1270
; %bb.1262:
	global_load_dword v4, v[6:7], off
	s_mov_b32 s0, 0x2f800000
	s_mov_b32 s1, 0xcf800000
	s_mov_b64 s[22:23], -1
	s_waitcnt vmcnt(0)
	v_lshlrev_b32_e32 v4, 16, v4
	v_trunc_f32_e32 v4, v4
	v_mul_f32_e64 v5, |v4|, s0
	v_floor_f32_e32 v5, v5
	v_fma_f32 v9, v5, s1, |v4|
	v_cvt_u32_f32_e32 v9, v9
	v_cvt_u32_f32_e32 v5, v5
	v_ashrrev_i32_e32 v11, 31, v4
	s_mov_b64 s[0:1], 0
	v_xor_b32_e32 v4, v9, v11
	v_xor_b32_e32 v5, v5, v11
	v_sub_co_u32_e32 v4, vcc, v4, v11
	v_subb_co_u32_e32 v5, vcc, v5, v11, vcc
	s_branch .LBB86_1271
.LBB86_1263:
	s_mov_b64 s[22:23], 0
                                        ; implicit-def: $vgpr4_vgpr5
	s_cbranch_execnz .LBB86_1333
.LBB86_1264:
	s_andn2_b64 vcc, exec, s[22:23]
	s_cbranch_vccnz .LBB86_1940
	s_branch .LBB86_1381
.LBB86_1265:
	s_mov_b64 s[24:25], -1
	s_mov_b64 s[22:23], 0
	s_mov_b64 s[0:1], 0
                                        ; implicit-def: $vgpr4_vgpr5
	s_branch .LBB86_1300
.LBB86_1266:
	s_mov_b64 s[24:25], -1
	s_mov_b64 s[22:23], 0
	s_mov_b64 s[0:1], 0
                                        ; implicit-def: $vgpr4_vgpr5
	s_branch .LBB86_1281
.LBB86_1267:
	s_mov_b64 s[24:25], -1
	s_mov_b64 s[22:23], 0
	s_mov_b64 s[0:1], 0
                                        ; implicit-def: $vgpr4_vgpr5
	s_branch .LBB86_1276
.LBB86_1268:
	s_trap 2
	s_or_b64 s[20:21], s[20:21], exec
	s_cbranch_execz .LBB86_1207
	s_branch .LBB86_1208
.LBB86_1269:
	s_mov_b64 s[24:25], -1
	s_mov_b64 s[22:23], 0
	s_mov_b64 s[0:1], 0
                                        ; implicit-def: $vgpr4_vgpr5
	s_branch .LBB86_1271
.LBB86_1270:
	s_mov_b64 s[0:1], -1
                                        ; implicit-def: $vgpr4_vgpr5
	s_mov_b64 s[22:23], 0
.LBB86_1271:
	s_and_b64 vcc, exec, s[24:25]
	s_cbranch_vccz .LBB86_1275
; %bb.1272:
	s_cmp_eq_u32 s26, 44
	s_cbranch_scc0 .LBB86_1274
; %bb.1273:
	global_load_ubyte v4, v[6:7], off
	s_mov_b32 s0, 0x2f800000
	s_mov_b32 s1, 0xcf800000
	s_mov_b64 s[22:23], -1
	s_waitcnt vmcnt(0)
	v_lshlrev_b32_e32 v5, 23, v4
	v_trunc_f32_e32 v5, v5
	v_mul_f32_e64 v9, |v5|, s0
	v_floor_f32_e32 v9, v9
	v_fma_f32 v11, v9, s1, |v5|
	v_cvt_u32_f32_e32 v11, v11
	v_cvt_u32_f32_e32 v9, v9
	v_ashrrev_i32_e32 v5, 31, v5
	s_mov_b64 s[0:1], 0
	v_xor_b32_e32 v11, v11, v5
	v_xor_b32_e32 v9, v9, v5
	v_sub_co_u32_e32 v11, vcc, v11, v5
	v_subb_co_u32_e32 v5, vcc, v9, v5, vcc
	v_cmp_ne_u32_e32 vcc, 0, v4
	v_cndmask_b32_e32 v5, 0, v5, vcc
	v_cndmask_b32_e32 v4, 0, v11, vcc
	s_branch .LBB86_1275
.LBB86_1274:
	s_mov_b64 s[0:1], -1
                                        ; implicit-def: $vgpr4_vgpr5
.LBB86_1275:
	s_mov_b64 s[24:25], 0
.LBB86_1276:
	s_and_b64 vcc, exec, s[24:25]
	s_cbranch_vccz .LBB86_1280
; %bb.1277:
	s_cmp_eq_u32 s26, 29
	s_cbranch_scc0 .LBB86_1279
; %bb.1278:
	global_load_dwordx2 v[4:5], v[6:7], off
	s_mov_b64 s[0:1], 0
	s_mov_b64 s[22:23], -1
	s_branch .LBB86_1280
.LBB86_1279:
	s_mov_b64 s[0:1], -1
                                        ; implicit-def: $vgpr4_vgpr5
.LBB86_1280:
	s_mov_b64 s[24:25], 0
.LBB86_1281:
	s_and_b64 vcc, exec, s[24:25]
	s_cbranch_vccz .LBB86_1299
; %bb.1282:
	s_cmp_lt_i32 s26, 27
	s_cbranch_scc1 .LBB86_1285
; %bb.1283:
	s_cmp_gt_i32 s26, 27
	s_cbranch_scc0 .LBB86_1286
; %bb.1284:
	global_load_dword v4, v[6:7], off
	s_waitcnt vmcnt(1)
	v_mov_b32_e32 v5, 0
	s_mov_b64 s[22:23], 0
	s_branch .LBB86_1287
.LBB86_1285:
	s_mov_b64 s[22:23], -1
                                        ; implicit-def: $vgpr4_vgpr5
	s_branch .LBB86_1290
.LBB86_1286:
	s_mov_b64 s[22:23], -1
                                        ; implicit-def: $vgpr4_vgpr5
.LBB86_1287:
	s_andn2_b64 vcc, exec, s[22:23]
	s_cbranch_vccnz .LBB86_1289
; %bb.1288:
	global_load_ushort v4, v[6:7], off
	s_mov_b32 s22, 0
	s_waitcnt vmcnt(1)
	v_mov_b32_e32 v5, s22
	s_waitcnt vmcnt(0)
	v_and_b32_e32 v4, 0xffff, v4
.LBB86_1289:
	s_mov_b64 s[22:23], 0
.LBB86_1290:
	s_andn2_b64 vcc, exec, s[22:23]
	s_cbranch_vccnz .LBB86_1298
; %bb.1291:
	global_load_ubyte v9, v[6:7], off
	s_movk_i32 s22, 0x7f
	s_mov_b64 s[24:25], 0
	s_waitcnt vmcnt(0)
	v_cmp_lt_i16_e32 vcc, s22, v9
	s_and_saveexec_b64 s[22:23], vcc
	s_xor_b64 s[22:23], exec, s[22:23]
; %bb.1292:
	s_movk_i32 s24, 0x80
	v_cmp_ne_u16_e32 vcc, s24, v9
	s_and_b64 s[24:25], vcc, exec
; %bb.1293:
	s_andn2_saveexec_b64 s[22:23], s[22:23]
; %bb.1294:
	v_cmp_ne_u16_e32 vcc, 0, v9
	s_andn2_b64 s[24:25], s[24:25], exec
	s_and_b64 s[28:29], vcc, exec
	s_or_b64 s[24:25], s[24:25], s[28:29]
; %bb.1295:
	s_or_b64 exec, exec, s[22:23]
	v_mov_b32_e32 v4, 0
	v_mov_b32_e32 v5, 0
	s_and_saveexec_b64 s[22:23], s[24:25]
	s_cbranch_execz .LBB86_1297
; %bb.1296:
	v_and_b32_e32 v5, 0xffff, v9
	v_lshlrev_b32_e32 v4, 24, v9
	v_and_b32_e32 v9, 7, v5
	v_ffbh_u32_e32 v12, v9
	v_min_u32_e32 v12, 32, v12
	v_subrev_u32_e32 v13, 28, v12
	v_bfe_u32 v11, v5, 3, 4
	v_lshlrev_b32_e32 v5, v13, v5
	v_sub_u32_e32 v12, 29, v12
	v_and_b32_e32 v5, 7, v5
	v_cmp_eq_u32_e32 vcc, 0, v11
	v_cndmask_b32_e32 v11, v11, v12, vcc
	v_cndmask_b32_e32 v5, v9, v5, vcc
	v_mov_b32_e32 v9, 0x3b800000
	v_lshlrev_b32_e32 v5, 20, v5
	v_and_b32_e32 v4, 0x80000000, v4
	v_lshl_add_u32 v9, v11, 23, v9
	v_or3_b32 v4, v4, v9, v5
	v_trunc_f32_e32 v4, v4
	s_mov_b32 s24, 0x2f800000
	v_mul_f32_e64 v5, |v4|, s24
	v_floor_f32_e32 v5, v5
	s_mov_b32 s24, 0xcf800000
	v_fma_f32 v9, v5, s24, |v4|
	v_cvt_u32_f32_e32 v9, v9
	v_cvt_u32_f32_e32 v5, v5
	v_ashrrev_i32_e32 v11, 31, v4
	v_xor_b32_e32 v4, v9, v11
	v_xor_b32_e32 v5, v5, v11
	v_sub_co_u32_e32 v4, vcc, v4, v11
	v_subb_co_u32_e32 v5, vcc, v5, v11, vcc
.LBB86_1297:
	s_or_b64 exec, exec, s[22:23]
.LBB86_1298:
	s_mov_b64 s[22:23], -1
.LBB86_1299:
	s_mov_b64 s[24:25], 0
.LBB86_1300:
	s_and_b64 vcc, exec, s[24:25]
	s_cbranch_vccz .LBB86_1329
; %bb.1301:
	s_cmp_gt_i32 s26, 22
	s_cbranch_scc0 .LBB86_1311
; %bb.1302:
	s_cmp_lt_i32 s26, 24
	s_cbranch_scc1 .LBB86_1312
; %bb.1303:
	s_cmp_gt_i32 s26, 24
	s_cbranch_scc0 .LBB86_1313
; %bb.1304:
	global_load_ubyte v9, v[6:7], off
	s_movk_i32 s4, 0x7f
	s_mov_b64 s[22:23], 0
	s_waitcnt vmcnt(0)
	v_cmp_lt_i16_e32 vcc, s4, v9
	s_and_saveexec_b64 s[4:5], vcc
	s_xor_b64 s[4:5], exec, s[4:5]
; %bb.1305:
	s_movk_i32 s22, 0x80
	v_cmp_ne_u16_e32 vcc, s22, v9
	s_and_b64 s[22:23], vcc, exec
; %bb.1306:
	s_andn2_saveexec_b64 s[4:5], s[4:5]
; %bb.1307:
	v_cmp_ne_u16_e32 vcc, 0, v9
	s_andn2_b64 s[22:23], s[22:23], exec
	s_and_b64 s[24:25], vcc, exec
	s_or_b64 s[22:23], s[22:23], s[24:25]
; %bb.1308:
	s_or_b64 exec, exec, s[4:5]
	v_mov_b32_e32 v4, 0
	v_mov_b32_e32 v5, 0
	s_and_saveexec_b64 s[4:5], s[22:23]
	s_cbranch_execz .LBB86_1310
; %bb.1309:
	v_and_b32_e32 v5, 0xffff, v9
	v_lshlrev_b32_e32 v4, 24, v9
	v_and_b32_e32 v9, 3, v5
	v_ffbh_u32_e32 v12, v9
	v_min_u32_e32 v12, 32, v12
	v_subrev_u32_e32 v13, 29, v12
	v_bfe_u32 v11, v5, 2, 5
	v_lshlrev_b32_e32 v5, v13, v5
	v_sub_u32_e32 v12, 30, v12
	v_and_b32_e32 v5, 3, v5
	v_cmp_eq_u32_e32 vcc, 0, v11
	v_cndmask_b32_e32 v11, v11, v12, vcc
	v_cndmask_b32_e32 v5, v9, v5, vcc
	v_mov_b32_e32 v9, 0x37800000
	v_lshlrev_b32_e32 v5, 21, v5
	v_and_b32_e32 v4, 0x80000000, v4
	v_lshl_add_u32 v9, v11, 23, v9
	v_or3_b32 v4, v4, v9, v5
	v_trunc_f32_e32 v4, v4
	s_mov_b32 s22, 0x2f800000
	v_mul_f32_e64 v5, |v4|, s22
	v_floor_f32_e32 v5, v5
	s_mov_b32 s22, 0xcf800000
	v_fma_f32 v9, v5, s22, |v4|
	v_cvt_u32_f32_e32 v9, v9
	v_cvt_u32_f32_e32 v5, v5
	v_ashrrev_i32_e32 v11, 31, v4
	v_xor_b32_e32 v4, v9, v11
	v_xor_b32_e32 v5, v5, v11
	v_sub_co_u32_e32 v4, vcc, v4, v11
	v_subb_co_u32_e32 v5, vcc, v5, v11, vcc
.LBB86_1310:
	s_or_b64 exec, exec, s[4:5]
	s_mov_b64 s[4:5], 0
	s_branch .LBB86_1314
.LBB86_1311:
	s_mov_b64 s[4:5], -1
                                        ; implicit-def: $vgpr4_vgpr5
	s_branch .LBB86_1320
.LBB86_1312:
	s_mov_b64 s[4:5], -1
                                        ; implicit-def: $vgpr4_vgpr5
	s_branch .LBB86_1317
.LBB86_1313:
	s_mov_b64 s[4:5], -1
                                        ; implicit-def: $vgpr4_vgpr5
.LBB86_1314:
	s_and_b64 vcc, exec, s[4:5]
	s_cbranch_vccz .LBB86_1316
; %bb.1315:
	global_load_ubyte v4, v[6:7], off
	s_mov_b32 s4, 0x7f800000
	s_brev_b32 s5, 1
	s_mov_b32 s22, 0x2f800000
	s_mov_b32 s23, 0xcf800000
	s_waitcnt vmcnt(0)
	v_lshlrev_b32_e32 v4, 24, v4
	v_and_b32_e32 v5, 0x7f000000, v4
	v_ffbh_u32_e32 v9, v5
	v_min_u32_e32 v9, 32, v9
	v_sub_u32_e64 v9, v9, 4 clamp
	v_lshlrev_b32_e32 v12, v9, v5
	v_lshlrev_b32_e32 v9, 23, v9
	v_lshrrev_b32_e32 v12, 4, v12
	v_add_u32_e32 v11, 0x1000000, v5
	v_sub_u32_e32 v9, v12, v9
	v_ashrrev_i32_e32 v11, 8, v11
	v_add_u32_e32 v9, 0x3c000000, v9
	v_and_or_b32 v9, v11, s4, v9
	v_cmp_ne_u32_e32 vcc, 0, v5
	v_cndmask_b32_e32 v5, 0, v9, vcc
	v_and_or_b32 v4, v4, s5, v5
	v_trunc_f32_e32 v4, v4
	v_mul_f32_e64 v5, |v4|, s22
	v_floor_f32_e32 v5, v5
	v_fma_f32 v9, v5, s23, |v4|
	v_cvt_u32_f32_e32 v9, v9
	v_cvt_u32_f32_e32 v5, v5
	v_ashrrev_i32_e32 v11, 31, v4
	v_xor_b32_e32 v4, v9, v11
	v_xor_b32_e32 v5, v5, v11
	v_sub_co_u32_e32 v4, vcc, v4, v11
	v_subb_co_u32_e32 v5, vcc, v5, v11, vcc
.LBB86_1316:
	s_mov_b64 s[4:5], 0
.LBB86_1317:
	s_andn2_b64 vcc, exec, s[4:5]
	s_cbranch_vccnz .LBB86_1319
; %bb.1318:
	global_load_ubyte v4, v[6:7], off
	s_movk_i32 s4, 0x7f00
	s_brev_b32 s5, 16
	s_brev_b32 s22, 1
	s_mov_b32 s23, 0x2f800000
	s_mov_b32 s24, 0xcf800000
	s_waitcnt vmcnt(0)
	v_lshlrev_b16_e32 v5, 8, v4
	v_lshlrev_b32_e32 v4, 25, v4
	v_lshrrev_b32_e32 v9, 4, v4
	v_and_or_b32 v11, v5, s4, 0.5
	v_or_b32_e32 v9, 0x70000000, v9
	v_add_f32_e32 v11, -0.5, v11
	v_mul_f32_e32 v9, 0x7800000, v9
	v_cmp_gt_u32_e32 vcc, s5, v4
	v_bfe_i32 v5, v5, 0, 16
	v_cndmask_b32_e32 v4, v9, v11, vcc
	v_and_or_b32 v4, v5, s22, v4
	v_trunc_f32_e32 v4, v4
	v_mul_f32_e64 v5, |v4|, s23
	v_floor_f32_e32 v5, v5
	v_fma_f32 v9, v5, s24, |v4|
	v_cvt_u32_f32_e32 v9, v9
	v_cvt_u32_f32_e32 v5, v5
	v_ashrrev_i32_e32 v11, 31, v4
	v_xor_b32_e32 v4, v9, v11
	v_xor_b32_e32 v5, v5, v11
	v_sub_co_u32_e32 v4, vcc, v4, v11
	v_subb_co_u32_e32 v5, vcc, v5, v11, vcc
.LBB86_1319:
	s_mov_b64 s[4:5], 0
	s_mov_b64 s[22:23], -1
.LBB86_1320:
	s_andn2_b64 vcc, exec, s[4:5]
	s_mov_b64 s[4:5], 0
	s_cbranch_vccnz .LBB86_1329
; %bb.1321:
	s_cmp_gt_i32 s26, 14
	s_cbranch_scc0 .LBB86_1324
; %bb.1322:
	s_cmp_eq_u32 s26, 15
	s_cbranch_scc0 .LBB86_1325
; %bb.1323:
	global_load_ushort v4, v[6:7], off
	s_mov_b32 s0, 0x2f800000
	s_mov_b32 s1, 0xcf800000
	s_mov_b64 s[22:23], -1
	s_waitcnt vmcnt(0)
	v_lshlrev_b32_e32 v4, 16, v4
	v_trunc_f32_e32 v4, v4
	v_mul_f32_e64 v5, |v4|, s0
	v_floor_f32_e32 v5, v5
	v_fma_f32 v9, v5, s1, |v4|
	v_cvt_u32_f32_e32 v9, v9
	v_cvt_u32_f32_e32 v5, v5
	v_ashrrev_i32_e32 v11, 31, v4
	s_mov_b64 s[0:1], 0
	v_xor_b32_e32 v4, v9, v11
	v_xor_b32_e32 v5, v5, v11
	v_sub_co_u32_e32 v4, vcc, v4, v11
	v_subb_co_u32_e32 v5, vcc, v5, v11, vcc
	s_branch .LBB86_1326
.LBB86_1324:
	s_mov_b64 s[24:25], -1
                                        ; implicit-def: $vgpr4_vgpr5
	s_branch .LBB86_1327
.LBB86_1325:
	s_mov_b64 s[0:1], -1
                                        ; implicit-def: $vgpr4_vgpr5
.LBB86_1326:
	s_mov_b64 s[24:25], 0
.LBB86_1327:
	s_and_b64 vcc, exec, s[24:25]
	s_cbranch_vccz .LBB86_1329
; %bb.1328:
	s_cmp_lg_u32 s26, 11
	s_mov_b64 s[4:5], -1
	s_cselect_b64 s[0:1], -1, 0
.LBB86_1329:
	s_and_b64 vcc, exec, s[0:1]
	s_cbranch_vccnz .LBB86_1392
; %bb.1330:
	s_andn2_b64 vcc, exec, s[4:5]
	s_cbranch_vccnz .LBB86_1332
.LBB86_1331:
	global_load_ubyte v4, v[6:7], off
	s_mov_b32 s0, 0
	s_waitcnt vmcnt(1)
	v_mov_b32_e32 v5, s0
	s_mov_b64 s[22:23], -1
	s_waitcnt vmcnt(0)
	v_cmp_ne_u16_e32 vcc, 0, v4
	v_cndmask_b32_e64 v4, 0, 1, vcc
.LBB86_1332:
	s_branch .LBB86_1264
.LBB86_1333:
	s_cmp_lt_i32 s26, 5
	s_cbranch_scc1 .LBB86_1338
; %bb.1334:
	s_cmp_lt_i32 s26, 8
	s_cbranch_scc1 .LBB86_1339
; %bb.1335:
	;; [unrolled: 3-line block ×3, first 2 shown]
	s_cmp_gt_i32 s26, 9
	s_cbranch_scc0 .LBB86_1341
; %bb.1337:
	global_load_dwordx2 v[4:5], v[6:7], off
	s_movk_i32 s0, 0xffe0
	s_waitcnt vmcnt(0)
	v_trunc_f64_e32 v[4:5], v[4:5]
	v_ldexp_f64 v[11:12], v[4:5], s0
	s_mov_b32 s0, 0
	s_mov_b32 s1, 0xc1f00000
	v_floor_f64_e32 v[11:12], v[11:12]
	v_fma_f64 v[13:14], v[11:12], s[0:1], v[4:5]
	v_cvt_i32_f64_e32 v5, v[11:12]
	s_mov_b64 s[0:1], 0
	v_cvt_u32_f64_e32 v4, v[13:14]
	s_branch .LBB86_1342
.LBB86_1338:
	s_mov_b64 s[0:1], -1
                                        ; implicit-def: $vgpr4_vgpr5
	s_branch .LBB86_1360
.LBB86_1339:
	s_mov_b64 s[0:1], -1
                                        ; implicit-def: $vgpr4_vgpr5
	s_branch .LBB86_1348
.LBB86_1340:
	s_mov_b64 s[0:1], -1
                                        ; implicit-def: $vgpr4_vgpr5
	s_branch .LBB86_1345
.LBB86_1341:
	s_mov_b64 s[0:1], -1
                                        ; implicit-def: $vgpr4_vgpr5
.LBB86_1342:
	s_andn2_b64 vcc, exec, s[0:1]
	s_cbranch_vccnz .LBB86_1344
; %bb.1343:
	global_load_dword v4, v[6:7], off
	s_mov_b32 s0, 0x2f800000
	s_mov_b32 s1, 0xcf800000
	s_waitcnt vmcnt(0)
	v_trunc_f32_e32 v4, v4
	v_mul_f32_e64 v5, |v4|, s0
	v_floor_f32_e32 v5, v5
	v_cvt_u32_f32_e32 v9, v5
	v_fma_f32 v5, v5, s1, |v4|
	v_cvt_u32_f32_e32 v5, v5
	v_ashrrev_i32_e32 v11, 31, v4
	v_xor_b32_e32 v9, v9, v11
	v_xor_b32_e32 v4, v5, v11
	v_sub_co_u32_e32 v4, vcc, v4, v11
	v_subb_co_u32_e32 v5, vcc, v9, v11, vcc
.LBB86_1344:
	s_mov_b64 s[0:1], 0
.LBB86_1345:
	s_andn2_b64 vcc, exec, s[0:1]
	s_cbranch_vccnz .LBB86_1347
; %bb.1346:
	global_load_dword v4, v[6:7], off
	s_waitcnt vmcnt(0)
	v_cvt_f32_f16_e32 v4, v4
	v_cvt_i32_f32_e32 v4, v4
	v_ashrrev_i32_e32 v5, 31, v4
.LBB86_1347:
	s_mov_b64 s[0:1], 0
.LBB86_1348:
	s_andn2_b64 vcc, exec, s[0:1]
	s_cbranch_vccnz .LBB86_1359
; %bb.1349:
	s_cmp_lt_i32 s26, 6
	s_cbranch_scc1 .LBB86_1352
; %bb.1350:
	s_cmp_gt_i32 s26, 6
	s_cbranch_scc0 .LBB86_1353
; %bb.1351:
	global_load_dwordx2 v[4:5], v[6:7], off
	s_movk_i32 s0, 0xffe0
	s_waitcnt vmcnt(0)
	v_trunc_f64_e32 v[4:5], v[4:5]
	v_ldexp_f64 v[11:12], v[4:5], s0
	s_mov_b32 s0, 0
	s_mov_b32 s1, 0xc1f00000
	v_floor_f64_e32 v[11:12], v[11:12]
	v_fma_f64 v[13:14], v[11:12], s[0:1], v[4:5]
	v_cvt_i32_f64_e32 v5, v[11:12]
	s_mov_b64 s[0:1], 0
	v_cvt_u32_f64_e32 v4, v[13:14]
	s_branch .LBB86_1354
.LBB86_1352:
	s_mov_b64 s[0:1], -1
                                        ; implicit-def: $vgpr4_vgpr5
	s_branch .LBB86_1357
.LBB86_1353:
	s_mov_b64 s[0:1], -1
                                        ; implicit-def: $vgpr4_vgpr5
.LBB86_1354:
	s_andn2_b64 vcc, exec, s[0:1]
	s_cbranch_vccnz .LBB86_1356
; %bb.1355:
	global_load_dword v4, v[6:7], off
	s_mov_b32 s0, 0x2f800000
	s_mov_b32 s1, 0xcf800000
	s_waitcnt vmcnt(0)
	v_trunc_f32_e32 v4, v4
	v_mul_f32_e64 v5, |v4|, s0
	v_floor_f32_e32 v5, v5
	v_cvt_u32_f32_e32 v9, v5
	v_fma_f32 v5, v5, s1, |v4|
	v_cvt_u32_f32_e32 v5, v5
	v_ashrrev_i32_e32 v11, 31, v4
	v_xor_b32_e32 v9, v9, v11
	v_xor_b32_e32 v4, v5, v11
	v_sub_co_u32_e32 v4, vcc, v4, v11
	v_subb_co_u32_e32 v5, vcc, v9, v11, vcc
.LBB86_1356:
	s_mov_b64 s[0:1], 0
.LBB86_1357:
	s_andn2_b64 vcc, exec, s[0:1]
	s_cbranch_vccnz .LBB86_1359
; %bb.1358:
	global_load_ushort v4, v[6:7], off
	s_waitcnt vmcnt(0)
	v_cvt_f32_f16_e32 v4, v4
	v_cvt_i32_f32_e32 v4, v4
	v_ashrrev_i32_e32 v5, 31, v4
.LBB86_1359:
	s_mov_b64 s[0:1], 0
.LBB86_1360:
	s_andn2_b64 vcc, exec, s[0:1]
	s_cbranch_vccnz .LBB86_1380
; %bb.1361:
	s_cmp_lt_i32 s26, 2
	s_cbranch_scc1 .LBB86_1365
; %bb.1362:
	s_cmp_lt_i32 s26, 3
	s_cbranch_scc1 .LBB86_1366
; %bb.1363:
	s_cmp_gt_i32 s26, 3
	s_cbranch_scc0 .LBB86_1367
; %bb.1364:
	global_load_dwordx2 v[4:5], v[6:7], off
	s_mov_b64 s[0:1], 0
	s_branch .LBB86_1368
.LBB86_1365:
	s_mov_b64 s[0:1], -1
                                        ; implicit-def: $vgpr4_vgpr5
	s_branch .LBB86_1374
.LBB86_1366:
	s_mov_b64 s[0:1], -1
                                        ; implicit-def: $vgpr4_vgpr5
	s_branch .LBB86_1371
.LBB86_1367:
	s_mov_b64 s[0:1], -1
                                        ; implicit-def: $vgpr4_vgpr5
.LBB86_1368:
	s_andn2_b64 vcc, exec, s[0:1]
	s_cbranch_vccnz .LBB86_1370
; %bb.1369:
	global_load_dword v4, v[6:7], off
	s_waitcnt vmcnt(0)
	v_ashrrev_i32_e32 v5, 31, v4
.LBB86_1370:
	s_mov_b64 s[0:1], 0
.LBB86_1371:
	s_andn2_b64 vcc, exec, s[0:1]
	s_cbranch_vccnz .LBB86_1373
; %bb.1372:
	global_load_ushort v4, v[6:7], off
	s_waitcnt vmcnt(0)
	v_bfe_i32 v4, v4, 0, 16
	v_ashrrev_i32_e32 v5, 31, v4
.LBB86_1373:
	s_mov_b64 s[0:1], 0
.LBB86_1374:
	s_andn2_b64 vcc, exec, s[0:1]
	s_cbranch_vccnz .LBB86_1380
; %bb.1375:
	s_cmp_gt_i32 s26, 0
	s_cbranch_scc0 .LBB86_1377
; %bb.1376:
	global_load_sbyte v4, v[6:7], off
	s_mov_b64 s[0:1], 0
	s_waitcnt vmcnt(0)
	v_bfe_i32 v4, v4, 0, 16
	v_ashrrev_i32_e32 v5, 31, v4
	s_branch .LBB86_1378
.LBB86_1377:
	s_mov_b64 s[0:1], -1
                                        ; implicit-def: $vgpr4_vgpr5
.LBB86_1378:
	s_andn2_b64 vcc, exec, s[0:1]
	s_cbranch_vccnz .LBB86_1380
; %bb.1379:
	global_load_ubyte v4, v[6:7], off
	s_mov_b32 s0, 0
	s_waitcnt vmcnt(1)
	v_mov_b32_e32 v5, s0
	s_waitcnt vmcnt(0)
	v_and_b32_e32 v4, 0xffff, v4
.LBB86_1380:
.LBB86_1381:
	v_add_u32_e32 v6, s17, v8
	v_ashrrev_i32_e32 v7, 31, v6
	v_mov_b32_e32 v9, s11
	v_add_co_u32_e32 v8, vcc, s10, v6
	s_cmp_lt_i32 s26, 11
	v_addc_co_u32_e32 v9, vcc, v9, v7, vcc
	s_cbranch_scc1 .LBB86_1388
; %bb.1382:
	s_cmp_gt_i32 s26, 25
	s_mov_b64 s[4:5], 0
	s_cbranch_scc0 .LBB86_1389
; %bb.1383:
	s_cmp_gt_i32 s26, 28
	s_cbranch_scc0 .LBB86_1390
; %bb.1384:
	s_cmp_gt_i32 s26, 43
	;; [unrolled: 3-line block ×3, first 2 shown]
	s_cbranch_scc0 .LBB86_1393
; %bb.1386:
	s_cmp_eq_u32 s26, 46
	s_mov_b64 s[22:23], 0
	s_cbranch_scc0 .LBB86_1394
; %bb.1387:
	global_load_dword v6, v[8:9], off
	s_mov_b32 s0, 0x2f800000
	s_mov_b32 s1, 0xcf800000
	s_mov_b64 s[10:11], -1
	s_waitcnt vmcnt(0)
	v_lshlrev_b32_e32 v6, 16, v6
	v_trunc_f32_e32 v6, v6
	v_mul_f32_e64 v7, |v6|, s0
	v_floor_f32_e32 v7, v7
	v_fma_f32 v11, v7, s1, |v6|
	v_cvt_u32_f32_e32 v11, v11
	v_cvt_u32_f32_e32 v7, v7
	v_ashrrev_i32_e32 v12, 31, v6
	s_mov_b64 s[0:1], 0
	v_xor_b32_e32 v6, v11, v12
	v_xor_b32_e32 v7, v7, v12
	v_sub_co_u32_e32 v6, vcc, v6, v12
	v_subb_co_u32_e32 v7, vcc, v7, v12, vcc
	s_branch .LBB86_1395
.LBB86_1388:
	s_mov_b64 s[0:1], -1
	s_mov_b64 s[10:11], 0
                                        ; implicit-def: $vgpr6_vgpr7
	s_branch .LBB86_1457
.LBB86_1389:
	s_mov_b64 s[22:23], -1
	s_mov_b64 s[10:11], 0
	s_mov_b64 s[0:1], 0
                                        ; implicit-def: $vgpr6_vgpr7
	s_branch .LBB86_1424
.LBB86_1390:
	s_mov_b64 s[22:23], -1
	s_mov_b64 s[10:11], 0
	s_mov_b64 s[0:1], 0
                                        ; implicit-def: $vgpr6_vgpr7
	s_branch .LBB86_1405
.LBB86_1391:
	s_mov_b64 s[22:23], -1
	s_mov_b64 s[10:11], 0
	s_mov_b64 s[0:1], 0
                                        ; implicit-def: $vgpr6_vgpr7
	s_branch .LBB86_1400
.LBB86_1392:
	s_trap 2
	s_or_b64 s[20:21], s[20:21], exec
	s_cbranch_execz .LBB86_1331
	s_branch .LBB86_1332
.LBB86_1393:
	s_mov_b64 s[22:23], -1
	s_mov_b64 s[10:11], 0
	s_mov_b64 s[0:1], 0
                                        ; implicit-def: $vgpr6_vgpr7
	s_branch .LBB86_1395
.LBB86_1394:
	s_mov_b64 s[0:1], -1
                                        ; implicit-def: $vgpr6_vgpr7
	s_mov_b64 s[10:11], 0
.LBB86_1395:
	s_and_b64 vcc, exec, s[22:23]
	s_cbranch_vccz .LBB86_1399
; %bb.1396:
	s_cmp_eq_u32 s26, 44
	s_cbranch_scc0 .LBB86_1398
; %bb.1397:
	global_load_ubyte v6, v[8:9], off
	s_mov_b32 s0, 0x2f800000
	s_mov_b32 s1, 0xcf800000
	s_mov_b64 s[10:11], -1
	s_waitcnt vmcnt(0)
	v_lshlrev_b32_e32 v7, 23, v6
	v_trunc_f32_e32 v7, v7
	v_mul_f32_e64 v11, |v7|, s0
	v_floor_f32_e32 v11, v11
	v_fma_f32 v12, v11, s1, |v7|
	v_cvt_u32_f32_e32 v12, v12
	v_cvt_u32_f32_e32 v11, v11
	v_ashrrev_i32_e32 v7, 31, v7
	s_mov_b64 s[0:1], 0
	v_xor_b32_e32 v12, v12, v7
	v_xor_b32_e32 v11, v11, v7
	v_sub_co_u32_e32 v12, vcc, v12, v7
	v_subb_co_u32_e32 v7, vcc, v11, v7, vcc
	v_cmp_ne_u32_e32 vcc, 0, v6
	v_cndmask_b32_e32 v7, 0, v7, vcc
	v_cndmask_b32_e32 v6, 0, v12, vcc
	s_branch .LBB86_1399
.LBB86_1398:
	s_mov_b64 s[0:1], -1
                                        ; implicit-def: $vgpr6_vgpr7
.LBB86_1399:
	s_mov_b64 s[22:23], 0
.LBB86_1400:
	s_and_b64 vcc, exec, s[22:23]
	s_cbranch_vccz .LBB86_1404
; %bb.1401:
	s_cmp_eq_u32 s26, 29
	s_cbranch_scc0 .LBB86_1403
; %bb.1402:
	global_load_dwordx2 v[6:7], v[8:9], off
	s_mov_b64 s[0:1], 0
	s_mov_b64 s[10:11], -1
	s_branch .LBB86_1404
.LBB86_1403:
	s_mov_b64 s[0:1], -1
                                        ; implicit-def: $vgpr6_vgpr7
.LBB86_1404:
	s_mov_b64 s[22:23], 0
.LBB86_1405:
	s_and_b64 vcc, exec, s[22:23]
	s_cbranch_vccz .LBB86_1423
; %bb.1406:
	s_cmp_lt_i32 s26, 27
	s_cbranch_scc1 .LBB86_1409
; %bb.1407:
	s_cmp_gt_i32 s26, 27
	s_cbranch_scc0 .LBB86_1410
; %bb.1408:
	global_load_dword v6, v[8:9], off
	s_waitcnt vmcnt(1)
	v_mov_b32_e32 v7, 0
	s_mov_b64 s[10:11], 0
	s_branch .LBB86_1411
.LBB86_1409:
	s_mov_b64 s[10:11], -1
                                        ; implicit-def: $vgpr6_vgpr7
	s_branch .LBB86_1414
.LBB86_1410:
	s_mov_b64 s[10:11], -1
                                        ; implicit-def: $vgpr6_vgpr7
.LBB86_1411:
	s_andn2_b64 vcc, exec, s[10:11]
	s_cbranch_vccnz .LBB86_1413
; %bb.1412:
	global_load_ushort v6, v[8:9], off
	s_mov_b32 s10, 0
	s_waitcnt vmcnt(1)
	v_mov_b32_e32 v7, s10
	s_waitcnt vmcnt(0)
	v_and_b32_e32 v6, 0xffff, v6
.LBB86_1413:
	s_mov_b64 s[10:11], 0
.LBB86_1414:
	s_andn2_b64 vcc, exec, s[10:11]
	s_cbranch_vccnz .LBB86_1422
; %bb.1415:
	global_load_ubyte v11, v[8:9], off
	s_movk_i32 s10, 0x7f
	s_mov_b64 s[22:23], 0
	s_waitcnt vmcnt(0)
	v_cmp_lt_i16_e32 vcc, s10, v11
	s_and_saveexec_b64 s[10:11], vcc
	s_xor_b64 s[10:11], exec, s[10:11]
; %bb.1416:
	s_movk_i32 s17, 0x80
	v_cmp_ne_u16_e32 vcc, s17, v11
	s_and_b64 s[22:23], vcc, exec
; %bb.1417:
	s_andn2_saveexec_b64 s[10:11], s[10:11]
; %bb.1418:
	v_cmp_ne_u16_e32 vcc, 0, v11
	s_andn2_b64 s[22:23], s[22:23], exec
	s_and_b64 s[24:25], vcc, exec
	s_or_b64 s[22:23], s[22:23], s[24:25]
; %bb.1419:
	s_or_b64 exec, exec, s[10:11]
	v_mov_b32_e32 v6, 0
	v_mov_b32_e32 v7, 0
	s_and_saveexec_b64 s[10:11], s[22:23]
	s_cbranch_execz .LBB86_1421
; %bb.1420:
	v_and_b32_e32 v7, 0xffff, v11
	v_lshlrev_b32_e32 v6, 24, v11
	v_and_b32_e32 v11, 7, v7
	v_ffbh_u32_e32 v13, v11
	v_min_u32_e32 v13, 32, v13
	v_subrev_u32_e32 v14, 28, v13
	v_bfe_u32 v12, v7, 3, 4
	v_lshlrev_b32_e32 v7, v14, v7
	v_sub_u32_e32 v13, 29, v13
	v_and_b32_e32 v7, 7, v7
	v_cmp_eq_u32_e32 vcc, 0, v12
	v_cndmask_b32_e32 v12, v12, v13, vcc
	v_cndmask_b32_e32 v7, v11, v7, vcc
	v_mov_b32_e32 v11, 0x3b800000
	v_lshlrev_b32_e32 v7, 20, v7
	v_and_b32_e32 v6, 0x80000000, v6
	v_lshl_add_u32 v11, v12, 23, v11
	v_or3_b32 v6, v6, v11, v7
	v_trunc_f32_e32 v6, v6
	s_mov_b32 s17, 0x2f800000
	v_mul_f32_e64 v7, |v6|, s17
	v_floor_f32_e32 v7, v7
	s_mov_b32 s17, 0xcf800000
	v_fma_f32 v11, v7, s17, |v6|
	v_cvt_u32_f32_e32 v11, v11
	v_cvt_u32_f32_e32 v7, v7
	v_ashrrev_i32_e32 v12, 31, v6
	v_xor_b32_e32 v6, v11, v12
	v_xor_b32_e32 v7, v7, v12
	v_sub_co_u32_e32 v6, vcc, v6, v12
	v_subb_co_u32_e32 v7, vcc, v7, v12, vcc
.LBB86_1421:
	s_or_b64 exec, exec, s[10:11]
.LBB86_1422:
	s_mov_b64 s[10:11], -1
.LBB86_1423:
	s_mov_b64 s[22:23], 0
.LBB86_1424:
	s_and_b64 vcc, exec, s[22:23]
	s_cbranch_vccz .LBB86_1453
; %bb.1425:
	s_cmp_gt_i32 s26, 22
	s_cbranch_scc0 .LBB86_1435
; %bb.1426:
	s_cmp_lt_i32 s26, 24
	s_cbranch_scc1 .LBB86_1436
; %bb.1427:
	s_cmp_gt_i32 s26, 24
	s_cbranch_scc0 .LBB86_1437
; %bb.1428:
	global_load_ubyte v11, v[8:9], off
	s_movk_i32 s4, 0x7f
	s_mov_b64 s[10:11], 0
	s_waitcnt vmcnt(0)
	v_cmp_lt_i16_e32 vcc, s4, v11
	s_and_saveexec_b64 s[4:5], vcc
	s_xor_b64 s[4:5], exec, s[4:5]
; %bb.1429:
	s_movk_i32 s10, 0x80
	v_cmp_ne_u16_e32 vcc, s10, v11
	s_and_b64 s[10:11], vcc, exec
; %bb.1430:
	s_andn2_saveexec_b64 s[4:5], s[4:5]
; %bb.1431:
	v_cmp_ne_u16_e32 vcc, 0, v11
	s_andn2_b64 s[10:11], s[10:11], exec
	s_and_b64 s[22:23], vcc, exec
	s_or_b64 s[10:11], s[10:11], s[22:23]
; %bb.1432:
	s_or_b64 exec, exec, s[4:5]
	v_mov_b32_e32 v6, 0
	v_mov_b32_e32 v7, 0
	s_and_saveexec_b64 s[4:5], s[10:11]
	s_cbranch_execz .LBB86_1434
; %bb.1433:
	v_and_b32_e32 v7, 0xffff, v11
	v_lshlrev_b32_e32 v6, 24, v11
	v_and_b32_e32 v11, 3, v7
	v_ffbh_u32_e32 v13, v11
	v_min_u32_e32 v13, 32, v13
	v_subrev_u32_e32 v14, 29, v13
	v_bfe_u32 v12, v7, 2, 5
	v_lshlrev_b32_e32 v7, v14, v7
	v_sub_u32_e32 v13, 30, v13
	v_and_b32_e32 v7, 3, v7
	v_cmp_eq_u32_e32 vcc, 0, v12
	v_cndmask_b32_e32 v12, v12, v13, vcc
	v_cndmask_b32_e32 v7, v11, v7, vcc
	v_mov_b32_e32 v11, 0x37800000
	v_lshlrev_b32_e32 v7, 21, v7
	v_and_b32_e32 v6, 0x80000000, v6
	v_lshl_add_u32 v11, v12, 23, v11
	v_or3_b32 v6, v6, v11, v7
	v_trunc_f32_e32 v6, v6
	s_mov_b32 s10, 0x2f800000
	v_mul_f32_e64 v7, |v6|, s10
	v_floor_f32_e32 v7, v7
	s_mov_b32 s10, 0xcf800000
	v_fma_f32 v11, v7, s10, |v6|
	v_cvt_u32_f32_e32 v11, v11
	v_cvt_u32_f32_e32 v7, v7
	v_ashrrev_i32_e32 v12, 31, v6
	v_xor_b32_e32 v6, v11, v12
	v_xor_b32_e32 v7, v7, v12
	v_sub_co_u32_e32 v6, vcc, v6, v12
	v_subb_co_u32_e32 v7, vcc, v7, v12, vcc
.LBB86_1434:
	s_or_b64 exec, exec, s[4:5]
	s_mov_b64 s[4:5], 0
	s_branch .LBB86_1438
.LBB86_1435:
	s_mov_b64 s[4:5], -1
                                        ; implicit-def: $vgpr6_vgpr7
	s_branch .LBB86_1444
.LBB86_1436:
	s_mov_b64 s[4:5], -1
                                        ; implicit-def: $vgpr6_vgpr7
	s_branch .LBB86_1441
.LBB86_1437:
	s_mov_b64 s[4:5], -1
                                        ; implicit-def: $vgpr6_vgpr7
.LBB86_1438:
	s_and_b64 vcc, exec, s[4:5]
	s_cbranch_vccz .LBB86_1440
; %bb.1439:
	global_load_ubyte v6, v[8:9], off
	s_mov_b32 s4, 0x7f800000
	s_brev_b32 s5, 1
	s_mov_b32 s10, 0x2f800000
	s_mov_b32 s11, 0xcf800000
	s_waitcnt vmcnt(0)
	v_lshlrev_b32_e32 v6, 24, v6
	v_and_b32_e32 v7, 0x7f000000, v6
	v_ffbh_u32_e32 v11, v7
	v_min_u32_e32 v11, 32, v11
	v_sub_u32_e64 v11, v11, 4 clamp
	v_lshlrev_b32_e32 v13, v11, v7
	v_lshlrev_b32_e32 v11, 23, v11
	v_lshrrev_b32_e32 v13, 4, v13
	v_add_u32_e32 v12, 0x1000000, v7
	v_sub_u32_e32 v11, v13, v11
	v_ashrrev_i32_e32 v12, 8, v12
	v_add_u32_e32 v11, 0x3c000000, v11
	v_and_or_b32 v11, v12, s4, v11
	v_cmp_ne_u32_e32 vcc, 0, v7
	v_cndmask_b32_e32 v7, 0, v11, vcc
	v_and_or_b32 v6, v6, s5, v7
	v_trunc_f32_e32 v6, v6
	v_mul_f32_e64 v7, |v6|, s10
	v_floor_f32_e32 v7, v7
	v_fma_f32 v11, v7, s11, |v6|
	v_cvt_u32_f32_e32 v11, v11
	v_cvt_u32_f32_e32 v7, v7
	v_ashrrev_i32_e32 v12, 31, v6
	v_xor_b32_e32 v6, v11, v12
	v_xor_b32_e32 v7, v7, v12
	v_sub_co_u32_e32 v6, vcc, v6, v12
	v_subb_co_u32_e32 v7, vcc, v7, v12, vcc
.LBB86_1440:
	s_mov_b64 s[4:5], 0
.LBB86_1441:
	s_andn2_b64 vcc, exec, s[4:5]
	s_cbranch_vccnz .LBB86_1443
; %bb.1442:
	global_load_ubyte v6, v[8:9], off
	s_movk_i32 s4, 0x7f00
	s_brev_b32 s5, 16
	s_brev_b32 s10, 1
	s_mov_b32 s11, 0x2f800000
	s_mov_b32 s17, 0xcf800000
	s_waitcnt vmcnt(0)
	v_lshlrev_b16_e32 v7, 8, v6
	v_lshlrev_b32_e32 v6, 25, v6
	v_lshrrev_b32_e32 v11, 4, v6
	v_and_or_b32 v12, v7, s4, 0.5
	v_or_b32_e32 v11, 0x70000000, v11
	v_add_f32_e32 v12, -0.5, v12
	v_mul_f32_e32 v11, 0x7800000, v11
	v_cmp_gt_u32_e32 vcc, s5, v6
	v_bfe_i32 v7, v7, 0, 16
	v_cndmask_b32_e32 v6, v11, v12, vcc
	v_and_or_b32 v6, v7, s10, v6
	v_trunc_f32_e32 v6, v6
	v_mul_f32_e64 v7, |v6|, s11
	v_floor_f32_e32 v7, v7
	v_fma_f32 v11, v7, s17, |v6|
	v_cvt_u32_f32_e32 v11, v11
	v_cvt_u32_f32_e32 v7, v7
	v_ashrrev_i32_e32 v12, 31, v6
	v_xor_b32_e32 v6, v11, v12
	v_xor_b32_e32 v7, v7, v12
	v_sub_co_u32_e32 v6, vcc, v6, v12
	v_subb_co_u32_e32 v7, vcc, v7, v12, vcc
.LBB86_1443:
	s_mov_b64 s[4:5], 0
	s_mov_b64 s[10:11], -1
.LBB86_1444:
	s_andn2_b64 vcc, exec, s[4:5]
	s_mov_b64 s[4:5], 0
	s_cbranch_vccnz .LBB86_1453
; %bb.1445:
	s_cmp_gt_i32 s26, 14
	s_cbranch_scc0 .LBB86_1448
; %bb.1446:
	s_cmp_eq_u32 s26, 15
	s_cbranch_scc0 .LBB86_1449
; %bb.1447:
	global_load_ushort v6, v[8:9], off
	s_mov_b32 s0, 0x2f800000
	s_mov_b32 s1, 0xcf800000
	s_mov_b64 s[10:11], -1
	s_waitcnt vmcnt(0)
	v_lshlrev_b32_e32 v6, 16, v6
	v_trunc_f32_e32 v6, v6
	v_mul_f32_e64 v7, |v6|, s0
	v_floor_f32_e32 v7, v7
	v_fma_f32 v11, v7, s1, |v6|
	v_cvt_u32_f32_e32 v11, v11
	v_cvt_u32_f32_e32 v7, v7
	v_ashrrev_i32_e32 v12, 31, v6
	s_mov_b64 s[0:1], 0
	v_xor_b32_e32 v6, v11, v12
	v_xor_b32_e32 v7, v7, v12
	v_sub_co_u32_e32 v6, vcc, v6, v12
	v_subb_co_u32_e32 v7, vcc, v7, v12, vcc
	s_branch .LBB86_1450
.LBB86_1448:
	s_mov_b64 s[22:23], -1
                                        ; implicit-def: $vgpr6_vgpr7
	s_branch .LBB86_1451
.LBB86_1449:
	s_mov_b64 s[0:1], -1
                                        ; implicit-def: $vgpr6_vgpr7
.LBB86_1450:
	s_mov_b64 s[22:23], 0
.LBB86_1451:
	s_and_b64 vcc, exec, s[22:23]
	s_cbranch_vccz .LBB86_1453
; %bb.1452:
	s_cmp_lg_u32 s26, 11
	s_mov_b64 s[4:5], -1
	s_cselect_b64 s[0:1], -1, 0
.LBB86_1453:
	s_and_b64 vcc, exec, s[0:1]
	s_cbranch_vccnz .LBB86_1986
; %bb.1454:
	s_andn2_b64 vcc, exec, s[4:5]
	s_cbranch_vccnz .LBB86_1456
.LBB86_1455:
	global_load_ubyte v6, v[8:9], off
	s_mov_b32 s0, 0
	s_waitcnt vmcnt(1)
	v_mov_b32_e32 v7, s0
	s_mov_b64 s[10:11], -1
	s_waitcnt vmcnt(0)
	v_cmp_ne_u16_e32 vcc, 0, v6
	v_cndmask_b32_e64 v6, 0, 1, vcc
.LBB86_1456:
	s_mov_b64 s[0:1], 0
.LBB86_1457:
	s_and_b64 vcc, exec, s[0:1]
	s_cbranch_vccz .LBB86_1506
; %bb.1458:
	s_cmp_lt_i32 s26, 5
	s_cbranch_scc1 .LBB86_1463
; %bb.1459:
	s_cmp_lt_i32 s26, 8
	s_cbranch_scc1 .LBB86_1464
	;; [unrolled: 3-line block ×3, first 2 shown]
; %bb.1461:
	s_cmp_gt_i32 s26, 9
	s_cbranch_scc0 .LBB86_1466
; %bb.1462:
	global_load_dwordx2 v[6:7], v[8:9], off
	s_movk_i32 s0, 0xffe0
	s_waitcnt vmcnt(0)
	v_trunc_f64_e32 v[6:7], v[6:7]
	v_ldexp_f64 v[11:12], v[6:7], s0
	s_mov_b32 s0, 0
	s_mov_b32 s1, 0xc1f00000
	v_floor_f64_e32 v[11:12], v[11:12]
	v_fma_f64 v[13:14], v[11:12], s[0:1], v[6:7]
	v_cvt_i32_f64_e32 v7, v[11:12]
	s_mov_b64 s[0:1], 0
	v_cvt_u32_f64_e32 v6, v[13:14]
	s_branch .LBB86_1467
.LBB86_1463:
	s_mov_b64 s[0:1], -1
                                        ; implicit-def: $vgpr6_vgpr7
	s_branch .LBB86_1485
.LBB86_1464:
	s_mov_b64 s[0:1], -1
                                        ; implicit-def: $vgpr6_vgpr7
	s_branch .LBB86_1473
.LBB86_1465:
	s_mov_b64 s[0:1], -1
                                        ; implicit-def: $vgpr6_vgpr7
	s_branch .LBB86_1470
.LBB86_1466:
	s_mov_b64 s[0:1], -1
                                        ; implicit-def: $vgpr6_vgpr7
.LBB86_1467:
	s_andn2_b64 vcc, exec, s[0:1]
	s_cbranch_vccnz .LBB86_1469
; %bb.1468:
	global_load_dword v6, v[8:9], off
	s_mov_b32 s0, 0x2f800000
	s_mov_b32 s1, 0xcf800000
	s_waitcnt vmcnt(0)
	v_trunc_f32_e32 v6, v6
	v_mul_f32_e64 v7, |v6|, s0
	v_floor_f32_e32 v7, v7
	v_cvt_u32_f32_e32 v11, v7
	v_fma_f32 v7, v7, s1, |v6|
	v_cvt_u32_f32_e32 v7, v7
	v_ashrrev_i32_e32 v12, 31, v6
	v_xor_b32_e32 v11, v11, v12
	v_xor_b32_e32 v6, v7, v12
	v_sub_co_u32_e32 v6, vcc, v6, v12
	v_subb_co_u32_e32 v7, vcc, v11, v12, vcc
.LBB86_1469:
	s_mov_b64 s[0:1], 0
.LBB86_1470:
	s_andn2_b64 vcc, exec, s[0:1]
	s_cbranch_vccnz .LBB86_1472
; %bb.1471:
	global_load_dword v6, v[8:9], off
	s_waitcnt vmcnt(0)
	v_cvt_f32_f16_e32 v6, v6
	v_cvt_i32_f32_e32 v6, v6
	v_ashrrev_i32_e32 v7, 31, v6
.LBB86_1472:
	s_mov_b64 s[0:1], 0
.LBB86_1473:
	s_andn2_b64 vcc, exec, s[0:1]
	s_cbranch_vccnz .LBB86_1484
; %bb.1474:
	s_cmp_lt_i32 s26, 6
	s_cbranch_scc1 .LBB86_1477
; %bb.1475:
	s_cmp_gt_i32 s26, 6
	s_cbranch_scc0 .LBB86_1478
; %bb.1476:
	global_load_dwordx2 v[6:7], v[8:9], off
	s_movk_i32 s0, 0xffe0
	s_waitcnt vmcnt(0)
	v_trunc_f64_e32 v[6:7], v[6:7]
	v_ldexp_f64 v[11:12], v[6:7], s0
	s_mov_b32 s0, 0
	s_mov_b32 s1, 0xc1f00000
	v_floor_f64_e32 v[11:12], v[11:12]
	v_fma_f64 v[13:14], v[11:12], s[0:1], v[6:7]
	v_cvt_i32_f64_e32 v7, v[11:12]
	s_mov_b64 s[0:1], 0
	v_cvt_u32_f64_e32 v6, v[13:14]
	s_branch .LBB86_1479
.LBB86_1477:
	s_mov_b64 s[0:1], -1
                                        ; implicit-def: $vgpr6_vgpr7
	s_branch .LBB86_1482
.LBB86_1478:
	s_mov_b64 s[0:1], -1
                                        ; implicit-def: $vgpr6_vgpr7
.LBB86_1479:
	s_andn2_b64 vcc, exec, s[0:1]
	s_cbranch_vccnz .LBB86_1481
; %bb.1480:
	global_load_dword v6, v[8:9], off
	s_mov_b32 s0, 0x2f800000
	s_mov_b32 s1, 0xcf800000
	s_waitcnt vmcnt(0)
	v_trunc_f32_e32 v6, v6
	v_mul_f32_e64 v7, |v6|, s0
	v_floor_f32_e32 v7, v7
	v_cvt_u32_f32_e32 v11, v7
	v_fma_f32 v7, v7, s1, |v6|
	v_cvt_u32_f32_e32 v7, v7
	v_ashrrev_i32_e32 v12, 31, v6
	v_xor_b32_e32 v11, v11, v12
	v_xor_b32_e32 v6, v7, v12
	v_sub_co_u32_e32 v6, vcc, v6, v12
	v_subb_co_u32_e32 v7, vcc, v11, v12, vcc
.LBB86_1481:
	s_mov_b64 s[0:1], 0
.LBB86_1482:
	s_andn2_b64 vcc, exec, s[0:1]
	s_cbranch_vccnz .LBB86_1484
; %bb.1483:
	global_load_ushort v6, v[8:9], off
	s_waitcnt vmcnt(0)
	v_cvt_f32_f16_e32 v6, v6
	v_cvt_i32_f32_e32 v6, v6
	v_ashrrev_i32_e32 v7, 31, v6
.LBB86_1484:
	s_mov_b64 s[0:1], 0
.LBB86_1485:
	s_andn2_b64 vcc, exec, s[0:1]
	s_cbranch_vccnz .LBB86_1505
; %bb.1486:
	s_cmp_lt_i32 s26, 2
	s_cbranch_scc1 .LBB86_1490
; %bb.1487:
	s_cmp_lt_i32 s26, 3
	s_cbranch_scc1 .LBB86_1491
; %bb.1488:
	s_cmp_gt_i32 s26, 3
	s_cbranch_scc0 .LBB86_1492
; %bb.1489:
	global_load_dwordx2 v[6:7], v[8:9], off
	s_mov_b64 s[0:1], 0
	s_branch .LBB86_1493
.LBB86_1490:
	s_mov_b64 s[0:1], -1
                                        ; implicit-def: $vgpr6_vgpr7
	s_branch .LBB86_1499
.LBB86_1491:
	s_mov_b64 s[0:1], -1
                                        ; implicit-def: $vgpr6_vgpr7
	s_branch .LBB86_1496
.LBB86_1492:
	s_mov_b64 s[0:1], -1
                                        ; implicit-def: $vgpr6_vgpr7
.LBB86_1493:
	s_andn2_b64 vcc, exec, s[0:1]
	s_cbranch_vccnz .LBB86_1495
; %bb.1494:
	global_load_dword v6, v[8:9], off
	s_waitcnt vmcnt(0)
	v_ashrrev_i32_e32 v7, 31, v6
.LBB86_1495:
	s_mov_b64 s[0:1], 0
.LBB86_1496:
	s_andn2_b64 vcc, exec, s[0:1]
	s_cbranch_vccnz .LBB86_1498
; %bb.1497:
	global_load_ushort v6, v[8:9], off
	s_waitcnt vmcnt(0)
	v_bfe_i32 v6, v6, 0, 16
	v_ashrrev_i32_e32 v7, 31, v6
.LBB86_1498:
	s_mov_b64 s[0:1], 0
.LBB86_1499:
	s_andn2_b64 vcc, exec, s[0:1]
	s_cbranch_vccnz .LBB86_1505
; %bb.1500:
	s_cmp_gt_i32 s26, 0
	s_cbranch_scc0 .LBB86_1502
; %bb.1501:
	global_load_sbyte v6, v[8:9], off
	s_mov_b64 s[0:1], 0
	s_waitcnt vmcnt(0)
	v_bfe_i32 v6, v6, 0, 16
	v_ashrrev_i32_e32 v7, 31, v6
	s_branch .LBB86_1503
.LBB86_1502:
	s_mov_b64 s[0:1], -1
                                        ; implicit-def: $vgpr6_vgpr7
.LBB86_1503:
	s_andn2_b64 vcc, exec, s[0:1]
	s_cbranch_vccnz .LBB86_1505
; %bb.1504:
	global_load_ubyte v6, v[8:9], off
	s_mov_b32 s0, 0
	s_waitcnt vmcnt(1)
	v_mov_b32_e32 v7, s0
	s_waitcnt vmcnt(0)
	v_and_b32_e32 v6, 0xffff, v6
.LBB86_1505:
	s_mov_b64 s[10:11], -1
.LBB86_1506:
	s_andn2_b64 vcc, exec, s[10:11]
	s_cbranch_vccnz .LBB86_1940
; %bb.1507:
	v_mul_lo_u32 v10, s16, v10
	s_waitcnt vmcnt(0)
	v_cmp_lt_i64_e32 vcc, s[12:13], v[0:1]
	v_mov_b32_e32 v8, s15
	v_mov_b32_e32 v9, s3
	v_cndmask_b32_e32 v1, v8, v9, vcc
	v_mov_b32_e32 v0, s14
	v_mov_b32_e32 v8, s2
	v_cndmask_b32_e32 v0, v0, v8, vcc
	v_ashrrev_i32_e32 v9, 31, v10
	v_mov_b32_e32 v11, s9
	s_and_b32 s26, s33, 0xff
	v_add_co_u32_e32 v8, vcc, s8, v10
	s_cmp_lt_i32 s26, 11
	v_addc_co_u32_e32 v9, vcc, v11, v9, vcc
	s_cbranch_scc1 .LBB86_1585
; %bb.1508:
	s_and_b32 s17, 0xffff, s26
	s_mov_b64 s[22:23], -1
	s_mov_b64 s[4:5], 0
	s_cmp_gt_i32 s17, 25
	s_mov_b64 s[10:11], 0
	s_mov_b64 s[0:1], 0
	s_cbranch_scc0 .LBB86_1541
; %bb.1509:
	s_cmp_gt_i32 s17, 28
	s_cbranch_scc0 .LBB86_1524
; %bb.1510:
	s_cmp_gt_i32 s17, 43
	;; [unrolled: 3-line block ×3, first 2 shown]
	s_cbranch_scc0 .LBB86_1514
; %bb.1512:
	s_mov_b64 s[0:1], -1
	s_mov_b64 s[22:23], 0
	s_cmp_eq_u32 s17, 46
	s_cbranch_scc0 .LBB86_1514
; %bb.1513:
	v_xor_b32_e32 v12, v0, v1
	v_ffbh_i32_e32 v11, v1
	v_ashrrev_i32_e32 v12, 31, v12
	v_add_u32_e32 v11, -1, v11
	v_add_u32_e32 v12, 32, v12
	v_min_u32_e32 v13, v11, v12
	v_lshlrev_b64 v[11:12], v13, v[0:1]
	s_movk_i32 s0, 0x7fff
	v_min_u32_e32 v11, 1, v11
	v_or_b32_e32 v11, v12, v11
	v_cvt_f32_i32_e32 v11, v11
	v_sub_u32_e32 v12, 32, v13
	s_mov_b64 s[10:11], -1
	v_ldexp_f32 v11, v11, v12
	v_bfe_u32 v12, v11, 16, 1
	v_add3_u32 v11, v11, v12, s0
	v_lshrrev_b32_e32 v11, 16, v11
	global_store_dword v[8:9], v11, off
	s_mov_b64 s[0:1], 0
.LBB86_1514:
	s_and_b64 vcc, exec, s[22:23]
	s_cbranch_vccz .LBB86_1519
; %bb.1515:
	s_cmp_eq_u32 s17, 44
	s_mov_b64 s[0:1], -1
	s_cbranch_scc0 .LBB86_1519
; %bb.1516:
	v_xor_b32_e32 v12, v0, v1
	v_ffbh_i32_e32 v11, v1
	v_ashrrev_i32_e32 v12, 31, v12
	v_add_u32_e32 v11, -1, v11
	v_add_u32_e32 v12, 32, v12
	v_min_u32_e32 v13, v11, v12
	v_lshlrev_b64 v[11:12], v13, v[0:1]
	s_movk_i32 s0, 0xff
	v_min_u32_e32 v11, 1, v11
	v_or_b32_e32 v11, v12, v11
	v_cvt_f32_i32_e32 v11, v11
	v_sub_u32_e32 v12, 32, v13
	v_mov_b32_e32 v13, 0xff
	v_ldexp_f32 v11, v11, v12
	v_bfe_u32 v12, v11, 23, 8
	v_cmp_ne_u32_e32 vcc, s0, v12
	s_and_saveexec_b64 s[10:11], vcc
; %bb.1517:
	s_mov_b32 s0, 0x3fffff
	v_lshrrev_b32_e32 v13, 23, v11
	v_and_b32_e32 v14, 0x400000, v11
	v_and_or_b32 v11, v11, s0, v12
	v_cmp_ne_u32_e32 vcc, 0, v14
	v_cmp_ne_u32_e64 s[0:1], 0, v11
	s_and_b64 s[0:1], vcc, s[0:1]
	v_cndmask_b32_e64 v11, 0, 1, s[0:1]
	v_add_u32_e32 v13, v13, v11
; %bb.1518:
	s_or_b64 exec, exec, s[10:11]
	s_mov_b64 s[0:1], 0
	s_mov_b64 s[10:11], -1
	global_store_byte v[8:9], v13, off
.LBB86_1519:
	s_mov_b64 s[22:23], 0
.LBB86_1520:
	s_and_b64 vcc, exec, s[22:23]
	s_cbranch_vccz .LBB86_1523
; %bb.1521:
	s_cmp_eq_u32 s17, 29
	s_mov_b64 s[0:1], -1
	s_cbranch_scc0 .LBB86_1523
; %bb.1522:
	global_store_dwordx2 v[8:9], v[0:1], off
	s_mov_b64 s[0:1], 0
	s_mov_b64 s[10:11], -1
.LBB86_1523:
	s_mov_b64 s[22:23], 0
.LBB86_1524:
	s_and_b64 vcc, exec, s[22:23]
	s_cbranch_vccz .LBB86_1540
; %bb.1525:
	s_cmp_lt_i32 s17, 27
	s_mov_b64 s[10:11], -1
	s_cbranch_scc1 .LBB86_1531
; %bb.1526:
	s_cmp_gt_i32 s17, 27
	s_cbranch_scc0 .LBB86_1528
; %bb.1527:
	s_mov_b64 s[10:11], 0
	global_store_dword v[8:9], v0, off
.LBB86_1528:
	s_andn2_b64 vcc, exec, s[10:11]
	s_cbranch_vccnz .LBB86_1530
; %bb.1529:
	global_store_short v[8:9], v0, off
.LBB86_1530:
	s_mov_b64 s[10:11], 0
.LBB86_1531:
	s_andn2_b64 vcc, exec, s[10:11]
	s_cbranch_vccnz .LBB86_1539
; %bb.1532:
	v_xor_b32_e32 v12, v0, v1
	v_ffbh_i32_e32 v11, v1
	v_ashrrev_i32_e32 v12, 31, v12
	v_add_u32_e32 v11, -1, v11
	v_add_u32_e32 v12, 32, v12
	v_min_u32_e32 v13, v11, v12
	v_lshlrev_b64 v[11:12], v13, v[0:1]
	s_mov_b32 s10, 0x43800000
	v_min_u32_e32 v11, 1, v11
	v_or_b32_e32 v11, v12, v11
	v_cvt_f32_i32_e32 v11, v11
	v_sub_u32_e32 v12, 32, v13
	v_mov_b32_e32 v13, 0x80
	v_ldexp_f32 v11, v11, v12
	v_and_b32_e32 v12, 0x7fffffff, v11
	v_cmp_gt_u32_e32 vcc, s10, v12
	s_and_saveexec_b64 s[10:11], vcc
	s_cbranch_execz .LBB86_1538
; %bb.1533:
	s_mov_b32 s22, 0x3bffffff
	v_cmp_lt_u32_e32 vcc, s22, v12
	s_mov_b64 s[22:23], 0
                                        ; implicit-def: $vgpr12
	s_and_saveexec_b64 s[24:25], vcc
	s_xor_b64 s[24:25], exec, s[24:25]
	s_cbranch_execz .LBB86_1987
; %bb.1534:
	v_bfe_u32 v12, v11, 20, 1
	s_mov_b32 s27, 0x487ffff
	v_add3_u32 v12, v11, v12, s27
	s_mov_b64 s[22:23], exec
	v_lshrrev_b32_e32 v12, 20, v12
	s_andn2_saveexec_b64 s[24:25], s[24:25]
	s_cbranch_execnz .LBB86_1988
.LBB86_1535:
	s_or_b64 exec, exec, s[24:25]
	v_mov_b32_e32 v13, 0
	s_and_saveexec_b64 s[24:25], s[22:23]
.LBB86_1536:
	v_lshrrev_b32_e32 v11, 24, v11
	s_movk_i32 s22, 0x80
	v_and_or_b32 v13, v11, s22, v12
.LBB86_1537:
	s_or_b64 exec, exec, s[24:25]
.LBB86_1538:
	s_or_b64 exec, exec, s[10:11]
	global_store_byte v[8:9], v13, off
.LBB86_1539:
	s_mov_b64 s[10:11], -1
.LBB86_1540:
	s_mov_b64 s[22:23], 0
.LBB86_1541:
	s_and_b64 vcc, exec, s[22:23]
	s_cbranch_vccz .LBB86_1581
; %bb.1542:
	s_cmp_gt_i32 s17, 22
	s_mov_b64 s[4:5], -1
	s_cbranch_scc0 .LBB86_1574
; %bb.1543:
	s_cmp_lt_i32 s17, 24
	s_cbranch_scc1 .LBB86_1563
; %bb.1544:
	s_cmp_gt_i32 s17, 24
	s_cbranch_scc0 .LBB86_1552
; %bb.1545:
	v_xor_b32_e32 v12, v0, v1
	v_ffbh_i32_e32 v11, v1
	v_ashrrev_i32_e32 v12, 31, v12
	v_add_u32_e32 v11, -1, v11
	v_add_u32_e32 v12, 32, v12
	v_min_u32_e32 v13, v11, v12
	v_lshlrev_b64 v[11:12], v13, v[0:1]
	s_mov_b32 s4, 0x47800000
	v_min_u32_e32 v11, 1, v11
	v_or_b32_e32 v11, v12, v11
	v_cvt_f32_i32_e32 v11, v11
	v_sub_u32_e32 v12, 32, v13
	v_mov_b32_e32 v13, 0x80
	v_ldexp_f32 v11, v11, v12
	v_and_b32_e32 v12, 0x7fffffff, v11
	v_cmp_gt_u32_e32 vcc, s4, v12
	s_and_saveexec_b64 s[4:5], vcc
	s_cbranch_execz .LBB86_1551
; %bb.1546:
	s_mov_b32 s10, 0x37ffffff
	v_cmp_lt_u32_e32 vcc, s10, v12
	s_mov_b64 s[10:11], 0
                                        ; implicit-def: $vgpr12
	s_and_saveexec_b64 s[22:23], vcc
	s_xor_b64 s[22:23], exec, s[22:23]
	s_cbranch_execz .LBB86_1990
; %bb.1547:
	v_bfe_u32 v12, v11, 21, 1
	s_mov_b32 s24, 0x88fffff
	v_add3_u32 v12, v11, v12, s24
	s_mov_b64 s[10:11], exec
	v_lshrrev_b32_e32 v12, 21, v12
	s_andn2_saveexec_b64 s[22:23], s[22:23]
	s_cbranch_execnz .LBB86_1991
.LBB86_1548:
	s_or_b64 exec, exec, s[22:23]
	v_mov_b32_e32 v13, 0
	s_and_saveexec_b64 s[22:23], s[10:11]
.LBB86_1549:
	v_lshrrev_b32_e32 v11, 24, v11
	s_movk_i32 s10, 0x80
	v_and_or_b32 v13, v11, s10, v12
.LBB86_1550:
	s_or_b64 exec, exec, s[22:23]
.LBB86_1551:
	s_or_b64 exec, exec, s[4:5]
	s_mov_b64 s[4:5], 0
	global_store_byte v[8:9], v13, off
.LBB86_1552:
	s_and_b64 vcc, exec, s[4:5]
	s_cbranch_vccz .LBB86_1562
; %bb.1553:
	v_xor_b32_e32 v12, v0, v1
	v_ffbh_i32_e32 v11, v1
	v_ashrrev_i32_e32 v12, 31, v12
	v_add_u32_e32 v11, -1, v11
	v_add_u32_e32 v12, 32, v12
	v_min_u32_e32 v13, v11, v12
	v_lshlrev_b64 v[11:12], v13, v[0:1]
	s_mov_b32 s4, 0x43f00000
	v_min_u32_e32 v11, 1, v11
	v_or_b32_e32 v11, v12, v11
	v_cvt_f32_i32_e32 v11, v11
	v_sub_u32_e32 v12, 32, v13
	v_ldexp_f32 v11, v11, v12
	v_and_b32_e32 v13, 0x7fffffff, v11
	v_cmp_gt_u32_e32 vcc, s4, v13
                                        ; implicit-def: $vgpr12
	s_and_saveexec_b64 s[4:5], vcc
	s_xor_b64 s[4:5], exec, s[4:5]
	s_cbranch_execz .LBB86_1559
; %bb.1554:
	s_mov_b32 s10, 0x3c7fffff
	v_cmp_lt_u32_e32 vcc, s10, v13
                                        ; implicit-def: $vgpr12
	s_and_saveexec_b64 s[10:11], vcc
	s_xor_b64 s[10:11], exec, s[10:11]
; %bb.1555:
	v_bfe_u32 v12, v11, 20, 1
	s_mov_b32 s22, 0x407ffff
	v_add3_u32 v12, v11, v12, s22
	v_lshrrev_b32_e32 v13, 20, v12
	v_and_b32_e32 v12, 0xff00000, v12
	s_mov_b32 s22, 0x7f00000
	v_mov_b32_e32 v14, 0x7e
	v_cmp_ne_u32_e32 vcc, s22, v12
	v_cndmask_b32_e32 v12, v14, v13, vcc
; %bb.1556:
	s_andn2_saveexec_b64 s[10:11], s[10:11]
; %bb.1557:
	s_mov_b32 s22, 0x46800000
	v_add_f32_e64 v12, |v11|, s22
; %bb.1558:
	s_or_b64 exec, exec, s[10:11]
                                        ; implicit-def: $vgpr13
.LBB86_1559:
	s_andn2_saveexec_b64 s[4:5], s[4:5]
; %bb.1560:
	s_mov_b32 s10, 0x7f800000
	v_mov_b32_e32 v12, 0x7e
	v_mov_b32_e32 v14, 0x7f
	v_cmp_lt_u32_e32 vcc, s10, v13
	v_cndmask_b32_e32 v12, v12, v14, vcc
; %bb.1561:
	s_or_b64 exec, exec, s[4:5]
	v_lshrrev_b32_e32 v11, 24, v11
	s_movk_i32 s4, 0x80
	v_and_or_b32 v11, v11, s4, v12
	global_store_byte v[8:9], v11, off
.LBB86_1562:
	s_mov_b64 s[4:5], 0
.LBB86_1563:
	s_andn2_b64 vcc, exec, s[4:5]
	s_cbranch_vccnz .LBB86_1573
; %bb.1564:
	v_xor_b32_e32 v12, v0, v1
	v_ffbh_i32_e32 v11, v1
	v_ashrrev_i32_e32 v12, 31, v12
	v_add_u32_e32 v11, -1, v11
	v_add_u32_e32 v12, 32, v12
	v_min_u32_e32 v13, v11, v12
	v_lshlrev_b64 v[11:12], v13, v[0:1]
	s_mov_b32 s4, 0x47800000
	v_min_u32_e32 v11, 1, v11
	v_or_b32_e32 v11, v12, v11
	v_cvt_f32_i32_e32 v11, v11
	v_sub_u32_e32 v12, 32, v13
	v_ldexp_f32 v11, v11, v12
	v_and_b32_e32 v13, 0x7fffffff, v11
	v_cmp_gt_u32_e32 vcc, s4, v13
                                        ; implicit-def: $vgpr12
	s_and_saveexec_b64 s[4:5], vcc
	s_xor_b64 s[4:5], exec, s[4:5]
	s_cbranch_execz .LBB86_1570
; %bb.1565:
	s_mov_b32 s10, 0x387fffff
	v_cmp_lt_u32_e32 vcc, s10, v13
                                        ; implicit-def: $vgpr12
	s_and_saveexec_b64 s[10:11], vcc
	s_xor_b64 s[10:11], exec, s[10:11]
; %bb.1566:
	v_bfe_u32 v12, v11, 21, 1
	s_mov_b32 s22, 0x80fffff
	v_add3_u32 v12, v11, v12, s22
	v_lshrrev_b32_e32 v12, 21, v12
; %bb.1567:
	s_andn2_saveexec_b64 s[10:11], s[10:11]
; %bb.1568:
	s_mov_b32 s22, 0x43000000
	v_add_f32_e64 v12, |v11|, s22
; %bb.1569:
	s_or_b64 exec, exec, s[10:11]
                                        ; implicit-def: $vgpr13
.LBB86_1570:
	s_andn2_saveexec_b64 s[4:5], s[4:5]
; %bb.1571:
	s_mov_b32 s10, 0x7f800000
	v_mov_b32_e32 v12, 0x7c
	v_mov_b32_e32 v14, 0x7f
	v_cmp_lt_u32_e32 vcc, s10, v13
	v_cndmask_b32_e32 v12, v12, v14, vcc
; %bb.1572:
	s_or_b64 exec, exec, s[4:5]
	v_lshrrev_b32_e32 v11, 24, v11
	s_movk_i32 s4, 0x80
	v_and_or_b32 v11, v11, s4, v12
	global_store_byte v[8:9], v11, off
.LBB86_1573:
	s_mov_b64 s[4:5], 0
	s_mov_b64 s[10:11], -1
.LBB86_1574:
	s_andn2_b64 vcc, exec, s[4:5]
	s_mov_b64 s[4:5], 0
	s_cbranch_vccnz .LBB86_1581
; %bb.1575:
	s_cmp_gt_i32 s17, 14
	s_mov_b64 s[22:23], -1
	s_cbranch_scc0 .LBB86_1579
; %bb.1576:
	s_cmp_eq_u32 s17, 15
	s_mov_b64 s[0:1], -1
	s_cbranch_scc0 .LBB86_1578
; %bb.1577:
	v_xor_b32_e32 v12, v0, v1
	v_ffbh_i32_e32 v11, v1
	v_ashrrev_i32_e32 v12, 31, v12
	v_add_u32_e32 v11, -1, v11
	v_add_u32_e32 v12, 32, v12
	v_min_u32_e32 v13, v11, v12
	v_lshlrev_b64 v[11:12], v13, v[0:1]
	s_movk_i32 s0, 0x7fff
	v_min_u32_e32 v11, 1, v11
	v_or_b32_e32 v11, v12, v11
	v_cvt_f32_i32_e32 v11, v11
	v_sub_u32_e32 v12, 32, v13
	s_mov_b64 s[10:11], -1
	v_ldexp_f32 v11, v11, v12
	v_bfe_u32 v12, v11, 16, 1
	v_add3_u32 v11, v11, v12, s0
	global_store_short_d16_hi v[8:9], v11, off
	s_mov_b64 s[0:1], 0
.LBB86_1578:
	s_mov_b64 s[22:23], 0
.LBB86_1579:
	s_and_b64 vcc, exec, s[22:23]
	s_cbranch_vccz .LBB86_1581
; %bb.1580:
	s_cmp_lg_u32 s17, 11
	s_mov_b64 s[4:5], -1
	s_cselect_b64 s[0:1], -1, 0
.LBB86_1581:
	s_and_b64 vcc, exec, s[0:1]
	s_cbranch_vccnz .LBB86_1989
; %bb.1582:
	s_andn2_b64 vcc, exec, s[4:5]
	s_cbranch_vccnz .LBB86_1584
.LBB86_1583:
	v_cmp_ne_u64_e32 vcc, 0, v[0:1]
	s_mov_b64 s[10:11], -1
	v_cndmask_b32_e64 v11, 0, 1, vcc
	global_store_byte v[8:9], v11, off
.LBB86_1584:
	s_mov_b64 s[0:1], 0
	s_branch .LBB86_1586
.LBB86_1585:
	s_mov_b64 s[0:1], -1
	s_mov_b64 s[10:11], 0
.LBB86_1586:
	s_and_b64 vcc, exec, s[0:1]
	s_cbranch_vccz .LBB86_1625
; %bb.1587:
	s_and_b32 s4, 0xffff, s26
	s_cmp_lt_i32 s4, 5
	s_mov_b64 s[0:1], -1
	s_cbranch_scc1 .LBB86_1608
; %bb.1588:
	s_cmp_lt_i32 s4, 8
	s_cbranch_scc1 .LBB86_1598
; %bb.1589:
	s_cmp_lt_i32 s4, 9
	s_cbranch_scc1 .LBB86_1595
; %bb.1590:
	s_cmp_gt_i32 s4, 9
	s_cbranch_scc0 .LBB86_1592
; %bb.1591:
	v_cvt_f64_i32_e32 v[11:12], v1
	v_cvt_f64_u32_e32 v[13:14], v0
	s_mov_b64 s[0:1], 0
	v_ldexp_f64 v[11:12], v[11:12], 32
	v_add_f64 v[11:12], v[11:12], v[13:14]
	v_mov_b32_e32 v13, 0
	v_mov_b32_e32 v14, v13
	global_store_dwordx4 v[8:9], v[11:14], off
.LBB86_1592:
	s_andn2_b64 vcc, exec, s[0:1]
	s_cbranch_vccnz .LBB86_1594
; %bb.1593:
	v_xor_b32_e32 v12, v0, v1
	v_ffbh_i32_e32 v11, v1
	v_ashrrev_i32_e32 v12, 31, v12
	v_add_u32_e32 v11, -1, v11
	v_add_u32_e32 v12, 32, v12
	v_min_u32_e32 v13, v11, v12
	v_lshlrev_b64 v[11:12], v13, v[0:1]
	v_min_u32_e32 v11, 1, v11
	v_or_b32_e32 v11, v12, v11
	v_cvt_f32_i32_e32 v11, v11
	v_sub_u32_e32 v12, 32, v13
	v_ldexp_f32 v11, v11, v12
	v_mov_b32_e32 v12, 0
	global_store_dwordx2 v[8:9], v[11:12], off
.LBB86_1594:
	s_mov_b64 s[0:1], 0
.LBB86_1595:
	s_andn2_b64 vcc, exec, s[0:1]
	s_cbranch_vccnz .LBB86_1597
; %bb.1596:
	v_xor_b32_e32 v12, v0, v1
	v_ffbh_i32_e32 v11, v1
	v_ashrrev_i32_e32 v12, 31, v12
	v_add_u32_e32 v11, -1, v11
	v_add_u32_e32 v12, 32, v12
	v_min_u32_e32 v13, v11, v12
	v_lshlrev_b64 v[11:12], v13, v[0:1]
	v_min_u32_e32 v11, 1, v11
	v_or_b32_e32 v11, v12, v11
	v_cvt_f32_i32_e32 v11, v11
	v_sub_u32_e32 v12, 32, v13
	v_ldexp_f32 v11, v11, v12
	v_cvt_f16_f32_e32 v11, v11
	global_store_dword v[8:9], v11, off
.LBB86_1597:
	s_mov_b64 s[0:1], 0
.LBB86_1598:
	s_andn2_b64 vcc, exec, s[0:1]
	s_cbranch_vccnz .LBB86_1607
; %bb.1599:
	s_cmp_lt_i32 s4, 6
	s_mov_b64 s[0:1], -1
	s_cbranch_scc1 .LBB86_1605
; %bb.1600:
	s_cmp_gt_i32 s4, 6
	s_cbranch_scc0 .LBB86_1602
; %bb.1601:
	v_cvt_f64_i32_e32 v[11:12], v1
	v_cvt_f64_u32_e32 v[13:14], v0
	s_mov_b64 s[0:1], 0
	v_ldexp_f64 v[11:12], v[11:12], 32
	v_add_f64 v[11:12], v[11:12], v[13:14]
	global_store_dwordx2 v[8:9], v[11:12], off
.LBB86_1602:
	s_andn2_b64 vcc, exec, s[0:1]
	s_cbranch_vccnz .LBB86_1604
; %bb.1603:
	v_xor_b32_e32 v12, v0, v1
	v_ffbh_i32_e32 v11, v1
	v_ashrrev_i32_e32 v12, 31, v12
	v_add_u32_e32 v11, -1, v11
	v_add_u32_e32 v12, 32, v12
	v_min_u32_e32 v13, v11, v12
	v_lshlrev_b64 v[11:12], v13, v[0:1]
	v_min_u32_e32 v11, 1, v11
	v_or_b32_e32 v11, v12, v11
	v_cvt_f32_i32_e32 v11, v11
	v_sub_u32_e32 v12, 32, v13
	v_ldexp_f32 v11, v11, v12
	global_store_dword v[8:9], v11, off
.LBB86_1604:
	s_mov_b64 s[0:1], 0
.LBB86_1605:
	s_andn2_b64 vcc, exec, s[0:1]
	s_cbranch_vccnz .LBB86_1607
; %bb.1606:
	v_xor_b32_e32 v12, v0, v1
	v_ffbh_i32_e32 v11, v1
	v_ashrrev_i32_e32 v12, 31, v12
	v_add_u32_e32 v11, -1, v11
	v_add_u32_e32 v12, 32, v12
	v_min_u32_e32 v13, v11, v12
	v_lshlrev_b64 v[11:12], v13, v[0:1]
	v_min_u32_e32 v11, 1, v11
	v_or_b32_e32 v11, v12, v11
	v_cvt_f32_i32_e32 v11, v11
	v_sub_u32_e32 v12, 32, v13
	v_ldexp_f32 v11, v11, v12
	v_cvt_f16_f32_e32 v11, v11
	global_store_short v[8:9], v11, off
.LBB86_1607:
	s_mov_b64 s[0:1], 0
.LBB86_1608:
	s_andn2_b64 vcc, exec, s[0:1]
	s_cbranch_vccnz .LBB86_1624
; %bb.1609:
	s_cmp_lt_i32 s4, 2
	s_mov_b64 s[0:1], -1
	s_cbranch_scc1 .LBB86_1619
; %bb.1610:
	s_cmp_lt_i32 s4, 3
	s_cbranch_scc1 .LBB86_1616
; %bb.1611:
	s_cmp_gt_i32 s4, 3
	s_cbranch_scc0 .LBB86_1613
; %bb.1612:
	global_store_dwordx2 v[8:9], v[0:1], off
	s_mov_b64 s[0:1], 0
.LBB86_1613:
	s_andn2_b64 vcc, exec, s[0:1]
	s_cbranch_vccnz .LBB86_1615
; %bb.1614:
	global_store_dword v[8:9], v0, off
.LBB86_1615:
	s_mov_b64 s[0:1], 0
.LBB86_1616:
	s_andn2_b64 vcc, exec, s[0:1]
	s_cbranch_vccnz .LBB86_1618
; %bb.1617:
	global_store_short v[8:9], v0, off
.LBB86_1618:
	s_mov_b64 s[0:1], 0
.LBB86_1619:
	s_andn2_b64 vcc, exec, s[0:1]
	s_cbranch_vccnz .LBB86_1624
; %bb.1620:
	s_cmp_gt_i32 s4, 0
	s_mov_b64 s[0:1], -1
	s_cbranch_scc0 .LBB86_1622
; %bb.1621:
	global_store_byte v[8:9], v0, off
	s_mov_b64 s[0:1], 0
.LBB86_1622:
	s_andn2_b64 vcc, exec, s[0:1]
	s_cbranch_vccnz .LBB86_1624
; %bb.1623:
	global_store_byte v[8:9], v0, off
.LBB86_1624:
	s_mov_b64 s[10:11], -1
.LBB86_1625:
	s_andn2_b64 vcc, exec, s[10:11]
	s_cbranch_vccnz .LBB86_1940
; %bb.1626:
	v_cmp_lt_i64_e32 vcc, s[12:13], v[2:3]
	v_mov_b32_e32 v0, s15
	v_mov_b32_e32 v1, s3
	s_lshl_b32 s24, s16, 7
	v_cndmask_b32_e32 v1, v0, v1, vcc
	v_mov_b32_e32 v0, s14
	v_mov_b32_e32 v2, s2
	v_add_u32_e32 v8, s24, v10
	v_cndmask_b32_e32 v0, v0, v2, vcc
	v_ashrrev_i32_e32 v3, 31, v8
	v_mov_b32_e32 v9, s9
	v_add_co_u32_e32 v2, vcc, s8, v8
	s_cmp_lt_i32 s26, 11
	v_addc_co_u32_e32 v3, vcc, v9, v3, vcc
	s_cbranch_scc1 .LBB86_1704
; %bb.1627:
	s_and_b32 s25, 0xffff, s26
	s_mov_b64 s[16:17], -1
	s_mov_b64 s[4:5], 0
	s_cmp_gt_i32 s25, 25
	s_mov_b64 s[10:11], 0
	s_mov_b64 s[0:1], 0
	s_cbranch_scc0 .LBB86_1660
; %bb.1628:
	s_cmp_gt_i32 s25, 28
	s_cbranch_scc0 .LBB86_1643
; %bb.1629:
	s_cmp_gt_i32 s25, 43
	;; [unrolled: 3-line block ×3, first 2 shown]
	s_cbranch_scc0 .LBB86_1633
; %bb.1631:
	s_mov_b64 s[0:1], -1
	s_mov_b64 s[16:17], 0
	s_cmp_eq_u32 s25, 46
	s_cbranch_scc0 .LBB86_1633
; %bb.1632:
	v_xor_b32_e32 v10, v0, v1
	v_ffbh_i32_e32 v9, v1
	v_ashrrev_i32_e32 v10, 31, v10
	v_add_u32_e32 v9, -1, v9
	v_add_u32_e32 v10, 32, v10
	v_min_u32_e32 v11, v9, v10
	v_lshlrev_b64 v[9:10], v11, v[0:1]
	s_movk_i32 s0, 0x7fff
	v_min_u32_e32 v9, 1, v9
	v_or_b32_e32 v9, v10, v9
	v_cvt_f32_i32_e32 v9, v9
	v_sub_u32_e32 v10, 32, v11
	s_mov_b64 s[10:11], -1
	v_ldexp_f32 v9, v9, v10
	v_bfe_u32 v10, v9, 16, 1
	v_add3_u32 v9, v9, v10, s0
	v_lshrrev_b32_e32 v9, 16, v9
	global_store_dword v[2:3], v9, off
	s_mov_b64 s[0:1], 0
.LBB86_1633:
	s_and_b64 vcc, exec, s[16:17]
	s_cbranch_vccz .LBB86_1638
; %bb.1634:
	s_cmp_eq_u32 s25, 44
	s_mov_b64 s[0:1], -1
	s_cbranch_scc0 .LBB86_1638
; %bb.1635:
	v_xor_b32_e32 v10, v0, v1
	v_ffbh_i32_e32 v9, v1
	v_ashrrev_i32_e32 v10, 31, v10
	v_add_u32_e32 v9, -1, v9
	v_add_u32_e32 v10, 32, v10
	v_min_u32_e32 v11, v9, v10
	v_lshlrev_b64 v[9:10], v11, v[0:1]
	s_movk_i32 s0, 0xff
	v_min_u32_e32 v9, 1, v9
	v_or_b32_e32 v9, v10, v9
	v_cvt_f32_i32_e32 v9, v9
	v_sub_u32_e32 v10, 32, v11
	v_mov_b32_e32 v11, 0xff
	v_ldexp_f32 v9, v9, v10
	v_bfe_u32 v10, v9, 23, 8
	v_cmp_ne_u32_e32 vcc, s0, v10
	s_and_saveexec_b64 s[10:11], vcc
; %bb.1636:
	s_mov_b32 s0, 0x3fffff
	v_lshrrev_b32_e32 v11, 23, v9
	v_and_b32_e32 v12, 0x400000, v9
	v_and_or_b32 v9, v9, s0, v10
	v_cmp_ne_u32_e32 vcc, 0, v12
	v_cmp_ne_u32_e64 s[0:1], 0, v9
	s_and_b64 s[0:1], vcc, s[0:1]
	v_cndmask_b32_e64 v9, 0, 1, s[0:1]
	v_add_u32_e32 v11, v11, v9
; %bb.1637:
	s_or_b64 exec, exec, s[10:11]
	s_mov_b64 s[0:1], 0
	s_mov_b64 s[10:11], -1
	global_store_byte v[2:3], v11, off
.LBB86_1638:
	s_mov_b64 s[16:17], 0
.LBB86_1639:
	s_and_b64 vcc, exec, s[16:17]
	s_cbranch_vccz .LBB86_1642
; %bb.1640:
	s_cmp_eq_u32 s25, 29
	s_mov_b64 s[0:1], -1
	s_cbranch_scc0 .LBB86_1642
; %bb.1641:
	global_store_dwordx2 v[2:3], v[0:1], off
	s_mov_b64 s[0:1], 0
	s_mov_b64 s[10:11], -1
.LBB86_1642:
	s_mov_b64 s[16:17], 0
.LBB86_1643:
	s_and_b64 vcc, exec, s[16:17]
	s_cbranch_vccz .LBB86_1659
; %bb.1644:
	s_cmp_lt_i32 s25, 27
	s_mov_b64 s[10:11], -1
	s_cbranch_scc1 .LBB86_1650
; %bb.1645:
	s_cmp_gt_i32 s25, 27
	s_cbranch_scc0 .LBB86_1647
; %bb.1646:
	s_mov_b64 s[10:11], 0
	global_store_dword v[2:3], v0, off
.LBB86_1647:
	s_andn2_b64 vcc, exec, s[10:11]
	s_cbranch_vccnz .LBB86_1649
; %bb.1648:
	global_store_short v[2:3], v0, off
.LBB86_1649:
	s_mov_b64 s[10:11], 0
.LBB86_1650:
	s_andn2_b64 vcc, exec, s[10:11]
	s_cbranch_vccnz .LBB86_1658
; %bb.1651:
	v_xor_b32_e32 v10, v0, v1
	v_ffbh_i32_e32 v9, v1
	v_ashrrev_i32_e32 v10, 31, v10
	v_add_u32_e32 v9, -1, v9
	v_add_u32_e32 v10, 32, v10
	v_min_u32_e32 v11, v9, v10
	v_lshlrev_b64 v[9:10], v11, v[0:1]
	s_mov_b32 s10, 0x43800000
	v_min_u32_e32 v9, 1, v9
	v_or_b32_e32 v9, v10, v9
	v_cvt_f32_i32_e32 v9, v9
	v_sub_u32_e32 v10, 32, v11
	v_mov_b32_e32 v11, 0x80
	v_ldexp_f32 v9, v9, v10
	v_and_b32_e32 v10, 0x7fffffff, v9
	v_cmp_gt_u32_e32 vcc, s10, v10
	s_and_saveexec_b64 s[10:11], vcc
	s_cbranch_execz .LBB86_1657
; %bb.1652:
	s_mov_b32 s16, 0x3bffffff
	v_cmp_lt_u32_e32 vcc, s16, v10
	s_mov_b64 s[16:17], 0
                                        ; implicit-def: $vgpr10
	s_and_saveexec_b64 s[22:23], vcc
	s_xor_b64 s[22:23], exec, s[22:23]
	s_cbranch_execz .LBB86_1992
; %bb.1653:
	v_bfe_u32 v10, v9, 20, 1
	s_mov_b32 s27, 0x487ffff
	v_add3_u32 v10, v9, v10, s27
	s_mov_b64 s[16:17], exec
	v_lshrrev_b32_e32 v10, 20, v10
	s_andn2_saveexec_b64 s[22:23], s[22:23]
	s_cbranch_execnz .LBB86_1993
.LBB86_1654:
	s_or_b64 exec, exec, s[22:23]
	v_mov_b32_e32 v11, 0
	s_and_saveexec_b64 s[22:23], s[16:17]
.LBB86_1655:
	v_lshrrev_b32_e32 v9, 24, v9
	s_movk_i32 s16, 0x80
	v_and_or_b32 v11, v9, s16, v10
.LBB86_1656:
	s_or_b64 exec, exec, s[22:23]
.LBB86_1657:
	s_or_b64 exec, exec, s[10:11]
	global_store_byte v[2:3], v11, off
.LBB86_1658:
	s_mov_b64 s[10:11], -1
.LBB86_1659:
	s_mov_b64 s[16:17], 0
.LBB86_1660:
	s_and_b64 vcc, exec, s[16:17]
	s_cbranch_vccz .LBB86_1700
; %bb.1661:
	s_cmp_gt_i32 s25, 22
	s_mov_b64 s[4:5], -1
	s_cbranch_scc0 .LBB86_1693
; %bb.1662:
	s_cmp_lt_i32 s25, 24
	s_cbranch_scc1 .LBB86_1682
; %bb.1663:
	s_cmp_gt_i32 s25, 24
	s_cbranch_scc0 .LBB86_1671
; %bb.1664:
	v_xor_b32_e32 v10, v0, v1
	v_ffbh_i32_e32 v9, v1
	v_ashrrev_i32_e32 v10, 31, v10
	v_add_u32_e32 v9, -1, v9
	v_add_u32_e32 v10, 32, v10
	v_min_u32_e32 v11, v9, v10
	v_lshlrev_b64 v[9:10], v11, v[0:1]
	s_mov_b32 s4, 0x47800000
	v_min_u32_e32 v9, 1, v9
	v_or_b32_e32 v9, v10, v9
	v_cvt_f32_i32_e32 v9, v9
	v_sub_u32_e32 v10, 32, v11
	v_mov_b32_e32 v11, 0x80
	v_ldexp_f32 v9, v9, v10
	v_and_b32_e32 v10, 0x7fffffff, v9
	v_cmp_gt_u32_e32 vcc, s4, v10
	s_and_saveexec_b64 s[4:5], vcc
	s_cbranch_execz .LBB86_1670
; %bb.1665:
	s_mov_b32 s10, 0x37ffffff
	v_cmp_lt_u32_e32 vcc, s10, v10
	s_mov_b64 s[10:11], 0
                                        ; implicit-def: $vgpr10
	s_and_saveexec_b64 s[16:17], vcc
	s_xor_b64 s[16:17], exec, s[16:17]
	s_cbranch_execz .LBB86_1995
; %bb.1666:
	v_bfe_u32 v10, v9, 21, 1
	s_mov_b32 s22, 0x88fffff
	v_add3_u32 v10, v9, v10, s22
	s_mov_b64 s[10:11], exec
	v_lshrrev_b32_e32 v10, 21, v10
	s_andn2_saveexec_b64 s[16:17], s[16:17]
	s_cbranch_execnz .LBB86_1996
.LBB86_1667:
	s_or_b64 exec, exec, s[16:17]
	v_mov_b32_e32 v11, 0
	s_and_saveexec_b64 s[16:17], s[10:11]
.LBB86_1668:
	v_lshrrev_b32_e32 v9, 24, v9
	s_movk_i32 s10, 0x80
	v_and_or_b32 v11, v9, s10, v10
.LBB86_1669:
	s_or_b64 exec, exec, s[16:17]
.LBB86_1670:
	s_or_b64 exec, exec, s[4:5]
	s_mov_b64 s[4:5], 0
	global_store_byte v[2:3], v11, off
.LBB86_1671:
	s_and_b64 vcc, exec, s[4:5]
	s_cbranch_vccz .LBB86_1681
; %bb.1672:
	v_xor_b32_e32 v10, v0, v1
	v_ffbh_i32_e32 v9, v1
	v_ashrrev_i32_e32 v10, 31, v10
	v_add_u32_e32 v9, -1, v9
	v_add_u32_e32 v10, 32, v10
	v_min_u32_e32 v11, v9, v10
	v_lshlrev_b64 v[9:10], v11, v[0:1]
	s_mov_b32 s4, 0x43f00000
	v_min_u32_e32 v9, 1, v9
	v_or_b32_e32 v9, v10, v9
	v_cvt_f32_i32_e32 v9, v9
	v_sub_u32_e32 v10, 32, v11
	v_ldexp_f32 v9, v9, v10
	v_and_b32_e32 v11, 0x7fffffff, v9
	v_cmp_gt_u32_e32 vcc, s4, v11
                                        ; implicit-def: $vgpr10
	s_and_saveexec_b64 s[4:5], vcc
	s_xor_b64 s[4:5], exec, s[4:5]
	s_cbranch_execz .LBB86_1678
; %bb.1673:
	s_mov_b32 s10, 0x3c7fffff
	v_cmp_lt_u32_e32 vcc, s10, v11
                                        ; implicit-def: $vgpr10
	s_and_saveexec_b64 s[10:11], vcc
	s_xor_b64 s[10:11], exec, s[10:11]
; %bb.1674:
	v_bfe_u32 v10, v9, 20, 1
	s_mov_b32 s16, 0x407ffff
	v_add3_u32 v10, v9, v10, s16
	v_lshrrev_b32_e32 v11, 20, v10
	v_and_b32_e32 v10, 0xff00000, v10
	s_mov_b32 s16, 0x7f00000
	v_mov_b32_e32 v12, 0x7e
	v_cmp_ne_u32_e32 vcc, s16, v10
	v_cndmask_b32_e32 v10, v12, v11, vcc
; %bb.1675:
	s_andn2_saveexec_b64 s[10:11], s[10:11]
; %bb.1676:
	s_mov_b32 s16, 0x46800000
	v_add_f32_e64 v10, |v9|, s16
; %bb.1677:
	s_or_b64 exec, exec, s[10:11]
                                        ; implicit-def: $vgpr11
.LBB86_1678:
	s_andn2_saveexec_b64 s[4:5], s[4:5]
; %bb.1679:
	s_mov_b32 s10, 0x7f800000
	v_mov_b32_e32 v10, 0x7e
	v_mov_b32_e32 v12, 0x7f
	v_cmp_lt_u32_e32 vcc, s10, v11
	v_cndmask_b32_e32 v10, v10, v12, vcc
; %bb.1680:
	s_or_b64 exec, exec, s[4:5]
	v_lshrrev_b32_e32 v9, 24, v9
	s_movk_i32 s4, 0x80
	v_and_or_b32 v9, v9, s4, v10
	global_store_byte v[2:3], v9, off
.LBB86_1681:
	s_mov_b64 s[4:5], 0
.LBB86_1682:
	s_andn2_b64 vcc, exec, s[4:5]
	s_cbranch_vccnz .LBB86_1692
; %bb.1683:
	v_xor_b32_e32 v10, v0, v1
	v_ffbh_i32_e32 v9, v1
	v_ashrrev_i32_e32 v10, 31, v10
	v_add_u32_e32 v9, -1, v9
	v_add_u32_e32 v10, 32, v10
	v_min_u32_e32 v11, v9, v10
	v_lshlrev_b64 v[9:10], v11, v[0:1]
	s_mov_b32 s4, 0x47800000
	v_min_u32_e32 v9, 1, v9
	v_or_b32_e32 v9, v10, v9
	v_cvt_f32_i32_e32 v9, v9
	v_sub_u32_e32 v10, 32, v11
	v_ldexp_f32 v9, v9, v10
	v_and_b32_e32 v11, 0x7fffffff, v9
	v_cmp_gt_u32_e32 vcc, s4, v11
                                        ; implicit-def: $vgpr10
	s_and_saveexec_b64 s[4:5], vcc
	s_xor_b64 s[4:5], exec, s[4:5]
	s_cbranch_execz .LBB86_1689
; %bb.1684:
	s_mov_b32 s10, 0x387fffff
	v_cmp_lt_u32_e32 vcc, s10, v11
                                        ; implicit-def: $vgpr10
	s_and_saveexec_b64 s[10:11], vcc
	s_xor_b64 s[10:11], exec, s[10:11]
; %bb.1685:
	v_bfe_u32 v10, v9, 21, 1
	s_mov_b32 s16, 0x80fffff
	v_add3_u32 v10, v9, v10, s16
	v_lshrrev_b32_e32 v10, 21, v10
; %bb.1686:
	s_andn2_saveexec_b64 s[10:11], s[10:11]
; %bb.1687:
	s_mov_b32 s16, 0x43000000
	v_add_f32_e64 v10, |v9|, s16
; %bb.1688:
	s_or_b64 exec, exec, s[10:11]
                                        ; implicit-def: $vgpr11
.LBB86_1689:
	s_andn2_saveexec_b64 s[4:5], s[4:5]
; %bb.1690:
	s_mov_b32 s10, 0x7f800000
	v_mov_b32_e32 v10, 0x7c
	v_mov_b32_e32 v12, 0x7f
	v_cmp_lt_u32_e32 vcc, s10, v11
	v_cndmask_b32_e32 v10, v10, v12, vcc
; %bb.1691:
	s_or_b64 exec, exec, s[4:5]
	v_lshrrev_b32_e32 v9, 24, v9
	s_movk_i32 s4, 0x80
	v_and_or_b32 v9, v9, s4, v10
	global_store_byte v[2:3], v9, off
.LBB86_1692:
	s_mov_b64 s[4:5], 0
	s_mov_b64 s[10:11], -1
.LBB86_1693:
	s_andn2_b64 vcc, exec, s[4:5]
	s_mov_b64 s[4:5], 0
	s_cbranch_vccnz .LBB86_1700
; %bb.1694:
	s_cmp_gt_i32 s25, 14
	s_mov_b64 s[16:17], -1
	s_cbranch_scc0 .LBB86_1698
; %bb.1695:
	s_cmp_eq_u32 s25, 15
	s_mov_b64 s[0:1], -1
	s_cbranch_scc0 .LBB86_1697
; %bb.1696:
	v_xor_b32_e32 v10, v0, v1
	v_ffbh_i32_e32 v9, v1
	v_ashrrev_i32_e32 v10, 31, v10
	v_add_u32_e32 v9, -1, v9
	v_add_u32_e32 v10, 32, v10
	v_min_u32_e32 v11, v9, v10
	v_lshlrev_b64 v[9:10], v11, v[0:1]
	s_movk_i32 s0, 0x7fff
	v_min_u32_e32 v9, 1, v9
	v_or_b32_e32 v9, v10, v9
	v_cvt_f32_i32_e32 v9, v9
	v_sub_u32_e32 v10, 32, v11
	s_mov_b64 s[10:11], -1
	v_ldexp_f32 v9, v9, v10
	v_bfe_u32 v10, v9, 16, 1
	v_add3_u32 v9, v9, v10, s0
	global_store_short_d16_hi v[2:3], v9, off
	s_mov_b64 s[0:1], 0
.LBB86_1697:
	s_mov_b64 s[16:17], 0
.LBB86_1698:
	s_and_b64 vcc, exec, s[16:17]
	s_cbranch_vccz .LBB86_1700
; %bb.1699:
	s_cmp_lg_u32 s25, 11
	s_mov_b64 s[4:5], -1
	s_cselect_b64 s[0:1], -1, 0
.LBB86_1700:
	s_and_b64 vcc, exec, s[0:1]
	s_cbranch_vccnz .LBB86_1994
; %bb.1701:
	s_andn2_b64 vcc, exec, s[4:5]
	s_cbranch_vccnz .LBB86_1703
.LBB86_1702:
	v_cmp_ne_u64_e32 vcc, 0, v[0:1]
	s_mov_b64 s[10:11], -1
	v_cndmask_b32_e64 v9, 0, 1, vcc
	global_store_byte v[2:3], v9, off
.LBB86_1703:
	s_mov_b64 s[0:1], 0
	s_branch .LBB86_1705
.LBB86_1704:
	s_mov_b64 s[0:1], -1
	s_mov_b64 s[10:11], 0
.LBB86_1705:
	s_and_b64 vcc, exec, s[0:1]
	s_cbranch_vccz .LBB86_1744
; %bb.1706:
	s_and_b32 s4, 0xffff, s26
	s_cmp_lt_i32 s4, 5
	s_mov_b64 s[0:1], -1
	s_cbranch_scc1 .LBB86_1727
; %bb.1707:
	s_cmp_lt_i32 s4, 8
	s_cbranch_scc1 .LBB86_1717
; %bb.1708:
	s_cmp_lt_i32 s4, 9
	s_cbranch_scc1 .LBB86_1714
; %bb.1709:
	s_cmp_gt_i32 s4, 9
	s_cbranch_scc0 .LBB86_1711
; %bb.1710:
	v_cvt_f64_i32_e32 v[9:10], v1
	v_cvt_f64_u32_e32 v[11:12], v0
	s_mov_b64 s[0:1], 0
	v_ldexp_f64 v[9:10], v[9:10], 32
	v_add_f64 v[9:10], v[9:10], v[11:12]
	v_mov_b32_e32 v11, 0
	v_mov_b32_e32 v12, v11
	global_store_dwordx4 v[2:3], v[9:12], off
.LBB86_1711:
	s_andn2_b64 vcc, exec, s[0:1]
	s_cbranch_vccnz .LBB86_1713
; %bb.1712:
	v_xor_b32_e32 v10, v0, v1
	v_ffbh_i32_e32 v9, v1
	v_ashrrev_i32_e32 v10, 31, v10
	v_add_u32_e32 v9, -1, v9
	v_add_u32_e32 v10, 32, v10
	v_min_u32_e32 v11, v9, v10
	v_lshlrev_b64 v[9:10], v11, v[0:1]
	v_min_u32_e32 v9, 1, v9
	v_or_b32_e32 v9, v10, v9
	v_cvt_f32_i32_e32 v9, v9
	v_sub_u32_e32 v10, 32, v11
	v_ldexp_f32 v9, v9, v10
	v_mov_b32_e32 v10, 0
	global_store_dwordx2 v[2:3], v[9:10], off
.LBB86_1713:
	s_mov_b64 s[0:1], 0
.LBB86_1714:
	s_andn2_b64 vcc, exec, s[0:1]
	s_cbranch_vccnz .LBB86_1716
; %bb.1715:
	v_xor_b32_e32 v10, v0, v1
	v_ffbh_i32_e32 v9, v1
	v_ashrrev_i32_e32 v10, 31, v10
	v_add_u32_e32 v9, -1, v9
	v_add_u32_e32 v10, 32, v10
	v_min_u32_e32 v11, v9, v10
	v_lshlrev_b64 v[9:10], v11, v[0:1]
	v_min_u32_e32 v9, 1, v9
	v_or_b32_e32 v9, v10, v9
	v_cvt_f32_i32_e32 v9, v9
	v_sub_u32_e32 v10, 32, v11
	v_ldexp_f32 v9, v9, v10
	v_cvt_f16_f32_e32 v9, v9
	global_store_dword v[2:3], v9, off
.LBB86_1716:
	s_mov_b64 s[0:1], 0
.LBB86_1717:
	s_andn2_b64 vcc, exec, s[0:1]
	s_cbranch_vccnz .LBB86_1726
; %bb.1718:
	s_cmp_lt_i32 s4, 6
	s_mov_b64 s[0:1], -1
	s_cbranch_scc1 .LBB86_1724
; %bb.1719:
	s_cmp_gt_i32 s4, 6
	s_cbranch_scc0 .LBB86_1721
; %bb.1720:
	v_cvt_f64_i32_e32 v[9:10], v1
	v_cvt_f64_u32_e32 v[11:12], v0
	s_mov_b64 s[0:1], 0
	v_ldexp_f64 v[9:10], v[9:10], 32
	v_add_f64 v[9:10], v[9:10], v[11:12]
	global_store_dwordx2 v[2:3], v[9:10], off
.LBB86_1721:
	s_andn2_b64 vcc, exec, s[0:1]
	s_cbranch_vccnz .LBB86_1723
; %bb.1722:
	v_xor_b32_e32 v10, v0, v1
	v_ffbh_i32_e32 v9, v1
	v_ashrrev_i32_e32 v10, 31, v10
	v_add_u32_e32 v9, -1, v9
	v_add_u32_e32 v10, 32, v10
	v_min_u32_e32 v11, v9, v10
	v_lshlrev_b64 v[9:10], v11, v[0:1]
	v_min_u32_e32 v9, 1, v9
	v_or_b32_e32 v9, v10, v9
	v_cvt_f32_i32_e32 v9, v9
	v_sub_u32_e32 v10, 32, v11
	v_ldexp_f32 v9, v9, v10
	global_store_dword v[2:3], v9, off
.LBB86_1723:
	s_mov_b64 s[0:1], 0
.LBB86_1724:
	s_andn2_b64 vcc, exec, s[0:1]
	s_cbranch_vccnz .LBB86_1726
; %bb.1725:
	v_xor_b32_e32 v10, v0, v1
	v_ffbh_i32_e32 v9, v1
	v_ashrrev_i32_e32 v10, 31, v10
	v_add_u32_e32 v9, -1, v9
	v_add_u32_e32 v10, 32, v10
	v_min_u32_e32 v11, v9, v10
	v_lshlrev_b64 v[9:10], v11, v[0:1]
	v_min_u32_e32 v9, 1, v9
	v_or_b32_e32 v9, v10, v9
	v_cvt_f32_i32_e32 v9, v9
	v_sub_u32_e32 v10, 32, v11
	v_ldexp_f32 v9, v9, v10
	v_cvt_f16_f32_e32 v9, v9
	global_store_short v[2:3], v9, off
.LBB86_1726:
	s_mov_b64 s[0:1], 0
.LBB86_1727:
	s_andn2_b64 vcc, exec, s[0:1]
	s_cbranch_vccnz .LBB86_1743
; %bb.1728:
	s_cmp_lt_i32 s4, 2
	s_mov_b64 s[0:1], -1
	s_cbranch_scc1 .LBB86_1738
; %bb.1729:
	s_cmp_lt_i32 s4, 3
	s_cbranch_scc1 .LBB86_1735
; %bb.1730:
	s_cmp_gt_i32 s4, 3
	s_cbranch_scc0 .LBB86_1732
; %bb.1731:
	global_store_dwordx2 v[2:3], v[0:1], off
	s_mov_b64 s[0:1], 0
.LBB86_1732:
	s_andn2_b64 vcc, exec, s[0:1]
	s_cbranch_vccnz .LBB86_1734
; %bb.1733:
	global_store_dword v[2:3], v0, off
.LBB86_1734:
	s_mov_b64 s[0:1], 0
.LBB86_1735:
	s_andn2_b64 vcc, exec, s[0:1]
	s_cbranch_vccnz .LBB86_1737
; %bb.1736:
	global_store_short v[2:3], v0, off
.LBB86_1737:
	s_mov_b64 s[0:1], 0
.LBB86_1738:
	s_andn2_b64 vcc, exec, s[0:1]
	s_cbranch_vccnz .LBB86_1743
; %bb.1739:
	s_cmp_gt_i32 s4, 0
	s_mov_b64 s[0:1], -1
	s_cbranch_scc0 .LBB86_1741
; %bb.1740:
	global_store_byte v[2:3], v0, off
	s_mov_b64 s[0:1], 0
.LBB86_1741:
	s_andn2_b64 vcc, exec, s[0:1]
	s_cbranch_vccnz .LBB86_1743
; %bb.1742:
	global_store_byte v[2:3], v0, off
.LBB86_1743:
	s_mov_b64 s[10:11], -1
.LBB86_1744:
	s_andn2_b64 vcc, exec, s[10:11]
	s_cbranch_vccnz .LBB86_1940
; %bb.1745:
	v_cmp_lt_i64_e32 vcc, s[12:13], v[4:5]
	v_mov_b32_e32 v0, s15
	v_mov_b32_e32 v1, s3
	v_cndmask_b32_e32 v1, v0, v1, vcc
	v_mov_b32_e32 v0, s14
	v_mov_b32_e32 v2, s2
	v_add_u32_e32 v4, s24, v8
	v_cndmask_b32_e32 v0, v0, v2, vcc
	v_ashrrev_i32_e32 v3, 31, v4
	v_mov_b32_e32 v5, s9
	v_add_co_u32_e32 v2, vcc, s8, v4
	s_cmp_lt_i32 s26, 11
	v_addc_co_u32_e32 v3, vcc, v5, v3, vcc
	s_cbranch_scc1 .LBB86_1823
; %bb.1746:
	s_and_b32 s25, 0xffff, s26
	s_mov_b64 s[16:17], -1
	s_mov_b64 s[4:5], 0
	s_cmp_gt_i32 s25, 25
	s_mov_b64 s[10:11], 0
	s_mov_b64 s[0:1], 0
	s_cbranch_scc0 .LBB86_1779
; %bb.1747:
	s_cmp_gt_i32 s25, 28
	s_cbranch_scc0 .LBB86_1762
; %bb.1748:
	s_cmp_gt_i32 s25, 43
	;; [unrolled: 3-line block ×3, first 2 shown]
	s_cbranch_scc0 .LBB86_1752
; %bb.1750:
	s_mov_b64 s[0:1], -1
	s_mov_b64 s[16:17], 0
	s_cmp_eq_u32 s25, 46
	s_cbranch_scc0 .LBB86_1752
; %bb.1751:
	v_xor_b32_e32 v8, v0, v1
	v_ffbh_i32_e32 v5, v1
	v_ashrrev_i32_e32 v8, 31, v8
	v_add_u32_e32 v5, -1, v5
	v_add_u32_e32 v8, 32, v8
	v_min_u32_e32 v5, v5, v8
	v_lshlrev_b64 v[8:9], v5, v[0:1]
	v_sub_u32_e32 v5, 32, v5
	v_min_u32_e32 v8, 1, v8
	v_or_b32_e32 v8, v9, v8
	v_cvt_f32_i32_e32 v8, v8
	s_movk_i32 s0, 0x7fff
	s_mov_b64 s[10:11], -1
	v_ldexp_f32 v5, v8, v5
	v_bfe_u32 v8, v5, 16, 1
	v_add3_u32 v5, v5, v8, s0
	v_lshrrev_b32_e32 v5, 16, v5
	global_store_dword v[2:3], v5, off
	s_mov_b64 s[0:1], 0
.LBB86_1752:
	s_and_b64 vcc, exec, s[16:17]
	s_cbranch_vccz .LBB86_1757
; %bb.1753:
	s_cmp_eq_u32 s25, 44
	s_mov_b64 s[0:1], -1
	s_cbranch_scc0 .LBB86_1757
; %bb.1754:
	v_xor_b32_e32 v8, v0, v1
	v_ffbh_i32_e32 v5, v1
	v_ashrrev_i32_e32 v8, 31, v8
	v_add_u32_e32 v5, -1, v5
	v_add_u32_e32 v8, 32, v8
	v_min_u32_e32 v5, v5, v8
	v_lshlrev_b64 v[8:9], v5, v[0:1]
	v_sub_u32_e32 v5, 32, v5
	v_min_u32_e32 v8, 1, v8
	v_or_b32_e32 v8, v9, v8
	v_cvt_f32_i32_e32 v8, v8
	s_movk_i32 s0, 0xff
	v_mov_b32_e32 v9, 0xff
	v_ldexp_f32 v5, v8, v5
	v_bfe_u32 v8, v5, 23, 8
	v_cmp_ne_u32_e32 vcc, s0, v8
	s_and_saveexec_b64 s[10:11], vcc
; %bb.1755:
	s_mov_b32 s0, 0x3fffff
	v_lshrrev_b32_e32 v9, 23, v5
	v_and_b32_e32 v10, 0x400000, v5
	v_and_or_b32 v5, v5, s0, v8
	v_cmp_ne_u32_e32 vcc, 0, v10
	v_cmp_ne_u32_e64 s[0:1], 0, v5
	s_and_b64 s[0:1], vcc, s[0:1]
	v_cndmask_b32_e64 v5, 0, 1, s[0:1]
	v_add_u32_e32 v9, v9, v5
; %bb.1756:
	s_or_b64 exec, exec, s[10:11]
	s_mov_b64 s[0:1], 0
	s_mov_b64 s[10:11], -1
	global_store_byte v[2:3], v9, off
.LBB86_1757:
	s_mov_b64 s[16:17], 0
.LBB86_1758:
	s_and_b64 vcc, exec, s[16:17]
	s_cbranch_vccz .LBB86_1761
; %bb.1759:
	s_cmp_eq_u32 s25, 29
	s_mov_b64 s[0:1], -1
	s_cbranch_scc0 .LBB86_1761
; %bb.1760:
	global_store_dwordx2 v[2:3], v[0:1], off
	s_mov_b64 s[0:1], 0
	s_mov_b64 s[10:11], -1
.LBB86_1761:
	s_mov_b64 s[16:17], 0
.LBB86_1762:
	s_and_b64 vcc, exec, s[16:17]
	s_cbranch_vccz .LBB86_1778
; %bb.1763:
	s_cmp_lt_i32 s25, 27
	s_mov_b64 s[10:11], -1
	s_cbranch_scc1 .LBB86_1769
; %bb.1764:
	s_cmp_gt_i32 s25, 27
	s_cbranch_scc0 .LBB86_1766
; %bb.1765:
	s_mov_b64 s[10:11], 0
	global_store_dword v[2:3], v0, off
.LBB86_1766:
	s_andn2_b64 vcc, exec, s[10:11]
	s_cbranch_vccnz .LBB86_1768
; %bb.1767:
	global_store_short v[2:3], v0, off
.LBB86_1768:
	s_mov_b64 s[10:11], 0
.LBB86_1769:
	s_andn2_b64 vcc, exec, s[10:11]
	s_cbranch_vccnz .LBB86_1777
; %bb.1770:
	v_xor_b32_e32 v8, v0, v1
	v_ffbh_i32_e32 v5, v1
	v_ashrrev_i32_e32 v8, 31, v8
	v_add_u32_e32 v5, -1, v5
	v_add_u32_e32 v8, 32, v8
	v_min_u32_e32 v5, v5, v8
	v_lshlrev_b64 v[8:9], v5, v[0:1]
	v_sub_u32_e32 v5, 32, v5
	v_min_u32_e32 v8, 1, v8
	v_or_b32_e32 v8, v9, v8
	v_cvt_f32_i32_e32 v8, v8
	s_mov_b32 s10, 0x43800000
	v_mov_b32_e32 v9, 0x80
	v_ldexp_f32 v5, v8, v5
	v_and_b32_e32 v8, 0x7fffffff, v5
	v_cmp_gt_u32_e32 vcc, s10, v8
	s_and_saveexec_b64 s[10:11], vcc
	s_cbranch_execz .LBB86_1776
; %bb.1771:
	s_mov_b32 s16, 0x3bffffff
	v_cmp_lt_u32_e32 vcc, s16, v8
	s_mov_b64 s[16:17], 0
                                        ; implicit-def: $vgpr8
	s_and_saveexec_b64 s[22:23], vcc
	s_xor_b64 s[22:23], exec, s[22:23]
	s_cbranch_execz .LBB86_1997
; %bb.1772:
	v_bfe_u32 v8, v5, 20, 1
	s_mov_b32 s27, 0x487ffff
	v_add3_u32 v8, v5, v8, s27
	s_mov_b64 s[16:17], exec
	v_lshrrev_b32_e32 v8, 20, v8
	s_andn2_saveexec_b64 s[22:23], s[22:23]
	s_cbranch_execnz .LBB86_1998
.LBB86_1773:
	s_or_b64 exec, exec, s[22:23]
	v_mov_b32_e32 v9, 0
	s_and_saveexec_b64 s[22:23], s[16:17]
.LBB86_1774:
	v_lshrrev_b32_e32 v5, 24, v5
	s_movk_i32 s16, 0x80
	v_and_or_b32 v9, v5, s16, v8
.LBB86_1775:
	s_or_b64 exec, exec, s[22:23]
.LBB86_1776:
	s_or_b64 exec, exec, s[10:11]
	global_store_byte v[2:3], v9, off
.LBB86_1777:
	s_mov_b64 s[10:11], -1
.LBB86_1778:
	s_mov_b64 s[16:17], 0
.LBB86_1779:
	s_and_b64 vcc, exec, s[16:17]
	s_cbranch_vccz .LBB86_1819
; %bb.1780:
	s_cmp_gt_i32 s25, 22
	s_mov_b64 s[4:5], -1
	s_cbranch_scc0 .LBB86_1812
; %bb.1781:
	s_cmp_lt_i32 s25, 24
	s_cbranch_scc1 .LBB86_1801
; %bb.1782:
	s_cmp_gt_i32 s25, 24
	s_cbranch_scc0 .LBB86_1790
; %bb.1783:
	v_xor_b32_e32 v8, v0, v1
	v_ffbh_i32_e32 v5, v1
	v_ashrrev_i32_e32 v8, 31, v8
	v_add_u32_e32 v5, -1, v5
	v_add_u32_e32 v8, 32, v8
	v_min_u32_e32 v5, v5, v8
	v_lshlrev_b64 v[8:9], v5, v[0:1]
	v_sub_u32_e32 v5, 32, v5
	v_min_u32_e32 v8, 1, v8
	v_or_b32_e32 v8, v9, v8
	v_cvt_f32_i32_e32 v8, v8
	s_mov_b32 s4, 0x47800000
	v_mov_b32_e32 v9, 0x80
	v_ldexp_f32 v5, v8, v5
	v_and_b32_e32 v8, 0x7fffffff, v5
	v_cmp_gt_u32_e32 vcc, s4, v8
	s_and_saveexec_b64 s[4:5], vcc
	s_cbranch_execz .LBB86_1789
; %bb.1784:
	s_mov_b32 s10, 0x37ffffff
	v_cmp_lt_u32_e32 vcc, s10, v8
	s_mov_b64 s[10:11], 0
                                        ; implicit-def: $vgpr8
	s_and_saveexec_b64 s[16:17], vcc
	s_xor_b64 s[16:17], exec, s[16:17]
	s_cbranch_execz .LBB86_2000
; %bb.1785:
	v_bfe_u32 v8, v5, 21, 1
	s_mov_b32 s22, 0x88fffff
	v_add3_u32 v8, v5, v8, s22
	s_mov_b64 s[10:11], exec
	v_lshrrev_b32_e32 v8, 21, v8
	s_andn2_saveexec_b64 s[16:17], s[16:17]
	s_cbranch_execnz .LBB86_2001
.LBB86_1786:
	s_or_b64 exec, exec, s[16:17]
	v_mov_b32_e32 v9, 0
	s_and_saveexec_b64 s[16:17], s[10:11]
.LBB86_1787:
	v_lshrrev_b32_e32 v5, 24, v5
	s_movk_i32 s10, 0x80
	v_and_or_b32 v9, v5, s10, v8
.LBB86_1788:
	s_or_b64 exec, exec, s[16:17]
.LBB86_1789:
	s_or_b64 exec, exec, s[4:5]
	s_mov_b64 s[4:5], 0
	global_store_byte v[2:3], v9, off
.LBB86_1790:
	s_and_b64 vcc, exec, s[4:5]
	s_cbranch_vccz .LBB86_1800
; %bb.1791:
	v_xor_b32_e32 v8, v0, v1
	v_ffbh_i32_e32 v5, v1
	v_ashrrev_i32_e32 v8, 31, v8
	v_add_u32_e32 v5, -1, v5
	v_add_u32_e32 v8, 32, v8
	v_min_u32_e32 v5, v5, v8
	v_lshlrev_b64 v[8:9], v5, v[0:1]
	v_sub_u32_e32 v5, 32, v5
	v_min_u32_e32 v8, 1, v8
	v_or_b32_e32 v8, v9, v8
	v_cvt_f32_i32_e32 v8, v8
	s_mov_b32 s4, 0x43f00000
	v_ldexp_f32 v5, v8, v5
	v_and_b32_e32 v9, 0x7fffffff, v5
	v_cmp_gt_u32_e32 vcc, s4, v9
                                        ; implicit-def: $vgpr8
	s_and_saveexec_b64 s[4:5], vcc
	s_xor_b64 s[4:5], exec, s[4:5]
	s_cbranch_execz .LBB86_1797
; %bb.1792:
	s_mov_b32 s10, 0x3c7fffff
	v_cmp_lt_u32_e32 vcc, s10, v9
                                        ; implicit-def: $vgpr8
	s_and_saveexec_b64 s[10:11], vcc
	s_xor_b64 s[10:11], exec, s[10:11]
; %bb.1793:
	v_bfe_u32 v8, v5, 20, 1
	s_mov_b32 s16, 0x407ffff
	v_add3_u32 v8, v5, v8, s16
	v_lshrrev_b32_e32 v9, 20, v8
	v_and_b32_e32 v8, 0xff00000, v8
	s_mov_b32 s16, 0x7f00000
	v_mov_b32_e32 v10, 0x7e
	v_cmp_ne_u32_e32 vcc, s16, v8
	v_cndmask_b32_e32 v8, v10, v9, vcc
; %bb.1794:
	s_andn2_saveexec_b64 s[10:11], s[10:11]
; %bb.1795:
	s_mov_b32 s16, 0x46800000
	v_add_f32_e64 v8, |v5|, s16
; %bb.1796:
	s_or_b64 exec, exec, s[10:11]
                                        ; implicit-def: $vgpr9
.LBB86_1797:
	s_andn2_saveexec_b64 s[4:5], s[4:5]
; %bb.1798:
	s_mov_b32 s10, 0x7f800000
	v_mov_b32_e32 v8, 0x7e
	v_mov_b32_e32 v10, 0x7f
	v_cmp_lt_u32_e32 vcc, s10, v9
	v_cndmask_b32_e32 v8, v8, v10, vcc
; %bb.1799:
	s_or_b64 exec, exec, s[4:5]
	v_lshrrev_b32_e32 v5, 24, v5
	s_movk_i32 s4, 0x80
	v_and_or_b32 v5, v5, s4, v8
	global_store_byte v[2:3], v5, off
.LBB86_1800:
	s_mov_b64 s[4:5], 0
.LBB86_1801:
	s_andn2_b64 vcc, exec, s[4:5]
	s_cbranch_vccnz .LBB86_1811
; %bb.1802:
	v_xor_b32_e32 v8, v0, v1
	v_ffbh_i32_e32 v5, v1
	v_ashrrev_i32_e32 v8, 31, v8
	v_add_u32_e32 v5, -1, v5
	v_add_u32_e32 v8, 32, v8
	v_min_u32_e32 v5, v5, v8
	v_lshlrev_b64 v[8:9], v5, v[0:1]
	v_sub_u32_e32 v5, 32, v5
	v_min_u32_e32 v8, 1, v8
	v_or_b32_e32 v8, v9, v8
	v_cvt_f32_i32_e32 v8, v8
	s_mov_b32 s4, 0x47800000
	v_ldexp_f32 v5, v8, v5
	v_and_b32_e32 v9, 0x7fffffff, v5
	v_cmp_gt_u32_e32 vcc, s4, v9
                                        ; implicit-def: $vgpr8
	s_and_saveexec_b64 s[4:5], vcc
	s_xor_b64 s[4:5], exec, s[4:5]
	s_cbranch_execz .LBB86_1808
; %bb.1803:
	s_mov_b32 s10, 0x387fffff
	v_cmp_lt_u32_e32 vcc, s10, v9
                                        ; implicit-def: $vgpr8
	s_and_saveexec_b64 s[10:11], vcc
	s_xor_b64 s[10:11], exec, s[10:11]
; %bb.1804:
	v_bfe_u32 v8, v5, 21, 1
	s_mov_b32 s16, 0x80fffff
	v_add3_u32 v8, v5, v8, s16
	v_lshrrev_b32_e32 v8, 21, v8
; %bb.1805:
	s_andn2_saveexec_b64 s[10:11], s[10:11]
; %bb.1806:
	s_mov_b32 s16, 0x43000000
	v_add_f32_e64 v8, |v5|, s16
; %bb.1807:
	s_or_b64 exec, exec, s[10:11]
                                        ; implicit-def: $vgpr9
.LBB86_1808:
	s_andn2_saveexec_b64 s[4:5], s[4:5]
; %bb.1809:
	s_mov_b32 s10, 0x7f800000
	v_mov_b32_e32 v8, 0x7c
	v_mov_b32_e32 v10, 0x7f
	v_cmp_lt_u32_e32 vcc, s10, v9
	v_cndmask_b32_e32 v8, v8, v10, vcc
; %bb.1810:
	s_or_b64 exec, exec, s[4:5]
	v_lshrrev_b32_e32 v5, 24, v5
	s_movk_i32 s4, 0x80
	v_and_or_b32 v5, v5, s4, v8
	global_store_byte v[2:3], v5, off
.LBB86_1811:
	s_mov_b64 s[4:5], 0
	s_mov_b64 s[10:11], -1
.LBB86_1812:
	s_andn2_b64 vcc, exec, s[4:5]
	s_mov_b64 s[4:5], 0
	s_cbranch_vccnz .LBB86_1819
; %bb.1813:
	s_cmp_gt_i32 s25, 14
	s_mov_b64 s[16:17], -1
	s_cbranch_scc0 .LBB86_1817
; %bb.1814:
	s_cmp_eq_u32 s25, 15
	s_mov_b64 s[0:1], -1
	s_cbranch_scc0 .LBB86_1816
; %bb.1815:
	v_xor_b32_e32 v8, v0, v1
	v_ffbh_i32_e32 v5, v1
	v_ashrrev_i32_e32 v8, 31, v8
	v_add_u32_e32 v5, -1, v5
	v_add_u32_e32 v8, 32, v8
	v_min_u32_e32 v5, v5, v8
	v_lshlrev_b64 v[8:9], v5, v[0:1]
	v_sub_u32_e32 v5, 32, v5
	v_min_u32_e32 v8, 1, v8
	v_or_b32_e32 v8, v9, v8
	v_cvt_f32_i32_e32 v8, v8
	s_movk_i32 s0, 0x7fff
	s_mov_b64 s[10:11], -1
	v_ldexp_f32 v5, v8, v5
	v_bfe_u32 v8, v5, 16, 1
	v_add3_u32 v5, v5, v8, s0
	global_store_short_d16_hi v[2:3], v5, off
	s_mov_b64 s[0:1], 0
.LBB86_1816:
	s_mov_b64 s[16:17], 0
.LBB86_1817:
	s_and_b64 vcc, exec, s[16:17]
	s_cbranch_vccz .LBB86_1819
; %bb.1818:
	s_cmp_lg_u32 s25, 11
	s_mov_b64 s[4:5], -1
	s_cselect_b64 s[0:1], -1, 0
.LBB86_1819:
	s_and_b64 vcc, exec, s[0:1]
	s_cbranch_vccnz .LBB86_1999
; %bb.1820:
	s_andn2_b64 vcc, exec, s[4:5]
	s_cbranch_vccnz .LBB86_1822
.LBB86_1821:
	v_cmp_ne_u64_e32 vcc, 0, v[0:1]
	s_mov_b64 s[10:11], -1
	v_cndmask_b32_e64 v5, 0, 1, vcc
	global_store_byte v[2:3], v5, off
.LBB86_1822:
	s_mov_b64 s[0:1], 0
	s_branch .LBB86_1824
.LBB86_1823:
	s_mov_b64 s[0:1], -1
	s_mov_b64 s[10:11], 0
.LBB86_1824:
	s_and_b64 vcc, exec, s[0:1]
	s_cbranch_vccz .LBB86_1863
; %bb.1825:
	s_and_b32 s4, 0xffff, s26
	s_cmp_lt_i32 s4, 5
	s_mov_b64 s[0:1], -1
	s_cbranch_scc1 .LBB86_1846
; %bb.1826:
	s_cmp_lt_i32 s4, 8
	s_cbranch_scc1 .LBB86_1836
; %bb.1827:
	s_cmp_lt_i32 s4, 9
	s_cbranch_scc1 .LBB86_1833
; %bb.1828:
	s_cmp_gt_i32 s4, 9
	s_cbranch_scc0 .LBB86_1830
; %bb.1829:
	v_cvt_f64_i32_e32 v[8:9], v1
	v_cvt_f64_u32_e32 v[10:11], v0
	s_mov_b64 s[0:1], 0
	v_ldexp_f64 v[8:9], v[8:9], 32
	v_add_f64 v[8:9], v[8:9], v[10:11]
	v_mov_b32_e32 v10, 0
	v_mov_b32_e32 v11, v10
	global_store_dwordx4 v[2:3], v[8:11], off
.LBB86_1830:
	s_andn2_b64 vcc, exec, s[0:1]
	s_cbranch_vccnz .LBB86_1832
; %bb.1831:
	v_xor_b32_e32 v8, v0, v1
	v_ffbh_i32_e32 v5, v1
	v_ashrrev_i32_e32 v8, 31, v8
	v_add_u32_e32 v5, -1, v5
	v_add_u32_e32 v8, 32, v8
	v_min_u32_e32 v5, v5, v8
	v_lshlrev_b64 v[8:9], v5, v[0:1]
	v_sub_u32_e32 v5, 32, v5
	v_min_u32_e32 v8, 1, v8
	v_or_b32_e32 v8, v9, v8
	v_cvt_f32_i32_e32 v8, v8
	v_mov_b32_e32 v9, 0
	v_ldexp_f32 v8, v8, v5
	global_store_dwordx2 v[2:3], v[8:9], off
.LBB86_1832:
	s_mov_b64 s[0:1], 0
.LBB86_1833:
	s_andn2_b64 vcc, exec, s[0:1]
	s_cbranch_vccnz .LBB86_1835
; %bb.1834:
	v_xor_b32_e32 v8, v0, v1
	v_ffbh_i32_e32 v5, v1
	v_ashrrev_i32_e32 v8, 31, v8
	v_add_u32_e32 v5, -1, v5
	v_add_u32_e32 v8, 32, v8
	v_min_u32_e32 v5, v5, v8
	v_lshlrev_b64 v[8:9], v5, v[0:1]
	v_sub_u32_e32 v5, 32, v5
	v_min_u32_e32 v8, 1, v8
	v_or_b32_e32 v8, v9, v8
	v_cvt_f32_i32_e32 v8, v8
	v_ldexp_f32 v5, v8, v5
	v_cvt_f16_f32_e32 v5, v5
	global_store_dword v[2:3], v5, off
.LBB86_1835:
	s_mov_b64 s[0:1], 0
.LBB86_1836:
	s_andn2_b64 vcc, exec, s[0:1]
	s_cbranch_vccnz .LBB86_1845
; %bb.1837:
	s_cmp_lt_i32 s4, 6
	s_mov_b64 s[0:1], -1
	s_cbranch_scc1 .LBB86_1843
; %bb.1838:
	s_cmp_gt_i32 s4, 6
	s_cbranch_scc0 .LBB86_1840
; %bb.1839:
	v_cvt_f64_i32_e32 v[8:9], v1
	v_cvt_f64_u32_e32 v[10:11], v0
	s_mov_b64 s[0:1], 0
	v_ldexp_f64 v[8:9], v[8:9], 32
	v_add_f64 v[8:9], v[8:9], v[10:11]
	global_store_dwordx2 v[2:3], v[8:9], off
.LBB86_1840:
	s_andn2_b64 vcc, exec, s[0:1]
	s_cbranch_vccnz .LBB86_1842
; %bb.1841:
	v_xor_b32_e32 v8, v0, v1
	v_ffbh_i32_e32 v5, v1
	v_ashrrev_i32_e32 v8, 31, v8
	v_add_u32_e32 v5, -1, v5
	v_add_u32_e32 v8, 32, v8
	v_min_u32_e32 v5, v5, v8
	v_lshlrev_b64 v[8:9], v5, v[0:1]
	v_sub_u32_e32 v5, 32, v5
	v_min_u32_e32 v8, 1, v8
	v_or_b32_e32 v8, v9, v8
	v_cvt_f32_i32_e32 v8, v8
	v_ldexp_f32 v5, v8, v5
	global_store_dword v[2:3], v5, off
.LBB86_1842:
	s_mov_b64 s[0:1], 0
.LBB86_1843:
	s_andn2_b64 vcc, exec, s[0:1]
	s_cbranch_vccnz .LBB86_1845
; %bb.1844:
	v_xor_b32_e32 v8, v0, v1
	v_ffbh_i32_e32 v5, v1
	v_ashrrev_i32_e32 v8, 31, v8
	v_add_u32_e32 v5, -1, v5
	v_add_u32_e32 v8, 32, v8
	v_min_u32_e32 v5, v5, v8
	v_lshlrev_b64 v[8:9], v5, v[0:1]
	v_sub_u32_e32 v5, 32, v5
	v_min_u32_e32 v8, 1, v8
	v_or_b32_e32 v8, v9, v8
	v_cvt_f32_i32_e32 v8, v8
	v_ldexp_f32 v5, v8, v5
	v_cvt_f16_f32_e32 v5, v5
	global_store_short v[2:3], v5, off
.LBB86_1845:
	s_mov_b64 s[0:1], 0
.LBB86_1846:
	s_andn2_b64 vcc, exec, s[0:1]
	s_cbranch_vccnz .LBB86_1862
; %bb.1847:
	s_cmp_lt_i32 s4, 2
	s_mov_b64 s[0:1], -1
	s_cbranch_scc1 .LBB86_1857
; %bb.1848:
	s_cmp_lt_i32 s4, 3
	s_cbranch_scc1 .LBB86_1854
; %bb.1849:
	s_cmp_gt_i32 s4, 3
	s_cbranch_scc0 .LBB86_1851
; %bb.1850:
	global_store_dwordx2 v[2:3], v[0:1], off
	s_mov_b64 s[0:1], 0
.LBB86_1851:
	s_andn2_b64 vcc, exec, s[0:1]
	s_cbranch_vccnz .LBB86_1853
; %bb.1852:
	global_store_dword v[2:3], v0, off
.LBB86_1853:
	s_mov_b64 s[0:1], 0
.LBB86_1854:
	s_andn2_b64 vcc, exec, s[0:1]
	s_cbranch_vccnz .LBB86_1856
; %bb.1855:
	global_store_short v[2:3], v0, off
.LBB86_1856:
	s_mov_b64 s[0:1], 0
.LBB86_1857:
	s_andn2_b64 vcc, exec, s[0:1]
	s_cbranch_vccnz .LBB86_1862
; %bb.1858:
	s_cmp_gt_i32 s4, 0
	s_mov_b64 s[0:1], -1
	s_cbranch_scc0 .LBB86_1860
; %bb.1859:
	global_store_byte v[2:3], v0, off
	s_mov_b64 s[0:1], 0
.LBB86_1860:
	s_andn2_b64 vcc, exec, s[0:1]
	s_cbranch_vccnz .LBB86_1862
; %bb.1861:
	global_store_byte v[2:3], v0, off
.LBB86_1862:
	s_mov_b64 s[10:11], -1
.LBB86_1863:
	s_andn2_b64 vcc, exec, s[10:11]
	s_cbranch_vccnz .LBB86_1940
; %bb.1864:
	v_cmp_lt_i64_e32 vcc, s[12:13], v[6:7]
	v_mov_b32_e32 v0, s15
	v_mov_b32_e32 v1, s3
	v_cndmask_b32_e32 v1, v0, v1, vcc
	v_mov_b32_e32 v0, s14
	v_mov_b32_e32 v2, s2
	v_cndmask_b32_e32 v0, v0, v2, vcc
	v_add_u32_e32 v2, s24, v4
	v_ashrrev_i32_e32 v3, 31, v2
	v_mov_b32_e32 v4, s9
	v_add_co_u32_e32 v2, vcc, s8, v2
	s_cmp_lt_i32 s26, 11
	v_addc_co_u32_e32 v3, vcc, v4, v3, vcc
	s_cbranch_scc1 .LBB86_1985
; %bb.1865:
	s_and_b32 s12, 0xffff, s26
	s_mov_b64 s[4:5], -1
	s_mov_b64 s[2:3], 0
	s_cmp_gt_i32 s12, 25
	s_mov_b64 s[0:1], 0
	s_cbranch_scc0 .LBB86_1898
; %bb.1866:
	s_cmp_gt_i32 s12, 28
	s_cbranch_scc0 .LBB86_1882
; %bb.1867:
	s_cmp_gt_i32 s12, 43
	;; [unrolled: 3-line block ×3, first 2 shown]
	s_cbranch_scc0 .LBB86_1872
; %bb.1869:
	s_cmp_eq_u32 s12, 46
	s_mov_b64 s[0:1], -1
	s_cbranch_scc0 .LBB86_1871
; %bb.1870:
	v_xor_b32_e32 v5, v0, v1
	v_ffbh_i32_e32 v4, v1
	v_ashrrev_i32_e32 v5, 31, v5
	v_add_u32_e32 v4, -1, v4
	v_add_u32_e32 v5, 32, v5
	v_min_u32_e32 v6, v4, v5
	v_lshlrev_b64 v[4:5], v6, v[0:1]
	s_movk_i32 s0, 0x7fff
	v_min_u32_e32 v4, 1, v4
	v_or_b32_e32 v4, v5, v4
	v_cvt_f32_i32_e32 v4, v4
	v_sub_u32_e32 v5, 32, v6
	v_ldexp_f32 v4, v4, v5
	v_bfe_u32 v5, v4, 16, 1
	v_add3_u32 v4, v4, v5, s0
	v_lshrrev_b32_e32 v4, 16, v4
	global_store_dword v[2:3], v4, off
	s_mov_b64 s[0:1], 0
.LBB86_1871:
	s_mov_b64 s[4:5], 0
.LBB86_1872:
	s_and_b64 vcc, exec, s[4:5]
	s_cbranch_vccz .LBB86_1877
; %bb.1873:
	s_cmp_eq_u32 s12, 44
	s_mov_b64 s[0:1], -1
	s_cbranch_scc0 .LBB86_1877
; %bb.1874:
	v_xor_b32_e32 v5, v0, v1
	v_ffbh_i32_e32 v4, v1
	v_ashrrev_i32_e32 v5, 31, v5
	v_add_u32_e32 v4, -1, v4
	v_add_u32_e32 v5, 32, v5
	v_min_u32_e32 v6, v4, v5
	v_lshlrev_b64 v[4:5], v6, v[0:1]
	s_movk_i32 s0, 0xff
	v_min_u32_e32 v4, 1, v4
	v_or_b32_e32 v4, v5, v4
	v_cvt_f32_i32_e32 v4, v4
	v_sub_u32_e32 v5, 32, v6
	v_mov_b32_e32 v6, 0xff
	v_ldexp_f32 v4, v4, v5
	v_bfe_u32 v5, v4, 23, 8
	v_cmp_ne_u32_e32 vcc, s0, v5
	s_and_saveexec_b64 s[4:5], vcc
; %bb.1875:
	s_mov_b32 s0, 0x3fffff
	v_lshrrev_b32_e32 v6, 23, v4
	v_and_b32_e32 v7, 0x400000, v4
	v_and_or_b32 v4, v4, s0, v5
	v_cmp_ne_u32_e32 vcc, 0, v7
	v_cmp_ne_u32_e64 s[0:1], 0, v4
	s_and_b64 s[0:1], vcc, s[0:1]
	v_cndmask_b32_e64 v4, 0, 1, s[0:1]
	v_add_u32_e32 v6, v6, v4
; %bb.1876:
	s_or_b64 exec, exec, s[4:5]
	s_mov_b64 s[0:1], 0
	global_store_byte v[2:3], v6, off
.LBB86_1877:
	s_mov_b64 s[4:5], 0
.LBB86_1878:
	s_and_b64 vcc, exec, s[4:5]
	s_cbranch_vccz .LBB86_1881
; %bb.1879:
	s_cmp_eq_u32 s12, 29
	s_mov_b64 s[0:1], -1
	s_cbranch_scc0 .LBB86_1881
; %bb.1880:
	global_store_dwordx2 v[2:3], v[0:1], off
	s_mov_b64 s[0:1], 0
.LBB86_1881:
	s_mov_b64 s[4:5], 0
.LBB86_1882:
	s_and_b64 vcc, exec, s[4:5]
	s_cbranch_vccz .LBB86_1897
; %bb.1883:
	s_cmp_lt_i32 s12, 27
	s_mov_b64 s[4:5], -1
	s_cbranch_scc1 .LBB86_1889
; %bb.1884:
	s_cmp_gt_i32 s12, 27
	s_cbranch_scc0 .LBB86_1886
; %bb.1885:
	global_store_dword v[2:3], v0, off
	s_mov_b64 s[4:5], 0
.LBB86_1886:
	s_andn2_b64 vcc, exec, s[4:5]
	s_cbranch_vccnz .LBB86_1888
; %bb.1887:
	global_store_short v[2:3], v0, off
.LBB86_1888:
	s_mov_b64 s[4:5], 0
.LBB86_1889:
	s_andn2_b64 vcc, exec, s[4:5]
	s_cbranch_vccnz .LBB86_1897
; %bb.1890:
	v_xor_b32_e32 v5, v0, v1
	v_ffbh_i32_e32 v4, v1
	v_ashrrev_i32_e32 v5, 31, v5
	v_add_u32_e32 v4, -1, v4
	v_add_u32_e32 v5, 32, v5
	v_min_u32_e32 v6, v4, v5
	v_lshlrev_b64 v[4:5], v6, v[0:1]
	s_mov_b32 s4, 0x43800000
	v_min_u32_e32 v4, 1, v4
	v_or_b32_e32 v4, v5, v4
	v_cvt_f32_i32_e32 v4, v4
	v_sub_u32_e32 v5, 32, v6
	v_mov_b32_e32 v6, 0x80
	v_ldexp_f32 v4, v4, v5
	v_and_b32_e32 v5, 0x7fffffff, v4
	v_cmp_gt_u32_e32 vcc, s4, v5
	s_and_saveexec_b64 s[4:5], vcc
	s_cbranch_execz .LBB86_1896
; %bb.1891:
	s_mov_b32 s8, 0x3bffffff
	v_cmp_lt_u32_e32 vcc, s8, v5
	s_mov_b64 s[8:9], 0
                                        ; implicit-def: $vgpr5
	s_and_saveexec_b64 s[10:11], vcc
	s_xor_b64 s[10:11], exec, s[10:11]
	s_cbranch_execz .LBB86_2002
; %bb.1892:
	v_bfe_u32 v5, v4, 20, 1
	s_mov_b32 s13, 0x487ffff
	v_add3_u32 v5, v4, v5, s13
	s_mov_b64 s[8:9], exec
	v_lshrrev_b32_e32 v5, 20, v5
	s_andn2_saveexec_b64 s[10:11], s[10:11]
	s_cbranch_execnz .LBB86_2003
.LBB86_1893:
	s_or_b64 exec, exec, s[10:11]
	v_mov_b32_e32 v6, 0
	s_and_saveexec_b64 s[10:11], s[8:9]
.LBB86_1894:
	v_lshrrev_b32_e32 v4, 24, v4
	s_movk_i32 s8, 0x80
	v_and_or_b32 v6, v4, s8, v5
.LBB86_1895:
	s_or_b64 exec, exec, s[10:11]
.LBB86_1896:
	s_or_b64 exec, exec, s[4:5]
	global_store_byte v[2:3], v6, off
.LBB86_1897:
	s_mov_b64 s[4:5], 0
.LBB86_1898:
	s_and_b64 vcc, exec, s[4:5]
	s_cbranch_vccz .LBB86_1938
; %bb.1899:
	s_cmp_gt_i32 s12, 22
	s_mov_b64 s[2:3], -1
	s_cbranch_scc0 .LBB86_1931
; %bb.1900:
	s_cmp_lt_i32 s12, 24
	s_cbranch_scc1 .LBB86_1920
; %bb.1901:
	s_cmp_gt_i32 s12, 24
	s_cbranch_scc0 .LBB86_1909
; %bb.1902:
	v_xor_b32_e32 v5, v0, v1
	v_ffbh_i32_e32 v4, v1
	v_ashrrev_i32_e32 v5, 31, v5
	v_add_u32_e32 v4, -1, v4
	v_add_u32_e32 v5, 32, v5
	v_min_u32_e32 v6, v4, v5
	v_lshlrev_b64 v[4:5], v6, v[0:1]
	s_mov_b32 s2, 0x47800000
	v_min_u32_e32 v4, 1, v4
	v_or_b32_e32 v4, v5, v4
	v_cvt_f32_i32_e32 v4, v4
	v_sub_u32_e32 v5, 32, v6
	v_mov_b32_e32 v6, 0x80
	v_ldexp_f32 v4, v4, v5
	v_and_b32_e32 v5, 0x7fffffff, v4
	v_cmp_gt_u32_e32 vcc, s2, v5
	s_and_saveexec_b64 s[2:3], vcc
	s_cbranch_execz .LBB86_1908
; %bb.1903:
	s_mov_b32 s4, 0x37ffffff
	v_cmp_lt_u32_e32 vcc, s4, v5
	s_mov_b64 s[4:5], 0
                                        ; implicit-def: $vgpr5
	s_and_saveexec_b64 s[8:9], vcc
	s_xor_b64 s[8:9], exec, s[8:9]
	s_cbranch_execz .LBB86_2005
; %bb.1904:
	v_bfe_u32 v5, v4, 21, 1
	s_mov_b32 s10, 0x88fffff
	v_add3_u32 v5, v4, v5, s10
	s_mov_b64 s[4:5], exec
	v_lshrrev_b32_e32 v5, 21, v5
	s_andn2_saveexec_b64 s[8:9], s[8:9]
	s_cbranch_execnz .LBB86_2006
.LBB86_1905:
	s_or_b64 exec, exec, s[8:9]
	v_mov_b32_e32 v6, 0
	s_and_saveexec_b64 s[8:9], s[4:5]
.LBB86_1906:
	v_lshrrev_b32_e32 v4, 24, v4
	s_movk_i32 s4, 0x80
	v_and_or_b32 v6, v4, s4, v5
.LBB86_1907:
	s_or_b64 exec, exec, s[8:9]
.LBB86_1908:
	s_or_b64 exec, exec, s[2:3]
	s_mov_b64 s[2:3], 0
	global_store_byte v[2:3], v6, off
.LBB86_1909:
	s_and_b64 vcc, exec, s[2:3]
	s_cbranch_vccz .LBB86_1919
; %bb.1910:
	v_xor_b32_e32 v5, v0, v1
	v_ffbh_i32_e32 v4, v1
	v_ashrrev_i32_e32 v5, 31, v5
	v_add_u32_e32 v4, -1, v4
	v_add_u32_e32 v5, 32, v5
	v_min_u32_e32 v6, v4, v5
	v_lshlrev_b64 v[4:5], v6, v[0:1]
	s_mov_b32 s2, 0x43f00000
	v_min_u32_e32 v4, 1, v4
	v_or_b32_e32 v4, v5, v4
	v_cvt_f32_i32_e32 v4, v4
	v_sub_u32_e32 v5, 32, v6
	v_ldexp_f32 v4, v4, v5
	v_and_b32_e32 v6, 0x7fffffff, v4
	v_cmp_gt_u32_e32 vcc, s2, v6
                                        ; implicit-def: $vgpr5
	s_and_saveexec_b64 s[2:3], vcc
	s_xor_b64 s[2:3], exec, s[2:3]
	s_cbranch_execz .LBB86_1916
; %bb.1911:
	s_mov_b32 s4, 0x3c7fffff
	v_cmp_lt_u32_e32 vcc, s4, v6
                                        ; implicit-def: $vgpr5
	s_and_saveexec_b64 s[4:5], vcc
	s_xor_b64 s[4:5], exec, s[4:5]
; %bb.1912:
	v_bfe_u32 v5, v4, 20, 1
	s_mov_b32 s8, 0x407ffff
	v_add3_u32 v5, v4, v5, s8
	v_lshrrev_b32_e32 v6, 20, v5
	v_and_b32_e32 v5, 0xff00000, v5
	s_mov_b32 s8, 0x7f00000
	v_mov_b32_e32 v7, 0x7e
	v_cmp_ne_u32_e32 vcc, s8, v5
	v_cndmask_b32_e32 v5, v7, v6, vcc
; %bb.1913:
	s_andn2_saveexec_b64 s[4:5], s[4:5]
; %bb.1914:
	s_mov_b32 s8, 0x46800000
	v_add_f32_e64 v5, |v4|, s8
; %bb.1915:
	s_or_b64 exec, exec, s[4:5]
                                        ; implicit-def: $vgpr6
.LBB86_1916:
	s_andn2_saveexec_b64 s[2:3], s[2:3]
; %bb.1917:
	s_mov_b32 s4, 0x7f800000
	v_mov_b32_e32 v5, 0x7e
	v_mov_b32_e32 v7, 0x7f
	v_cmp_lt_u32_e32 vcc, s4, v6
	v_cndmask_b32_e32 v5, v5, v7, vcc
; %bb.1918:
	s_or_b64 exec, exec, s[2:3]
	v_lshrrev_b32_e32 v4, 24, v4
	s_movk_i32 s2, 0x80
	v_and_or_b32 v4, v4, s2, v5
	global_store_byte v[2:3], v4, off
.LBB86_1919:
	s_mov_b64 s[2:3], 0
.LBB86_1920:
	s_andn2_b64 vcc, exec, s[2:3]
	s_cbranch_vccnz .LBB86_1930
; %bb.1921:
	v_xor_b32_e32 v5, v0, v1
	v_ffbh_i32_e32 v4, v1
	v_ashrrev_i32_e32 v5, 31, v5
	v_add_u32_e32 v4, -1, v4
	v_add_u32_e32 v5, 32, v5
	v_min_u32_e32 v6, v4, v5
	v_lshlrev_b64 v[4:5], v6, v[0:1]
	s_mov_b32 s2, 0x47800000
	v_min_u32_e32 v4, 1, v4
	v_or_b32_e32 v4, v5, v4
	v_cvt_f32_i32_e32 v4, v4
	v_sub_u32_e32 v5, 32, v6
	v_ldexp_f32 v4, v4, v5
	v_and_b32_e32 v6, 0x7fffffff, v4
	v_cmp_gt_u32_e32 vcc, s2, v6
                                        ; implicit-def: $vgpr5
	s_and_saveexec_b64 s[2:3], vcc
	s_xor_b64 s[2:3], exec, s[2:3]
	s_cbranch_execz .LBB86_1927
; %bb.1922:
	s_mov_b32 s4, 0x387fffff
	v_cmp_lt_u32_e32 vcc, s4, v6
                                        ; implicit-def: $vgpr5
	s_and_saveexec_b64 s[4:5], vcc
	s_xor_b64 s[4:5], exec, s[4:5]
; %bb.1923:
	v_bfe_u32 v5, v4, 21, 1
	s_mov_b32 s8, 0x80fffff
	v_add3_u32 v5, v4, v5, s8
	v_lshrrev_b32_e32 v5, 21, v5
; %bb.1924:
	s_andn2_saveexec_b64 s[4:5], s[4:5]
; %bb.1925:
	s_mov_b32 s8, 0x43000000
	v_add_f32_e64 v5, |v4|, s8
; %bb.1926:
	s_or_b64 exec, exec, s[4:5]
                                        ; implicit-def: $vgpr6
.LBB86_1927:
	s_andn2_saveexec_b64 s[2:3], s[2:3]
; %bb.1928:
	s_mov_b32 s4, 0x7f800000
	v_mov_b32_e32 v5, 0x7c
	v_mov_b32_e32 v7, 0x7f
	v_cmp_lt_u32_e32 vcc, s4, v6
	v_cndmask_b32_e32 v5, v5, v7, vcc
; %bb.1929:
	s_or_b64 exec, exec, s[2:3]
	v_lshrrev_b32_e32 v4, 24, v4
	s_movk_i32 s2, 0x80
	v_and_or_b32 v4, v4, s2, v5
	global_store_byte v[2:3], v4, off
.LBB86_1930:
	s_mov_b64 s[2:3], 0
.LBB86_1931:
	s_andn2_b64 vcc, exec, s[2:3]
	s_mov_b64 s[2:3], 0
	s_cbranch_vccnz .LBB86_1938
; %bb.1932:
	s_cmp_gt_i32 s12, 14
	s_mov_b64 s[4:5], -1
	s_cbranch_scc0 .LBB86_1936
; %bb.1933:
	s_cmp_eq_u32 s12, 15
	s_mov_b64 s[0:1], -1
	s_cbranch_scc0 .LBB86_1935
; %bb.1934:
	v_xor_b32_e32 v5, v0, v1
	v_ffbh_i32_e32 v4, v1
	v_ashrrev_i32_e32 v5, 31, v5
	v_add_u32_e32 v4, -1, v4
	v_add_u32_e32 v5, 32, v5
	v_min_u32_e32 v6, v4, v5
	v_lshlrev_b64 v[4:5], v6, v[0:1]
	s_movk_i32 s0, 0x7fff
	v_min_u32_e32 v4, 1, v4
	v_or_b32_e32 v4, v5, v4
	v_cvt_f32_i32_e32 v4, v4
	v_sub_u32_e32 v5, 32, v6
	v_ldexp_f32 v4, v4, v5
	v_bfe_u32 v5, v4, 16, 1
	v_add3_u32 v4, v4, v5, s0
	global_store_short_d16_hi v[2:3], v4, off
	s_mov_b64 s[0:1], 0
.LBB86_1935:
	s_mov_b64 s[4:5], 0
.LBB86_1936:
	s_and_b64 vcc, exec, s[4:5]
	s_cbranch_vccz .LBB86_1938
; %bb.1937:
	s_cmp_lg_u32 s12, 11
	s_mov_b64 s[2:3], -1
	s_cselect_b64 s[0:1], -1, 0
.LBB86_1938:
	s_and_b64 vcc, exec, s[0:1]
	s_cbranch_vccnz .LBB86_2004
.LBB86_1939:
	s_mov_b64 s[0:1], 0
	s_branch .LBB86_1941
.LBB86_1940:
	s_mov_b64 s[0:1], 0
	s_mov_b64 s[2:3], 0
                                        ; implicit-def: $sgpr26
                                        ; implicit-def: $vgpr2_vgpr3
                                        ; implicit-def: $vgpr0_vgpr1
.LBB86_1941:
	s_and_b64 s[4:5], s[2:3], exec
	s_andn2_b64 s[2:3], s[18:19], exec
	s_and_b64 s[8:9], s[20:21], exec
	s_and_b64 s[0:1], s[0:1], exec
	s_or_b64 s[18:19], s[2:3], s[8:9]
.LBB86_1942:
	s_or_b64 exec, exec, s[6:7]
	s_and_saveexec_b64 s[2:3], s[18:19]
	s_cbranch_execz .LBB86_1945
; %bb.1943:
	; divergent unreachable
	s_or_b64 exec, exec, s[2:3]
	s_and_saveexec_b64 s[2:3], s[4:5]
	s_xor_b64 s[2:3], exec, s[2:3]
	s_cbranch_execnz .LBB86_1946
.LBB86_1944:
	s_or_b64 exec, exec, s[2:3]
	s_and_saveexec_b64 s[2:3], s[0:1]
	s_cbranch_execnz .LBB86_1947
	s_branch .LBB86_1984
.LBB86_1945:
	s_or_b64 exec, exec, s[2:3]
	s_and_saveexec_b64 s[2:3], s[4:5]
	s_xor_b64 s[2:3], exec, s[2:3]
	s_cbranch_execz .LBB86_1944
.LBB86_1946:
	s_waitcnt vmcnt(0)
	v_cmp_ne_u64_e32 vcc, 0, v[0:1]
	v_cndmask_b32_e64 v4, 0, 1, vcc
	global_store_byte v[2:3], v4, off
	s_or_b64 exec, exec, s[2:3]
	s_and_saveexec_b64 s[2:3], s[0:1]
	s_cbranch_execz .LBB86_1984
.LBB86_1947:
	s_sext_i32_i16 s2, s26
	s_cmp_lt_i32 s2, 5
	s_mov_b64 s[0:1], -1
	s_cbranch_scc1 .LBB86_1968
; %bb.1948:
	s_cmp_lt_i32 s2, 8
	s_cbranch_scc1 .LBB86_1958
; %bb.1949:
	s_cmp_lt_i32 s2, 9
	s_cbranch_scc1 .LBB86_1955
; %bb.1950:
	s_cmp_gt_i32 s2, 9
	s_cbranch_scc0 .LBB86_1952
; %bb.1951:
	s_waitcnt vmcnt(0)
	v_cvt_f64_i32_e32 v[4:5], v1
	v_cvt_f64_u32_e32 v[6:7], v0
	s_mov_b64 s[0:1], 0
	v_ldexp_f64 v[4:5], v[4:5], 32
	v_add_f64 v[4:5], v[4:5], v[6:7]
	v_mov_b32_e32 v6, 0
	v_mov_b32_e32 v7, v6
	global_store_dwordx4 v[2:3], v[4:7], off
.LBB86_1952:
	s_andn2_b64 vcc, exec, s[0:1]
	s_cbranch_vccnz .LBB86_1954
; %bb.1953:
	s_waitcnt vmcnt(0)
	v_xor_b32_e32 v5, v0, v1
	v_ffbh_i32_e32 v4, v1
	v_ashrrev_i32_e32 v5, 31, v5
	v_add_u32_e32 v4, -1, v4
	v_add_u32_e32 v5, 32, v5
	v_min_u32_e32 v6, v4, v5
	v_lshlrev_b64 v[4:5], v6, v[0:1]
	v_min_u32_e32 v4, 1, v4
	v_or_b32_e32 v4, v5, v4
	v_cvt_f32_i32_e32 v4, v4
	v_sub_u32_e32 v5, 32, v6
	v_ldexp_f32 v4, v4, v5
	v_mov_b32_e32 v5, 0
	global_store_dwordx2 v[2:3], v[4:5], off
.LBB86_1954:
	s_mov_b64 s[0:1], 0
.LBB86_1955:
	s_andn2_b64 vcc, exec, s[0:1]
	s_cbranch_vccnz .LBB86_1957
; %bb.1956:
	s_waitcnt vmcnt(0)
	v_xor_b32_e32 v5, v0, v1
	v_ffbh_i32_e32 v4, v1
	v_ashrrev_i32_e32 v5, 31, v5
	v_add_u32_e32 v4, -1, v4
	v_add_u32_e32 v5, 32, v5
	v_min_u32_e32 v6, v4, v5
	v_lshlrev_b64 v[4:5], v6, v[0:1]
	v_min_u32_e32 v4, 1, v4
	v_or_b32_e32 v4, v5, v4
	v_cvt_f32_i32_e32 v4, v4
	v_sub_u32_e32 v5, 32, v6
	v_ldexp_f32 v4, v4, v5
	v_cvt_f16_f32_e32 v4, v4
	global_store_dword v[2:3], v4, off
.LBB86_1957:
	s_mov_b64 s[0:1], 0
.LBB86_1958:
	s_andn2_b64 vcc, exec, s[0:1]
	s_cbranch_vccnz .LBB86_1967
; %bb.1959:
	s_sext_i32_i16 s2, s26
	s_cmp_lt_i32 s2, 6
	s_mov_b64 s[0:1], -1
	s_cbranch_scc1 .LBB86_1965
; %bb.1960:
	s_cmp_gt_i32 s2, 6
	s_cbranch_scc0 .LBB86_1962
; %bb.1961:
	s_waitcnt vmcnt(0)
	v_cvt_f64_i32_e32 v[4:5], v1
	v_cvt_f64_u32_e32 v[6:7], v0
	s_mov_b64 s[0:1], 0
	v_ldexp_f64 v[4:5], v[4:5], 32
	v_add_f64 v[4:5], v[4:5], v[6:7]
	global_store_dwordx2 v[2:3], v[4:5], off
.LBB86_1962:
	s_andn2_b64 vcc, exec, s[0:1]
	s_cbranch_vccnz .LBB86_1964
; %bb.1963:
	s_waitcnt vmcnt(0)
	v_xor_b32_e32 v5, v0, v1
	v_ffbh_i32_e32 v4, v1
	v_ashrrev_i32_e32 v5, 31, v5
	v_add_u32_e32 v4, -1, v4
	v_add_u32_e32 v5, 32, v5
	v_min_u32_e32 v6, v4, v5
	v_lshlrev_b64 v[4:5], v6, v[0:1]
	v_min_u32_e32 v4, 1, v4
	v_or_b32_e32 v4, v5, v4
	v_cvt_f32_i32_e32 v4, v4
	v_sub_u32_e32 v5, 32, v6
	v_ldexp_f32 v4, v4, v5
	global_store_dword v[2:3], v4, off
.LBB86_1964:
	s_mov_b64 s[0:1], 0
.LBB86_1965:
	s_andn2_b64 vcc, exec, s[0:1]
	s_cbranch_vccnz .LBB86_1967
; %bb.1966:
	s_waitcnt vmcnt(0)
	v_xor_b32_e32 v5, v0, v1
	v_ffbh_i32_e32 v4, v1
	v_ashrrev_i32_e32 v5, 31, v5
	v_add_u32_e32 v4, -1, v4
	v_add_u32_e32 v5, 32, v5
	v_min_u32_e32 v6, v4, v5
	v_lshlrev_b64 v[4:5], v6, v[0:1]
	v_min_u32_e32 v4, 1, v4
	v_or_b32_e32 v4, v5, v4
	v_cvt_f32_i32_e32 v4, v4
	v_sub_u32_e32 v5, 32, v6
	v_ldexp_f32 v4, v4, v5
	v_cvt_f16_f32_e32 v4, v4
	global_store_short v[2:3], v4, off
.LBB86_1967:
	s_mov_b64 s[0:1], 0
.LBB86_1968:
	s_andn2_b64 vcc, exec, s[0:1]
	s_cbranch_vccnz .LBB86_1984
; %bb.1969:
	s_sext_i32_i16 s2, s26
	s_cmp_lt_i32 s2, 2
	s_mov_b64 s[0:1], -1
	s_cbranch_scc1 .LBB86_1979
; %bb.1970:
	s_cmp_lt_i32 s2, 3
	s_cbranch_scc1 .LBB86_1976
; %bb.1971:
	s_cmp_gt_i32 s2, 3
	s_cbranch_scc0 .LBB86_1973
; %bb.1972:
	s_waitcnt vmcnt(0)
	global_store_dwordx2 v[2:3], v[0:1], off
	s_mov_b64 s[0:1], 0
.LBB86_1973:
	s_andn2_b64 vcc, exec, s[0:1]
	s_cbranch_vccnz .LBB86_1975
; %bb.1974:
	s_waitcnt vmcnt(0)
	global_store_dword v[2:3], v0, off
.LBB86_1975:
	s_mov_b64 s[0:1], 0
.LBB86_1976:
	s_andn2_b64 vcc, exec, s[0:1]
	s_cbranch_vccnz .LBB86_1978
; %bb.1977:
	s_waitcnt vmcnt(0)
	global_store_short v[2:3], v0, off
.LBB86_1978:
	s_mov_b64 s[0:1], 0
.LBB86_1979:
	s_andn2_b64 vcc, exec, s[0:1]
	s_cbranch_vccnz .LBB86_1984
; %bb.1980:
	s_sext_i32_i16 s0, s26
	s_cmp_gt_i32 s0, 0
	s_mov_b64 s[0:1], -1
	s_cbranch_scc0 .LBB86_1982
; %bb.1981:
	s_waitcnt vmcnt(0)
	global_store_byte v[2:3], v0, off
	s_mov_b64 s[0:1], 0
.LBB86_1982:
	s_andn2_b64 vcc, exec, s[0:1]
	s_cbranch_vccnz .LBB86_1984
; %bb.1983:
	s_waitcnt vmcnt(0)
	global_store_byte v[2:3], v0, off
	s_endpgm
.LBB86_1984:
	s_endpgm
.LBB86_1985:
	s_mov_b64 s[2:3], 0
	s_mov_b64 s[0:1], -1
	s_branch .LBB86_1941
.LBB86_1986:
	s_trap 2
	s_or_b64 s[20:21], s[20:21], exec
	s_cbranch_execz .LBB86_1455
	s_branch .LBB86_1456
.LBB86_1987:
	s_andn2_saveexec_b64 s[24:25], s[24:25]
	s_cbranch_execz .LBB86_1535
.LBB86_1988:
	s_mov_b32 s27, 0x46000000
	v_add_f32_e64 v12, |v11|, s27
	v_and_b32_e32 v12, 0xff, v12
	v_cmp_ne_u32_e32 vcc, 0, v12
	s_andn2_b64 s[22:23], s[22:23], exec
	s_and_b64 s[28:29], vcc, exec
	s_or_b64 s[22:23], s[22:23], s[28:29]
	s_or_b64 exec, exec, s[24:25]
	v_mov_b32_e32 v13, 0
	s_and_saveexec_b64 s[24:25], s[22:23]
	s_cbranch_execnz .LBB86_1536
	s_branch .LBB86_1537
.LBB86_1989:
	s_trap 2
	s_or_b64 s[20:21], s[20:21], exec
	s_cbranch_execz .LBB86_1583
	s_branch .LBB86_1584
.LBB86_1990:
	s_andn2_saveexec_b64 s[22:23], s[22:23]
	s_cbranch_execz .LBB86_1548
.LBB86_1991:
	s_mov_b32 s24, 0x42800000
	v_add_f32_e64 v12, |v11|, s24
	v_and_b32_e32 v12, 0xff, v12
	v_cmp_ne_u32_e32 vcc, 0, v12
	s_andn2_b64 s[10:11], s[10:11], exec
	s_and_b64 s[24:25], vcc, exec
	s_or_b64 s[10:11], s[10:11], s[24:25]
	s_or_b64 exec, exec, s[22:23]
	v_mov_b32_e32 v13, 0
	s_and_saveexec_b64 s[22:23], s[10:11]
	s_cbranch_execnz .LBB86_1549
	s_branch .LBB86_1550
.LBB86_1992:
	s_andn2_saveexec_b64 s[22:23], s[22:23]
	s_cbranch_execz .LBB86_1654
.LBB86_1993:
	s_mov_b32 s27, 0x46000000
	v_add_f32_e64 v10, |v9|, s27
	v_and_b32_e32 v10, 0xff, v10
	v_cmp_ne_u32_e32 vcc, 0, v10
	s_andn2_b64 s[16:17], s[16:17], exec
	s_and_b64 s[28:29], vcc, exec
	s_or_b64 s[16:17], s[16:17], s[28:29]
	s_or_b64 exec, exec, s[22:23]
	v_mov_b32_e32 v11, 0
	s_and_saveexec_b64 s[22:23], s[16:17]
	s_cbranch_execnz .LBB86_1655
	s_branch .LBB86_1656
.LBB86_1994:
	s_trap 2
	s_or_b64 s[20:21], s[20:21], exec
	s_cbranch_execz .LBB86_1702
	s_branch .LBB86_1703
.LBB86_1995:
	s_andn2_saveexec_b64 s[16:17], s[16:17]
	s_cbranch_execz .LBB86_1667
.LBB86_1996:
	s_mov_b32 s22, 0x42800000
	v_add_f32_e64 v10, |v9|, s22
	v_and_b32_e32 v10, 0xff, v10
	v_cmp_ne_u32_e32 vcc, 0, v10
	s_andn2_b64 s[10:11], s[10:11], exec
	s_and_b64 s[22:23], vcc, exec
	s_or_b64 s[10:11], s[10:11], s[22:23]
	s_or_b64 exec, exec, s[16:17]
	v_mov_b32_e32 v11, 0
	s_and_saveexec_b64 s[16:17], s[10:11]
	s_cbranch_execnz .LBB86_1668
	s_branch .LBB86_1669
.LBB86_1997:
	s_andn2_saveexec_b64 s[22:23], s[22:23]
	s_cbranch_execz .LBB86_1773
.LBB86_1998:
	s_mov_b32 s27, 0x46000000
	v_add_f32_e64 v8, |v5|, s27
	v_and_b32_e32 v8, 0xff, v8
	v_cmp_ne_u32_e32 vcc, 0, v8
	s_andn2_b64 s[16:17], s[16:17], exec
	s_and_b64 s[28:29], vcc, exec
	s_or_b64 s[16:17], s[16:17], s[28:29]
	s_or_b64 exec, exec, s[22:23]
	v_mov_b32_e32 v9, 0
	s_and_saveexec_b64 s[22:23], s[16:17]
	s_cbranch_execnz .LBB86_1774
	s_branch .LBB86_1775
.LBB86_1999:
	s_trap 2
	s_or_b64 s[20:21], s[20:21], exec
	s_cbranch_execz .LBB86_1821
	s_branch .LBB86_1822
.LBB86_2000:
	s_andn2_saveexec_b64 s[16:17], s[16:17]
	s_cbranch_execz .LBB86_1786
.LBB86_2001:
	s_mov_b32 s22, 0x42800000
	v_add_f32_e64 v8, |v5|, s22
	v_and_b32_e32 v8, 0xff, v8
	v_cmp_ne_u32_e32 vcc, 0, v8
	s_andn2_b64 s[10:11], s[10:11], exec
	s_and_b64 s[22:23], vcc, exec
	s_or_b64 s[10:11], s[10:11], s[22:23]
	s_or_b64 exec, exec, s[16:17]
	v_mov_b32_e32 v9, 0
	s_and_saveexec_b64 s[16:17], s[10:11]
	s_cbranch_execnz .LBB86_1787
	s_branch .LBB86_1788
.LBB86_2002:
	s_andn2_saveexec_b64 s[10:11], s[10:11]
	s_cbranch_execz .LBB86_1893
.LBB86_2003:
	s_mov_b32 s13, 0x46000000
	v_add_f32_e64 v5, |v4|, s13
	v_and_b32_e32 v5, 0xff, v5
	v_cmp_ne_u32_e32 vcc, 0, v5
	s_andn2_b64 s[8:9], s[8:9], exec
	s_and_b64 s[14:15], vcc, exec
	s_or_b64 s[8:9], s[8:9], s[14:15]
	s_or_b64 exec, exec, s[10:11]
	v_mov_b32_e32 v6, 0
	s_and_saveexec_b64 s[10:11], s[8:9]
	s_cbranch_execnz .LBB86_1894
	s_branch .LBB86_1895
.LBB86_2004:
	s_mov_b64 s[2:3], 0
	s_or_b64 s[20:21], s[20:21], exec
	s_trap 2
	s_branch .LBB86_1939
.LBB86_2005:
	s_andn2_saveexec_b64 s[8:9], s[8:9]
	s_cbranch_execz .LBB86_1905
.LBB86_2006:
	s_mov_b32 s10, 0x42800000
	v_add_f32_e64 v5, |v4|, s10
	v_and_b32_e32 v5, 0xff, v5
	v_cmp_ne_u32_e32 vcc, 0, v5
	s_andn2_b64 s[4:5], s[4:5], exec
	s_and_b64 s[10:11], vcc, exec
	s_or_b64 s[4:5], s[4:5], s[10:11]
	s_or_b64 exec, exec, s[8:9]
	v_mov_b32_e32 v6, 0
	s_and_saveexec_b64 s[8:9], s[4:5]
	s_cbranch_execnz .LBB86_1906
	s_branch .LBB86_1907
	.section	.rodata,"a",@progbits
	.p2align	6, 0x0
	.amdhsa_kernel _ZN2at6native32elementwise_kernel_manual_unrollILi128ELi4EZNS0_15gpu_kernel_implINS0_13BUnaryFunctorIlllZNS0_12_GLOBAL__N_121threshold_kernel_implIlEEvRNS_18TensorIteratorBaseET_S8_EUlllE_EEEEvS7_RKS8_EUlibE_EEviT1_
		.amdhsa_group_segment_fixed_size 0
		.amdhsa_private_segment_fixed_size 0
		.amdhsa_kernarg_size 64
		.amdhsa_user_sgpr_count 6
		.amdhsa_user_sgpr_private_segment_buffer 1
		.amdhsa_user_sgpr_dispatch_ptr 0
		.amdhsa_user_sgpr_queue_ptr 0
		.amdhsa_user_sgpr_kernarg_segment_ptr 1
		.amdhsa_user_sgpr_dispatch_id 0
		.amdhsa_user_sgpr_flat_scratch_init 0
		.amdhsa_user_sgpr_private_segment_size 0
		.amdhsa_uses_dynamic_stack 0
		.amdhsa_system_sgpr_private_segment_wavefront_offset 0
		.amdhsa_system_sgpr_workgroup_id_x 1
		.amdhsa_system_sgpr_workgroup_id_y 0
		.amdhsa_system_sgpr_workgroup_id_z 0
		.amdhsa_system_sgpr_workgroup_info 0
		.amdhsa_system_vgpr_workitem_id 0
		.amdhsa_next_free_vgpr 15
		.amdhsa_next_free_sgpr 52
		.amdhsa_reserve_vcc 1
		.amdhsa_reserve_flat_scratch 0
		.amdhsa_float_round_mode_32 0
		.amdhsa_float_round_mode_16_64 0
		.amdhsa_float_denorm_mode_32 3
		.amdhsa_float_denorm_mode_16_64 3
		.amdhsa_dx10_clamp 1
		.amdhsa_ieee_mode 1
		.amdhsa_fp16_overflow 0
		.amdhsa_exception_fp_ieee_invalid_op 0
		.amdhsa_exception_fp_denorm_src 0
		.amdhsa_exception_fp_ieee_div_zero 0
		.amdhsa_exception_fp_ieee_overflow 0
		.amdhsa_exception_fp_ieee_underflow 0
		.amdhsa_exception_fp_ieee_inexact 0
		.amdhsa_exception_int_div_zero 0
	.end_amdhsa_kernel
	.section	.text._ZN2at6native32elementwise_kernel_manual_unrollILi128ELi4EZNS0_15gpu_kernel_implINS0_13BUnaryFunctorIlllZNS0_12_GLOBAL__N_121threshold_kernel_implIlEEvRNS_18TensorIteratorBaseET_S8_EUlllE_EEEEvS7_RKS8_EUlibE_EEviT1_,"axG",@progbits,_ZN2at6native32elementwise_kernel_manual_unrollILi128ELi4EZNS0_15gpu_kernel_implINS0_13BUnaryFunctorIlllZNS0_12_GLOBAL__N_121threshold_kernel_implIlEEvRNS_18TensorIteratorBaseET_S8_EUlllE_EEEEvS7_RKS8_EUlibE_EEviT1_,comdat
.Lfunc_end86:
	.size	_ZN2at6native32elementwise_kernel_manual_unrollILi128ELi4EZNS0_15gpu_kernel_implINS0_13BUnaryFunctorIlllZNS0_12_GLOBAL__N_121threshold_kernel_implIlEEvRNS_18TensorIteratorBaseET_S8_EUlllE_EEEEvS7_RKS8_EUlibE_EEviT1_, .Lfunc_end86-_ZN2at6native32elementwise_kernel_manual_unrollILi128ELi4EZNS0_15gpu_kernel_implINS0_13BUnaryFunctorIlllZNS0_12_GLOBAL__N_121threshold_kernel_implIlEEvRNS_18TensorIteratorBaseET_S8_EUlllE_EEEEvS7_RKS8_EUlibE_EEviT1_
                                        ; -- End function
	.set _ZN2at6native32elementwise_kernel_manual_unrollILi128ELi4EZNS0_15gpu_kernel_implINS0_13BUnaryFunctorIlllZNS0_12_GLOBAL__N_121threshold_kernel_implIlEEvRNS_18TensorIteratorBaseET_S8_EUlllE_EEEEvS7_RKS8_EUlibE_EEviT1_.num_vgpr, 15
	.set _ZN2at6native32elementwise_kernel_manual_unrollILi128ELi4EZNS0_15gpu_kernel_implINS0_13BUnaryFunctorIlllZNS0_12_GLOBAL__N_121threshold_kernel_implIlEEvRNS_18TensorIteratorBaseET_S8_EUlllE_EEEEvS7_RKS8_EUlibE_EEviT1_.num_agpr, 0
	.set _ZN2at6native32elementwise_kernel_manual_unrollILi128ELi4EZNS0_15gpu_kernel_implINS0_13BUnaryFunctorIlllZNS0_12_GLOBAL__N_121threshold_kernel_implIlEEvRNS_18TensorIteratorBaseET_S8_EUlllE_EEEEvS7_RKS8_EUlibE_EEviT1_.numbered_sgpr, 52
	.set _ZN2at6native32elementwise_kernel_manual_unrollILi128ELi4EZNS0_15gpu_kernel_implINS0_13BUnaryFunctorIlllZNS0_12_GLOBAL__N_121threshold_kernel_implIlEEvRNS_18TensorIteratorBaseET_S8_EUlllE_EEEEvS7_RKS8_EUlibE_EEviT1_.num_named_barrier, 0
	.set _ZN2at6native32elementwise_kernel_manual_unrollILi128ELi4EZNS0_15gpu_kernel_implINS0_13BUnaryFunctorIlllZNS0_12_GLOBAL__N_121threshold_kernel_implIlEEvRNS_18TensorIteratorBaseET_S8_EUlllE_EEEEvS7_RKS8_EUlibE_EEviT1_.private_seg_size, 0
	.set _ZN2at6native32elementwise_kernel_manual_unrollILi128ELi4EZNS0_15gpu_kernel_implINS0_13BUnaryFunctorIlllZNS0_12_GLOBAL__N_121threshold_kernel_implIlEEvRNS_18TensorIteratorBaseET_S8_EUlllE_EEEEvS7_RKS8_EUlibE_EEviT1_.uses_vcc, 1
	.set _ZN2at6native32elementwise_kernel_manual_unrollILi128ELi4EZNS0_15gpu_kernel_implINS0_13BUnaryFunctorIlllZNS0_12_GLOBAL__N_121threshold_kernel_implIlEEvRNS_18TensorIteratorBaseET_S8_EUlllE_EEEEvS7_RKS8_EUlibE_EEviT1_.uses_flat_scratch, 0
	.set _ZN2at6native32elementwise_kernel_manual_unrollILi128ELi4EZNS0_15gpu_kernel_implINS0_13BUnaryFunctorIlllZNS0_12_GLOBAL__N_121threshold_kernel_implIlEEvRNS_18TensorIteratorBaseET_S8_EUlllE_EEEEvS7_RKS8_EUlibE_EEviT1_.has_dyn_sized_stack, 0
	.set _ZN2at6native32elementwise_kernel_manual_unrollILi128ELi4EZNS0_15gpu_kernel_implINS0_13BUnaryFunctorIlllZNS0_12_GLOBAL__N_121threshold_kernel_implIlEEvRNS_18TensorIteratorBaseET_S8_EUlllE_EEEEvS7_RKS8_EUlibE_EEviT1_.has_recursion, 0
	.set _ZN2at6native32elementwise_kernel_manual_unrollILi128ELi4EZNS0_15gpu_kernel_implINS0_13BUnaryFunctorIlllZNS0_12_GLOBAL__N_121threshold_kernel_implIlEEvRNS_18TensorIteratorBaseET_S8_EUlllE_EEEEvS7_RKS8_EUlibE_EEviT1_.has_indirect_call, 0
	.section	.AMDGPU.csdata,"",@progbits
; Kernel info:
; codeLenInByte = 40104
; TotalNumSgprs: 56
; NumVgprs: 15
; ScratchSize: 0
; MemoryBound: 1
; FloatMode: 240
; IeeeMode: 1
; LDSByteSize: 0 bytes/workgroup (compile time only)
; SGPRBlocks: 6
; VGPRBlocks: 3
; NumSGPRsForWavesPerEU: 56
; NumVGPRsForWavesPerEU: 15
; Occupancy: 10
; WaveLimiterHint : 0
; COMPUTE_PGM_RSRC2:SCRATCH_EN: 0
; COMPUTE_PGM_RSRC2:USER_SGPR: 6
; COMPUTE_PGM_RSRC2:TRAP_HANDLER: 0
; COMPUTE_PGM_RSRC2:TGID_X_EN: 1
; COMPUTE_PGM_RSRC2:TGID_Y_EN: 0
; COMPUTE_PGM_RSRC2:TGID_Z_EN: 0
; COMPUTE_PGM_RSRC2:TIDIG_COMP_CNT: 0
	.section	.text._ZN2at6native32elementwise_kernel_manual_unrollILi128ELi4EZNS0_15gpu_kernel_implINS0_13BUnaryFunctorIlllZNS0_12_GLOBAL__N_121threshold_kernel_implIlEEvRNS_18TensorIteratorBaseET_S8_EUlllE_EEEEvS7_RKS8_EUlibE0_EEviT1_,"axG",@progbits,_ZN2at6native32elementwise_kernel_manual_unrollILi128ELi4EZNS0_15gpu_kernel_implINS0_13BUnaryFunctorIlllZNS0_12_GLOBAL__N_121threshold_kernel_implIlEEvRNS_18TensorIteratorBaseET_S8_EUlllE_EEEEvS7_RKS8_EUlibE0_EEviT1_,comdat
	.globl	_ZN2at6native32elementwise_kernel_manual_unrollILi128ELi4EZNS0_15gpu_kernel_implINS0_13BUnaryFunctorIlllZNS0_12_GLOBAL__N_121threshold_kernel_implIlEEvRNS_18TensorIteratorBaseET_S8_EUlllE_EEEEvS7_RKS8_EUlibE0_EEviT1_ ; -- Begin function _ZN2at6native32elementwise_kernel_manual_unrollILi128ELi4EZNS0_15gpu_kernel_implINS0_13BUnaryFunctorIlllZNS0_12_GLOBAL__N_121threshold_kernel_implIlEEvRNS_18TensorIteratorBaseET_S8_EUlllE_EEEEvS7_RKS8_EUlibE0_EEviT1_
	.p2align	8
	.type	_ZN2at6native32elementwise_kernel_manual_unrollILi128ELi4EZNS0_15gpu_kernel_implINS0_13BUnaryFunctorIlllZNS0_12_GLOBAL__N_121threshold_kernel_implIlEEvRNS_18TensorIteratorBaseET_S8_EUlllE_EEEEvS7_RKS8_EUlibE0_EEviT1_,@function
_ZN2at6native32elementwise_kernel_manual_unrollILi128ELi4EZNS0_15gpu_kernel_implINS0_13BUnaryFunctorIlllZNS0_12_GLOBAL__N_121threshold_kernel_implIlEEvRNS_18TensorIteratorBaseET_S8_EUlllE_EEEEvS7_RKS8_EUlibE0_EEviT1_: ; @_ZN2at6native32elementwise_kernel_manual_unrollILi128ELi4EZNS0_15gpu_kernel_implINS0_13BUnaryFunctorIlllZNS0_12_GLOBAL__N_121threshold_kernel_implIlEEvRNS_18TensorIteratorBaseET_S8_EUlllE_EEEEvS7_RKS8_EUlibE0_EEviT1_
; %bb.0:
	s_load_dword s76, s[4:5], 0x0
	s_load_dword s33, s[4:5], 0x8
	s_add_u32 s34, s4, 8
	s_addc_u32 s35, s5, 0
	v_lshl_or_b32 v11, s6, 9, v0
	v_or_b32_e32 v15, 0x180, v11
	s_waitcnt lgkmcnt(0)
	s_add_i32 s78, s33, -1
	s_cmp_gt_u32 s78, 1
	v_cmp_le_i32_e32 vcc, s76, v15
	s_cselect_b64 s[44:45], -1, 0
	s_mov_b64 s[6:7], 0
	s_mov_b64 s[28:29], 0
	s_and_saveexec_b64 s[0:1], vcc
	s_xor_b64 s[46:47], exec, s[0:1]
	s_cbranch_execz .LBB87_1070
; %bb.1:
	s_cmp_lg_u32 s33, 0
	s_load_dwordx4 s[36:39], s[34:35], 0x4
	s_load_dwordx2 s[50:51], s[34:35], 0x14
	s_load_dwordx2 s[48:49], s[34:35], 0x168
	s_load_dword s79, s[34:35], 0x170
	s_load_dwordx4 s[40:43], s[34:35], 0xc4
	s_load_dwordx8 s[8:15], s[34:35], 0x148
	s_cselect_b64 s[56:57], -1, 0
	s_add_u32 s54, s34, 0xc4
	s_addc_u32 s55, s35, 0
	s_min_u32 s81, s78, 15
	s_cmp_gt_u32 s33, 1
	s_cselect_b64 s[52:53], -1, 0
	s_waitcnt lgkmcnt(0)
	s_bfe_u32 s80, s79, 0x80008
	v_cmp_gt_i32_e32 vcc, s76, v11
	s_mov_b64 s[2:3], -1
	s_mov_b64 s[66:67], 0
	s_mov_b64 s[60:61], 0
	;; [unrolled: 1-line block ×3, first 2 shown]
	s_and_saveexec_b64 s[62:63], vcc
	s_cbranch_execz .LBB87_262
; %bb.2:
	s_andn2_b64 vcc, exec, s[44:45]
	s_cbranch_vccnz .LBB87_7
; %bb.3:
	s_andn2_b64 vcc, exec, s[56:57]
	s_cbranch_vccnz .LBB87_8
; %bb.4:
	s_add_i32 s65, s81, 1
	s_cmp_eq_u32 s78, 2
	s_cbranch_scc1 .LBB87_9
; %bb.5:
	s_and_b32 s64, s65, 28
	v_mov_b32_e32 v2, 0
	s_mov_b32 s68, 0
	s_mov_b64 s[58:59], s[34:35]
	s_mov_b64 s[60:61], s[54:55]
	v_mov_b32_e32 v0, 0
	v_mov_b32_e32 v1, v11
.LBB87_6:                               ; =>This Inner Loop Header: Depth=1
	s_load_dwordx8 s[24:31], s[58:59], 0x4
	s_load_dwordx4 s[0:3], s[58:59], 0x24
	s_load_dwordx8 s[16:23], s[60:61], 0x0
	s_add_u32 s58, s58, 48
	s_addc_u32 s59, s59, 0
	s_waitcnt lgkmcnt(0)
	v_mul_hi_u32 v3, s25, v1
	s_add_i32 s68, s68, 4
	s_add_u32 s60, s60, 32
	s_addc_u32 s61, s61, 0
	v_add_u32_e32 v3, v1, v3
	v_lshrrev_b32_e32 v3, s26, v3
	v_mul_lo_u32 v4, v3, s24
	v_mul_hi_u32 v5, s28, v3
	s_cmp_lg_u32 s64, s68
	v_sub_u32_e32 v1, v1, v4
	v_add_u32_e32 v4, v3, v5
	v_mul_lo_u32 v5, v1, s16
	v_mul_lo_u32 v6, v1, s17
	v_lshrrev_b32_e32 v1, s29, v4
	v_mul_lo_u32 v4, v1, s27
	v_mul_hi_u32 v7, s31, v1
	v_sub_u32_e32 v3, v3, v4
	v_add_u32_e32 v4, v1, v7
	v_lshrrev_b32_e32 v4, s0, v4
	v_mul_hi_u32 v8, s2, v4
	v_mul_lo_u32 v9, v4, s30
	v_mul_lo_u32 v7, v3, s18
	;; [unrolled: 1-line block ×3, first 2 shown]
	v_sub_u32_e32 v9, v1, v9
	v_add_u32_e32 v1, v4, v8
	v_lshrrev_b32_e32 v1, s3, v1
	v_mul_lo_u32 v8, v1, s1
	v_mul_lo_u32 v10, v9, s20
	;; [unrolled: 1-line block ×3, first 2 shown]
	v_add3_u32 v0, v5, v0, v7
	v_sub_u32_e32 v4, v4, v8
	v_mul_lo_u32 v8, v4, s22
	v_mul_lo_u32 v4, v4, s23
	v_add3_u32 v2, v6, v2, v3
	v_add3_u32 v0, v10, v0, v8
	;; [unrolled: 1-line block ×3, first 2 shown]
	s_cbranch_scc1 .LBB87_6
	s_branch .LBB87_10
.LBB87_7:
                                        ; implicit-def: $vgpr0
                                        ; implicit-def: $vgpr2
	s_branch .LBB87_14
.LBB87_8:
	v_mov_b32_e32 v0, 0
	v_mov_b32_e32 v2, 0
	s_branch .LBB87_13
.LBB87_9:
	s_mov_b32 s64, 0
	v_mov_b32_e32 v0, 0
	v_mov_b32_e32 v2, 0
	;; [unrolled: 1-line block ×3, first 2 shown]
.LBB87_10:
	s_and_b32 s16, s65, 3
	s_cmp_eq_u32 s16, 0
	s_cbranch_scc1 .LBB87_13
; %bb.11:
	s_lshl_b32 s0, s64, 3
	s_add_u32 s0, s34, s0
	s_addc_u32 s1, s35, 0
	s_add_u32 s0, s0, 0xc4
	s_addc_u32 s1, s1, 0
	s_mul_i32 s2, s64, 12
	s_add_u32 s2, s34, s2
	s_addc_u32 s3, s35, 0
.LBB87_12:                              ; =>This Inner Loop Header: Depth=1
	s_load_dwordx2 s[18:19], s[2:3], 0x4
	s_load_dword s17, s[2:3], 0xc
	s_load_dwordx2 s[20:21], s[0:1], 0x0
	s_add_u32 s2, s2, 12
	s_addc_u32 s3, s3, 0
	s_waitcnt lgkmcnt(0)
	v_mul_hi_u32 v3, s19, v1
	s_add_u32 s0, s0, 8
	s_addc_u32 s1, s1, 0
	s_add_i32 s16, s16, -1
	v_add_u32_e32 v3, v1, v3
	v_lshrrev_b32_e32 v4, s17, v3
	v_mul_lo_u32 v3, v4, s18
	s_cmp_lg_u32 s16, 0
	v_sub_u32_e32 v3, v1, v3
	v_mad_u64_u32 v[0:1], s[18:19], v3, s20, v[0:1]
	v_mad_u64_u32 v[2:3], s[18:19], v3, s21, v[2:3]
	v_mov_b32_e32 v1, v4
	s_cbranch_scc1 .LBB87_12
.LBB87_13:
	s_cbranch_execnz .LBB87_16
.LBB87_14:
	v_mul_hi_u32 v0, s37, v11
	s_andn2_b64 vcc, exec, s[52:53]
	v_add_u32_e32 v0, v11, v0
	v_lshrrev_b32_e32 v1, s38, v0
	v_mul_lo_u32 v0, v1, s36
	v_sub_u32_e32 v2, v11, v0
	v_mul_lo_u32 v0, v2, s40
	v_mul_lo_u32 v2, v2, s41
	s_cbranch_vccnz .LBB87_16
; %bb.15:
	v_mul_hi_u32 v3, s50, v1
	v_add_u32_e32 v3, v1, v3
	v_lshrrev_b32_e32 v3, s51, v3
	v_mul_lo_u32 v3, v3, s39
	v_sub_u32_e32 v3, v1, v3
	v_mad_u64_u32 v[0:1], s[0:1], v3, s42, v[0:1]
	v_mad_u64_u32 v[2:3], s[0:1], v3, s43, v[2:3]
.LBB87_16:
	v_mov_b32_e32 v3, s11
	s_and_b32 s18, 0xffff, s80
	v_add_co_u32_e32 v1, vcc, s10, v2
	s_cmp_lt_i32 s18, 11
	v_addc_co_u32_e32 v2, vcc, 0, v3, vcc
	s_cbranch_scc1 .LBB87_23
; %bb.17:
	s_cmp_gt_i32 s18, 25
	s_cbranch_scc0 .LBB87_32
; %bb.18:
	s_cmp_gt_i32 s18, 28
	s_cbranch_scc0 .LBB87_35
	;; [unrolled: 3-line block ×4, first 2 shown]
; %bb.21:
	s_cmp_eq_u32 s18, 46
	s_mov_b64 s[16:17], 0
	s_cbranch_scc0 .LBB87_41
; %bb.22:
	global_load_dword v3, v[1:2], off
	s_mov_b32 s0, 0x2f800000
	s_mov_b32 s1, 0xcf800000
	s_mov_b64 s[2:3], 0
	s_waitcnt vmcnt(0)
	v_lshlrev_b32_e32 v3, 16, v3
	v_trunc_f32_e32 v3, v3
	v_mul_f32_e64 v4, |v3|, s0
	v_floor_f32_e32 v4, v4
	v_fma_f32 v5, v4, s1, |v3|
	v_cvt_u32_f32_e32 v5, v5
	v_cvt_u32_f32_e32 v4, v4
	v_ashrrev_i32_e32 v6, 31, v3
	s_mov_b64 s[0:1], -1
	v_xor_b32_e32 v3, v5, v6
	v_xor_b32_e32 v4, v4, v6
	v_sub_co_u32_e32 v3, vcc, v3, v6
	v_subb_co_u32_e32 v4, vcc, v4, v6, vcc
	s_branch .LBB87_43
.LBB87_23:
	s_mov_b64 s[2:3], 0
                                        ; implicit-def: $vgpr3_vgpr4
	s_mov_b64 s[0:1], 0
	s_cbranch_execnz .LBB87_212
.LBB87_24:
	s_andn2_b64 vcc, exec, s[0:1]
	s_cbranch_vccnz .LBB87_259
.LBB87_25:
	s_waitcnt vmcnt(0)
	v_cmp_lt_i64_e32 vcc, s[12:13], v[3:4]
	v_mov_b32_e32 v1, s15
	v_mov_b32_e32 v2, s49
	v_cndmask_b32_e32 v2, v1, v2, vcc
	v_mov_b32_e32 v1, s14
	v_mov_b32_e32 v3, s48
	v_cndmask_b32_e32 v1, v1, v3, vcc
	v_mov_b32_e32 v4, s9
	s_and_b32 s22, s79, 0xff
	v_add_co_u32_e32 v3, vcc, s8, v0
	s_cmp_lt_i32 s22, 11
	v_addc_co_u32_e32 v4, vcc, 0, v4, vcc
	s_cbranch_scc1 .LBB87_33
; %bb.26:
	s_and_b32 s23, 0xffff, s22
	s_cmp_gt_i32 s23, 25
	s_cbranch_scc0 .LBB87_36
; %bb.27:
	s_cmp_gt_i32 s23, 28
	s_cbranch_scc0 .LBB87_38
; %bb.28:
	;; [unrolled: 3-line block ×4, first 2 shown]
	s_mov_b64 s[18:19], 0
	s_mov_b64 s[0:1], -1
	s_cmp_eq_u32 s23, 46
	s_mov_b64 s[16:17], 0
	s_cbranch_scc0 .LBB87_47
; %bb.31:
	v_xor_b32_e32 v5, v1, v2
	v_ffbh_i32_e32 v0, v2
	v_ashrrev_i32_e32 v5, 31, v5
	v_add_u32_e32 v0, -1, v0
	v_add_u32_e32 v5, 32, v5
	v_min_u32_e32 v0, v0, v5
	v_lshlrev_b64 v[5:6], v0, v[1:2]
	v_sub_u32_e32 v0, 32, v0
	v_min_u32_e32 v5, 1, v5
	v_or_b32_e32 v5, v6, v5
	v_cvt_f32_i32_e32 v5, v5
	s_movk_i32 s0, 0x7fff
	s_mov_b64 s[16:17], -1
	v_ldexp_f32 v0, v5, v0
	v_bfe_u32 v5, v0, 16, 1
	v_add3_u32 v0, v0, v5, s0
	v_lshrrev_b32_e32 v0, 16, v0
	global_store_dword v[3:4], v0, off
	s_mov_b64 s[0:1], 0
	s_branch .LBB87_47
.LBB87_32:
	s_mov_b64 s[2:3], 0
	s_mov_b64 s[0:1], 0
                                        ; implicit-def: $vgpr3_vgpr4
	s_cbranch_execnz .LBB87_181
	s_branch .LBB87_211
.LBB87_33:
	s_mov_b64 s[0:1], 0
	s_mov_b64 s[16:17], 0
	s_cbranch_execnz .LBB87_116
.LBB87_34:
	s_andn2_b64 vcc, exec, s[16:17]
	s_cbranch_vccnz .LBB87_260
	s_branch .LBB87_154
.LBB87_35:
	s_mov_b64 s[16:17], -1
	s_mov_b64 s[2:3], 0
	s_mov_b64 s[0:1], 0
                                        ; implicit-def: $vgpr3_vgpr4
	s_branch .LBB87_162
.LBB87_36:
	s_mov_b64 s[18:19], -1
	s_mov_b64 s[0:1], 0
	s_mov_b64 s[16:17], 0
	s_branch .LBB87_74
.LBB87_37:
	s_mov_b64 s[16:17], -1
	s_mov_b64 s[2:3], 0
	s_mov_b64 s[0:1], 0
                                        ; implicit-def: $vgpr3_vgpr4
	s_branch .LBB87_157
.LBB87_38:
	s_mov_b64 s[18:19], -1
	s_mov_b64 s[0:1], 0
	s_mov_b64 s[16:17], 0
	s_branch .LBB87_57
.LBB87_39:
	s_mov_b64 s[16:17], -1
	s_mov_b64 s[2:3], 0
	s_branch .LBB87_42
.LBB87_40:
	s_mov_b64 s[18:19], -1
	s_mov_b64 s[0:1], 0
	s_mov_b64 s[16:17], 0
	s_branch .LBB87_53
.LBB87_41:
	s_mov_b64 s[2:3], -1
.LBB87_42:
	s_mov_b64 s[0:1], 0
                                        ; implicit-def: $vgpr3_vgpr4
.LBB87_43:
	s_and_b64 vcc, exec, s[16:17]
	s_cbranch_vccz .LBB87_156
; %bb.44:
	s_cmp_eq_u32 s18, 44
	s_cbranch_scc0 .LBB87_155
; %bb.45:
	global_load_ubyte v3, v[1:2], off
	s_mov_b32 s0, 0x2f800000
	s_mov_b32 s1, 0xcf800000
	s_mov_b64 s[2:3], 0
	s_waitcnt vmcnt(0)
	v_lshlrev_b32_e32 v4, 23, v3
	v_trunc_f32_e32 v4, v4
	v_mul_f32_e64 v5, |v4|, s0
	v_floor_f32_e32 v5, v5
	v_fma_f32 v6, v5, s1, |v4|
	v_cvt_u32_f32_e32 v6, v6
	v_cvt_u32_f32_e32 v5, v5
	v_ashrrev_i32_e32 v4, 31, v4
	s_mov_b64 s[0:1], -1
	v_xor_b32_e32 v6, v6, v4
	v_xor_b32_e32 v5, v5, v4
	v_sub_co_u32_e32 v6, vcc, v6, v4
	v_subb_co_u32_e32 v4, vcc, v5, v4, vcc
	v_cmp_ne_u32_e32 vcc, 0, v3
	v_cndmask_b32_e32 v4, 0, v4, vcc
	v_cndmask_b32_e32 v3, 0, v6, vcc
	s_branch .LBB87_156
.LBB87_46:
	s_mov_b64 s[18:19], -1
	s_mov_b64 s[0:1], 0
	s_mov_b64 s[16:17], 0
.LBB87_47:
	s_and_b64 vcc, exec, s[18:19]
	s_cbranch_vccz .LBB87_52
; %bb.48:
	s_cmp_eq_u32 s23, 44
	s_mov_b64 s[0:1], -1
	s_cbranch_scc0 .LBB87_52
; %bb.49:
	v_xor_b32_e32 v5, v1, v2
	v_ffbh_i32_e32 v0, v2
	v_ashrrev_i32_e32 v5, 31, v5
	v_add_u32_e32 v0, -1, v0
	v_add_u32_e32 v5, 32, v5
	v_min_u32_e32 v0, v0, v5
	v_lshlrev_b64 v[5:6], v0, v[1:2]
	v_sub_u32_e32 v0, 32, v0
	v_min_u32_e32 v5, 1, v5
	v_or_b32_e32 v5, v6, v5
	v_cvt_f32_i32_e32 v5, v5
	s_movk_i32 s0, 0xff
	v_mov_b32_e32 v6, 0xff
	v_ldexp_f32 v0, v5, v0
	v_bfe_u32 v5, v0, 23, 8
	v_cmp_ne_u32_e32 vcc, s0, v5
	s_and_saveexec_b64 s[16:17], vcc
; %bb.50:
	s_mov_b32 s0, 0x3fffff
	v_lshrrev_b32_e32 v6, 23, v0
	v_and_b32_e32 v7, 0x400000, v0
	v_and_or_b32 v0, v0, s0, v5
	v_cmp_ne_u32_e32 vcc, 0, v7
	v_cmp_ne_u32_e64 s[0:1], 0, v0
	s_and_b64 s[0:1], vcc, s[0:1]
	v_cndmask_b32_e64 v0, 0, 1, s[0:1]
	v_add_u32_e32 v6, v6, v0
; %bb.51:
	s_or_b64 exec, exec, s[16:17]
	s_mov_b64 s[16:17], -1
	s_mov_b64 s[0:1], 0
	global_store_byte v[3:4], v6, off
.LBB87_52:
	s_mov_b64 s[18:19], 0
.LBB87_53:
	s_and_b64 vcc, exec, s[18:19]
	s_cbranch_vccz .LBB87_56
; %bb.54:
	s_cmp_eq_u32 s23, 29
	s_mov_b64 s[0:1], -1
	s_cbranch_scc0 .LBB87_56
; %bb.55:
	global_store_dwordx2 v[3:4], v[1:2], off
	s_mov_b64 s[16:17], -1
	s_mov_b64 s[0:1], 0
.LBB87_56:
	s_mov_b64 s[18:19], 0
.LBB87_57:
	s_and_b64 vcc, exec, s[18:19]
	s_cbranch_vccz .LBB87_73
; %bb.58:
	s_cmp_lt_i32 s23, 27
	s_mov_b64 s[16:17], -1
	s_cbranch_scc1 .LBB87_64
; %bb.59:
	s_cmp_gt_i32 s23, 27
	s_cbranch_scc0 .LBB87_61
; %bb.60:
	s_mov_b64 s[16:17], 0
	global_store_dword v[3:4], v1, off
.LBB87_61:
	s_andn2_b64 vcc, exec, s[16:17]
	s_cbranch_vccnz .LBB87_63
; %bb.62:
	global_store_short v[3:4], v1, off
.LBB87_63:
	s_mov_b64 s[16:17], 0
.LBB87_64:
	s_andn2_b64 vcc, exec, s[16:17]
	s_cbranch_vccnz .LBB87_72
; %bb.65:
	v_xor_b32_e32 v5, v1, v2
	v_ffbh_i32_e32 v0, v2
	v_ashrrev_i32_e32 v5, 31, v5
	v_add_u32_e32 v0, -1, v0
	v_add_u32_e32 v5, 32, v5
	v_min_u32_e32 v0, v0, v5
	v_lshlrev_b64 v[5:6], v0, v[1:2]
	v_sub_u32_e32 v0, 32, v0
	v_min_u32_e32 v5, 1, v5
	v_or_b32_e32 v5, v6, v5
	v_cvt_f32_i32_e32 v5, v5
	s_mov_b32 s16, 0x43800000
	v_mov_b32_e32 v6, 0x80
	v_ldexp_f32 v0, v5, v0
	v_and_b32_e32 v5, 0x7fffffff, v0
	v_cmp_gt_u32_e32 vcc, s16, v5
	s_and_saveexec_b64 s[16:17], vcc
	s_cbranch_execz .LBB87_71
; %bb.66:
	s_mov_b32 s18, 0x3bffffff
	v_cmp_lt_u32_e32 vcc, s18, v5
	s_mov_b64 s[18:19], 0
                                        ; implicit-def: $vgpr5
	s_and_saveexec_b64 s[20:21], vcc
	s_xor_b64 s[20:21], exec, s[20:21]
	s_cbranch_execz .LBB87_303
; %bb.67:
	v_bfe_u32 v5, v0, 20, 1
	s_mov_b32 s24, 0x487ffff
	v_add3_u32 v5, v0, v5, s24
	s_mov_b64 s[18:19], exec
	v_lshrrev_b32_e32 v5, 20, v5
	s_andn2_saveexec_b64 s[20:21], s[20:21]
	s_cbranch_execnz .LBB87_304
.LBB87_68:
	s_or_b64 exec, exec, s[20:21]
	v_mov_b32_e32 v6, 0
	s_and_saveexec_b64 s[20:21], s[18:19]
.LBB87_69:
	v_lshrrev_b32_e32 v0, 24, v0
	s_movk_i32 s18, 0x80
	v_and_or_b32 v6, v0, s18, v5
.LBB87_70:
	s_or_b64 exec, exec, s[20:21]
.LBB87_71:
	s_or_b64 exec, exec, s[16:17]
	global_store_byte v[3:4], v6, off
.LBB87_72:
	s_mov_b64 s[16:17], -1
.LBB87_73:
	s_mov_b64 s[18:19], 0
.LBB87_74:
	s_and_b64 vcc, exec, s[18:19]
	s_cbranch_vccz .LBB87_115
; %bb.75:
	s_cmp_gt_i32 s23, 22
	s_mov_b64 s[18:19], -1
	s_cbranch_scc0 .LBB87_107
; %bb.76:
	s_cmp_lt_i32 s23, 24
	s_mov_b64 s[16:17], -1
	s_cbranch_scc1 .LBB87_96
; %bb.77:
	s_cmp_gt_i32 s23, 24
	s_cbranch_scc0 .LBB87_85
; %bb.78:
	v_xor_b32_e32 v5, v1, v2
	v_ffbh_i32_e32 v0, v2
	v_ashrrev_i32_e32 v5, 31, v5
	v_add_u32_e32 v0, -1, v0
	v_add_u32_e32 v5, 32, v5
	v_min_u32_e32 v0, v0, v5
	v_lshlrev_b64 v[5:6], v0, v[1:2]
	v_sub_u32_e32 v0, 32, v0
	v_min_u32_e32 v5, 1, v5
	v_or_b32_e32 v5, v6, v5
	v_cvt_f32_i32_e32 v5, v5
	s_mov_b32 s16, 0x47800000
	v_mov_b32_e32 v6, 0x80
	v_ldexp_f32 v0, v5, v0
	v_and_b32_e32 v5, 0x7fffffff, v0
	v_cmp_gt_u32_e32 vcc, s16, v5
	s_and_saveexec_b64 s[16:17], vcc
	s_cbranch_execz .LBB87_84
; %bb.79:
	s_mov_b32 s18, 0x37ffffff
	v_cmp_lt_u32_e32 vcc, s18, v5
	s_mov_b64 s[18:19], 0
                                        ; implicit-def: $vgpr5
	s_and_saveexec_b64 s[20:21], vcc
	s_xor_b64 s[20:21], exec, s[20:21]
	s_cbranch_execz .LBB87_307
; %bb.80:
	v_bfe_u32 v5, v0, 21, 1
	s_mov_b32 s24, 0x88fffff
	v_add3_u32 v5, v0, v5, s24
	s_mov_b64 s[18:19], exec
	v_lshrrev_b32_e32 v5, 21, v5
	s_andn2_saveexec_b64 s[20:21], s[20:21]
	s_cbranch_execnz .LBB87_308
.LBB87_81:
	s_or_b64 exec, exec, s[20:21]
	v_mov_b32_e32 v6, 0
	s_and_saveexec_b64 s[20:21], s[18:19]
.LBB87_82:
	v_lshrrev_b32_e32 v0, 24, v0
	s_movk_i32 s18, 0x80
	v_and_or_b32 v6, v0, s18, v5
.LBB87_83:
	s_or_b64 exec, exec, s[20:21]
.LBB87_84:
	s_or_b64 exec, exec, s[16:17]
	s_mov_b64 s[16:17], 0
	global_store_byte v[3:4], v6, off
.LBB87_85:
	s_and_b64 vcc, exec, s[16:17]
	s_cbranch_vccz .LBB87_95
; %bb.86:
	v_xor_b32_e32 v5, v1, v2
	v_ffbh_i32_e32 v0, v2
	v_ashrrev_i32_e32 v5, 31, v5
	v_add_u32_e32 v0, -1, v0
	v_add_u32_e32 v5, 32, v5
	v_min_u32_e32 v0, v0, v5
	v_lshlrev_b64 v[5:6], v0, v[1:2]
	v_sub_u32_e32 v0, 32, v0
	v_min_u32_e32 v5, 1, v5
	v_or_b32_e32 v5, v6, v5
	v_cvt_f32_i32_e32 v5, v5
	s_mov_b32 s16, 0x43f00000
	v_ldexp_f32 v0, v5, v0
	v_and_b32_e32 v6, 0x7fffffff, v0
	v_cmp_gt_u32_e32 vcc, s16, v6
                                        ; implicit-def: $vgpr5
	s_and_saveexec_b64 s[16:17], vcc
	s_xor_b64 s[16:17], exec, s[16:17]
	s_cbranch_execz .LBB87_92
; %bb.87:
	s_mov_b32 s18, 0x3c7fffff
	v_cmp_lt_u32_e32 vcc, s18, v6
                                        ; implicit-def: $vgpr5
	s_and_saveexec_b64 s[18:19], vcc
	s_xor_b64 s[18:19], exec, s[18:19]
; %bb.88:
	v_bfe_u32 v5, v0, 20, 1
	s_mov_b32 s20, 0x407ffff
	v_add3_u32 v5, v0, v5, s20
	v_lshrrev_b32_e32 v6, 20, v5
	v_and_b32_e32 v5, 0xff00000, v5
	s_mov_b32 s20, 0x7f00000
	v_mov_b32_e32 v7, 0x7e
	v_cmp_ne_u32_e32 vcc, s20, v5
	v_cndmask_b32_e32 v5, v7, v6, vcc
; %bb.89:
	s_andn2_saveexec_b64 s[18:19], s[18:19]
; %bb.90:
	s_mov_b32 s20, 0x46800000
	v_add_f32_e64 v5, |v0|, s20
; %bb.91:
	s_or_b64 exec, exec, s[18:19]
                                        ; implicit-def: $vgpr6
.LBB87_92:
	s_andn2_saveexec_b64 s[16:17], s[16:17]
; %bb.93:
	s_mov_b32 s18, 0x7f800000
	v_mov_b32_e32 v5, 0x7e
	v_mov_b32_e32 v7, 0x7f
	v_cmp_lt_u32_e32 vcc, s18, v6
	v_cndmask_b32_e32 v5, v5, v7, vcc
; %bb.94:
	s_or_b64 exec, exec, s[16:17]
	v_lshrrev_b32_e32 v0, 24, v0
	s_movk_i32 s16, 0x80
	v_and_or_b32 v0, v0, s16, v5
	global_store_byte v[3:4], v0, off
.LBB87_95:
	s_mov_b64 s[16:17], 0
.LBB87_96:
	s_andn2_b64 vcc, exec, s[16:17]
	s_cbranch_vccnz .LBB87_106
; %bb.97:
	v_xor_b32_e32 v5, v1, v2
	v_ffbh_i32_e32 v0, v2
	v_ashrrev_i32_e32 v5, 31, v5
	v_add_u32_e32 v0, -1, v0
	v_add_u32_e32 v5, 32, v5
	v_min_u32_e32 v0, v0, v5
	v_lshlrev_b64 v[5:6], v0, v[1:2]
	v_sub_u32_e32 v0, 32, v0
	v_min_u32_e32 v5, 1, v5
	v_or_b32_e32 v5, v6, v5
	v_cvt_f32_i32_e32 v5, v5
	s_mov_b32 s16, 0x47800000
	v_ldexp_f32 v0, v5, v0
	v_and_b32_e32 v6, 0x7fffffff, v0
	v_cmp_gt_u32_e32 vcc, s16, v6
                                        ; implicit-def: $vgpr5
	s_and_saveexec_b64 s[16:17], vcc
	s_xor_b64 s[16:17], exec, s[16:17]
	s_cbranch_execz .LBB87_103
; %bb.98:
	s_mov_b32 s18, 0x387fffff
	v_cmp_lt_u32_e32 vcc, s18, v6
                                        ; implicit-def: $vgpr5
	s_and_saveexec_b64 s[18:19], vcc
	s_xor_b64 s[18:19], exec, s[18:19]
; %bb.99:
	v_bfe_u32 v5, v0, 21, 1
	s_mov_b32 s20, 0x80fffff
	v_add3_u32 v5, v0, v5, s20
	v_lshrrev_b32_e32 v5, 21, v5
; %bb.100:
	s_andn2_saveexec_b64 s[18:19], s[18:19]
; %bb.101:
	s_mov_b32 s20, 0x43000000
	v_add_f32_e64 v5, |v0|, s20
; %bb.102:
	s_or_b64 exec, exec, s[18:19]
                                        ; implicit-def: $vgpr6
.LBB87_103:
	s_andn2_saveexec_b64 s[16:17], s[16:17]
; %bb.104:
	s_mov_b32 s18, 0x7f800000
	v_mov_b32_e32 v5, 0x7c
	v_mov_b32_e32 v7, 0x7f
	v_cmp_lt_u32_e32 vcc, s18, v6
	v_cndmask_b32_e32 v5, v5, v7, vcc
; %bb.105:
	s_or_b64 exec, exec, s[16:17]
	v_lshrrev_b32_e32 v0, 24, v0
	s_movk_i32 s16, 0x80
	v_and_or_b32 v0, v0, s16, v5
	global_store_byte v[3:4], v0, off
.LBB87_106:
	s_mov_b64 s[18:19], 0
	s_mov_b64 s[16:17], -1
.LBB87_107:
	s_andn2_b64 vcc, exec, s[18:19]
	s_cbranch_vccnz .LBB87_115
; %bb.108:
	s_cmp_gt_i32 s23, 14
	s_mov_b64 s[18:19], -1
	s_cbranch_scc0 .LBB87_112
; %bb.109:
	s_cmp_eq_u32 s23, 15
	s_mov_b64 s[0:1], -1
	s_cbranch_scc0 .LBB87_111
; %bb.110:
	v_xor_b32_e32 v5, v1, v2
	v_ffbh_i32_e32 v0, v2
	v_ashrrev_i32_e32 v5, 31, v5
	v_add_u32_e32 v0, -1, v0
	v_add_u32_e32 v5, 32, v5
	v_min_u32_e32 v0, v0, v5
	v_lshlrev_b64 v[5:6], v0, v[1:2]
	v_sub_u32_e32 v0, 32, v0
	v_min_u32_e32 v5, 1, v5
	v_or_b32_e32 v5, v6, v5
	v_cvt_f32_i32_e32 v5, v5
	s_movk_i32 s0, 0x7fff
	s_mov_b64 s[16:17], -1
	v_ldexp_f32 v0, v5, v0
	v_bfe_u32 v5, v0, 16, 1
	v_add3_u32 v0, v0, v5, s0
	global_store_short_d16_hi v[3:4], v0, off
	s_mov_b64 s[0:1], 0
.LBB87_111:
	s_mov_b64 s[18:19], 0
.LBB87_112:
	s_and_b64 vcc, exec, s[18:19]
	s_cbranch_vccz .LBB87_115
; %bb.113:
	s_cmp_eq_u32 s23, 11
	s_mov_b64 s[0:1], -1
	s_cbranch_scc0 .LBB87_115
; %bb.114:
	v_cmp_ne_u64_e32 vcc, 0, v[1:2]
	s_mov_b64 s[0:1], 0
	v_cndmask_b32_e64 v0, 0, 1, vcc
	s_mov_b64 s[16:17], -1
	global_store_byte v[3:4], v0, off
.LBB87_115:
	s_branch .LBB87_34
.LBB87_116:
	s_and_b32 s18, 0xffff, s22
	s_cmp_lt_i32 s18, 5
	s_mov_b64 s[16:17], -1
	s_cbranch_scc1 .LBB87_137
; %bb.117:
	s_cmp_lt_i32 s18, 8
	s_cbranch_scc1 .LBB87_127
; %bb.118:
	s_cmp_lt_i32 s18, 9
	s_cbranch_scc1 .LBB87_124
; %bb.119:
	s_cmp_gt_i32 s18, 9
	s_cbranch_scc0 .LBB87_121
; %bb.120:
	v_cvt_f64_i32_e32 v[5:6], v2
	v_cvt_f64_u32_e32 v[7:8], v1
	s_mov_b64 s[16:17], 0
	v_ldexp_f64 v[5:6], v[5:6], 32
	v_add_f64 v[5:6], v[5:6], v[7:8]
	v_mov_b32_e32 v7, 0
	v_mov_b32_e32 v8, v7
	global_store_dwordx4 v[3:4], v[5:8], off
.LBB87_121:
	s_andn2_b64 vcc, exec, s[16:17]
	s_cbranch_vccnz .LBB87_123
; %bb.122:
	v_xor_b32_e32 v5, v1, v2
	v_ffbh_i32_e32 v0, v2
	v_ashrrev_i32_e32 v5, 31, v5
	v_add_u32_e32 v0, -1, v0
	v_add_u32_e32 v5, 32, v5
	v_min_u32_e32 v0, v0, v5
	v_lshlrev_b64 v[5:6], v0, v[1:2]
	v_sub_u32_e32 v0, 32, v0
	v_min_u32_e32 v5, 1, v5
	v_or_b32_e32 v5, v6, v5
	v_cvt_f32_i32_e32 v5, v5
	v_mov_b32_e32 v6, 0
	v_ldexp_f32 v5, v5, v0
	global_store_dwordx2 v[3:4], v[5:6], off
.LBB87_123:
	s_mov_b64 s[16:17], 0
.LBB87_124:
	s_andn2_b64 vcc, exec, s[16:17]
	s_cbranch_vccnz .LBB87_126
; %bb.125:
	v_xor_b32_e32 v5, v1, v2
	v_ffbh_i32_e32 v0, v2
	v_ashrrev_i32_e32 v5, 31, v5
	v_add_u32_e32 v0, -1, v0
	v_add_u32_e32 v5, 32, v5
	v_min_u32_e32 v0, v0, v5
	v_lshlrev_b64 v[5:6], v0, v[1:2]
	v_sub_u32_e32 v0, 32, v0
	v_min_u32_e32 v5, 1, v5
	v_or_b32_e32 v5, v6, v5
	v_cvt_f32_i32_e32 v5, v5
	v_ldexp_f32 v0, v5, v0
	v_cvt_f16_f32_e32 v0, v0
	global_store_dword v[3:4], v0, off
.LBB87_126:
	s_mov_b64 s[16:17], 0
.LBB87_127:
	s_andn2_b64 vcc, exec, s[16:17]
	s_cbranch_vccnz .LBB87_136
; %bb.128:
	s_cmp_lt_i32 s18, 6
	s_mov_b64 s[16:17], -1
	s_cbranch_scc1 .LBB87_134
; %bb.129:
	s_cmp_gt_i32 s18, 6
	s_cbranch_scc0 .LBB87_131
; %bb.130:
	v_cvt_f64_i32_e32 v[5:6], v2
	v_cvt_f64_u32_e32 v[7:8], v1
	s_mov_b64 s[16:17], 0
	v_ldexp_f64 v[5:6], v[5:6], 32
	v_add_f64 v[5:6], v[5:6], v[7:8]
	global_store_dwordx2 v[3:4], v[5:6], off
.LBB87_131:
	s_andn2_b64 vcc, exec, s[16:17]
	s_cbranch_vccnz .LBB87_133
; %bb.132:
	v_xor_b32_e32 v5, v1, v2
	v_ffbh_i32_e32 v0, v2
	v_ashrrev_i32_e32 v5, 31, v5
	v_add_u32_e32 v0, -1, v0
	v_add_u32_e32 v5, 32, v5
	v_min_u32_e32 v0, v0, v5
	v_lshlrev_b64 v[5:6], v0, v[1:2]
	v_sub_u32_e32 v0, 32, v0
	v_min_u32_e32 v5, 1, v5
	v_or_b32_e32 v5, v6, v5
	v_cvt_f32_i32_e32 v5, v5
	v_ldexp_f32 v0, v5, v0
	global_store_dword v[3:4], v0, off
.LBB87_133:
	s_mov_b64 s[16:17], 0
.LBB87_134:
	s_andn2_b64 vcc, exec, s[16:17]
	s_cbranch_vccnz .LBB87_136
; %bb.135:
	v_xor_b32_e32 v5, v1, v2
	v_ffbh_i32_e32 v0, v2
	v_ashrrev_i32_e32 v5, 31, v5
	v_add_u32_e32 v0, -1, v0
	v_add_u32_e32 v5, 32, v5
	v_min_u32_e32 v0, v0, v5
	v_lshlrev_b64 v[5:6], v0, v[1:2]
	v_sub_u32_e32 v0, 32, v0
	v_min_u32_e32 v5, 1, v5
	v_or_b32_e32 v5, v6, v5
	v_cvt_f32_i32_e32 v5, v5
	v_ldexp_f32 v0, v5, v0
	v_cvt_f16_f32_e32 v0, v0
	global_store_short v[3:4], v0, off
.LBB87_136:
	s_mov_b64 s[16:17], 0
.LBB87_137:
	s_andn2_b64 vcc, exec, s[16:17]
	s_cbranch_vccnz .LBB87_153
; %bb.138:
	s_cmp_lt_i32 s18, 2
	s_mov_b64 s[16:17], -1
	s_cbranch_scc1 .LBB87_148
; %bb.139:
	s_cmp_lt_i32 s18, 3
	s_cbranch_scc1 .LBB87_145
; %bb.140:
	s_cmp_gt_i32 s18, 3
	s_cbranch_scc0 .LBB87_142
; %bb.141:
	global_store_dwordx2 v[3:4], v[1:2], off
	s_mov_b64 s[16:17], 0
.LBB87_142:
	s_andn2_b64 vcc, exec, s[16:17]
	s_cbranch_vccnz .LBB87_144
; %bb.143:
	global_store_dword v[3:4], v1, off
.LBB87_144:
	s_mov_b64 s[16:17], 0
.LBB87_145:
	s_andn2_b64 vcc, exec, s[16:17]
	s_cbranch_vccnz .LBB87_147
; %bb.146:
	global_store_short v[3:4], v1, off
.LBB87_147:
	s_mov_b64 s[16:17], 0
.LBB87_148:
	s_andn2_b64 vcc, exec, s[16:17]
	s_cbranch_vccnz .LBB87_153
; %bb.149:
	s_cmp_gt_i32 s18, 0
	s_mov_b64 s[16:17], -1
	s_cbranch_scc0 .LBB87_151
; %bb.150:
	global_store_byte v[3:4], v1, off
	s_mov_b64 s[16:17], 0
.LBB87_151:
	s_andn2_b64 vcc, exec, s[16:17]
	s_cbranch_vccnz .LBB87_153
; %bb.152:
	global_store_byte v[3:4], v1, off
.LBB87_153:
.LBB87_154:
	v_add_u32_e32 v11, 0x80, v11
	s_mov_b64 s[16:17], -1
	s_branch .LBB87_261
.LBB87_155:
	s_mov_b64 s[2:3], -1
                                        ; implicit-def: $vgpr3_vgpr4
.LBB87_156:
	s_mov_b64 s[16:17], 0
.LBB87_157:
	s_and_b64 vcc, exec, s[16:17]
	s_cbranch_vccz .LBB87_161
; %bb.158:
	s_cmp_eq_u32 s18, 29
	s_cbranch_scc0 .LBB87_160
; %bb.159:
	global_load_dwordx2 v[3:4], v[1:2], off
	s_mov_b64 s[0:1], -1
	s_mov_b64 s[2:3], 0
	s_branch .LBB87_161
.LBB87_160:
	s_mov_b64 s[2:3], -1
                                        ; implicit-def: $vgpr3_vgpr4
.LBB87_161:
	s_mov_b64 s[16:17], 0
.LBB87_162:
	s_and_b64 vcc, exec, s[16:17]
	s_cbranch_vccz .LBB87_180
; %bb.163:
	s_cmp_lt_i32 s18, 27
	s_cbranch_scc1 .LBB87_166
; %bb.164:
	s_cmp_gt_i32 s18, 27
	s_cbranch_scc0 .LBB87_167
; %bb.165:
	global_load_dword v3, v[1:2], off
	s_waitcnt vmcnt(1)
	v_mov_b32_e32 v4, 0
	s_mov_b64 s[0:1], 0
	s_branch .LBB87_168
.LBB87_166:
	s_mov_b64 s[0:1], -1
                                        ; implicit-def: $vgpr3_vgpr4
	s_branch .LBB87_171
.LBB87_167:
	s_mov_b64 s[0:1], -1
                                        ; implicit-def: $vgpr3_vgpr4
.LBB87_168:
	s_andn2_b64 vcc, exec, s[0:1]
	s_cbranch_vccnz .LBB87_170
; %bb.169:
	global_load_ushort v3, v[1:2], off
	s_mov_b32 s0, 0
	s_waitcnt vmcnt(1)
	v_mov_b32_e32 v4, s0
	s_waitcnt vmcnt(0)
	v_and_b32_e32 v3, 0xffff, v3
.LBB87_170:
	s_mov_b64 s[0:1], 0
.LBB87_171:
	s_andn2_b64 vcc, exec, s[0:1]
	s_cbranch_vccnz .LBB87_179
; %bb.172:
	global_load_ubyte v5, v[1:2], off
	s_movk_i32 s0, 0x7f
	s_mov_b64 s[16:17], 0
	s_waitcnt vmcnt(0)
	v_cmp_lt_i16_e32 vcc, s0, v5
	s_and_saveexec_b64 s[0:1], vcc
	s_xor_b64 s[0:1], exec, s[0:1]
; %bb.173:
	s_movk_i32 s16, 0x80
	v_cmp_ne_u16_e32 vcc, s16, v5
	s_and_b64 s[16:17], vcc, exec
; %bb.174:
	s_andn2_saveexec_b64 s[0:1], s[0:1]
; %bb.175:
	v_cmp_ne_u16_e32 vcc, 0, v5
	s_andn2_b64 s[16:17], s[16:17], exec
	s_and_b64 s[20:21], vcc, exec
	s_or_b64 s[16:17], s[16:17], s[20:21]
; %bb.176:
	s_or_b64 exec, exec, s[0:1]
	v_mov_b32_e32 v3, 0
	v_mov_b32_e32 v4, 0
	s_and_saveexec_b64 s[0:1], s[16:17]
	s_cbranch_execz .LBB87_178
; %bb.177:
	v_and_b32_e32 v4, 0xffff, v5
	v_lshlrev_b32_e32 v3, 24, v5
	v_and_b32_e32 v5, 7, v4
	v_ffbh_u32_e32 v7, v5
	v_min_u32_e32 v7, 32, v7
	v_subrev_u32_e32 v8, 28, v7
	v_bfe_u32 v6, v4, 3, 4
	v_lshlrev_b32_e32 v4, v8, v4
	v_sub_u32_e32 v7, 29, v7
	v_and_b32_e32 v4, 7, v4
	v_cmp_eq_u32_e32 vcc, 0, v6
	v_cndmask_b32_e32 v6, v6, v7, vcc
	v_cndmask_b32_e32 v4, v5, v4, vcc
	v_mov_b32_e32 v5, 0x3b800000
	v_lshlrev_b32_e32 v4, 20, v4
	v_and_b32_e32 v3, 0x80000000, v3
	v_lshl_add_u32 v5, v6, 23, v5
	v_or3_b32 v3, v3, v5, v4
	v_trunc_f32_e32 v3, v3
	s_mov_b32 s16, 0x2f800000
	v_mul_f32_e64 v4, |v3|, s16
	v_floor_f32_e32 v4, v4
	s_mov_b32 s16, 0xcf800000
	v_fma_f32 v5, v4, s16, |v3|
	v_cvt_u32_f32_e32 v5, v5
	v_cvt_u32_f32_e32 v4, v4
	v_ashrrev_i32_e32 v6, 31, v3
	v_xor_b32_e32 v3, v5, v6
	v_xor_b32_e32 v4, v4, v6
	v_sub_co_u32_e32 v3, vcc, v3, v6
	v_subb_co_u32_e32 v4, vcc, v4, v6, vcc
.LBB87_178:
	s_or_b64 exec, exec, s[0:1]
.LBB87_179:
	s_mov_b64 s[0:1], -1
.LBB87_180:
	s_branch .LBB87_211
.LBB87_181:
	s_cmp_gt_i32 s18, 22
	s_cbranch_scc0 .LBB87_191
; %bb.182:
	s_cmp_lt_i32 s18, 24
	s_cbranch_scc1 .LBB87_192
; %bb.183:
	s_cmp_gt_i32 s18, 24
	s_cbranch_scc0 .LBB87_193
; %bb.184:
	global_load_ubyte v5, v[1:2], off
	s_movk_i32 s0, 0x7f
	s_mov_b64 s[16:17], 0
	s_waitcnt vmcnt(0)
	v_cmp_lt_i16_e32 vcc, s0, v5
	s_and_saveexec_b64 s[0:1], vcc
	s_xor_b64 s[0:1], exec, s[0:1]
; %bb.185:
	s_movk_i32 s16, 0x80
	v_cmp_ne_u16_e32 vcc, s16, v5
	s_and_b64 s[16:17], vcc, exec
; %bb.186:
	s_andn2_saveexec_b64 s[0:1], s[0:1]
; %bb.187:
	v_cmp_ne_u16_e32 vcc, 0, v5
	s_andn2_b64 s[16:17], s[16:17], exec
	s_and_b64 s[20:21], vcc, exec
	s_or_b64 s[16:17], s[16:17], s[20:21]
; %bb.188:
	s_or_b64 exec, exec, s[0:1]
	v_mov_b32_e32 v3, 0
	v_mov_b32_e32 v4, 0
	s_and_saveexec_b64 s[0:1], s[16:17]
	s_cbranch_execz .LBB87_190
; %bb.189:
	v_and_b32_e32 v4, 0xffff, v5
	v_lshlrev_b32_e32 v3, 24, v5
	v_and_b32_e32 v5, 3, v4
	v_ffbh_u32_e32 v7, v5
	v_min_u32_e32 v7, 32, v7
	v_subrev_u32_e32 v8, 29, v7
	v_bfe_u32 v6, v4, 2, 5
	v_lshlrev_b32_e32 v4, v8, v4
	v_sub_u32_e32 v7, 30, v7
	v_and_b32_e32 v4, 3, v4
	v_cmp_eq_u32_e32 vcc, 0, v6
	v_cndmask_b32_e32 v6, v6, v7, vcc
	v_cndmask_b32_e32 v4, v5, v4, vcc
	v_mov_b32_e32 v5, 0x37800000
	v_lshlrev_b32_e32 v4, 21, v4
	v_and_b32_e32 v3, 0x80000000, v3
	v_lshl_add_u32 v5, v6, 23, v5
	v_or3_b32 v3, v3, v5, v4
	v_trunc_f32_e32 v3, v3
	s_mov_b32 s16, 0x2f800000
	v_mul_f32_e64 v4, |v3|, s16
	v_floor_f32_e32 v4, v4
	s_mov_b32 s16, 0xcf800000
	v_fma_f32 v5, v4, s16, |v3|
	v_cvt_u32_f32_e32 v5, v5
	v_cvt_u32_f32_e32 v4, v4
	v_ashrrev_i32_e32 v6, 31, v3
	v_xor_b32_e32 v3, v5, v6
	v_xor_b32_e32 v4, v4, v6
	v_sub_co_u32_e32 v3, vcc, v3, v6
	v_subb_co_u32_e32 v4, vcc, v4, v6, vcc
.LBB87_190:
	s_or_b64 exec, exec, s[0:1]
	s_mov_b64 s[0:1], 0
	s_branch .LBB87_194
.LBB87_191:
	s_mov_b64 s[16:17], -1
                                        ; implicit-def: $vgpr3_vgpr4
	s_branch .LBB87_200
.LBB87_192:
	s_mov_b64 s[0:1], -1
                                        ; implicit-def: $vgpr3_vgpr4
	s_branch .LBB87_197
.LBB87_193:
	s_mov_b64 s[0:1], -1
                                        ; implicit-def: $vgpr3_vgpr4
.LBB87_194:
	s_and_b64 vcc, exec, s[0:1]
	s_cbranch_vccz .LBB87_196
; %bb.195:
	global_load_ubyte v3, v[1:2], off
	s_mov_b32 s0, 0x7f800000
	s_brev_b32 s1, 1
	s_mov_b32 s16, 0x2f800000
	s_mov_b32 s17, 0xcf800000
	s_waitcnt vmcnt(0)
	v_lshlrev_b32_e32 v3, 24, v3
	v_and_b32_e32 v4, 0x7f000000, v3
	v_ffbh_u32_e32 v5, v4
	v_min_u32_e32 v5, 32, v5
	v_sub_u32_e64 v5, v5, 4 clamp
	v_lshlrev_b32_e32 v7, v5, v4
	v_lshlrev_b32_e32 v5, 23, v5
	v_lshrrev_b32_e32 v7, 4, v7
	v_add_u32_e32 v6, 0x1000000, v4
	v_sub_u32_e32 v5, v7, v5
	v_ashrrev_i32_e32 v6, 8, v6
	v_add_u32_e32 v5, 0x3c000000, v5
	v_and_or_b32 v5, v6, s0, v5
	v_cmp_ne_u32_e32 vcc, 0, v4
	v_cndmask_b32_e32 v4, 0, v5, vcc
	v_and_or_b32 v3, v3, s1, v4
	v_trunc_f32_e32 v3, v3
	v_mul_f32_e64 v4, |v3|, s16
	v_floor_f32_e32 v4, v4
	v_fma_f32 v5, v4, s17, |v3|
	v_cvt_u32_f32_e32 v5, v5
	v_cvt_u32_f32_e32 v4, v4
	v_ashrrev_i32_e32 v6, 31, v3
	v_xor_b32_e32 v3, v5, v6
	v_xor_b32_e32 v4, v4, v6
	v_sub_co_u32_e32 v3, vcc, v3, v6
	v_subb_co_u32_e32 v4, vcc, v4, v6, vcc
.LBB87_196:
	s_mov_b64 s[0:1], 0
.LBB87_197:
	s_andn2_b64 vcc, exec, s[0:1]
	s_cbranch_vccnz .LBB87_199
; %bb.198:
	global_load_ubyte v3, v[1:2], off
	s_movk_i32 s0, 0x7f00
	s_brev_b32 s1, 16
	s_brev_b32 s16, 1
	s_mov_b32 s17, 0x2f800000
	s_mov_b32 s19, 0xcf800000
	s_waitcnt vmcnt(0)
	v_lshlrev_b16_e32 v4, 8, v3
	v_lshlrev_b32_e32 v3, 25, v3
	v_lshrrev_b32_e32 v5, 4, v3
	v_and_or_b32 v6, v4, s0, 0.5
	v_or_b32_e32 v5, 0x70000000, v5
	v_add_f32_e32 v6, -0.5, v6
	v_mul_f32_e32 v5, 0x7800000, v5
	v_cmp_gt_u32_e32 vcc, s1, v3
	v_bfe_i32 v4, v4, 0, 16
	v_cndmask_b32_e32 v3, v5, v6, vcc
	v_and_or_b32 v3, v4, s16, v3
	v_trunc_f32_e32 v3, v3
	v_mul_f32_e64 v4, |v3|, s17
	v_floor_f32_e32 v4, v4
	v_fma_f32 v5, v4, s19, |v3|
	v_cvt_u32_f32_e32 v5, v5
	v_cvt_u32_f32_e32 v4, v4
	v_ashrrev_i32_e32 v6, 31, v3
	v_xor_b32_e32 v3, v5, v6
	v_xor_b32_e32 v4, v4, v6
	v_sub_co_u32_e32 v3, vcc, v3, v6
	v_subb_co_u32_e32 v4, vcc, v4, v6, vcc
.LBB87_199:
	s_mov_b64 s[16:17], 0
	s_mov_b64 s[0:1], -1
.LBB87_200:
	s_andn2_b64 vcc, exec, s[16:17]
	s_cbranch_vccnz .LBB87_211
; %bb.201:
	s_cmp_gt_i32 s18, 14
	s_cbranch_scc0 .LBB87_204
; %bb.202:
	s_cmp_eq_u32 s18, 15
	s_cbranch_scc0 .LBB87_205
; %bb.203:
	global_load_ushort v3, v[1:2], off
	s_mov_b32 s0, 0x2f800000
	s_mov_b32 s1, 0xcf800000
	s_mov_b64 s[2:3], 0
	s_waitcnt vmcnt(0)
	v_lshlrev_b32_e32 v3, 16, v3
	v_trunc_f32_e32 v3, v3
	v_mul_f32_e64 v4, |v3|, s0
	v_floor_f32_e32 v4, v4
	v_fma_f32 v5, v4, s1, |v3|
	v_cvt_u32_f32_e32 v5, v5
	v_cvt_u32_f32_e32 v4, v4
	v_ashrrev_i32_e32 v6, 31, v3
	s_mov_b64 s[0:1], -1
	v_xor_b32_e32 v3, v5, v6
	v_xor_b32_e32 v4, v4, v6
	v_sub_co_u32_e32 v3, vcc, v3, v6
	v_subb_co_u32_e32 v4, vcc, v4, v6, vcc
	s_branch .LBB87_206
.LBB87_204:
	s_mov_b64 s[16:17], -1
                                        ; implicit-def: $vgpr3_vgpr4
	s_branch .LBB87_207
.LBB87_205:
	s_mov_b64 s[2:3], -1
                                        ; implicit-def: $vgpr3_vgpr4
.LBB87_206:
	s_mov_b64 s[16:17], 0
.LBB87_207:
	s_and_b64 vcc, exec, s[16:17]
	s_cbranch_vccz .LBB87_211
; %bb.208:
	s_cmp_eq_u32 s18, 11
	s_cbranch_scc0 .LBB87_210
; %bb.209:
	global_load_ubyte v3, v[1:2], off
	s_mov_b32 s2, 0
	s_mov_b64 s[0:1], -1
	s_waitcnt vmcnt(1)
	v_mov_b32_e32 v4, s2
	s_mov_b64 s[2:3], 0
	s_waitcnt vmcnt(0)
	v_cmp_ne_u16_e32 vcc, 0, v3
	v_cndmask_b32_e64 v3, 0, 1, vcc
	s_branch .LBB87_211
.LBB87_210:
	s_mov_b64 s[2:3], -1
                                        ; implicit-def: $vgpr3_vgpr4
.LBB87_211:
	s_branch .LBB87_24
.LBB87_212:
	s_cmp_lt_i32 s18, 5
	s_cbranch_scc1 .LBB87_217
; %bb.213:
	s_cmp_lt_i32 s18, 8
	s_cbranch_scc1 .LBB87_218
; %bb.214:
	;; [unrolled: 3-line block ×3, first 2 shown]
	s_cmp_gt_i32 s18, 9
	s_cbranch_scc0 .LBB87_220
; %bb.216:
	global_load_dwordx2 v[3:4], v[1:2], off
	s_movk_i32 s0, 0xffe0
	s_waitcnt vmcnt(0)
	v_trunc_f64_e32 v[3:4], v[3:4]
	v_ldexp_f64 v[5:6], v[3:4], s0
	s_mov_b32 s0, 0
	s_mov_b32 s1, 0xc1f00000
	v_floor_f64_e32 v[5:6], v[5:6]
	v_fma_f64 v[7:8], v[5:6], s[0:1], v[3:4]
	v_cvt_i32_f64_e32 v4, v[5:6]
	s_mov_b64 s[0:1], 0
	v_cvt_u32_f64_e32 v3, v[7:8]
	s_branch .LBB87_221
.LBB87_217:
                                        ; implicit-def: $vgpr3_vgpr4
	s_branch .LBB87_239
.LBB87_218:
	s_mov_b64 s[0:1], -1
                                        ; implicit-def: $vgpr3_vgpr4
	s_branch .LBB87_227
.LBB87_219:
	s_mov_b64 s[0:1], -1
                                        ; implicit-def: $vgpr3_vgpr4
	s_branch .LBB87_224
.LBB87_220:
	s_mov_b64 s[0:1], -1
                                        ; implicit-def: $vgpr3_vgpr4
.LBB87_221:
	s_andn2_b64 vcc, exec, s[0:1]
	s_cbranch_vccnz .LBB87_223
; %bb.222:
	global_load_dword v3, v[1:2], off
	s_mov_b32 s0, 0x2f800000
	s_mov_b32 s1, 0xcf800000
	s_waitcnt vmcnt(0)
	v_trunc_f32_e32 v3, v3
	v_mul_f32_e64 v4, |v3|, s0
	v_floor_f32_e32 v4, v4
	v_cvt_u32_f32_e32 v5, v4
	v_fma_f32 v4, v4, s1, |v3|
	v_cvt_u32_f32_e32 v4, v4
	v_ashrrev_i32_e32 v6, 31, v3
	v_xor_b32_e32 v5, v5, v6
	v_xor_b32_e32 v3, v4, v6
	v_sub_co_u32_e32 v3, vcc, v3, v6
	v_subb_co_u32_e32 v4, vcc, v5, v6, vcc
.LBB87_223:
	s_mov_b64 s[0:1], 0
.LBB87_224:
	s_andn2_b64 vcc, exec, s[0:1]
	s_cbranch_vccnz .LBB87_226
; %bb.225:
	global_load_dword v3, v[1:2], off
	s_waitcnt vmcnt(0)
	v_cvt_f32_f16_e32 v3, v3
	v_cvt_i32_f32_e32 v3, v3
	v_ashrrev_i32_e32 v4, 31, v3
.LBB87_226:
	s_mov_b64 s[0:1], 0
.LBB87_227:
	s_andn2_b64 vcc, exec, s[0:1]
	s_cbranch_vccnz .LBB87_238
; %bb.228:
	s_cmp_lt_i32 s18, 6
	s_cbranch_scc1 .LBB87_231
; %bb.229:
	s_cmp_gt_i32 s18, 6
	s_cbranch_scc0 .LBB87_232
; %bb.230:
	global_load_dwordx2 v[3:4], v[1:2], off
	s_movk_i32 s0, 0xffe0
	s_waitcnt vmcnt(0)
	v_trunc_f64_e32 v[3:4], v[3:4]
	v_ldexp_f64 v[5:6], v[3:4], s0
	s_mov_b32 s0, 0
	s_mov_b32 s1, 0xc1f00000
	v_floor_f64_e32 v[5:6], v[5:6]
	v_fma_f64 v[7:8], v[5:6], s[0:1], v[3:4]
	v_cvt_i32_f64_e32 v4, v[5:6]
	s_mov_b64 s[0:1], 0
	v_cvt_u32_f64_e32 v3, v[7:8]
	s_branch .LBB87_233
.LBB87_231:
	s_mov_b64 s[0:1], -1
                                        ; implicit-def: $vgpr3_vgpr4
	s_branch .LBB87_236
.LBB87_232:
	s_mov_b64 s[0:1], -1
                                        ; implicit-def: $vgpr3_vgpr4
.LBB87_233:
	s_andn2_b64 vcc, exec, s[0:1]
	s_cbranch_vccnz .LBB87_235
; %bb.234:
	global_load_dword v3, v[1:2], off
	s_mov_b32 s0, 0x2f800000
	s_mov_b32 s1, 0xcf800000
	s_waitcnt vmcnt(0)
	v_trunc_f32_e32 v3, v3
	v_mul_f32_e64 v4, |v3|, s0
	v_floor_f32_e32 v4, v4
	v_cvt_u32_f32_e32 v5, v4
	v_fma_f32 v4, v4, s1, |v3|
	v_cvt_u32_f32_e32 v4, v4
	v_ashrrev_i32_e32 v6, 31, v3
	v_xor_b32_e32 v5, v5, v6
	v_xor_b32_e32 v3, v4, v6
	v_sub_co_u32_e32 v3, vcc, v3, v6
	v_subb_co_u32_e32 v4, vcc, v5, v6, vcc
.LBB87_235:
	s_mov_b64 s[0:1], 0
.LBB87_236:
	s_andn2_b64 vcc, exec, s[0:1]
	s_cbranch_vccnz .LBB87_238
; %bb.237:
	global_load_ushort v3, v[1:2], off
	s_waitcnt vmcnt(0)
	v_cvt_f32_f16_e32 v3, v3
	v_cvt_i32_f32_e32 v3, v3
	v_ashrrev_i32_e32 v4, 31, v3
.LBB87_238:
	s_cbranch_execnz .LBB87_258
.LBB87_239:
	s_cmp_lt_i32 s18, 2
	s_cbranch_scc1 .LBB87_243
; %bb.240:
	s_cmp_lt_i32 s18, 3
	s_cbranch_scc1 .LBB87_244
; %bb.241:
	s_cmp_gt_i32 s18, 3
	s_cbranch_scc0 .LBB87_245
; %bb.242:
	global_load_dwordx2 v[3:4], v[1:2], off
	s_mov_b64 s[0:1], 0
	s_branch .LBB87_246
.LBB87_243:
	s_mov_b64 s[0:1], -1
                                        ; implicit-def: $vgpr3_vgpr4
	s_branch .LBB87_252
.LBB87_244:
	s_mov_b64 s[0:1], -1
                                        ; implicit-def: $vgpr3_vgpr4
	s_branch .LBB87_249
.LBB87_245:
	s_mov_b64 s[0:1], -1
                                        ; implicit-def: $vgpr3_vgpr4
.LBB87_246:
	s_andn2_b64 vcc, exec, s[0:1]
	s_cbranch_vccnz .LBB87_248
; %bb.247:
	global_load_dword v3, v[1:2], off
	s_waitcnt vmcnt(0)
	v_ashrrev_i32_e32 v4, 31, v3
.LBB87_248:
	s_mov_b64 s[0:1], 0
.LBB87_249:
	s_andn2_b64 vcc, exec, s[0:1]
	s_cbranch_vccnz .LBB87_251
; %bb.250:
	global_load_ushort v3, v[1:2], off
	s_waitcnt vmcnt(0)
	v_bfe_i32 v3, v3, 0, 16
	v_ashrrev_i32_e32 v4, 31, v3
.LBB87_251:
	s_mov_b64 s[0:1], 0
.LBB87_252:
	s_andn2_b64 vcc, exec, s[0:1]
	s_cbranch_vccnz .LBB87_258
; %bb.253:
	s_cmp_gt_i32 s18, 0
	s_cbranch_scc0 .LBB87_255
; %bb.254:
	global_load_sbyte v3, v[1:2], off
	s_mov_b64 s[0:1], 0
	s_waitcnt vmcnt(0)
	v_bfe_i32 v3, v3, 0, 16
	v_ashrrev_i32_e32 v4, 31, v3
	s_branch .LBB87_256
.LBB87_255:
	s_mov_b64 s[0:1], -1
                                        ; implicit-def: $vgpr3_vgpr4
.LBB87_256:
	s_andn2_b64 vcc, exec, s[0:1]
	s_cbranch_vccnz .LBB87_258
; %bb.257:
	global_load_ubyte v1, v[1:2], off
	s_mov_b32 s0, 0
	s_waitcnt vmcnt(1)
	v_mov_b32_e32 v4, s0
	s_waitcnt vmcnt(0)
	v_and_b32_e32 v3, 0xffff, v1
.LBB87_258:
	s_branch .LBB87_25
.LBB87_259:
	s_mov_b64 s[0:1], 0
.LBB87_260:
	s_mov_b64 s[16:17], 0
                                        ; implicit-def: $vgpr11
.LBB87_261:
	s_and_b64 s[58:59], s[0:1], exec
	s_and_b64 s[60:61], s[2:3], exec
	s_orn2_b64 s[2:3], s[16:17], exec
.LBB87_262:
	s_or_b64 exec, exec, s[62:63]
	s_mov_b64 s[16:17], 0
	s_mov_b64 s[0:1], 0
                                        ; implicit-def: $vgpr1_vgpr2
                                        ; implicit-def: $vgpr0
                                        ; implicit-def: $vgpr5_vgpr6
	s_and_saveexec_b64 s[62:63], s[2:3]
	s_cbranch_execz .LBB87_269
; %bb.263:
	v_cmp_gt_i32_e32 vcc, s76, v11
	s_mov_b64 s[0:1], -1
	s_mov_b64 s[64:65], s[60:61]
	s_mov_b64 s[66:67], s[58:59]
	s_and_saveexec_b64 s[68:69], vcc
	s_cbranch_execz .LBB87_534
; %bb.264:
	s_andn2_b64 vcc, exec, s[44:45]
	s_cbranch_vccnz .LBB87_272
; %bb.265:
	s_andn2_b64 vcc, exec, s[56:57]
	s_cbranch_vccnz .LBB87_273
; %bb.266:
	s_add_i32 s71, s81, 1
	s_cmp_eq_u32 s78, 2
	s_cbranch_scc1 .LBB87_274
; %bb.267:
	s_and_b32 s70, s71, 28
	v_mov_b32_e32 v2, 0
	s_mov_b32 s72, 0
	s_mov_b64 s[64:65], s[34:35]
	s_mov_b64 s[66:67], s[54:55]
	v_mov_b32_e32 v0, 0
	v_mov_b32_e32 v1, v11
.LBB87_268:                             ; =>This Inner Loop Header: Depth=1
	s_load_dwordx8 s[24:31], s[64:65], 0x4
	s_load_dwordx4 s[0:3], s[64:65], 0x24
	s_load_dwordx8 s[16:23], s[66:67], 0x0
	s_add_u32 s64, s64, 48
	s_addc_u32 s65, s65, 0
	s_waitcnt vmcnt(0) lgkmcnt(0)
	v_mul_hi_u32 v3, s25, v1
	s_add_i32 s72, s72, 4
	s_add_u32 s66, s66, 32
	s_addc_u32 s67, s67, 0
	v_add_u32_e32 v3, v1, v3
	v_lshrrev_b32_e32 v3, s26, v3
	v_mul_lo_u32 v4, v3, s24
	v_mul_hi_u32 v5, s28, v3
	s_cmp_eq_u32 s70, s72
	v_sub_u32_e32 v1, v1, v4
	v_add_u32_e32 v4, v3, v5
	v_mul_lo_u32 v5, v1, s16
	v_mul_lo_u32 v6, v1, s17
	v_lshrrev_b32_e32 v1, s29, v4
	v_mul_lo_u32 v4, v1, s27
	v_mul_hi_u32 v7, s31, v1
	v_sub_u32_e32 v3, v3, v4
	v_add_u32_e32 v4, v1, v7
	v_lshrrev_b32_e32 v4, s0, v4
	v_mul_hi_u32 v8, s2, v4
	v_mul_lo_u32 v9, v4, s30
	v_mul_lo_u32 v7, v3, s18
	;; [unrolled: 1-line block ×3, first 2 shown]
	v_sub_u32_e32 v9, v1, v9
	v_add_u32_e32 v1, v4, v8
	v_lshrrev_b32_e32 v1, s3, v1
	v_mul_lo_u32 v8, v1, s1
	v_mul_lo_u32 v10, v9, s20
	;; [unrolled: 1-line block ×3, first 2 shown]
	v_add3_u32 v0, v5, v0, v7
	v_sub_u32_e32 v4, v4, v8
	v_mul_lo_u32 v8, v4, s22
	v_mul_lo_u32 v4, v4, s23
	v_add3_u32 v2, v6, v2, v3
	v_add3_u32 v0, v10, v0, v8
	;; [unrolled: 1-line block ×3, first 2 shown]
	s_cbranch_scc0 .LBB87_268
	s_branch .LBB87_275
.LBB87_269:
	s_or_b64 exec, exec, s[62:63]
	s_mov_b64 s[2:3], 0
	s_and_saveexec_b64 s[10:11], s[60:61]
	s_cbranch_execnz .LBB87_902
.LBB87_270:
	s_or_b64 exec, exec, s[10:11]
	s_and_saveexec_b64 s[10:11], s[66:67]
	s_xor_b64 s[10:11], exec, s[10:11]
	s_cbranch_execz .LBB87_903
.LBB87_271:
	global_load_ubyte v3, v[1:2], off
	s_mov_b32 s18, 0
	s_waitcnt vmcnt(1)
	v_mov_b32_e32 v6, s18
	s_or_b64 s[0:1], s[0:1], exec
	s_waitcnt vmcnt(0)
	v_cmp_ne_u16_e32 vcc, 0, v3
	v_cndmask_b32_e64 v5, 0, 1, vcc
	s_or_b64 exec, exec, s[10:11]
	s_and_saveexec_b64 s[10:11], s[16:17]
	s_cbranch_execz .LBB87_949
	s_branch .LBB87_904
.LBB87_272:
                                        ; implicit-def: $vgpr0
                                        ; implicit-def: $vgpr2
	s_andn2_b64 vcc, exec, s[0:1]
	s_cbranch_vccz .LBB87_279
	s_branch .LBB87_281
.LBB87_273:
	v_mov_b32_e32 v0, 0
	v_mov_b32_e32 v2, 0
	s_branch .LBB87_278
.LBB87_274:
	s_mov_b32 s70, 0
	v_mov_b32_e32 v0, 0
	v_mov_b32_e32 v2, 0
	;; [unrolled: 1-line block ×3, first 2 shown]
.LBB87_275:
	s_and_b32 s16, s71, 3
	s_cmp_eq_u32 s16, 0
	s_cbranch_scc1 .LBB87_278
; %bb.276:
	s_lshl_b32 s0, s70, 3
	s_add_u32 s0, s34, s0
	s_addc_u32 s1, s35, 0
	s_add_u32 s0, s0, 0xc4
	s_addc_u32 s1, s1, 0
	s_mul_i32 s2, s70, 12
	s_add_u32 s2, s34, s2
	s_addc_u32 s3, s35, 0
.LBB87_277:                             ; =>This Inner Loop Header: Depth=1
	s_load_dwordx2 s[18:19], s[2:3], 0x4
	s_load_dword s17, s[2:3], 0xc
	s_load_dwordx2 s[20:21], s[0:1], 0x0
	s_add_u32 s2, s2, 12
	s_addc_u32 s3, s3, 0
	s_waitcnt vmcnt(0) lgkmcnt(0)
	v_mul_hi_u32 v3, s19, v1
	s_add_u32 s0, s0, 8
	s_addc_u32 s1, s1, 0
	s_add_i32 s16, s16, -1
	v_add_u32_e32 v3, v1, v3
	v_lshrrev_b32_e32 v4, s17, v3
	v_mul_lo_u32 v3, v4, s18
	s_cmp_lg_u32 s16, 0
	v_sub_u32_e32 v3, v1, v3
	v_mad_u64_u32 v[0:1], s[18:19], v3, s20, v[0:1]
	v_mad_u64_u32 v[2:3], s[18:19], v3, s21, v[2:3]
	v_mov_b32_e32 v1, v4
	s_cbranch_scc1 .LBB87_277
.LBB87_278:
	s_cbranch_execnz .LBB87_281
.LBB87_279:
	v_mul_hi_u32 v0, s37, v11
	s_andn2_b64 vcc, exec, s[52:53]
	v_add_u32_e32 v0, v11, v0
	v_lshrrev_b32_e32 v1, s38, v0
	v_mul_lo_u32 v0, v1, s36
	v_sub_u32_e32 v2, v11, v0
	v_mul_lo_u32 v0, v2, s40
	v_mul_lo_u32 v2, v2, s41
	s_cbranch_vccnz .LBB87_281
; %bb.280:
	s_waitcnt vmcnt(0)
	v_mul_hi_u32 v3, s50, v1
	v_add_u32_e32 v3, v1, v3
	v_lshrrev_b32_e32 v3, s51, v3
	v_mul_lo_u32 v3, v3, s39
	v_sub_u32_e32 v3, v1, v3
	v_mad_u64_u32 v[0:1], s[0:1], v3, s42, v[0:1]
	v_mad_u64_u32 v[2:3], s[0:1], v3, s43, v[2:3]
.LBB87_281:
	s_waitcnt vmcnt(0)
	v_mov_b32_e32 v3, s11
	s_and_b32 s18, 0xffff, s80
	v_add_co_u32_e32 v1, vcc, s10, v2
	s_cmp_lt_i32 s18, 11
	v_addc_co_u32_e32 v2, vcc, 0, v3, vcc
	s_cbranch_scc1 .LBB87_288
; %bb.282:
	s_cmp_gt_i32 s18, 25
	s_cbranch_scc0 .LBB87_297
; %bb.283:
	s_cmp_gt_i32 s18, 28
	s_cbranch_scc0 .LBB87_299
	;; [unrolled: 3-line block ×4, first 2 shown]
; %bb.286:
	s_cmp_eq_u32 s18, 46
	s_mov_b64 s[16:17], 0
	s_cbranch_scc0 .LBB87_309
; %bb.287:
	global_load_dword v3, v[1:2], off
	s_mov_b32 s0, 0x2f800000
	s_mov_b32 s1, 0xcf800000
	s_mov_b64 s[2:3], 0
	s_waitcnt vmcnt(0)
	v_lshlrev_b32_e32 v3, 16, v3
	v_trunc_f32_e32 v3, v3
	v_mul_f32_e64 v4, |v3|, s0
	v_floor_f32_e32 v4, v4
	v_fma_f32 v5, v4, s1, |v3|
	v_cvt_u32_f32_e32 v5, v5
	v_cvt_u32_f32_e32 v4, v4
	v_ashrrev_i32_e32 v6, 31, v3
	s_mov_b64 s[0:1], -1
	v_xor_b32_e32 v3, v5, v6
	v_xor_b32_e32 v4, v4, v6
	v_sub_co_u32_e32 v3, vcc, v3, v6
	v_subb_co_u32_e32 v4, vcc, v4, v6, vcc
	s_branch .LBB87_310
.LBB87_288:
	s_mov_b64 s[0:1], 0
                                        ; implicit-def: $vgpr3_vgpr4
	s_mov_b64 s[2:3], s[60:61]
	s_cbranch_execnz .LBB87_483
.LBB87_289:
	s_andn2_b64 vcc, exec, s[0:1]
	s_cbranch_vccnz .LBB87_531
.LBB87_290:
	s_waitcnt vmcnt(0)
	v_cmp_lt_i64_e32 vcc, s[12:13], v[3:4]
	v_mov_b32_e32 v1, s15
	v_mov_b32_e32 v2, s49
	v_cndmask_b32_e32 v2, v1, v2, vcc
	v_mov_b32_e32 v1, s14
	v_mov_b32_e32 v3, s48
	v_cndmask_b32_e32 v1, v1, v3, vcc
	v_mov_b32_e32 v4, s9
	s_and_b32 s22, s79, 0xff
	v_add_co_u32_e32 v3, vcc, s8, v0
	s_cmp_lt_i32 s22, 11
	v_addc_co_u32_e32 v4, vcc, 0, v4, vcc
	s_cbranch_scc1 .LBB87_298
; %bb.291:
	s_and_b32 s23, 0xffff, s22
	s_cmp_gt_i32 s23, 25
	s_cbranch_scc0 .LBB87_300
; %bb.292:
	s_cmp_gt_i32 s23, 28
	s_cbranch_scc0 .LBB87_302
; %bb.293:
	;; [unrolled: 3-line block ×4, first 2 shown]
	s_mov_b64 s[18:19], 0
	s_mov_b64 s[0:1], -1
	s_cmp_eq_u32 s23, 46
	s_mov_b64 s[16:17], 0
	s_cbranch_scc0 .LBB87_314
; %bb.296:
	v_xor_b32_e32 v5, v1, v2
	v_ffbh_i32_e32 v0, v2
	v_ashrrev_i32_e32 v5, 31, v5
	v_add_u32_e32 v0, -1, v0
	v_add_u32_e32 v5, 32, v5
	v_min_u32_e32 v0, v0, v5
	v_lshlrev_b64 v[5:6], v0, v[1:2]
	v_sub_u32_e32 v0, 32, v0
	v_min_u32_e32 v5, 1, v5
	v_or_b32_e32 v5, v6, v5
	v_cvt_f32_i32_e32 v5, v5
	s_movk_i32 s0, 0x7fff
	s_mov_b64 s[16:17], -1
	v_ldexp_f32 v0, v5, v0
	v_bfe_u32 v5, v0, 16, 1
	v_add3_u32 v0, v0, v5, s0
	v_lshrrev_b32_e32 v0, 16, v0
	global_store_dword v[3:4], v0, off
	s_mov_b64 s[0:1], 0
	s_branch .LBB87_314
.LBB87_297:
	s_mov_b64 s[16:17], -1
	s_mov_b64 s[0:1], 0
	s_mov_b64 s[2:3], s[60:61]
                                        ; implicit-def: $vgpr3_vgpr4
	s_branch .LBB87_451
.LBB87_298:
	s_mov_b64 s[18:19], -1
	s_mov_b64 s[16:17], 0
	s_mov_b64 s[0:1], s[58:59]
	s_branch .LBB87_383
.LBB87_299:
	s_mov_b64 s[16:17], -1
	s_mov_b64 s[0:1], 0
	s_mov_b64 s[2:3], s[60:61]
                                        ; implicit-def: $vgpr3_vgpr4
	s_branch .LBB87_432
.LBB87_300:
	s_mov_b64 s[18:19], -1
	s_mov_b64 s[16:17], 0
	s_mov_b64 s[0:1], s[58:59]
	s_branch .LBB87_341
.LBB87_301:
	s_mov_b64 s[16:17], -1
	s_mov_b64 s[0:1], 0
	s_mov_b64 s[2:3], s[60:61]
                                        ; implicit-def: $vgpr3_vgpr4
	s_branch .LBB87_427
.LBB87_302:
	s_mov_b64 s[18:19], -1
	s_mov_b64 s[16:17], 0
	s_mov_b64 s[0:1], s[58:59]
	s_branch .LBB87_324
.LBB87_303:
	s_andn2_saveexec_b64 s[20:21], s[20:21]
	s_cbranch_execz .LBB87_68
.LBB87_304:
	s_mov_b32 s24, 0x46000000
	v_add_f32_e64 v5, |v0|, s24
	v_and_b32_e32 v5, 0xff, v5
	v_cmp_ne_u32_e32 vcc, 0, v5
	s_andn2_b64 s[18:19], s[18:19], exec
	s_and_b64 s[24:25], vcc, exec
	s_or_b64 s[18:19], s[18:19], s[24:25]
	s_or_b64 exec, exec, s[20:21]
	v_mov_b32_e32 v6, 0
	s_and_saveexec_b64 s[20:21], s[18:19]
	s_cbranch_execnz .LBB87_69
	s_branch .LBB87_70
.LBB87_305:
	s_mov_b64 s[16:17], -1
	s_mov_b64 s[0:1], 0
	s_mov_b64 s[2:3], s[60:61]
                                        ; implicit-def: $vgpr3_vgpr4
	s_branch .LBB87_310
.LBB87_306:
	s_mov_b64 s[18:19], -1
	s_mov_b64 s[16:17], 0
	s_mov_b64 s[0:1], s[58:59]
	s_branch .LBB87_320
.LBB87_307:
	s_andn2_saveexec_b64 s[20:21], s[20:21]
	s_cbranch_execz .LBB87_81
.LBB87_308:
	s_mov_b32 s24, 0x42800000
	v_add_f32_e64 v5, |v0|, s24
	v_and_b32_e32 v5, 0xff, v5
	v_cmp_ne_u32_e32 vcc, 0, v5
	s_andn2_b64 s[18:19], s[18:19], exec
	s_and_b64 s[24:25], vcc, exec
	s_or_b64 s[18:19], s[18:19], s[24:25]
	s_or_b64 exec, exec, s[20:21]
	v_mov_b32_e32 v6, 0
	s_and_saveexec_b64 s[20:21], s[18:19]
	s_cbranch_execnz .LBB87_82
	s_branch .LBB87_83
.LBB87_309:
	s_mov_b64 s[2:3], -1
                                        ; implicit-def: $vgpr3_vgpr4
	s_mov_b64 s[0:1], 0
.LBB87_310:
	s_and_b64 vcc, exec, s[16:17]
	s_cbranch_vccz .LBB87_426
; %bb.311:
	s_cmp_eq_u32 s18, 44
	s_cbranch_scc0 .LBB87_425
; %bb.312:
	global_load_ubyte v3, v[1:2], off
	s_mov_b32 s0, 0x2f800000
	s_mov_b32 s1, 0xcf800000
	s_mov_b64 s[2:3], 0
	s_waitcnt vmcnt(0)
	v_lshlrev_b32_e32 v4, 23, v3
	v_trunc_f32_e32 v4, v4
	v_mul_f32_e64 v5, |v4|, s0
	v_floor_f32_e32 v5, v5
	v_fma_f32 v6, v5, s1, |v4|
	v_cvt_u32_f32_e32 v6, v6
	v_cvt_u32_f32_e32 v5, v5
	v_ashrrev_i32_e32 v4, 31, v4
	s_mov_b64 s[0:1], -1
	v_xor_b32_e32 v6, v6, v4
	v_xor_b32_e32 v5, v5, v4
	v_sub_co_u32_e32 v6, vcc, v6, v4
	v_subb_co_u32_e32 v4, vcc, v5, v4, vcc
	v_cmp_ne_u32_e32 vcc, 0, v3
	v_cndmask_b32_e32 v4, 0, v4, vcc
	v_cndmask_b32_e32 v3, 0, v6, vcc
	s_branch .LBB87_426
.LBB87_313:
	s_mov_b64 s[18:19], -1
	s_mov_b64 s[16:17], 0
	s_mov_b64 s[0:1], s[58:59]
.LBB87_314:
	s_and_b64 vcc, exec, s[18:19]
	s_cbranch_vccz .LBB87_319
; %bb.315:
	s_cmp_eq_u32 s23, 44
	s_mov_b64 s[0:1], -1
	s_cbranch_scc0 .LBB87_319
; %bb.316:
	v_xor_b32_e32 v5, v1, v2
	v_ffbh_i32_e32 v0, v2
	v_ashrrev_i32_e32 v5, 31, v5
	v_add_u32_e32 v0, -1, v0
	v_add_u32_e32 v5, 32, v5
	v_min_u32_e32 v0, v0, v5
	v_lshlrev_b64 v[5:6], v0, v[1:2]
	v_sub_u32_e32 v0, 32, v0
	v_min_u32_e32 v5, 1, v5
	v_or_b32_e32 v5, v6, v5
	v_cvt_f32_i32_e32 v5, v5
	s_movk_i32 s0, 0xff
	v_mov_b32_e32 v6, 0xff
	v_ldexp_f32 v0, v5, v0
	v_bfe_u32 v5, v0, 23, 8
	v_cmp_ne_u32_e32 vcc, s0, v5
	s_and_saveexec_b64 s[16:17], vcc
; %bb.317:
	s_mov_b32 s0, 0x3fffff
	v_lshrrev_b32_e32 v6, 23, v0
	v_and_b32_e32 v7, 0x400000, v0
	v_and_or_b32 v0, v0, s0, v5
	v_cmp_ne_u32_e32 vcc, 0, v7
	v_cmp_ne_u32_e64 s[0:1], 0, v0
	s_and_b64 s[0:1], vcc, s[0:1]
	v_cndmask_b32_e64 v0, 0, 1, s[0:1]
	v_add_u32_e32 v6, v6, v0
; %bb.318:
	s_or_b64 exec, exec, s[16:17]
	s_mov_b64 s[16:17], -1
	s_mov_b64 s[0:1], 0
	global_store_byte v[3:4], v6, off
.LBB87_319:
	s_mov_b64 s[18:19], 0
.LBB87_320:
	s_and_b64 vcc, exec, s[18:19]
	s_cbranch_vccz .LBB87_323
; %bb.321:
	s_cmp_eq_u32 s23, 29
	s_mov_b64 s[0:1], -1
	s_cbranch_scc0 .LBB87_323
; %bb.322:
	global_store_dwordx2 v[3:4], v[1:2], off
	s_mov_b64 s[16:17], -1
	s_mov_b64 s[0:1], 0
.LBB87_323:
	s_mov_b64 s[18:19], 0
.LBB87_324:
	s_and_b64 vcc, exec, s[18:19]
	s_cbranch_vccz .LBB87_340
; %bb.325:
	s_cmp_lt_i32 s23, 27
	s_mov_b64 s[16:17], -1
	s_cbranch_scc1 .LBB87_331
; %bb.326:
	s_cmp_gt_i32 s23, 27
	s_cbranch_scc0 .LBB87_328
; %bb.327:
	s_mov_b64 s[16:17], 0
	global_store_dword v[3:4], v1, off
.LBB87_328:
	s_andn2_b64 vcc, exec, s[16:17]
	s_cbranch_vccnz .LBB87_330
; %bb.329:
	global_store_short v[3:4], v1, off
.LBB87_330:
	s_mov_b64 s[16:17], 0
.LBB87_331:
	s_andn2_b64 vcc, exec, s[16:17]
	s_cbranch_vccnz .LBB87_339
; %bb.332:
	v_xor_b32_e32 v5, v1, v2
	v_ffbh_i32_e32 v0, v2
	v_ashrrev_i32_e32 v5, 31, v5
	v_add_u32_e32 v0, -1, v0
	v_add_u32_e32 v5, 32, v5
	v_min_u32_e32 v0, v0, v5
	v_lshlrev_b64 v[5:6], v0, v[1:2]
	v_sub_u32_e32 v0, 32, v0
	v_min_u32_e32 v5, 1, v5
	v_or_b32_e32 v5, v6, v5
	v_cvt_f32_i32_e32 v5, v5
	s_mov_b32 s16, 0x43800000
	v_mov_b32_e32 v6, 0x80
	v_ldexp_f32 v0, v5, v0
	v_and_b32_e32 v5, 0x7fffffff, v0
	v_cmp_gt_u32_e32 vcc, s16, v5
	s_and_saveexec_b64 s[16:17], vcc
	s_cbranch_execz .LBB87_338
; %bb.333:
	s_mov_b32 s18, 0x3bffffff
	v_cmp_lt_u32_e32 vcc, s18, v5
	s_mov_b64 s[18:19], 0
                                        ; implicit-def: $vgpr5
	s_and_saveexec_b64 s[20:21], vcc
	s_xor_b64 s[20:21], exec, s[20:21]
	s_cbranch_execz .LBB87_562
; %bb.334:
	v_bfe_u32 v5, v0, 20, 1
	s_mov_b32 s24, 0x487ffff
	v_add3_u32 v5, v0, v5, s24
	s_mov_b64 s[18:19], exec
	v_lshrrev_b32_e32 v5, 20, v5
	s_andn2_saveexec_b64 s[20:21], s[20:21]
	s_cbranch_execnz .LBB87_563
.LBB87_335:
	s_or_b64 exec, exec, s[20:21]
	v_mov_b32_e32 v6, 0
	s_and_saveexec_b64 s[20:21], s[18:19]
.LBB87_336:
	v_lshrrev_b32_e32 v0, 24, v0
	s_movk_i32 s18, 0x80
	v_and_or_b32 v6, v0, s18, v5
.LBB87_337:
	s_or_b64 exec, exec, s[20:21]
.LBB87_338:
	s_or_b64 exec, exec, s[16:17]
	global_store_byte v[3:4], v6, off
.LBB87_339:
	s_mov_b64 s[16:17], -1
.LBB87_340:
	s_mov_b64 s[18:19], 0
.LBB87_341:
	s_and_b64 vcc, exec, s[18:19]
	s_cbranch_vccz .LBB87_382
; %bb.342:
	s_cmp_gt_i32 s23, 22
	s_mov_b64 s[18:19], -1
	s_cbranch_scc0 .LBB87_374
; %bb.343:
	s_cmp_lt_i32 s23, 24
	s_mov_b64 s[16:17], -1
	s_cbranch_scc1 .LBB87_363
; %bb.344:
	s_cmp_gt_i32 s23, 24
	s_cbranch_scc0 .LBB87_352
; %bb.345:
	v_xor_b32_e32 v5, v1, v2
	v_ffbh_i32_e32 v0, v2
	v_ashrrev_i32_e32 v5, 31, v5
	v_add_u32_e32 v0, -1, v0
	v_add_u32_e32 v5, 32, v5
	v_min_u32_e32 v0, v0, v5
	v_lshlrev_b64 v[5:6], v0, v[1:2]
	v_sub_u32_e32 v0, 32, v0
	v_min_u32_e32 v5, 1, v5
	v_or_b32_e32 v5, v6, v5
	v_cvt_f32_i32_e32 v5, v5
	s_mov_b32 s16, 0x47800000
	v_mov_b32_e32 v6, 0x80
	v_ldexp_f32 v0, v5, v0
	v_and_b32_e32 v5, 0x7fffffff, v0
	v_cmp_gt_u32_e32 vcc, s16, v5
	s_and_saveexec_b64 s[16:17], vcc
	s_cbranch_execz .LBB87_351
; %bb.346:
	s_mov_b32 s18, 0x37ffffff
	v_cmp_lt_u32_e32 vcc, s18, v5
	s_mov_b64 s[18:19], 0
                                        ; implicit-def: $vgpr5
	s_and_saveexec_b64 s[20:21], vcc
	s_xor_b64 s[20:21], exec, s[20:21]
	s_cbranch_execz .LBB87_565
; %bb.347:
	v_bfe_u32 v5, v0, 21, 1
	s_mov_b32 s24, 0x88fffff
	v_add3_u32 v5, v0, v5, s24
	s_mov_b64 s[18:19], exec
	v_lshrrev_b32_e32 v5, 21, v5
	s_andn2_saveexec_b64 s[20:21], s[20:21]
	s_cbranch_execnz .LBB87_566
.LBB87_348:
	s_or_b64 exec, exec, s[20:21]
	v_mov_b32_e32 v6, 0
	s_and_saveexec_b64 s[20:21], s[18:19]
.LBB87_349:
	v_lshrrev_b32_e32 v0, 24, v0
	s_movk_i32 s18, 0x80
	v_and_or_b32 v6, v0, s18, v5
.LBB87_350:
	s_or_b64 exec, exec, s[20:21]
.LBB87_351:
	s_or_b64 exec, exec, s[16:17]
	s_mov_b64 s[16:17], 0
	global_store_byte v[3:4], v6, off
.LBB87_352:
	s_and_b64 vcc, exec, s[16:17]
	s_cbranch_vccz .LBB87_362
; %bb.353:
	v_xor_b32_e32 v5, v1, v2
	v_ffbh_i32_e32 v0, v2
	v_ashrrev_i32_e32 v5, 31, v5
	v_add_u32_e32 v0, -1, v0
	v_add_u32_e32 v5, 32, v5
	v_min_u32_e32 v0, v0, v5
	v_lshlrev_b64 v[5:6], v0, v[1:2]
	v_sub_u32_e32 v0, 32, v0
	v_min_u32_e32 v5, 1, v5
	v_or_b32_e32 v5, v6, v5
	v_cvt_f32_i32_e32 v5, v5
	s_mov_b32 s16, 0x43f00000
	v_ldexp_f32 v0, v5, v0
	v_and_b32_e32 v6, 0x7fffffff, v0
	v_cmp_gt_u32_e32 vcc, s16, v6
                                        ; implicit-def: $vgpr5
	s_and_saveexec_b64 s[16:17], vcc
	s_xor_b64 s[16:17], exec, s[16:17]
	s_cbranch_execz .LBB87_359
; %bb.354:
	s_mov_b32 s18, 0x3c7fffff
	v_cmp_lt_u32_e32 vcc, s18, v6
                                        ; implicit-def: $vgpr5
	s_and_saveexec_b64 s[18:19], vcc
	s_xor_b64 s[18:19], exec, s[18:19]
; %bb.355:
	v_bfe_u32 v5, v0, 20, 1
	s_mov_b32 s20, 0x407ffff
	v_add3_u32 v5, v0, v5, s20
	v_lshrrev_b32_e32 v6, 20, v5
	v_and_b32_e32 v5, 0xff00000, v5
	s_mov_b32 s20, 0x7f00000
	v_mov_b32_e32 v7, 0x7e
	v_cmp_ne_u32_e32 vcc, s20, v5
	v_cndmask_b32_e32 v5, v7, v6, vcc
; %bb.356:
	s_andn2_saveexec_b64 s[18:19], s[18:19]
; %bb.357:
	s_mov_b32 s20, 0x46800000
	v_add_f32_e64 v5, |v0|, s20
; %bb.358:
	s_or_b64 exec, exec, s[18:19]
                                        ; implicit-def: $vgpr6
.LBB87_359:
	s_andn2_saveexec_b64 s[16:17], s[16:17]
; %bb.360:
	s_mov_b32 s18, 0x7f800000
	v_mov_b32_e32 v5, 0x7e
	v_mov_b32_e32 v7, 0x7f
	v_cmp_lt_u32_e32 vcc, s18, v6
	v_cndmask_b32_e32 v5, v5, v7, vcc
; %bb.361:
	s_or_b64 exec, exec, s[16:17]
	v_lshrrev_b32_e32 v0, 24, v0
	s_movk_i32 s16, 0x80
	v_and_or_b32 v0, v0, s16, v5
	global_store_byte v[3:4], v0, off
.LBB87_362:
	s_mov_b64 s[16:17], 0
.LBB87_363:
	s_andn2_b64 vcc, exec, s[16:17]
	s_cbranch_vccnz .LBB87_373
; %bb.364:
	v_xor_b32_e32 v5, v1, v2
	v_ffbh_i32_e32 v0, v2
	v_ashrrev_i32_e32 v5, 31, v5
	v_add_u32_e32 v0, -1, v0
	v_add_u32_e32 v5, 32, v5
	v_min_u32_e32 v0, v0, v5
	v_lshlrev_b64 v[5:6], v0, v[1:2]
	v_sub_u32_e32 v0, 32, v0
	v_min_u32_e32 v5, 1, v5
	v_or_b32_e32 v5, v6, v5
	v_cvt_f32_i32_e32 v5, v5
	s_mov_b32 s16, 0x47800000
	v_ldexp_f32 v0, v5, v0
	v_and_b32_e32 v6, 0x7fffffff, v0
	v_cmp_gt_u32_e32 vcc, s16, v6
                                        ; implicit-def: $vgpr5
	s_and_saveexec_b64 s[16:17], vcc
	s_xor_b64 s[16:17], exec, s[16:17]
	s_cbranch_execz .LBB87_370
; %bb.365:
	s_mov_b32 s18, 0x387fffff
	v_cmp_lt_u32_e32 vcc, s18, v6
                                        ; implicit-def: $vgpr5
	s_and_saveexec_b64 s[18:19], vcc
	s_xor_b64 s[18:19], exec, s[18:19]
; %bb.366:
	v_bfe_u32 v5, v0, 21, 1
	s_mov_b32 s20, 0x80fffff
	v_add3_u32 v5, v0, v5, s20
	v_lshrrev_b32_e32 v5, 21, v5
; %bb.367:
	s_andn2_saveexec_b64 s[18:19], s[18:19]
; %bb.368:
	s_mov_b32 s20, 0x43000000
	v_add_f32_e64 v5, |v0|, s20
; %bb.369:
	s_or_b64 exec, exec, s[18:19]
                                        ; implicit-def: $vgpr6
.LBB87_370:
	s_andn2_saveexec_b64 s[16:17], s[16:17]
; %bb.371:
	s_mov_b32 s18, 0x7f800000
	v_mov_b32_e32 v5, 0x7c
	v_mov_b32_e32 v7, 0x7f
	v_cmp_lt_u32_e32 vcc, s18, v6
	v_cndmask_b32_e32 v5, v5, v7, vcc
; %bb.372:
	s_or_b64 exec, exec, s[16:17]
	v_lshrrev_b32_e32 v0, 24, v0
	s_movk_i32 s16, 0x80
	v_and_or_b32 v0, v0, s16, v5
	global_store_byte v[3:4], v0, off
.LBB87_373:
	s_mov_b64 s[18:19], 0
	s_mov_b64 s[16:17], -1
.LBB87_374:
	s_andn2_b64 vcc, exec, s[18:19]
	s_cbranch_vccnz .LBB87_382
; %bb.375:
	s_cmp_gt_i32 s23, 14
	s_mov_b64 s[18:19], -1
	s_cbranch_scc0 .LBB87_379
; %bb.376:
	s_cmp_eq_u32 s23, 15
	s_mov_b64 s[0:1], -1
	s_cbranch_scc0 .LBB87_378
; %bb.377:
	v_xor_b32_e32 v5, v1, v2
	v_ffbh_i32_e32 v0, v2
	v_ashrrev_i32_e32 v5, 31, v5
	v_add_u32_e32 v0, -1, v0
	v_add_u32_e32 v5, 32, v5
	v_min_u32_e32 v0, v0, v5
	v_lshlrev_b64 v[5:6], v0, v[1:2]
	v_sub_u32_e32 v0, 32, v0
	v_min_u32_e32 v5, 1, v5
	v_or_b32_e32 v5, v6, v5
	v_cvt_f32_i32_e32 v5, v5
	s_movk_i32 s0, 0x7fff
	s_mov_b64 s[16:17], -1
	v_ldexp_f32 v0, v5, v0
	v_bfe_u32 v5, v0, 16, 1
	v_add3_u32 v0, v0, v5, s0
	global_store_short_d16_hi v[3:4], v0, off
	s_mov_b64 s[0:1], 0
.LBB87_378:
	s_mov_b64 s[18:19], 0
.LBB87_379:
	s_and_b64 vcc, exec, s[18:19]
	s_cbranch_vccz .LBB87_382
; %bb.380:
	s_cmp_eq_u32 s23, 11
	s_mov_b64 s[0:1], -1
	s_cbranch_scc0 .LBB87_382
; %bb.381:
	v_cmp_ne_u64_e32 vcc, 0, v[1:2]
	s_mov_b64 s[0:1], 0
	v_cndmask_b32_e64 v0, 0, 1, vcc
	s_mov_b64 s[16:17], -1
	global_store_byte v[3:4], v0, off
.LBB87_382:
	s_mov_b64 s[18:19], 0
.LBB87_383:
	s_and_b64 vcc, exec, s[18:19]
	s_cbranch_vccz .LBB87_422
; %bb.384:
	s_and_b32 s18, 0xffff, s22
	s_cmp_lt_i32 s18, 5
	s_mov_b64 s[16:17], -1
	s_cbranch_scc1 .LBB87_405
; %bb.385:
	s_cmp_lt_i32 s18, 8
	s_cbranch_scc1 .LBB87_395
; %bb.386:
	s_cmp_lt_i32 s18, 9
	s_cbranch_scc1 .LBB87_392
; %bb.387:
	s_cmp_gt_i32 s18, 9
	s_cbranch_scc0 .LBB87_389
; %bb.388:
	v_cvt_f64_i32_e32 v[5:6], v2
	v_cvt_f64_u32_e32 v[7:8], v1
	s_mov_b64 s[16:17], 0
	v_ldexp_f64 v[5:6], v[5:6], 32
	v_add_f64 v[5:6], v[5:6], v[7:8]
	v_mov_b32_e32 v7, 0
	v_mov_b32_e32 v8, v7
	global_store_dwordx4 v[3:4], v[5:8], off
.LBB87_389:
	s_andn2_b64 vcc, exec, s[16:17]
	s_cbranch_vccnz .LBB87_391
; %bb.390:
	v_xor_b32_e32 v5, v1, v2
	v_ffbh_i32_e32 v0, v2
	v_ashrrev_i32_e32 v5, 31, v5
	v_add_u32_e32 v0, -1, v0
	v_add_u32_e32 v5, 32, v5
	v_min_u32_e32 v0, v0, v5
	v_lshlrev_b64 v[5:6], v0, v[1:2]
	v_sub_u32_e32 v0, 32, v0
	v_min_u32_e32 v5, 1, v5
	v_or_b32_e32 v5, v6, v5
	v_cvt_f32_i32_e32 v5, v5
	v_mov_b32_e32 v6, 0
	v_ldexp_f32 v5, v5, v0
	global_store_dwordx2 v[3:4], v[5:6], off
.LBB87_391:
	s_mov_b64 s[16:17], 0
.LBB87_392:
	s_andn2_b64 vcc, exec, s[16:17]
	s_cbranch_vccnz .LBB87_394
; %bb.393:
	v_xor_b32_e32 v5, v1, v2
	v_ffbh_i32_e32 v0, v2
	v_ashrrev_i32_e32 v5, 31, v5
	v_add_u32_e32 v0, -1, v0
	v_add_u32_e32 v5, 32, v5
	v_min_u32_e32 v0, v0, v5
	v_lshlrev_b64 v[5:6], v0, v[1:2]
	v_sub_u32_e32 v0, 32, v0
	v_min_u32_e32 v5, 1, v5
	v_or_b32_e32 v5, v6, v5
	v_cvt_f32_i32_e32 v5, v5
	v_ldexp_f32 v0, v5, v0
	v_cvt_f16_f32_e32 v0, v0
	global_store_dword v[3:4], v0, off
.LBB87_394:
	s_mov_b64 s[16:17], 0
.LBB87_395:
	s_andn2_b64 vcc, exec, s[16:17]
	s_cbranch_vccnz .LBB87_404
; %bb.396:
	s_cmp_lt_i32 s18, 6
	s_mov_b64 s[16:17], -1
	s_cbranch_scc1 .LBB87_402
; %bb.397:
	s_cmp_gt_i32 s18, 6
	s_cbranch_scc0 .LBB87_399
; %bb.398:
	v_cvt_f64_i32_e32 v[5:6], v2
	v_cvt_f64_u32_e32 v[7:8], v1
	s_mov_b64 s[16:17], 0
	v_ldexp_f64 v[5:6], v[5:6], 32
	v_add_f64 v[5:6], v[5:6], v[7:8]
	global_store_dwordx2 v[3:4], v[5:6], off
.LBB87_399:
	s_andn2_b64 vcc, exec, s[16:17]
	s_cbranch_vccnz .LBB87_401
; %bb.400:
	v_xor_b32_e32 v5, v1, v2
	v_ffbh_i32_e32 v0, v2
	v_ashrrev_i32_e32 v5, 31, v5
	v_add_u32_e32 v0, -1, v0
	v_add_u32_e32 v5, 32, v5
	v_min_u32_e32 v0, v0, v5
	v_lshlrev_b64 v[5:6], v0, v[1:2]
	v_sub_u32_e32 v0, 32, v0
	v_min_u32_e32 v5, 1, v5
	v_or_b32_e32 v5, v6, v5
	v_cvt_f32_i32_e32 v5, v5
	v_ldexp_f32 v0, v5, v0
	global_store_dword v[3:4], v0, off
.LBB87_401:
	s_mov_b64 s[16:17], 0
.LBB87_402:
	s_andn2_b64 vcc, exec, s[16:17]
	s_cbranch_vccnz .LBB87_404
; %bb.403:
	v_xor_b32_e32 v5, v1, v2
	v_ffbh_i32_e32 v0, v2
	v_ashrrev_i32_e32 v5, 31, v5
	v_add_u32_e32 v0, -1, v0
	v_add_u32_e32 v5, 32, v5
	v_min_u32_e32 v0, v0, v5
	v_lshlrev_b64 v[5:6], v0, v[1:2]
	v_sub_u32_e32 v0, 32, v0
	v_min_u32_e32 v5, 1, v5
	v_or_b32_e32 v5, v6, v5
	v_cvt_f32_i32_e32 v5, v5
	v_ldexp_f32 v0, v5, v0
	v_cvt_f16_f32_e32 v0, v0
	global_store_short v[3:4], v0, off
.LBB87_404:
	s_mov_b64 s[16:17], 0
.LBB87_405:
	s_andn2_b64 vcc, exec, s[16:17]
	s_cbranch_vccnz .LBB87_421
; %bb.406:
	s_cmp_lt_i32 s18, 2
	s_mov_b64 s[16:17], -1
	s_cbranch_scc1 .LBB87_416
; %bb.407:
	s_cmp_lt_i32 s18, 3
	s_cbranch_scc1 .LBB87_413
; %bb.408:
	s_cmp_gt_i32 s18, 3
	s_cbranch_scc0 .LBB87_410
; %bb.409:
	s_mov_b64 s[16:17], 0
	global_store_dwordx2 v[3:4], v[1:2], off
.LBB87_410:
	s_andn2_b64 vcc, exec, s[16:17]
	s_cbranch_vccnz .LBB87_412
; %bb.411:
	global_store_dword v[3:4], v1, off
.LBB87_412:
	s_mov_b64 s[16:17], 0
.LBB87_413:
	s_andn2_b64 vcc, exec, s[16:17]
	s_cbranch_vccnz .LBB87_415
; %bb.414:
	global_store_short v[3:4], v1, off
.LBB87_415:
	s_mov_b64 s[16:17], 0
.LBB87_416:
	s_andn2_b64 vcc, exec, s[16:17]
	s_cbranch_vccnz .LBB87_421
; %bb.417:
	s_cmp_gt_i32 s18, 0
	s_mov_b64 s[16:17], -1
	s_cbranch_scc0 .LBB87_419
; %bb.418:
	s_mov_b64 s[16:17], 0
	global_store_byte v[3:4], v1, off
.LBB87_419:
	s_andn2_b64 vcc, exec, s[16:17]
	s_cbranch_vccnz .LBB87_421
; %bb.420:
	global_store_byte v[3:4], v1, off
.LBB87_421:
	s_mov_b64 s[16:17], -1
.LBB87_422:
	s_andn2_b64 vcc, exec, s[16:17]
	s_cbranch_vccnz .LBB87_424
; %bb.423:
	v_add_u32_e32 v11, 0x80, v11
	s_mov_b64 s[16:17], -1
	s_branch .LBB87_533
.LBB87_424:
	s_mov_b64 s[16:17], 0
	s_branch .LBB87_532
.LBB87_425:
	s_mov_b64 s[2:3], -1
                                        ; implicit-def: $vgpr3_vgpr4
.LBB87_426:
	s_mov_b64 s[16:17], 0
.LBB87_427:
	s_and_b64 vcc, exec, s[16:17]
	s_cbranch_vccz .LBB87_431
; %bb.428:
	s_cmp_eq_u32 s18, 29
	s_cbranch_scc0 .LBB87_430
; %bb.429:
	global_load_dwordx2 v[3:4], v[1:2], off
	s_mov_b64 s[0:1], -1
	s_mov_b64 s[2:3], 0
	s_branch .LBB87_431
.LBB87_430:
	s_mov_b64 s[2:3], -1
                                        ; implicit-def: $vgpr3_vgpr4
.LBB87_431:
	s_mov_b64 s[16:17], 0
.LBB87_432:
	s_and_b64 vcc, exec, s[16:17]
	s_cbranch_vccz .LBB87_450
; %bb.433:
	s_cmp_lt_i32 s18, 27
	s_cbranch_scc1 .LBB87_436
; %bb.434:
	s_cmp_gt_i32 s18, 27
	s_cbranch_scc0 .LBB87_437
; %bb.435:
	global_load_dword v3, v[1:2], off
	s_waitcnt vmcnt(1)
	v_mov_b32_e32 v4, 0
	s_mov_b64 s[0:1], 0
	s_branch .LBB87_438
.LBB87_436:
	s_mov_b64 s[0:1], -1
                                        ; implicit-def: $vgpr3_vgpr4
	s_branch .LBB87_441
.LBB87_437:
	s_mov_b64 s[0:1], -1
                                        ; implicit-def: $vgpr3_vgpr4
.LBB87_438:
	s_andn2_b64 vcc, exec, s[0:1]
	s_cbranch_vccnz .LBB87_440
; %bb.439:
	global_load_ushort v3, v[1:2], off
	s_mov_b32 s0, 0
	s_waitcnt vmcnt(1)
	v_mov_b32_e32 v4, s0
	s_waitcnt vmcnt(0)
	v_and_b32_e32 v3, 0xffff, v3
.LBB87_440:
	s_mov_b64 s[0:1], 0
.LBB87_441:
	s_andn2_b64 vcc, exec, s[0:1]
	s_cbranch_vccnz .LBB87_449
; %bb.442:
	global_load_ubyte v5, v[1:2], off
	s_movk_i32 s0, 0x7f
	s_mov_b64 s[16:17], 0
	s_waitcnt vmcnt(0)
	v_cmp_lt_i16_e32 vcc, s0, v5
	s_and_saveexec_b64 s[0:1], vcc
	s_xor_b64 s[0:1], exec, s[0:1]
; %bb.443:
	s_movk_i32 s16, 0x80
	v_cmp_ne_u16_e32 vcc, s16, v5
	s_and_b64 s[16:17], vcc, exec
; %bb.444:
	s_andn2_saveexec_b64 s[0:1], s[0:1]
; %bb.445:
	v_cmp_ne_u16_e32 vcc, 0, v5
	s_andn2_b64 s[16:17], s[16:17], exec
	s_and_b64 s[20:21], vcc, exec
	s_or_b64 s[16:17], s[16:17], s[20:21]
; %bb.446:
	s_or_b64 exec, exec, s[0:1]
	v_mov_b32_e32 v3, 0
	v_mov_b32_e32 v4, 0
	s_and_saveexec_b64 s[0:1], s[16:17]
	s_cbranch_execz .LBB87_448
; %bb.447:
	v_and_b32_e32 v4, 0xffff, v5
	v_lshlrev_b32_e32 v3, 24, v5
	v_and_b32_e32 v5, 7, v4
	v_ffbh_u32_e32 v7, v5
	v_min_u32_e32 v7, 32, v7
	v_subrev_u32_e32 v8, 28, v7
	v_bfe_u32 v6, v4, 3, 4
	v_lshlrev_b32_e32 v4, v8, v4
	v_sub_u32_e32 v7, 29, v7
	v_and_b32_e32 v4, 7, v4
	v_cmp_eq_u32_e32 vcc, 0, v6
	v_cndmask_b32_e32 v6, v6, v7, vcc
	v_cndmask_b32_e32 v4, v5, v4, vcc
	v_mov_b32_e32 v5, 0x3b800000
	v_lshlrev_b32_e32 v4, 20, v4
	v_and_b32_e32 v3, 0x80000000, v3
	v_lshl_add_u32 v5, v6, 23, v5
	v_or3_b32 v3, v3, v5, v4
	v_trunc_f32_e32 v3, v3
	s_mov_b32 s16, 0x2f800000
	v_mul_f32_e64 v4, |v3|, s16
	v_floor_f32_e32 v4, v4
	s_mov_b32 s16, 0xcf800000
	v_fma_f32 v5, v4, s16, |v3|
	v_cvt_u32_f32_e32 v5, v5
	v_cvt_u32_f32_e32 v4, v4
	v_ashrrev_i32_e32 v6, 31, v3
	v_xor_b32_e32 v3, v5, v6
	v_xor_b32_e32 v4, v4, v6
	v_sub_co_u32_e32 v3, vcc, v3, v6
	v_subb_co_u32_e32 v4, vcc, v4, v6, vcc
.LBB87_448:
	s_or_b64 exec, exec, s[0:1]
.LBB87_449:
	s_mov_b64 s[0:1], -1
.LBB87_450:
	s_mov_b64 s[16:17], 0
.LBB87_451:
	s_and_b64 vcc, exec, s[16:17]
	s_cbranch_vccz .LBB87_482
; %bb.452:
	s_cmp_gt_i32 s18, 22
	s_cbranch_scc0 .LBB87_462
; %bb.453:
	s_cmp_lt_i32 s18, 24
	s_cbranch_scc1 .LBB87_463
; %bb.454:
	s_cmp_gt_i32 s18, 24
	s_cbranch_scc0 .LBB87_464
; %bb.455:
	global_load_ubyte v5, v[1:2], off
	s_movk_i32 s0, 0x7f
	s_mov_b64 s[16:17], 0
	s_waitcnt vmcnt(0)
	v_cmp_lt_i16_e32 vcc, s0, v5
	s_and_saveexec_b64 s[0:1], vcc
	s_xor_b64 s[0:1], exec, s[0:1]
; %bb.456:
	s_movk_i32 s16, 0x80
	v_cmp_ne_u16_e32 vcc, s16, v5
	s_and_b64 s[16:17], vcc, exec
; %bb.457:
	s_andn2_saveexec_b64 s[0:1], s[0:1]
; %bb.458:
	v_cmp_ne_u16_e32 vcc, 0, v5
	s_andn2_b64 s[16:17], s[16:17], exec
	s_and_b64 s[20:21], vcc, exec
	s_or_b64 s[16:17], s[16:17], s[20:21]
; %bb.459:
	s_or_b64 exec, exec, s[0:1]
	v_mov_b32_e32 v3, 0
	v_mov_b32_e32 v4, 0
	s_and_saveexec_b64 s[0:1], s[16:17]
	s_cbranch_execz .LBB87_461
; %bb.460:
	v_and_b32_e32 v4, 0xffff, v5
	v_lshlrev_b32_e32 v3, 24, v5
	v_and_b32_e32 v5, 3, v4
	v_ffbh_u32_e32 v7, v5
	v_min_u32_e32 v7, 32, v7
	v_subrev_u32_e32 v8, 29, v7
	v_bfe_u32 v6, v4, 2, 5
	v_lshlrev_b32_e32 v4, v8, v4
	v_sub_u32_e32 v7, 30, v7
	v_and_b32_e32 v4, 3, v4
	v_cmp_eq_u32_e32 vcc, 0, v6
	v_cndmask_b32_e32 v6, v6, v7, vcc
	v_cndmask_b32_e32 v4, v5, v4, vcc
	v_mov_b32_e32 v5, 0x37800000
	v_lshlrev_b32_e32 v4, 21, v4
	v_and_b32_e32 v3, 0x80000000, v3
	v_lshl_add_u32 v5, v6, 23, v5
	v_or3_b32 v3, v3, v5, v4
	v_trunc_f32_e32 v3, v3
	s_mov_b32 s16, 0x2f800000
	v_mul_f32_e64 v4, |v3|, s16
	v_floor_f32_e32 v4, v4
	s_mov_b32 s16, 0xcf800000
	v_fma_f32 v5, v4, s16, |v3|
	v_cvt_u32_f32_e32 v5, v5
	v_cvt_u32_f32_e32 v4, v4
	v_ashrrev_i32_e32 v6, 31, v3
	v_xor_b32_e32 v3, v5, v6
	v_xor_b32_e32 v4, v4, v6
	v_sub_co_u32_e32 v3, vcc, v3, v6
	v_subb_co_u32_e32 v4, vcc, v4, v6, vcc
.LBB87_461:
	s_or_b64 exec, exec, s[0:1]
	s_mov_b64 s[0:1], 0
	s_branch .LBB87_465
.LBB87_462:
	s_mov_b64 s[16:17], -1
                                        ; implicit-def: $vgpr3_vgpr4
	s_branch .LBB87_471
.LBB87_463:
	s_mov_b64 s[0:1], -1
                                        ; implicit-def: $vgpr3_vgpr4
	s_branch .LBB87_468
.LBB87_464:
	s_mov_b64 s[0:1], -1
                                        ; implicit-def: $vgpr3_vgpr4
.LBB87_465:
	s_and_b64 vcc, exec, s[0:1]
	s_cbranch_vccz .LBB87_467
; %bb.466:
	global_load_ubyte v3, v[1:2], off
	s_mov_b32 s0, 0x7f800000
	s_brev_b32 s1, 1
	s_mov_b32 s16, 0x2f800000
	s_mov_b32 s17, 0xcf800000
	s_waitcnt vmcnt(0)
	v_lshlrev_b32_e32 v3, 24, v3
	v_and_b32_e32 v4, 0x7f000000, v3
	v_ffbh_u32_e32 v5, v4
	v_min_u32_e32 v5, 32, v5
	v_sub_u32_e64 v5, v5, 4 clamp
	v_lshlrev_b32_e32 v7, v5, v4
	v_lshlrev_b32_e32 v5, 23, v5
	v_lshrrev_b32_e32 v7, 4, v7
	v_add_u32_e32 v6, 0x1000000, v4
	v_sub_u32_e32 v5, v7, v5
	v_ashrrev_i32_e32 v6, 8, v6
	v_add_u32_e32 v5, 0x3c000000, v5
	v_and_or_b32 v5, v6, s0, v5
	v_cmp_ne_u32_e32 vcc, 0, v4
	v_cndmask_b32_e32 v4, 0, v5, vcc
	v_and_or_b32 v3, v3, s1, v4
	v_trunc_f32_e32 v3, v3
	v_mul_f32_e64 v4, |v3|, s16
	v_floor_f32_e32 v4, v4
	v_fma_f32 v5, v4, s17, |v3|
	v_cvt_u32_f32_e32 v5, v5
	v_cvt_u32_f32_e32 v4, v4
	v_ashrrev_i32_e32 v6, 31, v3
	v_xor_b32_e32 v3, v5, v6
	v_xor_b32_e32 v4, v4, v6
	v_sub_co_u32_e32 v3, vcc, v3, v6
	v_subb_co_u32_e32 v4, vcc, v4, v6, vcc
.LBB87_467:
	s_mov_b64 s[0:1], 0
.LBB87_468:
	s_andn2_b64 vcc, exec, s[0:1]
	s_cbranch_vccnz .LBB87_470
; %bb.469:
	global_load_ubyte v3, v[1:2], off
	s_movk_i32 s0, 0x7f00
	s_brev_b32 s1, 16
	s_brev_b32 s16, 1
	s_mov_b32 s17, 0x2f800000
	s_mov_b32 s19, 0xcf800000
	s_waitcnt vmcnt(0)
	v_lshlrev_b16_e32 v4, 8, v3
	v_lshlrev_b32_e32 v3, 25, v3
	v_lshrrev_b32_e32 v5, 4, v3
	v_and_or_b32 v6, v4, s0, 0.5
	v_or_b32_e32 v5, 0x70000000, v5
	v_add_f32_e32 v6, -0.5, v6
	v_mul_f32_e32 v5, 0x7800000, v5
	v_cmp_gt_u32_e32 vcc, s1, v3
	v_bfe_i32 v4, v4, 0, 16
	v_cndmask_b32_e32 v3, v5, v6, vcc
	v_and_or_b32 v3, v4, s16, v3
	v_trunc_f32_e32 v3, v3
	v_mul_f32_e64 v4, |v3|, s17
	v_floor_f32_e32 v4, v4
	v_fma_f32 v5, v4, s19, |v3|
	v_cvt_u32_f32_e32 v5, v5
	v_cvt_u32_f32_e32 v4, v4
	v_ashrrev_i32_e32 v6, 31, v3
	v_xor_b32_e32 v3, v5, v6
	v_xor_b32_e32 v4, v4, v6
	v_sub_co_u32_e32 v3, vcc, v3, v6
	v_subb_co_u32_e32 v4, vcc, v4, v6, vcc
.LBB87_470:
	s_mov_b64 s[16:17], 0
	s_mov_b64 s[0:1], -1
.LBB87_471:
	s_andn2_b64 vcc, exec, s[16:17]
	s_cbranch_vccnz .LBB87_482
; %bb.472:
	s_cmp_gt_i32 s18, 14
	s_cbranch_scc0 .LBB87_475
; %bb.473:
	s_cmp_eq_u32 s18, 15
	s_cbranch_scc0 .LBB87_476
; %bb.474:
	global_load_ushort v3, v[1:2], off
	s_mov_b32 s0, 0x2f800000
	s_mov_b32 s1, 0xcf800000
	s_mov_b64 s[2:3], 0
	s_waitcnt vmcnt(0)
	v_lshlrev_b32_e32 v3, 16, v3
	v_trunc_f32_e32 v3, v3
	v_mul_f32_e64 v4, |v3|, s0
	v_floor_f32_e32 v4, v4
	v_fma_f32 v5, v4, s1, |v3|
	v_cvt_u32_f32_e32 v5, v5
	v_cvt_u32_f32_e32 v4, v4
	v_ashrrev_i32_e32 v6, 31, v3
	s_mov_b64 s[0:1], -1
	v_xor_b32_e32 v3, v5, v6
	v_xor_b32_e32 v4, v4, v6
	v_sub_co_u32_e32 v3, vcc, v3, v6
	v_subb_co_u32_e32 v4, vcc, v4, v6, vcc
	s_branch .LBB87_477
.LBB87_475:
	s_mov_b64 s[16:17], -1
                                        ; implicit-def: $vgpr3_vgpr4
	s_branch .LBB87_478
.LBB87_476:
	s_mov_b64 s[2:3], -1
                                        ; implicit-def: $vgpr3_vgpr4
.LBB87_477:
	s_mov_b64 s[16:17], 0
.LBB87_478:
	s_and_b64 vcc, exec, s[16:17]
	s_cbranch_vccz .LBB87_482
; %bb.479:
	s_cmp_eq_u32 s18, 11
	s_cbranch_scc0 .LBB87_481
; %bb.480:
	global_load_ubyte v3, v[1:2], off
	s_mov_b32 s2, 0
	s_mov_b64 s[0:1], -1
	s_waitcnt vmcnt(1)
	v_mov_b32_e32 v4, s2
	s_mov_b64 s[2:3], 0
	s_waitcnt vmcnt(0)
	v_cmp_ne_u16_e32 vcc, 0, v3
	v_cndmask_b32_e64 v3, 0, 1, vcc
	s_branch .LBB87_482
.LBB87_481:
	s_mov_b64 s[2:3], -1
                                        ; implicit-def: $vgpr3_vgpr4
.LBB87_482:
	s_branch .LBB87_289
.LBB87_483:
	s_cmp_lt_i32 s18, 5
	s_cbranch_scc1 .LBB87_488
; %bb.484:
	s_cmp_lt_i32 s18, 8
	s_cbranch_scc1 .LBB87_489
; %bb.485:
	;; [unrolled: 3-line block ×3, first 2 shown]
	s_cmp_gt_i32 s18, 9
	s_cbranch_scc0 .LBB87_491
; %bb.487:
	global_load_dwordx2 v[3:4], v[1:2], off
	s_movk_i32 s0, 0xffe0
	s_waitcnt vmcnt(0)
	v_trunc_f64_e32 v[3:4], v[3:4]
	v_ldexp_f64 v[5:6], v[3:4], s0
	s_mov_b32 s0, 0
	s_mov_b32 s1, 0xc1f00000
	v_floor_f64_e32 v[5:6], v[5:6]
	v_fma_f64 v[7:8], v[5:6], s[0:1], v[3:4]
	v_cvt_i32_f64_e32 v4, v[5:6]
	s_mov_b64 s[0:1], 0
	v_cvt_u32_f64_e32 v3, v[7:8]
	s_branch .LBB87_492
.LBB87_488:
	s_mov_b64 s[0:1], -1
                                        ; implicit-def: $vgpr3_vgpr4
	s_branch .LBB87_510
.LBB87_489:
	s_mov_b64 s[0:1], -1
                                        ; implicit-def: $vgpr3_vgpr4
	s_branch .LBB87_498
.LBB87_490:
	s_mov_b64 s[0:1], -1
                                        ; implicit-def: $vgpr3_vgpr4
	s_branch .LBB87_495
.LBB87_491:
	s_mov_b64 s[0:1], -1
                                        ; implicit-def: $vgpr3_vgpr4
.LBB87_492:
	s_andn2_b64 vcc, exec, s[0:1]
	s_cbranch_vccnz .LBB87_494
; %bb.493:
	global_load_dword v3, v[1:2], off
	s_mov_b32 s0, 0x2f800000
	s_mov_b32 s1, 0xcf800000
	s_waitcnt vmcnt(0)
	v_trunc_f32_e32 v3, v3
	v_mul_f32_e64 v4, |v3|, s0
	v_floor_f32_e32 v4, v4
	v_cvt_u32_f32_e32 v5, v4
	v_fma_f32 v4, v4, s1, |v3|
	v_cvt_u32_f32_e32 v4, v4
	v_ashrrev_i32_e32 v6, 31, v3
	v_xor_b32_e32 v5, v5, v6
	v_xor_b32_e32 v3, v4, v6
	v_sub_co_u32_e32 v3, vcc, v3, v6
	v_subb_co_u32_e32 v4, vcc, v5, v6, vcc
.LBB87_494:
	s_mov_b64 s[0:1], 0
.LBB87_495:
	s_andn2_b64 vcc, exec, s[0:1]
	s_cbranch_vccnz .LBB87_497
; %bb.496:
	global_load_dword v3, v[1:2], off
	s_waitcnt vmcnt(0)
	v_cvt_f32_f16_e32 v3, v3
	v_cvt_i32_f32_e32 v3, v3
	v_ashrrev_i32_e32 v4, 31, v3
.LBB87_497:
	s_mov_b64 s[0:1], 0
.LBB87_498:
	s_andn2_b64 vcc, exec, s[0:1]
	s_cbranch_vccnz .LBB87_509
; %bb.499:
	s_cmp_lt_i32 s18, 6
	s_cbranch_scc1 .LBB87_502
; %bb.500:
	s_cmp_gt_i32 s18, 6
	s_cbranch_scc0 .LBB87_503
; %bb.501:
	global_load_dwordx2 v[3:4], v[1:2], off
	s_movk_i32 s0, 0xffe0
	s_waitcnt vmcnt(0)
	v_trunc_f64_e32 v[3:4], v[3:4]
	v_ldexp_f64 v[5:6], v[3:4], s0
	s_mov_b32 s0, 0
	s_mov_b32 s1, 0xc1f00000
	v_floor_f64_e32 v[5:6], v[5:6]
	v_fma_f64 v[7:8], v[5:6], s[0:1], v[3:4]
	v_cvt_i32_f64_e32 v4, v[5:6]
	s_mov_b64 s[0:1], 0
	v_cvt_u32_f64_e32 v3, v[7:8]
	s_branch .LBB87_504
.LBB87_502:
	s_mov_b64 s[0:1], -1
                                        ; implicit-def: $vgpr3_vgpr4
	s_branch .LBB87_507
.LBB87_503:
	s_mov_b64 s[0:1], -1
                                        ; implicit-def: $vgpr3_vgpr4
.LBB87_504:
	s_andn2_b64 vcc, exec, s[0:1]
	s_cbranch_vccnz .LBB87_506
; %bb.505:
	global_load_dword v3, v[1:2], off
	s_mov_b32 s0, 0x2f800000
	s_mov_b32 s1, 0xcf800000
	s_waitcnt vmcnt(0)
	v_trunc_f32_e32 v3, v3
	v_mul_f32_e64 v4, |v3|, s0
	v_floor_f32_e32 v4, v4
	v_cvt_u32_f32_e32 v5, v4
	v_fma_f32 v4, v4, s1, |v3|
	v_cvt_u32_f32_e32 v4, v4
	v_ashrrev_i32_e32 v6, 31, v3
	v_xor_b32_e32 v5, v5, v6
	v_xor_b32_e32 v3, v4, v6
	v_sub_co_u32_e32 v3, vcc, v3, v6
	v_subb_co_u32_e32 v4, vcc, v5, v6, vcc
.LBB87_506:
	s_mov_b64 s[0:1], 0
.LBB87_507:
	s_andn2_b64 vcc, exec, s[0:1]
	s_cbranch_vccnz .LBB87_509
; %bb.508:
	global_load_ushort v3, v[1:2], off
	s_waitcnt vmcnt(0)
	v_cvt_f32_f16_e32 v3, v3
	v_cvt_i32_f32_e32 v3, v3
	v_ashrrev_i32_e32 v4, 31, v3
.LBB87_509:
	s_mov_b64 s[0:1], 0
.LBB87_510:
	s_andn2_b64 vcc, exec, s[0:1]
	s_cbranch_vccnz .LBB87_530
; %bb.511:
	s_cmp_lt_i32 s18, 2
	s_cbranch_scc1 .LBB87_515
; %bb.512:
	s_cmp_lt_i32 s18, 3
	s_cbranch_scc1 .LBB87_516
; %bb.513:
	s_cmp_gt_i32 s18, 3
	s_cbranch_scc0 .LBB87_517
; %bb.514:
	global_load_dwordx2 v[3:4], v[1:2], off
	s_mov_b64 s[0:1], 0
	s_branch .LBB87_518
.LBB87_515:
	s_mov_b64 s[0:1], -1
                                        ; implicit-def: $vgpr3_vgpr4
	s_branch .LBB87_524
.LBB87_516:
	s_mov_b64 s[0:1], -1
                                        ; implicit-def: $vgpr3_vgpr4
	s_branch .LBB87_521
.LBB87_517:
	s_mov_b64 s[0:1], -1
                                        ; implicit-def: $vgpr3_vgpr4
.LBB87_518:
	s_andn2_b64 vcc, exec, s[0:1]
	s_cbranch_vccnz .LBB87_520
; %bb.519:
	global_load_dword v3, v[1:2], off
	s_waitcnt vmcnt(0)
	v_ashrrev_i32_e32 v4, 31, v3
.LBB87_520:
	s_mov_b64 s[0:1], 0
.LBB87_521:
	s_andn2_b64 vcc, exec, s[0:1]
	s_cbranch_vccnz .LBB87_523
; %bb.522:
	global_load_ushort v3, v[1:2], off
	s_waitcnt vmcnt(0)
	v_bfe_i32 v3, v3, 0, 16
	v_ashrrev_i32_e32 v4, 31, v3
.LBB87_523:
	s_mov_b64 s[0:1], 0
.LBB87_524:
	s_andn2_b64 vcc, exec, s[0:1]
	s_cbranch_vccnz .LBB87_530
; %bb.525:
	s_cmp_gt_i32 s18, 0
	s_cbranch_scc0 .LBB87_527
; %bb.526:
	global_load_sbyte v3, v[1:2], off
	s_mov_b64 s[0:1], 0
	s_waitcnt vmcnt(0)
	v_bfe_i32 v3, v3, 0, 16
	v_ashrrev_i32_e32 v4, 31, v3
	s_branch .LBB87_528
.LBB87_527:
	s_mov_b64 s[0:1], -1
                                        ; implicit-def: $vgpr3_vgpr4
.LBB87_528:
	s_andn2_b64 vcc, exec, s[0:1]
	s_cbranch_vccnz .LBB87_530
; %bb.529:
	global_load_ubyte v1, v[1:2], off
	s_mov_b32 s0, 0
	s_waitcnt vmcnt(1)
	v_mov_b32_e32 v4, s0
	s_waitcnt vmcnt(0)
	v_and_b32_e32 v3, 0xffff, v1
.LBB87_530:
	s_branch .LBB87_290
.LBB87_531:
	s_mov_b64 s[16:17], 0
	s_mov_b64 s[0:1], s[58:59]
.LBB87_532:
                                        ; implicit-def: $vgpr11
.LBB87_533:
	s_andn2_b64 s[18:19], s[58:59], exec
	s_and_b64 s[0:1], s[0:1], exec
	s_or_b64 s[66:67], s[18:19], s[0:1]
	s_andn2_b64 s[0:1], s[60:61], exec
	s_and_b64 s[2:3], s[2:3], exec
	s_or_b64 s[64:65], s[0:1], s[2:3]
	s_orn2_b64 s[0:1], s[16:17], exec
.LBB87_534:
	s_or_b64 exec, exec, s[68:69]
	s_mov_b64 s[2:3], 0
	s_mov_b64 s[16:17], 0
	;; [unrolled: 1-line block ×3, first 2 shown]
                                        ; implicit-def: $vgpr1_vgpr2
                                        ; implicit-def: $vgpr0
                                        ; implicit-def: $vgpr5_vgpr6
	s_and_saveexec_b64 s[68:69], s[0:1]
	s_cbranch_execz .LBB87_901
; %bb.535:
	v_cmp_gt_i32_e32 vcc, s76, v11
	s_mov_b64 s[2:3], -1
	s_mov_b64 s[72:73], s[64:65]
	s_mov_b64 s[74:75], s[66:67]
	s_and_saveexec_b64 s[70:71], vcc
	s_cbranch_execz .LBB87_805
; %bb.536:
	s_andn2_b64 vcc, exec, s[44:45]
	s_cbranch_vccnz .LBB87_541
; %bb.537:
	s_andn2_b64 vcc, exec, s[56:57]
	s_cbranch_vccnz .LBB87_542
; %bb.538:
	s_add_i32 s82, s81, 1
	s_cmp_eq_u32 s78, 2
	s_cbranch_scc1 .LBB87_543
; %bb.539:
	s_and_b32 s77, s82, 28
	v_mov_b32_e32 v2, 0
	s_mov_b32 s83, 0
	s_mov_b64 s[72:73], s[34:35]
	s_mov_b64 s[74:75], s[54:55]
	v_mov_b32_e32 v0, 0
	v_mov_b32_e32 v1, v11
.LBB87_540:                             ; =>This Inner Loop Header: Depth=1
	s_load_dwordx8 s[24:31], s[72:73], 0x4
	s_load_dwordx4 s[0:3], s[72:73], 0x24
	s_load_dwordx8 s[16:23], s[74:75], 0x0
	s_add_u32 s72, s72, 48
	s_addc_u32 s73, s73, 0
	s_waitcnt vmcnt(0) lgkmcnt(0)
	v_mul_hi_u32 v3, s25, v1
	s_add_i32 s83, s83, 4
	s_add_u32 s74, s74, 32
	s_addc_u32 s75, s75, 0
	v_add_u32_e32 v3, v1, v3
	v_lshrrev_b32_e32 v3, s26, v3
	v_mul_lo_u32 v4, v3, s24
	v_mul_hi_u32 v5, s28, v3
	s_cmp_eq_u32 s77, s83
	v_sub_u32_e32 v1, v1, v4
	v_add_u32_e32 v4, v3, v5
	v_mul_lo_u32 v5, v1, s16
	v_mul_lo_u32 v6, v1, s17
	v_lshrrev_b32_e32 v1, s29, v4
	v_mul_lo_u32 v4, v1, s27
	v_mul_hi_u32 v7, s31, v1
	v_sub_u32_e32 v3, v3, v4
	v_add_u32_e32 v4, v1, v7
	v_lshrrev_b32_e32 v4, s0, v4
	v_mul_hi_u32 v8, s2, v4
	v_mul_lo_u32 v9, v4, s30
	v_mul_lo_u32 v7, v3, s18
	;; [unrolled: 1-line block ×3, first 2 shown]
	v_sub_u32_e32 v9, v1, v9
	v_add_u32_e32 v1, v4, v8
	v_lshrrev_b32_e32 v1, s3, v1
	v_mul_lo_u32 v8, v1, s1
	v_mul_lo_u32 v10, v9, s20
	;; [unrolled: 1-line block ×3, first 2 shown]
	v_add3_u32 v0, v5, v0, v7
	v_sub_u32_e32 v4, v4, v8
	v_mul_lo_u32 v8, v4, s22
	v_mul_lo_u32 v4, v4, s23
	v_add3_u32 v2, v6, v2, v3
	v_add3_u32 v0, v10, v0, v8
	v_add3_u32 v2, v9, v2, v4
	s_cbranch_scc0 .LBB87_540
	s_branch .LBB87_544
.LBB87_541:
	s_mov_b64 s[0:1], -1
                                        ; implicit-def: $vgpr0
                                        ; implicit-def: $vgpr2
	s_branch .LBB87_548
.LBB87_542:
	v_mov_b32_e32 v0, 0
	v_mov_b32_e32 v2, 0
	s_branch .LBB87_547
.LBB87_543:
	s_mov_b32 s77, 0
	v_mov_b32_e32 v0, 0
	v_mov_b32_e32 v2, 0
	;; [unrolled: 1-line block ×3, first 2 shown]
.LBB87_544:
	s_and_b32 s16, s82, 3
	s_cmp_eq_u32 s16, 0
	s_cbranch_scc1 .LBB87_547
; %bb.545:
	s_lshl_b32 s0, s77, 3
	s_add_u32 s0, s34, s0
	s_addc_u32 s1, s35, 0
	s_add_u32 s0, s0, 0xc4
	s_addc_u32 s1, s1, 0
	s_mul_i32 s2, s77, 12
	s_add_u32 s2, s34, s2
	s_addc_u32 s3, s35, 0
.LBB87_546:                             ; =>This Inner Loop Header: Depth=1
	s_load_dwordx2 s[18:19], s[2:3], 0x4
	s_load_dword s17, s[2:3], 0xc
	s_load_dwordx2 s[20:21], s[0:1], 0x0
	s_add_u32 s2, s2, 12
	s_addc_u32 s3, s3, 0
	s_waitcnt vmcnt(0) lgkmcnt(0)
	v_mul_hi_u32 v3, s19, v1
	s_add_u32 s0, s0, 8
	s_addc_u32 s1, s1, 0
	s_add_i32 s16, s16, -1
	v_add_u32_e32 v3, v1, v3
	v_lshrrev_b32_e32 v4, s17, v3
	v_mul_lo_u32 v3, v4, s18
	s_cmp_lg_u32 s16, 0
	v_sub_u32_e32 v3, v1, v3
	v_mad_u64_u32 v[0:1], s[18:19], v3, s20, v[0:1]
	v_mad_u64_u32 v[2:3], s[18:19], v3, s21, v[2:3]
	v_mov_b32_e32 v1, v4
	s_cbranch_scc1 .LBB87_546
.LBB87_547:
	s_mov_b64 s[0:1], 0
.LBB87_548:
	s_andn2_b64 vcc, exec, s[0:1]
	s_cbranch_vccnz .LBB87_551
; %bb.549:
	v_mul_hi_u32 v0, s37, v11
	s_andn2_b64 vcc, exec, s[52:53]
	v_add_u32_e32 v0, v11, v0
	v_lshrrev_b32_e32 v1, s38, v0
	v_mul_lo_u32 v0, v1, s36
	v_sub_u32_e32 v2, v11, v0
	v_mul_lo_u32 v0, v2, s40
	v_mul_lo_u32 v2, v2, s41
	s_cbranch_vccnz .LBB87_551
; %bb.550:
	s_waitcnt vmcnt(0)
	v_mul_hi_u32 v3, s50, v1
	v_add_u32_e32 v3, v1, v3
	v_lshrrev_b32_e32 v3, s51, v3
	v_mul_lo_u32 v3, v3, s39
	v_sub_u32_e32 v3, v1, v3
	v_mad_u64_u32 v[0:1], s[0:1], v3, s42, v[0:1]
	v_mad_u64_u32 v[2:3], s[0:1], v3, s43, v[2:3]
.LBB87_551:
	s_waitcnt vmcnt(0)
	v_mov_b32_e32 v3, s11
	s_and_b32 s18, 0xffff, s80
	v_add_co_u32_e32 v1, vcc, s10, v2
	s_cmp_lt_i32 s18, 11
	v_addc_co_u32_e32 v2, vcc, 0, v3, vcc
	s_cbranch_scc1 .LBB87_558
; %bb.552:
	s_cmp_gt_i32 s18, 25
	s_cbranch_scc0 .LBB87_559
; %bb.553:
	s_cmp_gt_i32 s18, 28
	s_cbranch_scc0 .LBB87_560
	;; [unrolled: 3-line block ×4, first 2 shown]
; %bb.556:
	s_cmp_eq_u32 s18, 46
	s_mov_b64 s[16:17], 0
	s_cbranch_scc0 .LBB87_567
; %bb.557:
	global_load_dword v3, v[1:2], off
	s_mov_b32 s0, 0x2f800000
	s_mov_b32 s1, 0xcf800000
	s_mov_b64 s[2:3], 0
	s_waitcnt vmcnt(0)
	v_lshlrev_b32_e32 v3, 16, v3
	v_trunc_f32_e32 v3, v3
	v_mul_f32_e64 v4, |v3|, s0
	v_floor_f32_e32 v4, v4
	v_fma_f32 v5, v4, s1, |v3|
	v_cvt_u32_f32_e32 v5, v5
	v_cvt_u32_f32_e32 v4, v4
	v_ashrrev_i32_e32 v6, 31, v3
	s_mov_b64 s[0:1], -1
	v_xor_b32_e32 v3, v5, v6
	v_xor_b32_e32 v4, v4, v6
	v_sub_co_u32_e32 v3, vcc, v3, v6
	v_subb_co_u32_e32 v4, vcc, v4, v6, vcc
	s_branch .LBB87_568
.LBB87_558:
	s_mov_b64 s[16:17], -1
	s_mov_b64 s[0:1], 0
                                        ; implicit-def: $vgpr3_vgpr4
	s_mov_b64 s[2:3], s[64:65]
	s_branch .LBB87_629
.LBB87_559:
	s_mov_b64 s[16:17], -1
	s_mov_b64 s[0:1], 0
	s_mov_b64 s[2:3], s[64:65]
                                        ; implicit-def: $vgpr3_vgpr4
	s_branch .LBB87_597
.LBB87_560:
	s_mov_b64 s[16:17], -1
	s_mov_b64 s[0:1], 0
	s_mov_b64 s[2:3], s[64:65]
                                        ; implicit-def: $vgpr3_vgpr4
	s_branch .LBB87_578
.LBB87_561:
	s_mov_b64 s[16:17], -1
	s_mov_b64 s[0:1], 0
	s_mov_b64 s[2:3], s[64:65]
                                        ; implicit-def: $vgpr3_vgpr4
	s_branch .LBB87_573
.LBB87_562:
	s_andn2_saveexec_b64 s[20:21], s[20:21]
	s_cbranch_execz .LBB87_335
.LBB87_563:
	s_mov_b32 s24, 0x46000000
	v_add_f32_e64 v5, |v0|, s24
	v_and_b32_e32 v5, 0xff, v5
	v_cmp_ne_u32_e32 vcc, 0, v5
	s_andn2_b64 s[18:19], s[18:19], exec
	s_and_b64 s[24:25], vcc, exec
	s_or_b64 s[18:19], s[18:19], s[24:25]
	s_or_b64 exec, exec, s[20:21]
	v_mov_b32_e32 v6, 0
	s_and_saveexec_b64 s[20:21], s[18:19]
	s_cbranch_execnz .LBB87_336
	s_branch .LBB87_337
.LBB87_564:
	s_mov_b64 s[16:17], -1
	s_mov_b64 s[0:1], 0
	s_mov_b64 s[2:3], s[64:65]
                                        ; implicit-def: $vgpr3_vgpr4
	s_branch .LBB87_568
.LBB87_565:
	s_andn2_saveexec_b64 s[20:21], s[20:21]
	s_cbranch_execz .LBB87_348
.LBB87_566:
	s_mov_b32 s24, 0x42800000
	v_add_f32_e64 v5, |v0|, s24
	v_and_b32_e32 v5, 0xff, v5
	v_cmp_ne_u32_e32 vcc, 0, v5
	s_andn2_b64 s[18:19], s[18:19], exec
	s_and_b64 s[24:25], vcc, exec
	s_or_b64 s[18:19], s[18:19], s[24:25]
	s_or_b64 exec, exec, s[20:21]
	v_mov_b32_e32 v6, 0
	s_and_saveexec_b64 s[20:21], s[18:19]
	s_cbranch_execnz .LBB87_349
	s_branch .LBB87_350
.LBB87_567:
	s_mov_b64 s[2:3], -1
                                        ; implicit-def: $vgpr3_vgpr4
	s_mov_b64 s[0:1], 0
.LBB87_568:
	s_and_b64 vcc, exec, s[16:17]
	s_cbranch_vccz .LBB87_572
; %bb.569:
	s_cmp_eq_u32 s18, 44
	s_cbranch_scc0 .LBB87_571
; %bb.570:
	global_load_ubyte v3, v[1:2], off
	s_mov_b32 s0, 0x2f800000
	s_mov_b32 s1, 0xcf800000
	s_mov_b64 s[2:3], 0
	s_waitcnt vmcnt(0)
	v_lshlrev_b32_e32 v4, 23, v3
	v_trunc_f32_e32 v4, v4
	v_mul_f32_e64 v5, |v4|, s0
	v_floor_f32_e32 v5, v5
	v_fma_f32 v6, v5, s1, |v4|
	v_cvt_u32_f32_e32 v6, v6
	v_cvt_u32_f32_e32 v5, v5
	v_ashrrev_i32_e32 v4, 31, v4
	s_mov_b64 s[0:1], -1
	v_xor_b32_e32 v6, v6, v4
	v_xor_b32_e32 v5, v5, v4
	v_sub_co_u32_e32 v6, vcc, v6, v4
	v_subb_co_u32_e32 v4, vcc, v5, v4, vcc
	v_cmp_ne_u32_e32 vcc, 0, v3
	v_cndmask_b32_e32 v4, 0, v4, vcc
	v_cndmask_b32_e32 v3, 0, v6, vcc
	s_branch .LBB87_572
.LBB87_571:
	s_mov_b64 s[2:3], -1
                                        ; implicit-def: $vgpr3_vgpr4
.LBB87_572:
	s_mov_b64 s[16:17], 0
.LBB87_573:
	s_and_b64 vcc, exec, s[16:17]
	s_cbranch_vccz .LBB87_577
; %bb.574:
	s_cmp_eq_u32 s18, 29
	s_cbranch_scc0 .LBB87_576
; %bb.575:
	global_load_dwordx2 v[3:4], v[1:2], off
	s_mov_b64 s[0:1], -1
	s_mov_b64 s[2:3], 0
	s_branch .LBB87_577
.LBB87_576:
	s_mov_b64 s[2:3], -1
                                        ; implicit-def: $vgpr3_vgpr4
.LBB87_577:
	s_mov_b64 s[16:17], 0
.LBB87_578:
	s_and_b64 vcc, exec, s[16:17]
	s_cbranch_vccz .LBB87_596
; %bb.579:
	s_cmp_lt_i32 s18, 27
	s_cbranch_scc1 .LBB87_582
; %bb.580:
	s_cmp_gt_i32 s18, 27
	s_cbranch_scc0 .LBB87_583
; %bb.581:
	global_load_dword v3, v[1:2], off
	s_waitcnt vmcnt(1)
	v_mov_b32_e32 v4, 0
	s_mov_b64 s[0:1], 0
	s_branch .LBB87_584
.LBB87_582:
	s_mov_b64 s[0:1], -1
                                        ; implicit-def: $vgpr3_vgpr4
	s_branch .LBB87_587
.LBB87_583:
	s_mov_b64 s[0:1], -1
                                        ; implicit-def: $vgpr3_vgpr4
.LBB87_584:
	s_andn2_b64 vcc, exec, s[0:1]
	s_cbranch_vccnz .LBB87_586
; %bb.585:
	global_load_ushort v3, v[1:2], off
	s_mov_b32 s0, 0
	s_waitcnt vmcnt(1)
	v_mov_b32_e32 v4, s0
	s_waitcnt vmcnt(0)
	v_and_b32_e32 v3, 0xffff, v3
.LBB87_586:
	s_mov_b64 s[0:1], 0
.LBB87_587:
	s_andn2_b64 vcc, exec, s[0:1]
	s_cbranch_vccnz .LBB87_595
; %bb.588:
	global_load_ubyte v5, v[1:2], off
	s_movk_i32 s0, 0x7f
	s_mov_b64 s[16:17], 0
	s_waitcnt vmcnt(0)
	v_cmp_lt_i16_e32 vcc, s0, v5
	s_and_saveexec_b64 s[0:1], vcc
	s_xor_b64 s[0:1], exec, s[0:1]
; %bb.589:
	s_movk_i32 s16, 0x80
	v_cmp_ne_u16_e32 vcc, s16, v5
	s_and_b64 s[16:17], vcc, exec
; %bb.590:
	s_andn2_saveexec_b64 s[0:1], s[0:1]
; %bb.591:
	v_cmp_ne_u16_e32 vcc, 0, v5
	s_andn2_b64 s[16:17], s[16:17], exec
	s_and_b64 s[20:21], vcc, exec
	s_or_b64 s[16:17], s[16:17], s[20:21]
; %bb.592:
	s_or_b64 exec, exec, s[0:1]
	v_mov_b32_e32 v3, 0
	v_mov_b32_e32 v4, 0
	s_and_saveexec_b64 s[0:1], s[16:17]
	s_cbranch_execz .LBB87_594
; %bb.593:
	v_and_b32_e32 v4, 0xffff, v5
	v_lshlrev_b32_e32 v3, 24, v5
	v_and_b32_e32 v5, 7, v4
	v_ffbh_u32_e32 v7, v5
	v_min_u32_e32 v7, 32, v7
	v_subrev_u32_e32 v8, 28, v7
	v_bfe_u32 v6, v4, 3, 4
	v_lshlrev_b32_e32 v4, v8, v4
	v_sub_u32_e32 v7, 29, v7
	v_and_b32_e32 v4, 7, v4
	v_cmp_eq_u32_e32 vcc, 0, v6
	v_cndmask_b32_e32 v6, v6, v7, vcc
	v_cndmask_b32_e32 v4, v5, v4, vcc
	v_mov_b32_e32 v5, 0x3b800000
	v_lshlrev_b32_e32 v4, 20, v4
	v_and_b32_e32 v3, 0x80000000, v3
	v_lshl_add_u32 v5, v6, 23, v5
	v_or3_b32 v3, v3, v5, v4
	v_trunc_f32_e32 v3, v3
	s_mov_b32 s16, 0x2f800000
	v_mul_f32_e64 v4, |v3|, s16
	v_floor_f32_e32 v4, v4
	s_mov_b32 s16, 0xcf800000
	v_fma_f32 v5, v4, s16, |v3|
	v_cvt_u32_f32_e32 v5, v5
	v_cvt_u32_f32_e32 v4, v4
	v_ashrrev_i32_e32 v6, 31, v3
	v_xor_b32_e32 v3, v5, v6
	v_xor_b32_e32 v4, v4, v6
	v_sub_co_u32_e32 v3, vcc, v3, v6
	v_subb_co_u32_e32 v4, vcc, v4, v6, vcc
.LBB87_594:
	s_or_b64 exec, exec, s[0:1]
.LBB87_595:
	s_mov_b64 s[0:1], -1
.LBB87_596:
	s_mov_b64 s[16:17], 0
.LBB87_597:
	s_and_b64 vcc, exec, s[16:17]
	s_cbranch_vccz .LBB87_628
; %bb.598:
	s_cmp_gt_i32 s18, 22
	s_cbranch_scc0 .LBB87_608
; %bb.599:
	s_cmp_lt_i32 s18, 24
	s_cbranch_scc1 .LBB87_609
; %bb.600:
	s_cmp_gt_i32 s18, 24
	s_cbranch_scc0 .LBB87_610
; %bb.601:
	global_load_ubyte v5, v[1:2], off
	s_movk_i32 s0, 0x7f
	s_mov_b64 s[16:17], 0
	s_waitcnt vmcnt(0)
	v_cmp_lt_i16_e32 vcc, s0, v5
	s_and_saveexec_b64 s[0:1], vcc
	s_xor_b64 s[0:1], exec, s[0:1]
; %bb.602:
	s_movk_i32 s16, 0x80
	v_cmp_ne_u16_e32 vcc, s16, v5
	s_and_b64 s[16:17], vcc, exec
; %bb.603:
	s_andn2_saveexec_b64 s[0:1], s[0:1]
; %bb.604:
	v_cmp_ne_u16_e32 vcc, 0, v5
	s_andn2_b64 s[16:17], s[16:17], exec
	s_and_b64 s[20:21], vcc, exec
	s_or_b64 s[16:17], s[16:17], s[20:21]
; %bb.605:
	s_or_b64 exec, exec, s[0:1]
	v_mov_b32_e32 v3, 0
	v_mov_b32_e32 v4, 0
	s_and_saveexec_b64 s[0:1], s[16:17]
	s_cbranch_execz .LBB87_607
; %bb.606:
	v_and_b32_e32 v4, 0xffff, v5
	v_lshlrev_b32_e32 v3, 24, v5
	v_and_b32_e32 v5, 3, v4
	v_ffbh_u32_e32 v7, v5
	v_min_u32_e32 v7, 32, v7
	v_subrev_u32_e32 v8, 29, v7
	v_bfe_u32 v6, v4, 2, 5
	v_lshlrev_b32_e32 v4, v8, v4
	v_sub_u32_e32 v7, 30, v7
	v_and_b32_e32 v4, 3, v4
	v_cmp_eq_u32_e32 vcc, 0, v6
	v_cndmask_b32_e32 v6, v6, v7, vcc
	v_cndmask_b32_e32 v4, v5, v4, vcc
	v_mov_b32_e32 v5, 0x37800000
	v_lshlrev_b32_e32 v4, 21, v4
	v_and_b32_e32 v3, 0x80000000, v3
	v_lshl_add_u32 v5, v6, 23, v5
	v_or3_b32 v3, v3, v5, v4
	v_trunc_f32_e32 v3, v3
	s_mov_b32 s16, 0x2f800000
	v_mul_f32_e64 v4, |v3|, s16
	v_floor_f32_e32 v4, v4
	s_mov_b32 s16, 0xcf800000
	v_fma_f32 v5, v4, s16, |v3|
	v_cvt_u32_f32_e32 v5, v5
	v_cvt_u32_f32_e32 v4, v4
	v_ashrrev_i32_e32 v6, 31, v3
	v_xor_b32_e32 v3, v5, v6
	v_xor_b32_e32 v4, v4, v6
	v_sub_co_u32_e32 v3, vcc, v3, v6
	v_subb_co_u32_e32 v4, vcc, v4, v6, vcc
.LBB87_607:
	s_or_b64 exec, exec, s[0:1]
	s_mov_b64 s[0:1], 0
	s_branch .LBB87_611
.LBB87_608:
	s_mov_b64 s[16:17], -1
                                        ; implicit-def: $vgpr3_vgpr4
	s_branch .LBB87_617
.LBB87_609:
	s_mov_b64 s[0:1], -1
                                        ; implicit-def: $vgpr3_vgpr4
	s_branch .LBB87_614
.LBB87_610:
	s_mov_b64 s[0:1], -1
                                        ; implicit-def: $vgpr3_vgpr4
.LBB87_611:
	s_and_b64 vcc, exec, s[0:1]
	s_cbranch_vccz .LBB87_613
; %bb.612:
	global_load_ubyte v3, v[1:2], off
	s_mov_b32 s0, 0x7f800000
	s_brev_b32 s1, 1
	s_mov_b32 s16, 0x2f800000
	s_mov_b32 s17, 0xcf800000
	s_waitcnt vmcnt(0)
	v_lshlrev_b32_e32 v3, 24, v3
	v_and_b32_e32 v4, 0x7f000000, v3
	v_ffbh_u32_e32 v5, v4
	v_min_u32_e32 v5, 32, v5
	v_sub_u32_e64 v5, v5, 4 clamp
	v_lshlrev_b32_e32 v7, v5, v4
	v_lshlrev_b32_e32 v5, 23, v5
	v_lshrrev_b32_e32 v7, 4, v7
	v_add_u32_e32 v6, 0x1000000, v4
	v_sub_u32_e32 v5, v7, v5
	v_ashrrev_i32_e32 v6, 8, v6
	v_add_u32_e32 v5, 0x3c000000, v5
	v_and_or_b32 v5, v6, s0, v5
	v_cmp_ne_u32_e32 vcc, 0, v4
	v_cndmask_b32_e32 v4, 0, v5, vcc
	v_and_or_b32 v3, v3, s1, v4
	v_trunc_f32_e32 v3, v3
	v_mul_f32_e64 v4, |v3|, s16
	v_floor_f32_e32 v4, v4
	v_fma_f32 v5, v4, s17, |v3|
	v_cvt_u32_f32_e32 v5, v5
	v_cvt_u32_f32_e32 v4, v4
	v_ashrrev_i32_e32 v6, 31, v3
	v_xor_b32_e32 v3, v5, v6
	v_xor_b32_e32 v4, v4, v6
	v_sub_co_u32_e32 v3, vcc, v3, v6
	v_subb_co_u32_e32 v4, vcc, v4, v6, vcc
.LBB87_613:
	s_mov_b64 s[0:1], 0
.LBB87_614:
	s_andn2_b64 vcc, exec, s[0:1]
	s_cbranch_vccnz .LBB87_616
; %bb.615:
	global_load_ubyte v3, v[1:2], off
	s_movk_i32 s0, 0x7f00
	s_brev_b32 s1, 16
	s_brev_b32 s16, 1
	s_mov_b32 s17, 0x2f800000
	s_mov_b32 s19, 0xcf800000
	s_waitcnt vmcnt(0)
	v_lshlrev_b16_e32 v4, 8, v3
	v_lshlrev_b32_e32 v3, 25, v3
	v_lshrrev_b32_e32 v5, 4, v3
	v_and_or_b32 v6, v4, s0, 0.5
	v_or_b32_e32 v5, 0x70000000, v5
	v_add_f32_e32 v6, -0.5, v6
	v_mul_f32_e32 v5, 0x7800000, v5
	v_cmp_gt_u32_e32 vcc, s1, v3
	v_bfe_i32 v4, v4, 0, 16
	v_cndmask_b32_e32 v3, v5, v6, vcc
	v_and_or_b32 v3, v4, s16, v3
	v_trunc_f32_e32 v3, v3
	v_mul_f32_e64 v4, |v3|, s17
	v_floor_f32_e32 v4, v4
	v_fma_f32 v5, v4, s19, |v3|
	v_cvt_u32_f32_e32 v5, v5
	v_cvt_u32_f32_e32 v4, v4
	v_ashrrev_i32_e32 v6, 31, v3
	v_xor_b32_e32 v3, v5, v6
	v_xor_b32_e32 v4, v4, v6
	v_sub_co_u32_e32 v3, vcc, v3, v6
	v_subb_co_u32_e32 v4, vcc, v4, v6, vcc
.LBB87_616:
	s_mov_b64 s[16:17], 0
	s_mov_b64 s[0:1], -1
.LBB87_617:
	s_andn2_b64 vcc, exec, s[16:17]
	s_cbranch_vccnz .LBB87_628
; %bb.618:
	s_cmp_gt_i32 s18, 14
	s_cbranch_scc0 .LBB87_621
; %bb.619:
	s_cmp_eq_u32 s18, 15
	s_cbranch_scc0 .LBB87_622
; %bb.620:
	global_load_ushort v3, v[1:2], off
	s_mov_b32 s0, 0x2f800000
	s_mov_b32 s1, 0xcf800000
	s_mov_b64 s[2:3], 0
	s_waitcnt vmcnt(0)
	v_lshlrev_b32_e32 v3, 16, v3
	v_trunc_f32_e32 v3, v3
	v_mul_f32_e64 v4, |v3|, s0
	v_floor_f32_e32 v4, v4
	v_fma_f32 v5, v4, s1, |v3|
	v_cvt_u32_f32_e32 v5, v5
	v_cvt_u32_f32_e32 v4, v4
	v_ashrrev_i32_e32 v6, 31, v3
	s_mov_b64 s[0:1], -1
	v_xor_b32_e32 v3, v5, v6
	v_xor_b32_e32 v4, v4, v6
	v_sub_co_u32_e32 v3, vcc, v3, v6
	v_subb_co_u32_e32 v4, vcc, v4, v6, vcc
	s_branch .LBB87_623
.LBB87_621:
	s_mov_b64 s[16:17], -1
                                        ; implicit-def: $vgpr3_vgpr4
	s_branch .LBB87_624
.LBB87_622:
	s_mov_b64 s[2:3], -1
                                        ; implicit-def: $vgpr3_vgpr4
.LBB87_623:
	s_mov_b64 s[16:17], 0
.LBB87_624:
	s_and_b64 vcc, exec, s[16:17]
	s_cbranch_vccz .LBB87_628
; %bb.625:
	s_cmp_eq_u32 s18, 11
	s_cbranch_scc0 .LBB87_627
; %bb.626:
	global_load_ubyte v3, v[1:2], off
	s_mov_b32 s2, 0
	s_mov_b64 s[0:1], -1
	s_waitcnt vmcnt(1)
	v_mov_b32_e32 v4, s2
	s_mov_b64 s[2:3], 0
	s_waitcnt vmcnt(0)
	v_cmp_ne_u16_e32 vcc, 0, v3
	v_cndmask_b32_e64 v3, 0, 1, vcc
	s_branch .LBB87_628
.LBB87_627:
	s_mov_b64 s[2:3], -1
                                        ; implicit-def: $vgpr3_vgpr4
.LBB87_628:
	s_mov_b64 s[16:17], 0
.LBB87_629:
	s_and_b64 vcc, exec, s[16:17]
	s_cbranch_vccz .LBB87_678
; %bb.630:
	s_cmp_lt_i32 s18, 5
	s_cbranch_scc1 .LBB87_635
; %bb.631:
	s_cmp_lt_i32 s18, 8
	s_cbranch_scc1 .LBB87_636
	;; [unrolled: 3-line block ×3, first 2 shown]
; %bb.633:
	s_cmp_gt_i32 s18, 9
	s_cbranch_scc0 .LBB87_638
; %bb.634:
	global_load_dwordx2 v[3:4], v[1:2], off
	s_movk_i32 s0, 0xffe0
	s_waitcnt vmcnt(0)
	v_trunc_f64_e32 v[3:4], v[3:4]
	v_ldexp_f64 v[5:6], v[3:4], s0
	s_mov_b32 s0, 0
	s_mov_b32 s1, 0xc1f00000
	v_floor_f64_e32 v[5:6], v[5:6]
	v_fma_f64 v[7:8], v[5:6], s[0:1], v[3:4]
	v_cvt_i32_f64_e32 v4, v[5:6]
	s_mov_b64 s[0:1], 0
	v_cvt_u32_f64_e32 v3, v[7:8]
	s_branch .LBB87_639
.LBB87_635:
	s_mov_b64 s[0:1], -1
                                        ; implicit-def: $vgpr3_vgpr4
	s_branch .LBB87_657
.LBB87_636:
	s_mov_b64 s[0:1], -1
                                        ; implicit-def: $vgpr3_vgpr4
	s_branch .LBB87_645
.LBB87_637:
	s_mov_b64 s[0:1], -1
                                        ; implicit-def: $vgpr3_vgpr4
	s_branch .LBB87_642
.LBB87_638:
	s_mov_b64 s[0:1], -1
                                        ; implicit-def: $vgpr3_vgpr4
.LBB87_639:
	s_andn2_b64 vcc, exec, s[0:1]
	s_cbranch_vccnz .LBB87_641
; %bb.640:
	global_load_dword v3, v[1:2], off
	s_mov_b32 s0, 0x2f800000
	s_mov_b32 s1, 0xcf800000
	s_waitcnt vmcnt(0)
	v_trunc_f32_e32 v3, v3
	v_mul_f32_e64 v4, |v3|, s0
	v_floor_f32_e32 v4, v4
	v_cvt_u32_f32_e32 v5, v4
	v_fma_f32 v4, v4, s1, |v3|
	v_cvt_u32_f32_e32 v4, v4
	v_ashrrev_i32_e32 v6, 31, v3
	v_xor_b32_e32 v5, v5, v6
	v_xor_b32_e32 v3, v4, v6
	v_sub_co_u32_e32 v3, vcc, v3, v6
	v_subb_co_u32_e32 v4, vcc, v5, v6, vcc
.LBB87_641:
	s_mov_b64 s[0:1], 0
.LBB87_642:
	s_andn2_b64 vcc, exec, s[0:1]
	s_cbranch_vccnz .LBB87_644
; %bb.643:
	global_load_dword v3, v[1:2], off
	s_waitcnt vmcnt(0)
	v_cvt_f32_f16_e32 v3, v3
	v_cvt_i32_f32_e32 v3, v3
	v_ashrrev_i32_e32 v4, 31, v3
.LBB87_644:
	s_mov_b64 s[0:1], 0
.LBB87_645:
	s_andn2_b64 vcc, exec, s[0:1]
	s_cbranch_vccnz .LBB87_656
; %bb.646:
	s_cmp_lt_i32 s18, 6
	s_cbranch_scc1 .LBB87_649
; %bb.647:
	s_cmp_gt_i32 s18, 6
	s_cbranch_scc0 .LBB87_650
; %bb.648:
	global_load_dwordx2 v[3:4], v[1:2], off
	s_movk_i32 s0, 0xffe0
	s_waitcnt vmcnt(0)
	v_trunc_f64_e32 v[3:4], v[3:4]
	v_ldexp_f64 v[5:6], v[3:4], s0
	s_mov_b32 s0, 0
	s_mov_b32 s1, 0xc1f00000
	v_floor_f64_e32 v[5:6], v[5:6]
	v_fma_f64 v[7:8], v[5:6], s[0:1], v[3:4]
	v_cvt_i32_f64_e32 v4, v[5:6]
	s_mov_b64 s[0:1], 0
	v_cvt_u32_f64_e32 v3, v[7:8]
	s_branch .LBB87_651
.LBB87_649:
	s_mov_b64 s[0:1], -1
                                        ; implicit-def: $vgpr3_vgpr4
	s_branch .LBB87_654
.LBB87_650:
	s_mov_b64 s[0:1], -1
                                        ; implicit-def: $vgpr3_vgpr4
.LBB87_651:
	s_andn2_b64 vcc, exec, s[0:1]
	s_cbranch_vccnz .LBB87_653
; %bb.652:
	global_load_dword v3, v[1:2], off
	s_mov_b32 s0, 0x2f800000
	s_mov_b32 s1, 0xcf800000
	s_waitcnt vmcnt(0)
	v_trunc_f32_e32 v3, v3
	v_mul_f32_e64 v4, |v3|, s0
	v_floor_f32_e32 v4, v4
	v_cvt_u32_f32_e32 v5, v4
	v_fma_f32 v4, v4, s1, |v3|
	v_cvt_u32_f32_e32 v4, v4
	v_ashrrev_i32_e32 v6, 31, v3
	v_xor_b32_e32 v5, v5, v6
	v_xor_b32_e32 v3, v4, v6
	v_sub_co_u32_e32 v3, vcc, v3, v6
	v_subb_co_u32_e32 v4, vcc, v5, v6, vcc
.LBB87_653:
	s_mov_b64 s[0:1], 0
.LBB87_654:
	s_andn2_b64 vcc, exec, s[0:1]
	s_cbranch_vccnz .LBB87_656
; %bb.655:
	global_load_ushort v3, v[1:2], off
	s_waitcnt vmcnt(0)
	v_cvt_f32_f16_e32 v3, v3
	v_cvt_i32_f32_e32 v3, v3
	v_ashrrev_i32_e32 v4, 31, v3
.LBB87_656:
	s_mov_b64 s[0:1], 0
.LBB87_657:
	s_andn2_b64 vcc, exec, s[0:1]
	s_cbranch_vccnz .LBB87_677
; %bb.658:
	s_cmp_lt_i32 s18, 2
	s_cbranch_scc1 .LBB87_662
; %bb.659:
	s_cmp_lt_i32 s18, 3
	s_cbranch_scc1 .LBB87_663
; %bb.660:
	s_cmp_gt_i32 s18, 3
	s_cbranch_scc0 .LBB87_664
; %bb.661:
	global_load_dwordx2 v[3:4], v[1:2], off
	s_mov_b64 s[0:1], 0
	s_branch .LBB87_665
.LBB87_662:
	s_mov_b64 s[0:1], -1
                                        ; implicit-def: $vgpr3_vgpr4
	s_branch .LBB87_671
.LBB87_663:
	s_mov_b64 s[0:1], -1
                                        ; implicit-def: $vgpr3_vgpr4
	s_branch .LBB87_668
.LBB87_664:
	s_mov_b64 s[0:1], -1
                                        ; implicit-def: $vgpr3_vgpr4
.LBB87_665:
	s_andn2_b64 vcc, exec, s[0:1]
	s_cbranch_vccnz .LBB87_667
; %bb.666:
	global_load_dword v3, v[1:2], off
	s_waitcnt vmcnt(0)
	v_ashrrev_i32_e32 v4, 31, v3
.LBB87_667:
	s_mov_b64 s[0:1], 0
.LBB87_668:
	s_andn2_b64 vcc, exec, s[0:1]
	s_cbranch_vccnz .LBB87_670
; %bb.669:
	global_load_ushort v3, v[1:2], off
	s_waitcnt vmcnt(0)
	v_bfe_i32 v3, v3, 0, 16
	v_ashrrev_i32_e32 v4, 31, v3
.LBB87_670:
	s_mov_b64 s[0:1], 0
.LBB87_671:
	s_andn2_b64 vcc, exec, s[0:1]
	s_cbranch_vccnz .LBB87_677
; %bb.672:
	s_cmp_gt_i32 s18, 0
	s_cbranch_scc0 .LBB87_674
; %bb.673:
	global_load_sbyte v3, v[1:2], off
	s_mov_b64 s[0:1], 0
	s_waitcnt vmcnt(0)
	v_bfe_i32 v3, v3, 0, 16
	v_ashrrev_i32_e32 v4, 31, v3
	s_branch .LBB87_675
.LBB87_674:
	s_mov_b64 s[0:1], -1
                                        ; implicit-def: $vgpr3_vgpr4
.LBB87_675:
	s_andn2_b64 vcc, exec, s[0:1]
	s_cbranch_vccnz .LBB87_677
; %bb.676:
	global_load_ubyte v1, v[1:2], off
	s_mov_b32 s0, 0
	s_waitcnt vmcnt(1)
	v_mov_b32_e32 v4, s0
	s_waitcnt vmcnt(0)
	v_and_b32_e32 v3, 0xffff, v1
.LBB87_677:
	s_mov_b64 s[0:1], -1
.LBB87_678:
	s_andn2_b64 vcc, exec, s[0:1]
	s_cbranch_vccnz .LBB87_686
; %bb.679:
	s_waitcnt vmcnt(0)
	v_cmp_lt_i64_e32 vcc, s[12:13], v[3:4]
	v_mov_b32_e32 v1, s15
	v_mov_b32_e32 v2, s49
	v_cndmask_b32_e32 v2, v1, v2, vcc
	v_mov_b32_e32 v1, s14
	v_mov_b32_e32 v3, s48
	v_cndmask_b32_e32 v1, v1, v3, vcc
	v_mov_b32_e32 v4, s9
	s_and_b32 s22, s79, 0xff
	v_add_co_u32_e32 v3, vcc, s8, v0
	s_cmp_lt_i32 s22, 11
	v_addc_co_u32_e32 v4, vcc, 0, v4, vcc
	s_cbranch_scc1 .LBB87_687
; %bb.680:
	s_and_b32 s23, 0xffff, s22
	s_cmp_gt_i32 s23, 25
	s_cbranch_scc0 .LBB87_688
; %bb.681:
	s_cmp_gt_i32 s23, 28
	s_cbranch_scc0 .LBB87_689
; %bb.682:
	;; [unrolled: 3-line block ×4, first 2 shown]
	s_mov_b64 s[18:19], 0
	s_mov_b64 s[0:1], -1
	s_cmp_eq_u32 s23, 46
	s_mov_b64 s[16:17], 0
	s_cbranch_scc0 .LBB87_692
; %bb.685:
	v_xor_b32_e32 v5, v1, v2
	v_ffbh_i32_e32 v0, v2
	v_ashrrev_i32_e32 v5, 31, v5
	v_add_u32_e32 v0, -1, v0
	v_add_u32_e32 v5, 32, v5
	v_min_u32_e32 v0, v0, v5
	v_lshlrev_b64 v[5:6], v0, v[1:2]
	v_sub_u32_e32 v0, 32, v0
	v_min_u32_e32 v5, 1, v5
	v_or_b32_e32 v5, v6, v5
	v_cvt_f32_i32_e32 v5, v5
	s_movk_i32 s0, 0x7fff
	s_mov_b64 s[16:17], -1
	v_ldexp_f32 v0, v5, v0
	v_bfe_u32 v5, v0, 16, 1
	v_add3_u32 v0, v0, v5, s0
	v_lshrrev_b32_e32 v0, 16, v0
	global_store_dword v[3:4], v0, off
	s_mov_b64 s[0:1], 0
	s_branch .LBB87_692
.LBB87_686:
	s_mov_b64 s[16:17], 0
	s_mov_b64 s[0:1], s[66:67]
	s_branch .LBB87_803
.LBB87_687:
	s_mov_b64 s[18:19], -1
	s_mov_b64 s[16:17], 0
	s_mov_b64 s[0:1], s[66:67]
	s_branch .LBB87_761
.LBB87_688:
	s_mov_b64 s[18:19], -1
	s_mov_b64 s[16:17], 0
	s_mov_b64 s[0:1], s[66:67]
	s_branch .LBB87_719
.LBB87_689:
	s_mov_b64 s[18:19], -1
	s_mov_b64 s[16:17], 0
	s_mov_b64 s[0:1], s[66:67]
	s_branch .LBB87_702
.LBB87_690:
	s_mov_b64 s[18:19], -1
	s_mov_b64 s[16:17], 0
	s_mov_b64 s[0:1], s[66:67]
	s_branch .LBB87_698
.LBB87_691:
	s_mov_b64 s[18:19], -1
	s_mov_b64 s[16:17], 0
	s_mov_b64 s[0:1], s[66:67]
.LBB87_692:
	s_and_b64 vcc, exec, s[18:19]
	s_cbranch_vccz .LBB87_697
; %bb.693:
	s_cmp_eq_u32 s23, 44
	s_mov_b64 s[0:1], -1
	s_cbranch_scc0 .LBB87_697
; %bb.694:
	v_xor_b32_e32 v5, v1, v2
	v_ffbh_i32_e32 v0, v2
	v_ashrrev_i32_e32 v5, 31, v5
	v_add_u32_e32 v0, -1, v0
	v_add_u32_e32 v5, 32, v5
	v_min_u32_e32 v0, v0, v5
	v_lshlrev_b64 v[5:6], v0, v[1:2]
	v_sub_u32_e32 v0, 32, v0
	v_min_u32_e32 v5, 1, v5
	v_or_b32_e32 v5, v6, v5
	v_cvt_f32_i32_e32 v5, v5
	s_movk_i32 s0, 0xff
	v_mov_b32_e32 v6, 0xff
	v_ldexp_f32 v0, v5, v0
	v_bfe_u32 v5, v0, 23, 8
	v_cmp_ne_u32_e32 vcc, s0, v5
	s_and_saveexec_b64 s[16:17], vcc
; %bb.695:
	s_mov_b32 s0, 0x3fffff
	v_lshrrev_b32_e32 v6, 23, v0
	v_and_b32_e32 v7, 0x400000, v0
	v_and_or_b32 v0, v0, s0, v5
	v_cmp_ne_u32_e32 vcc, 0, v7
	v_cmp_ne_u32_e64 s[0:1], 0, v0
	s_and_b64 s[0:1], vcc, s[0:1]
	v_cndmask_b32_e64 v0, 0, 1, s[0:1]
	v_add_u32_e32 v6, v6, v0
; %bb.696:
	s_or_b64 exec, exec, s[16:17]
	s_mov_b64 s[16:17], -1
	s_mov_b64 s[0:1], 0
	global_store_byte v[3:4], v6, off
.LBB87_697:
	s_mov_b64 s[18:19], 0
.LBB87_698:
	s_and_b64 vcc, exec, s[18:19]
	s_cbranch_vccz .LBB87_701
; %bb.699:
	s_cmp_eq_u32 s23, 29
	s_mov_b64 s[0:1], -1
	s_cbranch_scc0 .LBB87_701
; %bb.700:
	global_store_dwordx2 v[3:4], v[1:2], off
	s_mov_b64 s[16:17], -1
	s_mov_b64 s[0:1], 0
.LBB87_701:
	s_mov_b64 s[18:19], 0
.LBB87_702:
	s_and_b64 vcc, exec, s[18:19]
	s_cbranch_vccz .LBB87_718
; %bb.703:
	s_cmp_lt_i32 s23, 27
	s_mov_b64 s[16:17], -1
	s_cbranch_scc1 .LBB87_709
; %bb.704:
	s_cmp_gt_i32 s23, 27
	s_cbranch_scc0 .LBB87_706
; %bb.705:
	s_mov_b64 s[16:17], 0
	global_store_dword v[3:4], v1, off
.LBB87_706:
	s_andn2_b64 vcc, exec, s[16:17]
	s_cbranch_vccnz .LBB87_708
; %bb.707:
	global_store_short v[3:4], v1, off
.LBB87_708:
	s_mov_b64 s[16:17], 0
.LBB87_709:
	s_andn2_b64 vcc, exec, s[16:17]
	s_cbranch_vccnz .LBB87_717
; %bb.710:
	v_xor_b32_e32 v5, v1, v2
	v_ffbh_i32_e32 v0, v2
	v_ashrrev_i32_e32 v5, 31, v5
	v_add_u32_e32 v0, -1, v0
	v_add_u32_e32 v5, 32, v5
	v_min_u32_e32 v0, v0, v5
	v_lshlrev_b64 v[5:6], v0, v[1:2]
	v_sub_u32_e32 v0, 32, v0
	v_min_u32_e32 v5, 1, v5
	v_or_b32_e32 v5, v6, v5
	v_cvt_f32_i32_e32 v5, v5
	s_mov_b32 s16, 0x43800000
	v_mov_b32_e32 v6, 0x80
	v_ldexp_f32 v0, v5, v0
	v_and_b32_e32 v5, 0x7fffffff, v0
	v_cmp_gt_u32_e32 vcc, s16, v5
	s_and_saveexec_b64 s[16:17], vcc
	s_cbranch_execz .LBB87_716
; %bb.711:
	s_mov_b32 s18, 0x3bffffff
	v_cmp_lt_u32_e32 vcc, s18, v5
	s_mov_b64 s[18:19], 0
                                        ; implicit-def: $vgpr5
	s_and_saveexec_b64 s[20:21], vcc
	s_xor_b64 s[20:21], exec, s[20:21]
	s_cbranch_execz .LBB87_833
; %bb.712:
	v_bfe_u32 v5, v0, 20, 1
	s_mov_b32 s24, 0x487ffff
	v_add3_u32 v5, v0, v5, s24
	s_mov_b64 s[18:19], exec
	v_lshrrev_b32_e32 v5, 20, v5
	s_andn2_saveexec_b64 s[20:21], s[20:21]
	s_cbranch_execnz .LBB87_834
.LBB87_713:
	s_or_b64 exec, exec, s[20:21]
	v_mov_b32_e32 v6, 0
	s_and_saveexec_b64 s[20:21], s[18:19]
.LBB87_714:
	v_lshrrev_b32_e32 v0, 24, v0
	s_movk_i32 s18, 0x80
	v_and_or_b32 v6, v0, s18, v5
.LBB87_715:
	s_or_b64 exec, exec, s[20:21]
.LBB87_716:
	s_or_b64 exec, exec, s[16:17]
	global_store_byte v[3:4], v6, off
.LBB87_717:
	s_mov_b64 s[16:17], -1
.LBB87_718:
	s_mov_b64 s[18:19], 0
.LBB87_719:
	s_and_b64 vcc, exec, s[18:19]
	s_cbranch_vccz .LBB87_760
; %bb.720:
	s_cmp_gt_i32 s23, 22
	s_mov_b64 s[18:19], -1
	s_cbranch_scc0 .LBB87_752
; %bb.721:
	s_cmp_lt_i32 s23, 24
	s_mov_b64 s[16:17], -1
	s_cbranch_scc1 .LBB87_741
; %bb.722:
	s_cmp_gt_i32 s23, 24
	s_cbranch_scc0 .LBB87_730
; %bb.723:
	v_xor_b32_e32 v5, v1, v2
	v_ffbh_i32_e32 v0, v2
	v_ashrrev_i32_e32 v5, 31, v5
	v_add_u32_e32 v0, -1, v0
	v_add_u32_e32 v5, 32, v5
	v_min_u32_e32 v0, v0, v5
	v_lshlrev_b64 v[5:6], v0, v[1:2]
	v_sub_u32_e32 v0, 32, v0
	v_min_u32_e32 v5, 1, v5
	v_or_b32_e32 v5, v6, v5
	v_cvt_f32_i32_e32 v5, v5
	s_mov_b32 s16, 0x47800000
	v_mov_b32_e32 v6, 0x80
	v_ldexp_f32 v0, v5, v0
	v_and_b32_e32 v5, 0x7fffffff, v0
	v_cmp_gt_u32_e32 vcc, s16, v5
	s_and_saveexec_b64 s[16:17], vcc
	s_cbranch_execz .LBB87_729
; %bb.724:
	s_mov_b32 s18, 0x37ffffff
	v_cmp_lt_u32_e32 vcc, s18, v5
	s_mov_b64 s[18:19], 0
                                        ; implicit-def: $vgpr5
	s_and_saveexec_b64 s[20:21], vcc
	s_xor_b64 s[20:21], exec, s[20:21]
	s_cbranch_execz .LBB87_836
; %bb.725:
	v_bfe_u32 v5, v0, 21, 1
	s_mov_b32 s24, 0x88fffff
	v_add3_u32 v5, v0, v5, s24
	s_mov_b64 s[18:19], exec
	v_lshrrev_b32_e32 v5, 21, v5
	s_andn2_saveexec_b64 s[20:21], s[20:21]
	s_cbranch_execnz .LBB87_837
.LBB87_726:
	s_or_b64 exec, exec, s[20:21]
	v_mov_b32_e32 v6, 0
	s_and_saveexec_b64 s[20:21], s[18:19]
.LBB87_727:
	v_lshrrev_b32_e32 v0, 24, v0
	s_movk_i32 s18, 0x80
	v_and_or_b32 v6, v0, s18, v5
.LBB87_728:
	s_or_b64 exec, exec, s[20:21]
.LBB87_729:
	s_or_b64 exec, exec, s[16:17]
	s_mov_b64 s[16:17], 0
	global_store_byte v[3:4], v6, off
.LBB87_730:
	s_and_b64 vcc, exec, s[16:17]
	s_cbranch_vccz .LBB87_740
; %bb.731:
	v_xor_b32_e32 v5, v1, v2
	v_ffbh_i32_e32 v0, v2
	v_ashrrev_i32_e32 v5, 31, v5
	v_add_u32_e32 v0, -1, v0
	v_add_u32_e32 v5, 32, v5
	v_min_u32_e32 v0, v0, v5
	v_lshlrev_b64 v[5:6], v0, v[1:2]
	v_sub_u32_e32 v0, 32, v0
	v_min_u32_e32 v5, 1, v5
	v_or_b32_e32 v5, v6, v5
	v_cvt_f32_i32_e32 v5, v5
	s_mov_b32 s16, 0x43f00000
	v_ldexp_f32 v0, v5, v0
	v_and_b32_e32 v6, 0x7fffffff, v0
	v_cmp_gt_u32_e32 vcc, s16, v6
                                        ; implicit-def: $vgpr5
	s_and_saveexec_b64 s[16:17], vcc
	s_xor_b64 s[16:17], exec, s[16:17]
	s_cbranch_execz .LBB87_737
; %bb.732:
	s_mov_b32 s18, 0x3c7fffff
	v_cmp_lt_u32_e32 vcc, s18, v6
                                        ; implicit-def: $vgpr5
	s_and_saveexec_b64 s[18:19], vcc
	s_xor_b64 s[18:19], exec, s[18:19]
; %bb.733:
	v_bfe_u32 v5, v0, 20, 1
	s_mov_b32 s20, 0x407ffff
	v_add3_u32 v5, v0, v5, s20
	v_lshrrev_b32_e32 v6, 20, v5
	v_and_b32_e32 v5, 0xff00000, v5
	s_mov_b32 s20, 0x7f00000
	v_mov_b32_e32 v7, 0x7e
	v_cmp_ne_u32_e32 vcc, s20, v5
	v_cndmask_b32_e32 v5, v7, v6, vcc
; %bb.734:
	s_andn2_saveexec_b64 s[18:19], s[18:19]
; %bb.735:
	s_mov_b32 s20, 0x46800000
	v_add_f32_e64 v5, |v0|, s20
; %bb.736:
	s_or_b64 exec, exec, s[18:19]
                                        ; implicit-def: $vgpr6
.LBB87_737:
	s_andn2_saveexec_b64 s[16:17], s[16:17]
; %bb.738:
	s_mov_b32 s18, 0x7f800000
	v_mov_b32_e32 v5, 0x7e
	v_mov_b32_e32 v7, 0x7f
	v_cmp_lt_u32_e32 vcc, s18, v6
	v_cndmask_b32_e32 v5, v5, v7, vcc
; %bb.739:
	s_or_b64 exec, exec, s[16:17]
	v_lshrrev_b32_e32 v0, 24, v0
	s_movk_i32 s16, 0x80
	v_and_or_b32 v0, v0, s16, v5
	global_store_byte v[3:4], v0, off
.LBB87_740:
	s_mov_b64 s[16:17], 0
.LBB87_741:
	s_andn2_b64 vcc, exec, s[16:17]
	s_cbranch_vccnz .LBB87_751
; %bb.742:
	v_xor_b32_e32 v5, v1, v2
	v_ffbh_i32_e32 v0, v2
	v_ashrrev_i32_e32 v5, 31, v5
	v_add_u32_e32 v0, -1, v0
	v_add_u32_e32 v5, 32, v5
	v_min_u32_e32 v0, v0, v5
	v_lshlrev_b64 v[5:6], v0, v[1:2]
	v_sub_u32_e32 v0, 32, v0
	v_min_u32_e32 v5, 1, v5
	v_or_b32_e32 v5, v6, v5
	v_cvt_f32_i32_e32 v5, v5
	s_mov_b32 s16, 0x47800000
	v_ldexp_f32 v0, v5, v0
	v_and_b32_e32 v6, 0x7fffffff, v0
	v_cmp_gt_u32_e32 vcc, s16, v6
                                        ; implicit-def: $vgpr5
	s_and_saveexec_b64 s[16:17], vcc
	s_xor_b64 s[16:17], exec, s[16:17]
	s_cbranch_execz .LBB87_748
; %bb.743:
	s_mov_b32 s18, 0x387fffff
	v_cmp_lt_u32_e32 vcc, s18, v6
                                        ; implicit-def: $vgpr5
	s_and_saveexec_b64 s[18:19], vcc
	s_xor_b64 s[18:19], exec, s[18:19]
; %bb.744:
	v_bfe_u32 v5, v0, 21, 1
	s_mov_b32 s20, 0x80fffff
	v_add3_u32 v5, v0, v5, s20
	v_lshrrev_b32_e32 v5, 21, v5
; %bb.745:
	s_andn2_saveexec_b64 s[18:19], s[18:19]
; %bb.746:
	s_mov_b32 s20, 0x43000000
	v_add_f32_e64 v5, |v0|, s20
; %bb.747:
	s_or_b64 exec, exec, s[18:19]
                                        ; implicit-def: $vgpr6
.LBB87_748:
	s_andn2_saveexec_b64 s[16:17], s[16:17]
; %bb.749:
	s_mov_b32 s18, 0x7f800000
	v_mov_b32_e32 v5, 0x7c
	v_mov_b32_e32 v7, 0x7f
	v_cmp_lt_u32_e32 vcc, s18, v6
	v_cndmask_b32_e32 v5, v5, v7, vcc
; %bb.750:
	s_or_b64 exec, exec, s[16:17]
	v_lshrrev_b32_e32 v0, 24, v0
	s_movk_i32 s16, 0x80
	v_and_or_b32 v0, v0, s16, v5
	global_store_byte v[3:4], v0, off
.LBB87_751:
	s_mov_b64 s[18:19], 0
	s_mov_b64 s[16:17], -1
.LBB87_752:
	s_andn2_b64 vcc, exec, s[18:19]
	s_cbranch_vccnz .LBB87_760
; %bb.753:
	s_cmp_gt_i32 s23, 14
	s_mov_b64 s[18:19], -1
	s_cbranch_scc0 .LBB87_757
; %bb.754:
	s_cmp_eq_u32 s23, 15
	s_mov_b64 s[0:1], -1
	s_cbranch_scc0 .LBB87_756
; %bb.755:
	v_xor_b32_e32 v5, v1, v2
	v_ffbh_i32_e32 v0, v2
	v_ashrrev_i32_e32 v5, 31, v5
	v_add_u32_e32 v0, -1, v0
	v_add_u32_e32 v5, 32, v5
	v_min_u32_e32 v0, v0, v5
	v_lshlrev_b64 v[5:6], v0, v[1:2]
	v_sub_u32_e32 v0, 32, v0
	v_min_u32_e32 v5, 1, v5
	v_or_b32_e32 v5, v6, v5
	v_cvt_f32_i32_e32 v5, v5
	s_movk_i32 s0, 0x7fff
	s_mov_b64 s[16:17], -1
	v_ldexp_f32 v0, v5, v0
	v_bfe_u32 v5, v0, 16, 1
	v_add3_u32 v0, v0, v5, s0
	global_store_short_d16_hi v[3:4], v0, off
	s_mov_b64 s[0:1], 0
.LBB87_756:
	s_mov_b64 s[18:19], 0
.LBB87_757:
	s_and_b64 vcc, exec, s[18:19]
	s_cbranch_vccz .LBB87_760
; %bb.758:
	s_cmp_eq_u32 s23, 11
	s_mov_b64 s[0:1], -1
	s_cbranch_scc0 .LBB87_760
; %bb.759:
	v_cmp_ne_u64_e32 vcc, 0, v[1:2]
	s_mov_b64 s[0:1], 0
	v_cndmask_b32_e64 v0, 0, 1, vcc
	s_mov_b64 s[16:17], -1
	global_store_byte v[3:4], v0, off
.LBB87_760:
	s_mov_b64 s[18:19], 0
.LBB87_761:
	s_and_b64 vcc, exec, s[18:19]
	s_cbranch_vccz .LBB87_800
; %bb.762:
	s_and_b32 s18, 0xffff, s22
	s_cmp_lt_i32 s18, 5
	s_mov_b64 s[16:17], -1
	s_cbranch_scc1 .LBB87_783
; %bb.763:
	s_cmp_lt_i32 s18, 8
	s_cbranch_scc1 .LBB87_773
; %bb.764:
	s_cmp_lt_i32 s18, 9
	s_cbranch_scc1 .LBB87_770
; %bb.765:
	s_cmp_gt_i32 s18, 9
	s_cbranch_scc0 .LBB87_767
; %bb.766:
	v_cvt_f64_i32_e32 v[5:6], v2
	v_cvt_f64_u32_e32 v[7:8], v1
	s_mov_b64 s[16:17], 0
	v_ldexp_f64 v[5:6], v[5:6], 32
	v_add_f64 v[5:6], v[5:6], v[7:8]
	v_mov_b32_e32 v7, 0
	v_mov_b32_e32 v8, v7
	global_store_dwordx4 v[3:4], v[5:8], off
.LBB87_767:
	s_andn2_b64 vcc, exec, s[16:17]
	s_cbranch_vccnz .LBB87_769
; %bb.768:
	v_xor_b32_e32 v5, v1, v2
	v_ffbh_i32_e32 v0, v2
	v_ashrrev_i32_e32 v5, 31, v5
	v_add_u32_e32 v0, -1, v0
	v_add_u32_e32 v5, 32, v5
	v_min_u32_e32 v0, v0, v5
	v_lshlrev_b64 v[5:6], v0, v[1:2]
	v_sub_u32_e32 v0, 32, v0
	v_min_u32_e32 v5, 1, v5
	v_or_b32_e32 v5, v6, v5
	v_cvt_f32_i32_e32 v5, v5
	v_mov_b32_e32 v6, 0
	v_ldexp_f32 v5, v5, v0
	global_store_dwordx2 v[3:4], v[5:6], off
.LBB87_769:
	s_mov_b64 s[16:17], 0
.LBB87_770:
	s_andn2_b64 vcc, exec, s[16:17]
	s_cbranch_vccnz .LBB87_772
; %bb.771:
	v_xor_b32_e32 v5, v1, v2
	v_ffbh_i32_e32 v0, v2
	v_ashrrev_i32_e32 v5, 31, v5
	v_add_u32_e32 v0, -1, v0
	v_add_u32_e32 v5, 32, v5
	v_min_u32_e32 v0, v0, v5
	v_lshlrev_b64 v[5:6], v0, v[1:2]
	v_sub_u32_e32 v0, 32, v0
	v_min_u32_e32 v5, 1, v5
	v_or_b32_e32 v5, v6, v5
	v_cvt_f32_i32_e32 v5, v5
	v_ldexp_f32 v0, v5, v0
	v_cvt_f16_f32_e32 v0, v0
	global_store_dword v[3:4], v0, off
.LBB87_772:
	s_mov_b64 s[16:17], 0
.LBB87_773:
	s_andn2_b64 vcc, exec, s[16:17]
	s_cbranch_vccnz .LBB87_782
; %bb.774:
	s_cmp_lt_i32 s18, 6
	s_mov_b64 s[16:17], -1
	s_cbranch_scc1 .LBB87_780
; %bb.775:
	s_cmp_gt_i32 s18, 6
	s_cbranch_scc0 .LBB87_777
; %bb.776:
	v_cvt_f64_i32_e32 v[5:6], v2
	v_cvt_f64_u32_e32 v[7:8], v1
	s_mov_b64 s[16:17], 0
	v_ldexp_f64 v[5:6], v[5:6], 32
	v_add_f64 v[5:6], v[5:6], v[7:8]
	global_store_dwordx2 v[3:4], v[5:6], off
.LBB87_777:
	s_andn2_b64 vcc, exec, s[16:17]
	s_cbranch_vccnz .LBB87_779
; %bb.778:
	v_xor_b32_e32 v5, v1, v2
	v_ffbh_i32_e32 v0, v2
	v_ashrrev_i32_e32 v5, 31, v5
	v_add_u32_e32 v0, -1, v0
	v_add_u32_e32 v5, 32, v5
	v_min_u32_e32 v0, v0, v5
	v_lshlrev_b64 v[5:6], v0, v[1:2]
	v_sub_u32_e32 v0, 32, v0
	v_min_u32_e32 v5, 1, v5
	v_or_b32_e32 v5, v6, v5
	v_cvt_f32_i32_e32 v5, v5
	v_ldexp_f32 v0, v5, v0
	global_store_dword v[3:4], v0, off
.LBB87_779:
	s_mov_b64 s[16:17], 0
.LBB87_780:
	s_andn2_b64 vcc, exec, s[16:17]
	s_cbranch_vccnz .LBB87_782
; %bb.781:
	v_xor_b32_e32 v5, v1, v2
	v_ffbh_i32_e32 v0, v2
	v_ashrrev_i32_e32 v5, 31, v5
	v_add_u32_e32 v0, -1, v0
	v_add_u32_e32 v5, 32, v5
	v_min_u32_e32 v0, v0, v5
	v_lshlrev_b64 v[5:6], v0, v[1:2]
	v_sub_u32_e32 v0, 32, v0
	v_min_u32_e32 v5, 1, v5
	v_or_b32_e32 v5, v6, v5
	v_cvt_f32_i32_e32 v5, v5
	v_ldexp_f32 v0, v5, v0
	v_cvt_f16_f32_e32 v0, v0
	global_store_short v[3:4], v0, off
.LBB87_782:
	s_mov_b64 s[16:17], 0
.LBB87_783:
	s_andn2_b64 vcc, exec, s[16:17]
	s_cbranch_vccnz .LBB87_799
; %bb.784:
	s_cmp_lt_i32 s18, 2
	s_mov_b64 s[16:17], -1
	s_cbranch_scc1 .LBB87_794
; %bb.785:
	s_cmp_lt_i32 s18, 3
	s_cbranch_scc1 .LBB87_791
; %bb.786:
	s_cmp_gt_i32 s18, 3
	s_cbranch_scc0 .LBB87_788
; %bb.787:
	s_mov_b64 s[16:17], 0
	global_store_dwordx2 v[3:4], v[1:2], off
.LBB87_788:
	s_andn2_b64 vcc, exec, s[16:17]
	s_cbranch_vccnz .LBB87_790
; %bb.789:
	global_store_dword v[3:4], v1, off
.LBB87_790:
	s_mov_b64 s[16:17], 0
.LBB87_791:
	s_andn2_b64 vcc, exec, s[16:17]
	s_cbranch_vccnz .LBB87_793
; %bb.792:
	global_store_short v[3:4], v1, off
.LBB87_793:
	s_mov_b64 s[16:17], 0
.LBB87_794:
	s_andn2_b64 vcc, exec, s[16:17]
	s_cbranch_vccnz .LBB87_799
; %bb.795:
	s_cmp_gt_i32 s18, 0
	s_mov_b64 s[16:17], -1
	s_cbranch_scc0 .LBB87_797
; %bb.796:
	s_mov_b64 s[16:17], 0
	global_store_byte v[3:4], v1, off
.LBB87_797:
	s_andn2_b64 vcc, exec, s[16:17]
	s_cbranch_vccnz .LBB87_799
; %bb.798:
	global_store_byte v[3:4], v1, off
.LBB87_799:
	s_mov_b64 s[16:17], -1
.LBB87_800:
	s_andn2_b64 vcc, exec, s[16:17]
	s_cbranch_vccnz .LBB87_802
; %bb.801:
	v_add_u32_e32 v11, 0x80, v11
	s_mov_b64 s[16:17], -1
	s_branch .LBB87_804
.LBB87_802:
	s_mov_b64 s[16:17], 0
.LBB87_803:
                                        ; implicit-def: $vgpr11
.LBB87_804:
	s_andn2_b64 s[18:19], s[66:67], exec
	s_and_b64 s[0:1], s[0:1], exec
	s_or_b64 s[74:75], s[18:19], s[0:1]
	s_andn2_b64 s[0:1], s[64:65], exec
	s_and_b64 s[2:3], s[2:3], exec
	s_or_b64 s[72:73], s[0:1], s[2:3]
	s_orn2_b64 s[2:3], s[16:17], exec
.LBB87_805:
	s_or_b64 exec, exec, s[70:71]
	s_mov_b64 s[0:1], 0
	s_mov_b64 s[16:17], 0
	s_mov_b64 s[18:19], 0
                                        ; implicit-def: $vgpr1_vgpr2
                                        ; implicit-def: $vgpr0
                                        ; implicit-def: $vgpr5_vgpr6
	s_and_saveexec_b64 s[70:71], s[2:3]
	s_cbranch_execz .LBB87_900
; %bb.806:
	v_cmp_gt_i32_e32 vcc, s76, v11
	s_mov_b64 s[2:3], 0
	s_mov_b64 s[20:21], s[72:73]
                                        ; implicit-def: $vgpr1_vgpr2
                                        ; implicit-def: $vgpr0
                                        ; implicit-def: $vgpr5_vgpr6
	s_and_saveexec_b64 s[76:77], vcc
	s_cbranch_execz .LBB87_899
; %bb.807:
	s_andn2_b64 vcc, exec, s[44:45]
	s_cbranch_vccnz .LBB87_812
; %bb.808:
	s_andn2_b64 vcc, exec, s[56:57]
	s_cbranch_vccnz .LBB87_813
; %bb.809:
	s_add_i32 s82, s81, 1
	s_cmp_eq_u32 s78, 2
	s_cbranch_scc1 .LBB87_814
; %bb.810:
	s_and_b32 s81, s82, 28
	v_mov_b32_e32 v2, 0
	s_mov_b32 s83, 0
	s_mov_b64 s[56:57], s[34:35]
	v_mov_b32_e32 v0, 0
	v_mov_b32_e32 v1, v11
.LBB87_811:                             ; =>This Inner Loop Header: Depth=1
	s_load_dwordx8 s[24:31], s[56:57], 0x4
	s_load_dwordx4 s[0:3], s[56:57], 0x24
	s_load_dwordx8 s[16:23], s[54:55], 0x0
	s_add_u32 s56, s56, 48
	s_addc_u32 s57, s57, 0
	s_waitcnt vmcnt(0) lgkmcnt(0)
	v_mul_hi_u32 v3, s25, v1
	s_add_i32 s83, s83, 4
	s_add_u32 s54, s54, 32
	s_addc_u32 s55, s55, 0
	v_add_u32_e32 v3, v1, v3
	v_lshrrev_b32_e32 v3, s26, v3
	v_mul_lo_u32 v4, v3, s24
	v_mul_hi_u32 v5, s28, v3
	s_cmp_eq_u32 s81, s83
	v_sub_u32_e32 v1, v1, v4
	v_add_u32_e32 v4, v3, v5
	v_mul_lo_u32 v5, v1, s16
	v_mul_lo_u32 v6, v1, s17
	v_lshrrev_b32_e32 v1, s29, v4
	v_mul_lo_u32 v4, v1, s27
	v_mul_hi_u32 v7, s31, v1
	v_sub_u32_e32 v3, v3, v4
	v_add_u32_e32 v4, v1, v7
	v_lshrrev_b32_e32 v4, s0, v4
	v_mul_hi_u32 v8, s2, v4
	v_mul_lo_u32 v9, v4, s30
	v_mul_lo_u32 v7, v3, s18
	;; [unrolled: 1-line block ×3, first 2 shown]
	v_sub_u32_e32 v9, v1, v9
	v_add_u32_e32 v1, v4, v8
	v_lshrrev_b32_e32 v1, s3, v1
	v_mul_lo_u32 v8, v1, s1
	v_mul_lo_u32 v10, v9, s20
	;; [unrolled: 1-line block ×3, first 2 shown]
	v_add3_u32 v0, v5, v0, v7
	v_sub_u32_e32 v4, v4, v8
	v_mul_lo_u32 v8, v4, s22
	v_mul_lo_u32 v4, v4, s23
	v_add3_u32 v2, v6, v2, v3
	v_add3_u32 v0, v10, v0, v8
	;; [unrolled: 1-line block ×3, first 2 shown]
	s_cbranch_scc0 .LBB87_811
	s_branch .LBB87_815
.LBB87_812:
	s_mov_b64 s[0:1], -1
                                        ; implicit-def: $vgpr0
                                        ; implicit-def: $vgpr2
	s_branch .LBB87_819
.LBB87_813:
	v_mov_b32_e32 v0, 0
	v_mov_b32_e32 v2, 0
	s_branch .LBB87_818
.LBB87_814:
	s_mov_b32 s81, 0
	v_mov_b32_e32 v0, 0
	v_mov_b32_e32 v2, 0
	;; [unrolled: 1-line block ×3, first 2 shown]
.LBB87_815:
	s_and_b32 s16, s82, 3
	s_cmp_eq_u32 s16, 0
	s_cbranch_scc1 .LBB87_818
; %bb.816:
	s_lshl_b32 s0, s81, 3
	s_add_u32 s0, s34, s0
	s_addc_u32 s1, s35, 0
	s_add_u32 s0, s0, 0xc4
	s_addc_u32 s1, s1, 0
	s_mul_i32 s2, s81, 12
	s_add_u32 s2, s34, s2
	s_addc_u32 s3, s35, 0
.LBB87_817:                             ; =>This Inner Loop Header: Depth=1
	s_load_dwordx2 s[18:19], s[2:3], 0x4
	s_load_dword s17, s[2:3], 0xc
	s_load_dwordx2 s[20:21], s[0:1], 0x0
	s_add_u32 s2, s2, 12
	s_addc_u32 s3, s3, 0
	s_waitcnt vmcnt(0) lgkmcnt(0)
	v_mul_hi_u32 v3, s19, v1
	s_add_u32 s0, s0, 8
	s_addc_u32 s1, s1, 0
	s_add_i32 s16, s16, -1
	v_add_u32_e32 v3, v1, v3
	v_lshrrev_b32_e32 v4, s17, v3
	v_mul_lo_u32 v3, v4, s18
	s_cmp_lg_u32 s16, 0
	v_sub_u32_e32 v3, v1, v3
	v_mad_u64_u32 v[0:1], s[18:19], v3, s20, v[0:1]
	v_mad_u64_u32 v[2:3], s[18:19], v3, s21, v[2:3]
	v_mov_b32_e32 v1, v4
	s_cbranch_scc1 .LBB87_817
.LBB87_818:
	s_mov_b64 s[0:1], 0
.LBB87_819:
	s_andn2_b64 vcc, exec, s[0:1]
	s_cbranch_vccnz .LBB87_822
; %bb.820:
	v_mul_hi_u32 v0, s37, v11
	s_andn2_b64 vcc, exec, s[52:53]
	v_add_u32_e32 v0, v11, v0
	v_lshrrev_b32_e32 v1, s38, v0
	v_mul_lo_u32 v0, v1, s36
	v_sub_u32_e32 v2, v11, v0
	v_mul_lo_u32 v0, v2, s40
	v_mul_lo_u32 v2, v2, s41
	s_cbranch_vccnz .LBB87_822
; %bb.821:
	s_waitcnt vmcnt(0)
	v_mul_hi_u32 v3, s50, v1
	v_add_u32_e32 v3, v1, v3
	v_lshrrev_b32_e32 v3, s51, v3
	v_mul_lo_u32 v3, v3, s39
	v_sub_u32_e32 v3, v1, v3
	v_mad_u64_u32 v[0:1], s[0:1], v3, s42, v[0:1]
	v_mad_u64_u32 v[2:3], s[0:1], v3, s43, v[2:3]
.LBB87_822:
	s_waitcnt vmcnt(0)
	v_mov_b32_e32 v3, s11
	s_and_b32 s18, 0xffff, s80
	v_add_co_u32_e32 v1, vcc, s10, v2
	s_cmp_lt_i32 s18, 11
	v_addc_co_u32_e32 v2, vcc, 0, v3, vcc
	s_cbranch_scc1 .LBB87_829
; %bb.823:
	s_cmp_gt_i32 s18, 25
	s_mov_b64 s[2:3], 0
	s_cbranch_scc0 .LBB87_830
; %bb.824:
	s_cmp_gt_i32 s18, 28
	s_cbranch_scc0 .LBB87_831
; %bb.825:
	s_cmp_gt_i32 s18, 43
	;; [unrolled: 3-line block ×3, first 2 shown]
	s_cbranch_scc0 .LBB87_835
; %bb.827:
	s_cmp_eq_u32 s18, 46
	s_mov_b64 s[16:17], 0
	s_cbranch_scc0 .LBB87_838
; %bb.828:
	global_load_dword v3, v[1:2], off
	s_mov_b32 s0, 0x2f800000
	s_mov_b32 s1, 0xcf800000
	s_mov_b64 s[10:11], -1
	s_waitcnt vmcnt(0)
	v_lshlrev_b32_e32 v3, 16, v3
	v_trunc_f32_e32 v3, v3
	v_mul_f32_e64 v4, |v3|, s0
	v_floor_f32_e32 v4, v4
	v_fma_f32 v5, v4, s1, |v3|
	v_cvt_u32_f32_e32 v5, v5
	v_cvt_u32_f32_e32 v4, v4
	v_ashrrev_i32_e32 v3, 31, v3
	s_mov_b64 s[0:1], 0
	v_xor_b32_e32 v5, v5, v3
	v_xor_b32_e32 v4, v4, v3
	v_sub_co_u32_e32 v5, vcc, v5, v3
	v_subb_co_u32_e32 v6, vcc, v4, v3, vcc
	s_branch .LBB87_839
.LBB87_829:
	s_mov_b64 s[16:17], -1
	s_mov_b64 s[10:11], 0
	s_mov_b64 s[2:3], 0
	;; [unrolled: 1-line block ×3, first 2 shown]
                                        ; implicit-def: $vgpr5_vgpr6
	s_branch .LBB87_898
.LBB87_830:
	s_mov_b64 s[16:17], -1
	s_mov_b64 s[10:11], 0
	s_mov_b64 s[0:1], s[72:73]
                                        ; implicit-def: $vgpr5_vgpr6
	s_branch .LBB87_868
.LBB87_831:
	s_mov_b64 s[16:17], -1
	s_mov_b64 s[10:11], 0
	s_mov_b64 s[0:1], s[72:73]
                                        ; implicit-def: $vgpr5_vgpr6
	s_branch .LBB87_849
.LBB87_832:
	s_mov_b64 s[16:17], -1
	s_mov_b64 s[10:11], 0
	s_mov_b64 s[0:1], s[72:73]
                                        ; implicit-def: $vgpr5_vgpr6
	s_branch .LBB87_844
.LBB87_833:
	s_andn2_saveexec_b64 s[20:21], s[20:21]
	s_cbranch_execz .LBB87_713
.LBB87_834:
	s_mov_b32 s24, 0x46000000
	v_add_f32_e64 v5, |v0|, s24
	v_and_b32_e32 v5, 0xff, v5
	v_cmp_ne_u32_e32 vcc, 0, v5
	s_andn2_b64 s[18:19], s[18:19], exec
	s_and_b64 s[24:25], vcc, exec
	s_or_b64 s[18:19], s[18:19], s[24:25]
	s_or_b64 exec, exec, s[20:21]
	v_mov_b32_e32 v6, 0
	s_and_saveexec_b64 s[20:21], s[18:19]
	s_cbranch_execnz .LBB87_714
	s_branch .LBB87_715
.LBB87_835:
	s_mov_b64 s[16:17], -1
	s_mov_b64 s[10:11], 0
	s_mov_b64 s[0:1], s[72:73]
                                        ; implicit-def: $vgpr5_vgpr6
	s_branch .LBB87_839
.LBB87_836:
	s_andn2_saveexec_b64 s[20:21], s[20:21]
	s_cbranch_execz .LBB87_726
.LBB87_837:
	s_mov_b32 s24, 0x42800000
	v_add_f32_e64 v5, |v0|, s24
	v_and_b32_e32 v5, 0xff, v5
	v_cmp_ne_u32_e32 vcc, 0, v5
	s_andn2_b64 s[18:19], s[18:19], exec
	s_and_b64 s[24:25], vcc, exec
	s_or_b64 s[18:19], s[18:19], s[24:25]
	s_or_b64 exec, exec, s[20:21]
	v_mov_b32_e32 v6, 0
	s_and_saveexec_b64 s[20:21], s[18:19]
	s_cbranch_execnz .LBB87_727
	s_branch .LBB87_728
.LBB87_838:
	s_mov_b64 s[0:1], -1
                                        ; implicit-def: $vgpr5_vgpr6
	s_mov_b64 s[10:11], 0
.LBB87_839:
	s_and_b64 vcc, exec, s[16:17]
	s_cbranch_vccz .LBB87_843
; %bb.840:
	s_cmp_eq_u32 s18, 44
	s_cbranch_scc0 .LBB87_842
; %bb.841:
	global_load_ubyte v3, v[1:2], off
	s_mov_b32 s0, 0x2f800000
	s_mov_b32 s1, 0xcf800000
	s_mov_b64 s[10:11], -1
	s_waitcnt vmcnt(0)
	v_lshlrev_b32_e32 v4, 23, v3
	v_trunc_f32_e32 v4, v4
	v_mul_f32_e64 v5, |v4|, s0
	v_floor_f32_e32 v5, v5
	v_fma_f32 v6, v5, s1, |v4|
	v_cvt_u32_f32_e32 v6, v6
	v_cvt_u32_f32_e32 v5, v5
	v_ashrrev_i32_e32 v4, 31, v4
	s_mov_b64 s[0:1], 0
	v_xor_b32_e32 v6, v6, v4
	v_xor_b32_e32 v5, v5, v4
	v_sub_co_u32_e32 v7, vcc, v6, v4
	v_subb_co_u32_e32 v4, vcc, v5, v4, vcc
	v_cmp_ne_u32_e32 vcc, 0, v3
	v_cndmask_b32_e32 v6, 0, v4, vcc
	v_cndmask_b32_e32 v5, 0, v7, vcc
	s_branch .LBB87_843
.LBB87_842:
	s_mov_b64 s[0:1], -1
                                        ; implicit-def: $vgpr5_vgpr6
.LBB87_843:
	s_mov_b64 s[16:17], 0
.LBB87_844:
	s_and_b64 vcc, exec, s[16:17]
	s_cbranch_vccz .LBB87_848
; %bb.845:
	s_cmp_eq_u32 s18, 29
	s_cbranch_scc0 .LBB87_847
; %bb.846:
	global_load_dwordx2 v[5:6], v[1:2], off
	s_mov_b64 s[0:1], 0
	s_mov_b64 s[10:11], -1
	s_branch .LBB87_848
.LBB87_847:
	s_mov_b64 s[0:1], -1
                                        ; implicit-def: $vgpr5_vgpr6
.LBB87_848:
	s_mov_b64 s[16:17], 0
.LBB87_849:
	s_and_b64 vcc, exec, s[16:17]
	s_cbranch_vccz .LBB87_867
; %bb.850:
	s_cmp_lt_i32 s18, 27
	s_cbranch_scc1 .LBB87_853
; %bb.851:
	s_cmp_gt_i32 s18, 27
	s_cbranch_scc0 .LBB87_854
; %bb.852:
	global_load_dword v5, v[1:2], off
	s_waitcnt vmcnt(1)
	v_mov_b32_e32 v6, 0
	s_mov_b64 s[10:11], 0
	s_branch .LBB87_855
.LBB87_853:
	s_mov_b64 s[10:11], -1
                                        ; implicit-def: $vgpr5_vgpr6
	s_branch .LBB87_858
.LBB87_854:
	s_mov_b64 s[10:11], -1
                                        ; implicit-def: $vgpr5_vgpr6
.LBB87_855:
	s_andn2_b64 vcc, exec, s[10:11]
	s_cbranch_vccnz .LBB87_857
; %bb.856:
	global_load_ushort v3, v[1:2], off
	s_mov_b32 s10, 0
	s_waitcnt vmcnt(1)
	v_mov_b32_e32 v6, s10
	s_waitcnt vmcnt(0)
	v_and_b32_e32 v5, 0xffff, v3
.LBB87_857:
	s_mov_b64 s[10:11], 0
.LBB87_858:
	s_andn2_b64 vcc, exec, s[10:11]
	s_cbranch_vccnz .LBB87_866
; %bb.859:
	global_load_ubyte v3, v[1:2], off
	s_movk_i32 s10, 0x7f
	s_mov_b64 s[16:17], 0
	s_waitcnt vmcnt(0)
	v_cmp_lt_i16_e32 vcc, s10, v3
	s_and_saveexec_b64 s[10:11], vcc
	s_xor_b64 s[10:11], exec, s[10:11]
; %bb.860:
	s_movk_i32 s16, 0x80
	v_cmp_ne_u16_e32 vcc, s16, v3
	s_and_b64 s[16:17], vcc, exec
; %bb.861:
	s_andn2_saveexec_b64 s[10:11], s[10:11]
; %bb.862:
	v_cmp_ne_u16_e32 vcc, 0, v3
	s_andn2_b64 s[16:17], s[16:17], exec
	s_and_b64 s[20:21], vcc, exec
	s_or_b64 s[16:17], s[16:17], s[20:21]
; %bb.863:
	s_or_b64 exec, exec, s[10:11]
	v_mov_b32_e32 v5, 0
	v_mov_b32_e32 v6, 0
	s_and_saveexec_b64 s[10:11], s[16:17]
	s_cbranch_execz .LBB87_865
; %bb.864:
	v_lshlrev_b32_e32 v4, 24, v3
	v_and_b32_e32 v3, 0xffff, v3
	v_and_b32_e32 v5, 7, v3
	v_ffbh_u32_e32 v7, v5
	v_min_u32_e32 v7, 32, v7
	v_subrev_u32_e32 v8, 28, v7
	v_bfe_u32 v6, v3, 3, 4
	v_lshlrev_b32_e32 v3, v8, v3
	v_sub_u32_e32 v7, 29, v7
	v_and_b32_e32 v3, 7, v3
	v_cmp_eq_u32_e32 vcc, 0, v6
	v_cndmask_b32_e32 v6, v6, v7, vcc
	v_cndmask_b32_e32 v3, v5, v3, vcc
	v_mov_b32_e32 v5, 0x3b800000
	v_lshlrev_b32_e32 v3, 20, v3
	v_and_b32_e32 v4, 0x80000000, v4
	v_lshl_add_u32 v5, v6, 23, v5
	v_or3_b32 v3, v4, v5, v3
	v_trunc_f32_e32 v3, v3
	s_mov_b32 s16, 0x2f800000
	v_mul_f32_e64 v4, |v3|, s16
	v_floor_f32_e32 v4, v4
	s_mov_b32 s16, 0xcf800000
	v_fma_f32 v5, v4, s16, |v3|
	v_cvt_u32_f32_e32 v5, v5
	v_cvt_u32_f32_e32 v4, v4
	v_ashrrev_i32_e32 v3, 31, v3
	v_xor_b32_e32 v5, v5, v3
	v_xor_b32_e32 v4, v4, v3
	v_sub_co_u32_e32 v5, vcc, v5, v3
	v_subb_co_u32_e32 v6, vcc, v4, v3, vcc
.LBB87_865:
	s_or_b64 exec, exec, s[10:11]
.LBB87_866:
	s_mov_b64 s[10:11], -1
.LBB87_867:
	s_mov_b64 s[16:17], 0
.LBB87_868:
	s_and_b64 vcc, exec, s[16:17]
	s_cbranch_vccz .LBB87_897
; %bb.869:
	s_cmp_gt_i32 s18, 22
	s_cbranch_scc0 .LBB87_879
; %bb.870:
	s_cmp_lt_i32 s18, 24
	s_cbranch_scc1 .LBB87_880
; %bb.871:
	s_cmp_gt_i32 s18, 24
	s_cbranch_scc0 .LBB87_881
; %bb.872:
	global_load_ubyte v3, v[1:2], off
	s_movk_i32 s2, 0x7f
	s_mov_b64 s[10:11], 0
	s_waitcnt vmcnt(0)
	v_cmp_lt_i16_e32 vcc, s2, v3
	s_and_saveexec_b64 s[2:3], vcc
	s_xor_b64 s[2:3], exec, s[2:3]
; %bb.873:
	s_movk_i32 s10, 0x80
	v_cmp_ne_u16_e32 vcc, s10, v3
	s_and_b64 s[10:11], vcc, exec
; %bb.874:
	s_andn2_saveexec_b64 s[2:3], s[2:3]
; %bb.875:
	v_cmp_ne_u16_e32 vcc, 0, v3
	s_andn2_b64 s[10:11], s[10:11], exec
	s_and_b64 s[16:17], vcc, exec
	s_or_b64 s[10:11], s[10:11], s[16:17]
; %bb.876:
	s_or_b64 exec, exec, s[2:3]
	v_mov_b32_e32 v5, 0
	v_mov_b32_e32 v6, 0
	s_and_saveexec_b64 s[2:3], s[10:11]
	s_cbranch_execz .LBB87_878
; %bb.877:
	v_lshlrev_b32_e32 v4, 24, v3
	v_and_b32_e32 v3, 0xffff, v3
	v_and_b32_e32 v5, 3, v3
	v_ffbh_u32_e32 v7, v5
	v_min_u32_e32 v7, 32, v7
	v_subrev_u32_e32 v8, 29, v7
	v_bfe_u32 v6, v3, 2, 5
	v_lshlrev_b32_e32 v3, v8, v3
	v_sub_u32_e32 v7, 30, v7
	v_and_b32_e32 v3, 3, v3
	v_cmp_eq_u32_e32 vcc, 0, v6
	v_cndmask_b32_e32 v6, v6, v7, vcc
	v_cndmask_b32_e32 v3, v5, v3, vcc
	v_mov_b32_e32 v5, 0x37800000
	v_lshlrev_b32_e32 v3, 21, v3
	v_and_b32_e32 v4, 0x80000000, v4
	v_lshl_add_u32 v5, v6, 23, v5
	v_or3_b32 v3, v4, v5, v3
	v_trunc_f32_e32 v3, v3
	s_mov_b32 s10, 0x2f800000
	v_mul_f32_e64 v4, |v3|, s10
	v_floor_f32_e32 v4, v4
	s_mov_b32 s10, 0xcf800000
	v_fma_f32 v5, v4, s10, |v3|
	v_cvt_u32_f32_e32 v5, v5
	v_cvt_u32_f32_e32 v4, v4
	v_ashrrev_i32_e32 v3, 31, v3
	v_xor_b32_e32 v5, v5, v3
	v_xor_b32_e32 v4, v4, v3
	v_sub_co_u32_e32 v5, vcc, v5, v3
	v_subb_co_u32_e32 v6, vcc, v4, v3, vcc
.LBB87_878:
	s_or_b64 exec, exec, s[2:3]
	s_mov_b64 s[2:3], 0
	s_branch .LBB87_882
.LBB87_879:
	s_mov_b64 s[2:3], -1
                                        ; implicit-def: $vgpr5_vgpr6
	s_branch .LBB87_888
.LBB87_880:
	s_mov_b64 s[2:3], -1
                                        ; implicit-def: $vgpr5_vgpr6
	s_branch .LBB87_885
.LBB87_881:
	s_mov_b64 s[2:3], -1
                                        ; implicit-def: $vgpr5_vgpr6
.LBB87_882:
	s_and_b64 vcc, exec, s[2:3]
	s_cbranch_vccz .LBB87_884
; %bb.883:
	global_load_ubyte v3, v[1:2], off
	s_mov_b32 s2, 0x7f800000
	s_brev_b32 s3, 1
	s_mov_b32 s10, 0x2f800000
	s_mov_b32 s11, 0xcf800000
	s_waitcnt vmcnt(0)
	v_lshlrev_b32_e32 v3, 24, v3
	v_and_b32_e32 v4, 0x7f000000, v3
	v_ffbh_u32_e32 v5, v4
	v_min_u32_e32 v5, 32, v5
	v_sub_u32_e64 v5, v5, 4 clamp
	v_lshlrev_b32_e32 v7, v5, v4
	v_lshlrev_b32_e32 v5, 23, v5
	v_lshrrev_b32_e32 v7, 4, v7
	v_add_u32_e32 v6, 0x1000000, v4
	v_sub_u32_e32 v5, v7, v5
	v_ashrrev_i32_e32 v6, 8, v6
	v_add_u32_e32 v5, 0x3c000000, v5
	v_and_or_b32 v5, v6, s2, v5
	v_cmp_ne_u32_e32 vcc, 0, v4
	v_cndmask_b32_e32 v4, 0, v5, vcc
	v_and_or_b32 v3, v3, s3, v4
	v_trunc_f32_e32 v3, v3
	v_mul_f32_e64 v4, |v3|, s10
	v_floor_f32_e32 v4, v4
	v_fma_f32 v5, v4, s11, |v3|
	v_cvt_u32_f32_e32 v5, v5
	v_cvt_u32_f32_e32 v4, v4
	v_ashrrev_i32_e32 v3, 31, v3
	v_xor_b32_e32 v5, v5, v3
	v_xor_b32_e32 v4, v4, v3
	v_sub_co_u32_e32 v5, vcc, v5, v3
	v_subb_co_u32_e32 v6, vcc, v4, v3, vcc
.LBB87_884:
	s_mov_b64 s[2:3], 0
.LBB87_885:
	s_andn2_b64 vcc, exec, s[2:3]
	s_cbranch_vccnz .LBB87_887
; %bb.886:
	global_load_ubyte v3, v[1:2], off
	s_movk_i32 s2, 0x7f00
	s_brev_b32 s3, 16
	s_brev_b32 s10, 1
	s_mov_b32 s11, 0x2f800000
	s_mov_b32 s16, 0xcf800000
	s_waitcnt vmcnt(0)
	v_lshlrev_b16_e32 v4, 8, v3
	v_lshlrev_b32_e32 v3, 25, v3
	v_lshrrev_b32_e32 v5, 4, v3
	v_and_or_b32 v6, v4, s2, 0.5
	v_or_b32_e32 v5, 0x70000000, v5
	v_add_f32_e32 v6, -0.5, v6
	v_mul_f32_e32 v5, 0x7800000, v5
	v_cmp_gt_u32_e32 vcc, s3, v3
	v_bfe_i32 v4, v4, 0, 16
	v_cndmask_b32_e32 v3, v5, v6, vcc
	v_and_or_b32 v3, v4, s10, v3
	v_trunc_f32_e32 v3, v3
	v_mul_f32_e64 v4, |v3|, s11
	v_floor_f32_e32 v4, v4
	v_fma_f32 v5, v4, s16, |v3|
	v_cvt_u32_f32_e32 v5, v5
	v_cvt_u32_f32_e32 v4, v4
	v_ashrrev_i32_e32 v3, 31, v3
	v_xor_b32_e32 v5, v5, v3
	v_xor_b32_e32 v4, v4, v3
	v_sub_co_u32_e32 v5, vcc, v5, v3
	v_subb_co_u32_e32 v6, vcc, v4, v3, vcc
.LBB87_887:
	s_mov_b64 s[2:3], 0
	s_mov_b64 s[10:11], -1
.LBB87_888:
	s_andn2_b64 vcc, exec, s[2:3]
	s_mov_b64 s[2:3], 0
	s_cbranch_vccnz .LBB87_897
; %bb.889:
	s_cmp_gt_i32 s18, 14
	s_cbranch_scc0 .LBB87_892
; %bb.890:
	s_cmp_eq_u32 s18, 15
	s_cbranch_scc0 .LBB87_893
; %bb.891:
	global_load_ushort v3, v[1:2], off
	s_mov_b32 s0, 0x2f800000
	s_mov_b32 s1, 0xcf800000
	s_mov_b64 s[10:11], -1
	s_waitcnt vmcnt(0)
	v_lshlrev_b32_e32 v3, 16, v3
	v_trunc_f32_e32 v3, v3
	v_mul_f32_e64 v4, |v3|, s0
	v_floor_f32_e32 v4, v4
	v_fma_f32 v5, v4, s1, |v3|
	v_cvt_u32_f32_e32 v5, v5
	v_cvt_u32_f32_e32 v4, v4
	v_ashrrev_i32_e32 v3, 31, v3
	s_mov_b64 s[0:1], 0
	v_xor_b32_e32 v5, v5, v3
	v_xor_b32_e32 v4, v4, v3
	v_sub_co_u32_e32 v5, vcc, v5, v3
	v_subb_co_u32_e32 v6, vcc, v4, v3, vcc
	s_branch .LBB87_894
.LBB87_892:
	s_mov_b64 s[16:17], -1
                                        ; implicit-def: $vgpr5_vgpr6
	s_branch .LBB87_895
.LBB87_893:
	s_mov_b64 s[0:1], -1
                                        ; implicit-def: $vgpr5_vgpr6
.LBB87_894:
	s_mov_b64 s[16:17], 0
.LBB87_895:
	s_and_b64 vcc, exec, s[16:17]
	s_cbranch_vccz .LBB87_897
; %bb.896:
	s_cmp_lg_u32 s18, 11
	s_cselect_b64 s[16:17], -1, 0
	s_andn2_b64 s[0:1], s[0:1], exec
	s_and_b64 s[16:17], s[16:17], exec
	s_mov_b64 s[2:3], -1
	s_or_b64 s[0:1], s[0:1], s[16:17]
.LBB87_897:
	s_mov_b64 s[16:17], 0
.LBB87_898:
	s_and_b64 s[18:19], s[10:11], exec
	s_andn2_b64 s[10:11], s[72:73], exec
	s_and_b64 s[0:1], s[0:1], exec
	s_and_b64 s[16:17], s[16:17], exec
	;; [unrolled: 1-line block ×3, first 2 shown]
	s_or_b64 s[20:21], s[10:11], s[0:1]
.LBB87_899:
	s_or_b64 exec, exec, s[76:77]
	s_and_b64 s[0:1], s[2:3], exec
	s_andn2_b64 s[2:3], s[72:73], exec
	s_and_b64 s[10:11], s[20:21], exec
	s_and_b64 s[18:19], s[18:19], exec
	;; [unrolled: 1-line block ×3, first 2 shown]
	s_or_b64 s[72:73], s[2:3], s[10:11]
.LBB87_900:
	s_or_b64 exec, exec, s[70:71]
	s_andn2_b64 s[2:3], s[66:67], exec
	s_and_b64 s[10:11], s[74:75], exec
	s_or_b64 s[66:67], s[2:3], s[10:11]
	s_and_b64 s[2:3], s[0:1], exec
	s_andn2_b64 s[0:1], s[64:65], exec
	s_and_b64 s[10:11], s[72:73], exec
	s_and_b64 s[18:19], s[18:19], exec
	;; [unrolled: 1-line block ×3, first 2 shown]
	s_or_b64 s[64:65], s[0:1], s[10:11]
.LBB87_901:
	s_or_b64 exec, exec, s[68:69]
	s_andn2_b64 s[0:1], s[58:59], exec
	s_and_b64 s[10:11], s[66:67], exec
	s_or_b64 s[58:59], s[0:1], s[10:11]
	s_and_b64 s[66:67], s[2:3], exec
	s_andn2_b64 s[2:3], s[60:61], exec
	s_and_b64 s[10:11], s[64:65], exec
	s_and_b64 s[0:1], s[18:19], exec
	s_and_b64 s[16:17], s[16:17], exec
	s_or_b64 s[60:61], s[2:3], s[10:11]
	s_or_b64 exec, exec, s[62:63]
	s_mov_b64 s[2:3], 0
	s_and_saveexec_b64 s[10:11], s[60:61]
	s_cbranch_execz .LBB87_270
.LBB87_902:
	s_mov_b64 s[2:3], exec
	s_andn2_b64 s[66:67], s[66:67], exec
	s_trap 2
	s_or_b64 exec, exec, s[10:11]
	s_and_saveexec_b64 s[10:11], s[66:67]
	s_xor_b64 s[10:11], exec, s[10:11]
	s_cbranch_execnz .LBB87_271
.LBB87_903:
	s_or_b64 exec, exec, s[10:11]
	s_and_saveexec_b64 s[10:11], s[16:17]
	s_cbranch_execz .LBB87_949
.LBB87_904:
	s_sext_i32_i16 s16, s80
	s_cmp_lt_i32 s16, 5
	s_cbranch_scc1 .LBB87_909
; %bb.905:
	s_cmp_lt_i32 s16, 8
	s_cbranch_scc1 .LBB87_910
; %bb.906:
	;; [unrolled: 3-line block ×3, first 2 shown]
	s_cmp_gt_i32 s16, 9
	s_cbranch_scc0 .LBB87_912
; %bb.908:
	global_load_dwordx2 v[3:4], v[1:2], off
	s_movk_i32 s16, 0xffe0
	s_waitcnt vmcnt(0)
	v_trunc_f64_e32 v[3:4], v[3:4]
	v_ldexp_f64 v[5:6], v[3:4], s16
	s_mov_b32 s16, 0
	s_mov_b32 s17, 0xc1f00000
	v_floor_f64_e32 v[5:6], v[5:6]
	v_fma_f64 v[3:4], v[5:6], s[16:17], v[3:4]
	v_cvt_i32_f64_e32 v6, v[5:6]
	s_mov_b64 s[16:17], 0
	v_cvt_u32_f64_e32 v5, v[3:4]
	s_branch .LBB87_913
.LBB87_909:
                                        ; implicit-def: $vgpr5_vgpr6
	s_branch .LBB87_930
.LBB87_910:
                                        ; implicit-def: $vgpr5_vgpr6
	s_branch .LBB87_919
.LBB87_911:
	s_mov_b64 s[16:17], -1
                                        ; implicit-def: $vgpr5_vgpr6
	s_branch .LBB87_916
.LBB87_912:
	s_mov_b64 s[16:17], -1
                                        ; implicit-def: $vgpr5_vgpr6
.LBB87_913:
	s_andn2_b64 vcc, exec, s[16:17]
	s_cbranch_vccnz .LBB87_915
; %bb.914:
	global_load_dword v3, v[1:2], off
	s_mov_b32 s16, 0x2f800000
	s_mov_b32 s17, 0xcf800000
	s_waitcnt vmcnt(0)
	v_trunc_f32_e32 v3, v3
	v_mul_f32_e64 v4, |v3|, s16
	v_floor_f32_e32 v4, v4
	v_cvt_u32_f32_e32 v5, v4
	v_fma_f32 v4, v4, s17, |v3|
	v_cvt_u32_f32_e32 v4, v4
	v_ashrrev_i32_e32 v3, 31, v3
	v_xor_b32_e32 v6, v5, v3
	v_xor_b32_e32 v4, v4, v3
	v_sub_co_u32_e32 v5, vcc, v4, v3
	v_subb_co_u32_e32 v6, vcc, v6, v3, vcc
.LBB87_915:
	s_mov_b64 s[16:17], 0
.LBB87_916:
	s_andn2_b64 vcc, exec, s[16:17]
	s_cbranch_vccnz .LBB87_918
; %bb.917:
	global_load_dword v3, v[1:2], off
	s_waitcnt vmcnt(0)
	v_cvt_f32_f16_e32 v3, v3
	v_cvt_i32_f32_e32 v5, v3
	v_ashrrev_i32_e32 v6, 31, v5
.LBB87_918:
	s_cbranch_execnz .LBB87_929
.LBB87_919:
	s_sext_i32_i16 s16, s80
	s_cmp_lt_i32 s16, 6
	s_cbranch_scc1 .LBB87_922
; %bb.920:
	s_cmp_gt_i32 s16, 6
	s_cbranch_scc0 .LBB87_923
; %bb.921:
	global_load_dwordx2 v[3:4], v[1:2], off
	s_movk_i32 s16, 0xffe0
	s_waitcnt vmcnt(0)
	v_trunc_f64_e32 v[3:4], v[3:4]
	v_ldexp_f64 v[5:6], v[3:4], s16
	s_mov_b32 s16, 0
	s_mov_b32 s17, 0xc1f00000
	v_floor_f64_e32 v[5:6], v[5:6]
	v_fma_f64 v[3:4], v[5:6], s[16:17], v[3:4]
	v_cvt_i32_f64_e32 v6, v[5:6]
	s_mov_b64 s[16:17], 0
	v_cvt_u32_f64_e32 v5, v[3:4]
	s_branch .LBB87_924
.LBB87_922:
	s_mov_b64 s[16:17], -1
                                        ; implicit-def: $vgpr5_vgpr6
	s_branch .LBB87_927
.LBB87_923:
	s_mov_b64 s[16:17], -1
                                        ; implicit-def: $vgpr5_vgpr6
.LBB87_924:
	s_andn2_b64 vcc, exec, s[16:17]
	s_cbranch_vccnz .LBB87_926
; %bb.925:
	global_load_dword v3, v[1:2], off
	s_mov_b32 s16, 0x2f800000
	s_mov_b32 s17, 0xcf800000
	s_waitcnt vmcnt(0)
	v_trunc_f32_e32 v3, v3
	v_mul_f32_e64 v4, |v3|, s16
	v_floor_f32_e32 v4, v4
	v_cvt_u32_f32_e32 v5, v4
	v_fma_f32 v4, v4, s17, |v3|
	v_cvt_u32_f32_e32 v4, v4
	v_ashrrev_i32_e32 v3, 31, v3
	v_xor_b32_e32 v6, v5, v3
	v_xor_b32_e32 v4, v4, v3
	v_sub_co_u32_e32 v5, vcc, v4, v3
	v_subb_co_u32_e32 v6, vcc, v6, v3, vcc
.LBB87_926:
	s_mov_b64 s[16:17], 0
.LBB87_927:
	s_andn2_b64 vcc, exec, s[16:17]
	s_cbranch_vccnz .LBB87_929
; %bb.928:
	global_load_ushort v3, v[1:2], off
	s_waitcnt vmcnt(0)
	v_cvt_f32_f16_e32 v3, v3
	v_cvt_i32_f32_e32 v5, v3
	v_ashrrev_i32_e32 v6, 31, v5
.LBB87_929:
	s_cbranch_execnz .LBB87_948
.LBB87_930:
	s_sext_i32_i16 s16, s80
	s_cmp_lt_i32 s16, 2
	s_cbranch_scc1 .LBB87_934
; %bb.931:
	s_cmp_lt_i32 s16, 3
	s_cbranch_scc1 .LBB87_935
; %bb.932:
	s_cmp_gt_i32 s16, 3
	s_cbranch_scc0 .LBB87_936
; %bb.933:
	global_load_dwordx2 v[5:6], v[1:2], off
	s_mov_b64 s[16:17], 0
	s_branch .LBB87_937
.LBB87_934:
                                        ; implicit-def: $vgpr5_vgpr6
	s_branch .LBB87_943
.LBB87_935:
	s_mov_b64 s[16:17], -1
                                        ; implicit-def: $vgpr5_vgpr6
	s_branch .LBB87_940
.LBB87_936:
	s_mov_b64 s[16:17], -1
                                        ; implicit-def: $vgpr5_vgpr6
.LBB87_937:
	s_andn2_b64 vcc, exec, s[16:17]
	s_cbranch_vccnz .LBB87_939
; %bb.938:
	global_load_dword v5, v[1:2], off
	s_waitcnt vmcnt(0)
	v_ashrrev_i32_e32 v6, 31, v5
.LBB87_939:
	s_mov_b64 s[16:17], 0
.LBB87_940:
	s_andn2_b64 vcc, exec, s[16:17]
	s_cbranch_vccnz .LBB87_942
; %bb.941:
	global_load_ushort v3, v[1:2], off
	s_waitcnt vmcnt(0)
	v_bfe_i32 v5, v3, 0, 16
	v_ashrrev_i32_e32 v6, 31, v5
.LBB87_942:
	s_cbranch_execnz .LBB87_948
.LBB87_943:
	s_sext_i32_i16 s16, s80
	s_cmp_gt_i32 s16, 0
	s_cbranch_scc0 .LBB87_945
; %bb.944:
	global_load_sbyte v3, v[1:2], off
	s_mov_b64 s[16:17], 0
	s_waitcnt vmcnt(0)
	v_bfe_i32 v5, v3, 0, 16
	v_ashrrev_i32_e32 v6, 31, v5
	s_branch .LBB87_946
.LBB87_945:
	s_mov_b64 s[16:17], -1
                                        ; implicit-def: $vgpr5_vgpr6
.LBB87_946:
	s_andn2_b64 vcc, exec, s[16:17]
	s_cbranch_vccnz .LBB87_948
; %bb.947:
	global_load_ubyte v1, v[1:2], off
	s_mov_b32 s16, 0
	s_waitcnt vmcnt(1)
	v_mov_b32_e32 v6, s16
	s_waitcnt vmcnt(0)
	v_and_b32_e32 v5, 0xffff, v1
.LBB87_948:
	s_or_b64 s[0:1], s[0:1], exec
.LBB87_949:
	s_or_b64 exec, exec, s[10:11]
	s_mov_b64 s[18:19], 0
	s_mov_b64 s[16:17], 0
                                        ; implicit-def: $sgpr20
                                        ; implicit-def: $vgpr3_vgpr4
                                        ; implicit-def: $vgpr1_vgpr2
	s_and_saveexec_b64 s[10:11], s[0:1]
	s_cbranch_execz .LBB87_957
; %bb.950:
	s_waitcnt vmcnt(0)
	v_cmp_lt_i64_e32 vcc, s[12:13], v[5:6]
	v_mov_b32_e32 v1, s15
	v_mov_b32_e32 v2, s49
	v_cndmask_b32_e32 v2, v1, v2, vcc
	v_mov_b32_e32 v1, s14
	v_mov_b32_e32 v3, s48
	v_cndmask_b32_e32 v1, v1, v3, vcc
	v_mov_b32_e32 v4, s9
	s_and_b32 s20, s79, 0xff
	v_add_co_u32_e32 v3, vcc, s8, v0
	s_cmp_lt_i32 s20, 11
	v_addc_co_u32_e32 v4, vcc, 0, v4, vcc
	s_cbranch_scc1 .LBB87_960
; %bb.951:
	s_and_b32 s18, 0xffff, s20
	s_mov_b64 s[12:13], -1
	s_cmp_gt_i32 s18, 25
	s_mov_b64 s[0:1], s[58:59]
	s_cbranch_scc0 .LBB87_988
; %bb.952:
	s_mov_b64 s[8:9], -1
	s_cmp_gt_i32 s18, 28
	s_mov_b64 s[0:1], s[58:59]
	s_cbranch_scc0 .LBB87_972
; %bb.953:
	s_cmp_gt_i32 s18, 43
	s_mov_b64 s[0:1], s[58:59]
	s_cbranch_scc0 .LBB87_968
; %bb.954:
	;; [unrolled: 4-line block ×3, first 2 shown]
	s_cmp_eq_u32 s18, 46
	s_mov_b64 s[0:1], -1
	s_cbranch_scc0 .LBB87_961
; %bb.956:
	v_xor_b32_e32 v5, v1, v2
	v_ffbh_i32_e32 v0, v2
	v_ashrrev_i32_e32 v5, 31, v5
	v_add_u32_e32 v0, -1, v0
	v_add_u32_e32 v5, 32, v5
	v_min_u32_e32 v0, v0, v5
	v_lshlrev_b64 v[5:6], v0, v[1:2]
	v_sub_u32_e32 v0, 32, v0
	v_min_u32_e32 v5, 1, v5
	v_or_b32_e32 v5, v6, v5
	v_cvt_f32_i32_e32 v5, v5
	s_movk_i32 s0, 0x7fff
	s_mov_b64 s[8:9], 0
	v_ldexp_f32 v0, v5, v0
	v_bfe_u32 v5, v0, 16, 1
	v_add3_u32 v0, v0, v5, s0
	v_lshrrev_b32_e32 v0, 16, v0
	global_store_dword v[3:4], v0, off
	s_mov_b64 s[0:1], 0
	s_branch .LBB87_962
.LBB87_957:
	s_or_b64 exec, exec, s[10:11]
	s_and_saveexec_b64 s[0:1], s[58:59]
	s_cbranch_execnz .LBB87_1030
.LBB87_958:
	s_or_b64 exec, exec, s[0:1]
	s_and_saveexec_b64 s[0:1], s[18:19]
	s_xor_b64 s[0:1], exec, s[0:1]
	s_cbranch_execz .LBB87_1031
.LBB87_959:
	v_cmp_ne_u64_e32 vcc, 0, v[1:2]
	v_cndmask_b32_e64 v0, 0, 1, vcc
	s_waitcnt vmcnt(0)
	global_store_byte v[3:4], v0, off
	s_or_b64 exec, exec, s[0:1]
	s_and_saveexec_b64 s[0:1], s[16:17]
	s_xor_b64 s[0:1], exec, s[0:1]
	s_cbranch_execz .LBB87_1069
	s_branch .LBB87_1032
.LBB87_960:
	s_mov_b64 s[12:13], 0
	s_mov_b64 s[8:9], -1
	s_mov_b64 s[0:1], s[58:59]
	s_branch .LBB87_1029
.LBB87_961:
	s_mov_b64 s[8:9], 0
.LBB87_962:
	s_and_b64 vcc, exec, s[8:9]
	s_cbranch_vccz .LBB87_967
; %bb.963:
	s_cmp_eq_u32 s18, 44
	s_mov_b64 s[0:1], -1
	s_cbranch_scc0 .LBB87_967
; %bb.964:
	v_xor_b32_e32 v5, v1, v2
	v_ffbh_i32_e32 v0, v2
	v_ashrrev_i32_e32 v5, 31, v5
	v_add_u32_e32 v0, -1, v0
	v_add_u32_e32 v5, 32, v5
	v_min_u32_e32 v0, v0, v5
	v_lshlrev_b64 v[5:6], v0, v[1:2]
	v_sub_u32_e32 v0, 32, v0
	v_min_u32_e32 v5, 1, v5
	v_or_b32_e32 v5, v6, v5
	v_cvt_f32_i32_e32 v5, v5
	s_movk_i32 s0, 0xff
	v_mov_b32_e32 v6, 0xff
	v_ldexp_f32 v0, v5, v0
	v_bfe_u32 v5, v0, 23, 8
	v_cmp_ne_u32_e32 vcc, s0, v5
	s_and_saveexec_b64 s[8:9], vcc
; %bb.965:
	s_mov_b32 s0, 0x3fffff
	v_lshrrev_b32_e32 v6, 23, v0
	v_and_b32_e32 v7, 0x400000, v0
	v_and_or_b32 v0, v0, s0, v5
	v_cmp_ne_u32_e32 vcc, 0, v7
	v_cmp_ne_u32_e64 s[0:1], 0, v0
	s_and_b64 s[0:1], vcc, s[0:1]
	v_cndmask_b32_e64 v0, 0, 1, s[0:1]
	v_add_u32_e32 v6, v6, v0
; %bb.966:
	s_or_b64 exec, exec, s[8:9]
	s_mov_b64 s[0:1], 0
	global_store_byte v[3:4], v6, off
.LBB87_967:
	s_mov_b64 s[8:9], 0
.LBB87_968:
	s_and_b64 vcc, exec, s[8:9]
	s_cbranch_vccz .LBB87_971
; %bb.969:
	s_cmp_eq_u32 s18, 29
	s_mov_b64 s[0:1], -1
	s_cbranch_scc0 .LBB87_971
; %bb.970:
	global_store_dwordx2 v[3:4], v[1:2], off
	s_mov_b64 s[0:1], 0
.LBB87_971:
	s_mov_b64 s[8:9], 0
.LBB87_972:
	s_and_b64 vcc, exec, s[8:9]
	s_cbranch_vccz .LBB87_987
; %bb.973:
	s_cmp_lt_i32 s18, 27
	s_mov_b64 s[8:9], -1
	s_cbranch_scc1 .LBB87_979
; %bb.974:
	s_cmp_gt_i32 s18, 27
	s_cbranch_scc0 .LBB87_976
; %bb.975:
	s_mov_b64 s[8:9], 0
	global_store_dword v[3:4], v1, off
.LBB87_976:
	s_andn2_b64 vcc, exec, s[8:9]
	s_cbranch_vccnz .LBB87_978
; %bb.977:
	global_store_short v[3:4], v1, off
.LBB87_978:
	s_mov_b64 s[8:9], 0
.LBB87_979:
	s_andn2_b64 vcc, exec, s[8:9]
	s_cbranch_vccnz .LBB87_987
; %bb.980:
	v_xor_b32_e32 v5, v1, v2
	v_ffbh_i32_e32 v0, v2
	v_ashrrev_i32_e32 v5, 31, v5
	v_add_u32_e32 v0, -1, v0
	v_add_u32_e32 v5, 32, v5
	v_min_u32_e32 v0, v0, v5
	v_lshlrev_b64 v[5:6], v0, v[1:2]
	v_sub_u32_e32 v0, 32, v0
	v_min_u32_e32 v5, 1, v5
	v_or_b32_e32 v5, v6, v5
	v_cvt_f32_i32_e32 v5, v5
	s_mov_b32 s8, 0x43800000
	v_mov_b32_e32 v6, 0x80
	v_ldexp_f32 v0, v5, v0
	v_and_b32_e32 v5, 0x7fffffff, v0
	v_cmp_gt_u32_e32 vcc, s8, v5
	s_and_saveexec_b64 s[8:9], vcc
	s_cbranch_execz .LBB87_986
; %bb.981:
	s_mov_b32 s12, 0x3bffffff
	v_cmp_lt_u32_e32 vcc, s12, v5
	s_mov_b64 s[12:13], 0
                                        ; implicit-def: $vgpr5
	s_and_saveexec_b64 s[14:15], vcc
	s_xor_b64 s[14:15], exec, s[14:15]
	s_cbranch_execz .LBB87_1140
; %bb.982:
	v_bfe_u32 v5, v0, 20, 1
	s_mov_b32 s16, 0x487ffff
	v_add3_u32 v5, v0, v5, s16
	s_mov_b64 s[12:13], exec
	v_lshrrev_b32_e32 v5, 20, v5
	s_andn2_saveexec_b64 s[14:15], s[14:15]
	s_cbranch_execnz .LBB87_1141
.LBB87_983:
	s_or_b64 exec, exec, s[14:15]
	v_mov_b32_e32 v6, 0
	s_and_saveexec_b64 s[14:15], s[12:13]
.LBB87_984:
	v_lshrrev_b32_e32 v0, 24, v0
	s_movk_i32 s12, 0x80
	v_and_or_b32 v6, v0, s12, v5
.LBB87_985:
	s_or_b64 exec, exec, s[14:15]
.LBB87_986:
	s_or_b64 exec, exec, s[8:9]
	global_store_byte v[3:4], v6, off
.LBB87_987:
	s_mov_b64 s[12:13], 0
.LBB87_988:
	s_mov_b64 s[8:9], 0
	s_and_b64 vcc, exec, s[12:13]
	s_cbranch_vccz .LBB87_1028
; %bb.989:
	s_cmp_gt_i32 s18, 22
	s_mov_b64 s[12:13], -1
	s_cbranch_scc0 .LBB87_1021
; %bb.990:
	s_cmp_lt_i32 s18, 24
	s_cbranch_scc1 .LBB87_1010
; %bb.991:
	s_cmp_gt_i32 s18, 24
	s_cbranch_scc0 .LBB87_999
; %bb.992:
	v_xor_b32_e32 v5, v1, v2
	v_ffbh_i32_e32 v0, v2
	v_ashrrev_i32_e32 v5, 31, v5
	v_add_u32_e32 v0, -1, v0
	v_add_u32_e32 v5, 32, v5
	v_min_u32_e32 v0, v0, v5
	v_lshlrev_b64 v[5:6], v0, v[1:2]
	v_sub_u32_e32 v0, 32, v0
	v_min_u32_e32 v5, 1, v5
	v_or_b32_e32 v5, v6, v5
	v_cvt_f32_i32_e32 v5, v5
	s_mov_b32 s12, 0x47800000
	v_mov_b32_e32 v6, 0x80
	v_ldexp_f32 v0, v5, v0
	v_and_b32_e32 v5, 0x7fffffff, v0
	v_cmp_gt_u32_e32 vcc, s12, v5
	s_and_saveexec_b64 s[12:13], vcc
	s_cbranch_execz .LBB87_998
; %bb.993:
	s_mov_b32 s14, 0x37ffffff
	v_cmp_lt_u32_e32 vcc, s14, v5
	s_mov_b64 s[14:15], 0
                                        ; implicit-def: $vgpr5
	s_and_saveexec_b64 s[16:17], vcc
	s_xor_b64 s[16:17], exec, s[16:17]
	s_cbranch_execz .LBB87_1260
; %bb.994:
	v_bfe_u32 v5, v0, 21, 1
	s_mov_b32 s19, 0x88fffff
	v_add3_u32 v5, v0, v5, s19
	s_mov_b64 s[14:15], exec
	v_lshrrev_b32_e32 v5, 21, v5
	s_andn2_saveexec_b64 s[16:17], s[16:17]
	s_cbranch_execnz .LBB87_1261
.LBB87_995:
	s_or_b64 exec, exec, s[16:17]
	v_mov_b32_e32 v6, 0
	s_and_saveexec_b64 s[16:17], s[14:15]
.LBB87_996:
	v_lshrrev_b32_e32 v0, 24, v0
	s_movk_i32 s14, 0x80
	v_and_or_b32 v6, v0, s14, v5
.LBB87_997:
	s_or_b64 exec, exec, s[16:17]
.LBB87_998:
	s_or_b64 exec, exec, s[12:13]
	s_mov_b64 s[12:13], 0
	global_store_byte v[3:4], v6, off
.LBB87_999:
	s_and_b64 vcc, exec, s[12:13]
	s_cbranch_vccz .LBB87_1009
; %bb.1000:
	v_xor_b32_e32 v5, v1, v2
	v_ffbh_i32_e32 v0, v2
	v_ashrrev_i32_e32 v5, 31, v5
	v_add_u32_e32 v0, -1, v0
	v_add_u32_e32 v5, 32, v5
	v_min_u32_e32 v0, v0, v5
	v_lshlrev_b64 v[5:6], v0, v[1:2]
	v_sub_u32_e32 v0, 32, v0
	v_min_u32_e32 v5, 1, v5
	v_or_b32_e32 v5, v6, v5
	v_cvt_f32_i32_e32 v5, v5
	s_mov_b32 s12, 0x43f00000
	v_ldexp_f32 v0, v5, v0
	v_and_b32_e32 v6, 0x7fffffff, v0
	v_cmp_gt_u32_e32 vcc, s12, v6
                                        ; implicit-def: $vgpr5
	s_and_saveexec_b64 s[12:13], vcc
	s_xor_b64 s[12:13], exec, s[12:13]
	s_cbranch_execz .LBB87_1006
; %bb.1001:
	s_mov_b32 s14, 0x3c7fffff
	v_cmp_lt_u32_e32 vcc, s14, v6
                                        ; implicit-def: $vgpr5
	s_and_saveexec_b64 s[14:15], vcc
	s_xor_b64 s[14:15], exec, s[14:15]
; %bb.1002:
	v_bfe_u32 v5, v0, 20, 1
	s_mov_b32 s16, 0x407ffff
	v_add3_u32 v5, v0, v5, s16
	v_lshrrev_b32_e32 v6, 20, v5
	v_and_b32_e32 v5, 0xff00000, v5
	s_mov_b32 s16, 0x7f00000
	v_mov_b32_e32 v7, 0x7e
	v_cmp_ne_u32_e32 vcc, s16, v5
	v_cndmask_b32_e32 v5, v7, v6, vcc
; %bb.1003:
	s_andn2_saveexec_b64 s[14:15], s[14:15]
; %bb.1004:
	s_mov_b32 s16, 0x46800000
	v_add_f32_e64 v5, |v0|, s16
; %bb.1005:
	s_or_b64 exec, exec, s[14:15]
                                        ; implicit-def: $vgpr6
.LBB87_1006:
	s_andn2_saveexec_b64 s[12:13], s[12:13]
; %bb.1007:
	s_mov_b32 s14, 0x7f800000
	v_mov_b32_e32 v5, 0x7e
	v_mov_b32_e32 v7, 0x7f
	v_cmp_lt_u32_e32 vcc, s14, v6
	v_cndmask_b32_e32 v5, v5, v7, vcc
; %bb.1008:
	s_or_b64 exec, exec, s[12:13]
	v_lshrrev_b32_e32 v0, 24, v0
	s_movk_i32 s12, 0x80
	v_and_or_b32 v0, v0, s12, v5
	global_store_byte v[3:4], v0, off
.LBB87_1009:
	s_mov_b64 s[12:13], 0
.LBB87_1010:
	s_andn2_b64 vcc, exec, s[12:13]
	s_cbranch_vccnz .LBB87_1020
; %bb.1011:
	v_xor_b32_e32 v5, v1, v2
	v_ffbh_i32_e32 v0, v2
	v_ashrrev_i32_e32 v5, 31, v5
	v_add_u32_e32 v0, -1, v0
	v_add_u32_e32 v5, 32, v5
	v_min_u32_e32 v0, v0, v5
	v_lshlrev_b64 v[5:6], v0, v[1:2]
	v_sub_u32_e32 v0, 32, v0
	v_min_u32_e32 v5, 1, v5
	v_or_b32_e32 v5, v6, v5
	v_cvt_f32_i32_e32 v5, v5
	s_mov_b32 s12, 0x47800000
	v_ldexp_f32 v0, v5, v0
	v_and_b32_e32 v6, 0x7fffffff, v0
	v_cmp_gt_u32_e32 vcc, s12, v6
                                        ; implicit-def: $vgpr5
	s_and_saveexec_b64 s[12:13], vcc
	s_xor_b64 s[12:13], exec, s[12:13]
	s_cbranch_execz .LBB87_1017
; %bb.1012:
	s_mov_b32 s14, 0x387fffff
	v_cmp_lt_u32_e32 vcc, s14, v6
                                        ; implicit-def: $vgpr5
	s_and_saveexec_b64 s[14:15], vcc
	s_xor_b64 s[14:15], exec, s[14:15]
; %bb.1013:
	v_bfe_u32 v5, v0, 21, 1
	s_mov_b32 s16, 0x80fffff
	v_add3_u32 v5, v0, v5, s16
	v_lshrrev_b32_e32 v5, 21, v5
; %bb.1014:
	s_andn2_saveexec_b64 s[14:15], s[14:15]
; %bb.1015:
	s_mov_b32 s16, 0x43000000
	v_add_f32_e64 v5, |v0|, s16
; %bb.1016:
	s_or_b64 exec, exec, s[14:15]
                                        ; implicit-def: $vgpr6
.LBB87_1017:
	s_andn2_saveexec_b64 s[12:13], s[12:13]
; %bb.1018:
	s_mov_b32 s14, 0x7f800000
	v_mov_b32_e32 v5, 0x7c
	v_mov_b32_e32 v7, 0x7f
	v_cmp_lt_u32_e32 vcc, s14, v6
	v_cndmask_b32_e32 v5, v5, v7, vcc
; %bb.1019:
	s_or_b64 exec, exec, s[12:13]
	v_lshrrev_b32_e32 v0, 24, v0
	s_movk_i32 s12, 0x80
	v_and_or_b32 v0, v0, s12, v5
	global_store_byte v[3:4], v0, off
.LBB87_1020:
	s_mov_b64 s[12:13], 0
.LBB87_1021:
	s_andn2_b64 vcc, exec, s[12:13]
	s_mov_b64 s[12:13], 0
	s_cbranch_vccnz .LBB87_1029
; %bb.1022:
	s_cmp_gt_i32 s18, 14
	s_mov_b64 s[14:15], -1
	s_cbranch_scc0 .LBB87_1026
; %bb.1023:
	s_cmp_eq_u32 s18, 15
	s_mov_b64 s[0:1], -1
	s_cbranch_scc0 .LBB87_1025
; %bb.1024:
	v_xor_b32_e32 v5, v1, v2
	v_ffbh_i32_e32 v0, v2
	v_ashrrev_i32_e32 v5, 31, v5
	v_add_u32_e32 v0, -1, v0
	v_add_u32_e32 v5, 32, v5
	v_min_u32_e32 v0, v0, v5
	v_lshlrev_b64 v[5:6], v0, v[1:2]
	v_sub_u32_e32 v0, 32, v0
	v_min_u32_e32 v5, 1, v5
	v_or_b32_e32 v5, v6, v5
	v_cvt_f32_i32_e32 v5, v5
	s_movk_i32 s0, 0x7fff
	v_ldexp_f32 v0, v5, v0
	v_bfe_u32 v5, v0, 16, 1
	v_add3_u32 v0, v0, v5, s0
	global_store_short_d16_hi v[3:4], v0, off
	s_mov_b64 s[0:1], 0
.LBB87_1025:
	s_mov_b64 s[14:15], 0
.LBB87_1026:
	s_and_b64 vcc, exec, s[14:15]
	s_cbranch_vccz .LBB87_1029
; %bb.1027:
	s_cmp_lg_u32 s18, 11
	s_cselect_b64 s[14:15], -1, 0
	s_andn2_b64 s[0:1], s[0:1], exec
	s_and_b64 s[14:15], s[14:15], exec
	s_mov_b64 s[12:13], -1
	s_or_b64 s[0:1], s[0:1], s[14:15]
	s_branch .LBB87_1029
.LBB87_1028:
	s_mov_b64 s[12:13], 0
.LBB87_1029:
	s_and_b64 s[16:17], s[8:9], exec
	s_andn2_b64 s[8:9], s[58:59], exec
	s_and_b64 s[0:1], s[0:1], exec
	s_and_b64 s[18:19], s[12:13], exec
	s_or_b64 s[58:59], s[8:9], s[0:1]
	s_or_b64 exec, exec, s[10:11]
	s_and_saveexec_b64 s[0:1], s[58:59]
	s_cbranch_execz .LBB87_958
.LBB87_1030:
	s_or_b64 s[2:3], s[2:3], exec
	s_andn2_b64 s[18:19], s[18:19], exec
	s_trap 2
	s_or_b64 exec, exec, s[0:1]
	s_and_saveexec_b64 s[0:1], s[18:19]
	s_xor_b64 s[0:1], exec, s[0:1]
	s_cbranch_execnz .LBB87_959
.LBB87_1031:
	s_or_b64 exec, exec, s[0:1]
	s_and_saveexec_b64 s[0:1], s[16:17]
	s_xor_b64 s[0:1], exec, s[0:1]
	s_cbranch_execz .LBB87_1069
.LBB87_1032:
	s_sext_i32_i16 s10, s20
	s_cmp_lt_i32 s10, 5
	s_mov_b64 s[8:9], -1
	s_cbranch_scc1 .LBB87_1053
; %bb.1033:
	s_cmp_lt_i32 s10, 8
	s_cbranch_scc1 .LBB87_1043
; %bb.1034:
	s_cmp_lt_i32 s10, 9
	s_cbranch_scc1 .LBB87_1040
; %bb.1035:
	s_cmp_gt_i32 s10, 9
	s_cbranch_scc0 .LBB87_1037
; %bb.1036:
	s_waitcnt vmcnt(0)
	v_cvt_f64_i32_e32 v[5:6], v2
	v_cvt_f64_u32_e32 v[7:8], v1
	s_mov_b64 s[8:9], 0
	v_ldexp_f64 v[5:6], v[5:6], 32
	v_add_f64 v[5:6], v[5:6], v[7:8]
	v_mov_b32_e32 v7, 0
	v_mov_b32_e32 v8, v7
	global_store_dwordx4 v[3:4], v[5:8], off
.LBB87_1037:
	s_andn2_b64 vcc, exec, s[8:9]
	s_cbranch_vccnz .LBB87_1039
; %bb.1038:
	s_waitcnt vmcnt(0)
	v_xor_b32_e32 v5, v1, v2
	v_ffbh_i32_e32 v0, v2
	v_ashrrev_i32_e32 v5, 31, v5
	v_add_u32_e32 v0, -1, v0
	v_add_u32_e32 v5, 32, v5
	v_min_u32_e32 v0, v0, v5
	v_lshlrev_b64 v[5:6], v0, v[1:2]
	v_sub_u32_e32 v0, 32, v0
	v_min_u32_e32 v5, 1, v5
	v_or_b32_e32 v5, v6, v5
	v_cvt_f32_i32_e32 v5, v5
	v_mov_b32_e32 v6, 0
	v_ldexp_f32 v5, v5, v0
	global_store_dwordx2 v[3:4], v[5:6], off
.LBB87_1039:
	s_mov_b64 s[8:9], 0
.LBB87_1040:
	s_andn2_b64 vcc, exec, s[8:9]
	s_cbranch_vccnz .LBB87_1042
; %bb.1041:
	s_waitcnt vmcnt(0)
	v_xor_b32_e32 v5, v1, v2
	v_ffbh_i32_e32 v0, v2
	v_ashrrev_i32_e32 v5, 31, v5
	v_add_u32_e32 v0, -1, v0
	v_add_u32_e32 v5, 32, v5
	v_min_u32_e32 v0, v0, v5
	v_lshlrev_b64 v[5:6], v0, v[1:2]
	v_sub_u32_e32 v0, 32, v0
	v_min_u32_e32 v5, 1, v5
	v_or_b32_e32 v5, v6, v5
	v_cvt_f32_i32_e32 v5, v5
	v_ldexp_f32 v0, v5, v0
	v_cvt_f16_f32_e32 v0, v0
	global_store_dword v[3:4], v0, off
.LBB87_1042:
	s_mov_b64 s[8:9], 0
.LBB87_1043:
	s_andn2_b64 vcc, exec, s[8:9]
	s_cbranch_vccnz .LBB87_1052
; %bb.1044:
	s_sext_i32_i16 s10, s20
	s_cmp_lt_i32 s10, 6
	s_mov_b64 s[8:9], -1
	s_cbranch_scc1 .LBB87_1050
; %bb.1045:
	s_cmp_gt_i32 s10, 6
	s_cbranch_scc0 .LBB87_1047
; %bb.1046:
	s_waitcnt vmcnt(0)
	v_cvt_f64_i32_e32 v[5:6], v2
	v_cvt_f64_u32_e32 v[7:8], v1
	s_mov_b64 s[8:9], 0
	v_ldexp_f64 v[5:6], v[5:6], 32
	v_add_f64 v[5:6], v[5:6], v[7:8]
	global_store_dwordx2 v[3:4], v[5:6], off
.LBB87_1047:
	s_andn2_b64 vcc, exec, s[8:9]
	s_cbranch_vccnz .LBB87_1049
; %bb.1048:
	s_waitcnt vmcnt(0)
	v_xor_b32_e32 v5, v1, v2
	v_ffbh_i32_e32 v0, v2
	v_ashrrev_i32_e32 v5, 31, v5
	v_add_u32_e32 v0, -1, v0
	v_add_u32_e32 v5, 32, v5
	v_min_u32_e32 v0, v0, v5
	v_lshlrev_b64 v[5:6], v0, v[1:2]
	v_sub_u32_e32 v0, 32, v0
	v_min_u32_e32 v5, 1, v5
	v_or_b32_e32 v5, v6, v5
	v_cvt_f32_i32_e32 v5, v5
	v_ldexp_f32 v0, v5, v0
	global_store_dword v[3:4], v0, off
.LBB87_1049:
	s_mov_b64 s[8:9], 0
.LBB87_1050:
	s_andn2_b64 vcc, exec, s[8:9]
	s_cbranch_vccnz .LBB87_1052
; %bb.1051:
	s_waitcnt vmcnt(0)
	v_xor_b32_e32 v5, v1, v2
	v_ffbh_i32_e32 v0, v2
	v_ashrrev_i32_e32 v5, 31, v5
	v_add_u32_e32 v0, -1, v0
	v_add_u32_e32 v5, 32, v5
	v_min_u32_e32 v0, v0, v5
	v_lshlrev_b64 v[5:6], v0, v[1:2]
	v_sub_u32_e32 v0, 32, v0
	v_min_u32_e32 v5, 1, v5
	v_or_b32_e32 v5, v6, v5
	v_cvt_f32_i32_e32 v5, v5
	v_ldexp_f32 v0, v5, v0
	v_cvt_f16_f32_e32 v0, v0
	global_store_short v[3:4], v0, off
.LBB87_1052:
	s_mov_b64 s[8:9], 0
.LBB87_1053:
	s_andn2_b64 vcc, exec, s[8:9]
	s_cbranch_vccnz .LBB87_1069
; %bb.1054:
	s_sext_i32_i16 s10, s20
	s_cmp_lt_i32 s10, 2
	s_mov_b64 s[8:9], -1
	s_cbranch_scc1 .LBB87_1064
; %bb.1055:
	s_cmp_lt_i32 s10, 3
	s_cbranch_scc1 .LBB87_1061
; %bb.1056:
	s_cmp_gt_i32 s10, 3
	s_cbranch_scc0 .LBB87_1058
; %bb.1057:
	s_mov_b64 s[8:9], 0
	s_waitcnt vmcnt(0)
	global_store_dwordx2 v[3:4], v[1:2], off
.LBB87_1058:
	s_andn2_b64 vcc, exec, s[8:9]
	s_cbranch_vccnz .LBB87_1060
; %bb.1059:
	s_waitcnt vmcnt(0)
	global_store_dword v[3:4], v1, off
.LBB87_1060:
	s_mov_b64 s[8:9], 0
.LBB87_1061:
	s_andn2_b64 vcc, exec, s[8:9]
	s_cbranch_vccnz .LBB87_1063
; %bb.1062:
	s_waitcnt vmcnt(0)
	global_store_short v[3:4], v1, off
.LBB87_1063:
	s_mov_b64 s[8:9], 0
.LBB87_1064:
	s_andn2_b64 vcc, exec, s[8:9]
	s_cbranch_vccnz .LBB87_1069
; %bb.1065:
	s_sext_i32_i16 s8, s20
	s_cmp_gt_i32 s8, 0
	s_mov_b64 s[8:9], -1
	s_cbranch_scc0 .LBB87_1067
; %bb.1066:
	s_mov_b64 s[8:9], 0
	s_waitcnt vmcnt(0)
	global_store_byte v[3:4], v1, off
.LBB87_1067:
	s_andn2_b64 vcc, exec, s[8:9]
	s_cbranch_vccnz .LBB87_1069
; %bb.1068:
	s_waitcnt vmcnt(0)
	global_store_byte v[3:4], v1, off
.LBB87_1069:
	s_or_b64 exec, exec, s[0:1]
	s_and_b64 s[28:29], s[2:3], exec
                                        ; implicit-def: $vgpr15
                                        ; implicit-def: $vgpr11
.LBB87_1070:
	s_or_saveexec_b64 s[30:31], s[46:47]
	s_mov_b64 s[0:1], 0
                                        ; implicit-def: $vgpr0_vgpr1
                                        ; implicit-def: $sgpr20
                                        ; implicit-def: $vgpr2_vgpr3
	s_xor_b64 exec, exec, s[30:31]
	s_cbranch_execz .LBB87_2057
; %bb.1071:
	v_cndmask_b32_e64 v0, 0, 1, s[44:45]
	v_cmp_ne_u32_e64 s[0:1], 1, v0
	s_andn2_b64 vcc, exec, s[44:45]
	s_cbranch_vccnz .LBB87_1077
; %bb.1072:
	s_cmp_lg_u32 s33, 0
	s_mov_b32 s36, 0
	s_cbranch_scc0 .LBB87_1078
; %bb.1073:
	s_min_u32 s37, s78, 15
	s_add_i32 s37, s37, 1
	s_cmp_eq_u32 s78, 2
	s_cbranch_scc1 .LBB87_1079
; %bb.1074:
	s_and_b32 s36, s37, 28
	s_add_u32 s2, s34, 0xc4
	s_addc_u32 s3, s35, 0
	v_mov_b32_e32 v8, 0
	s_mov_b32 s38, 0
	s_mov_b64 s[6:7], s[34:35]
	s_waitcnt vmcnt(0)
	v_mov_b32_e32 v6, 0
	v_mov_b32_e32 v0, v11
.LBB87_1075:                            ; =>This Inner Loop Header: Depth=1
	s_load_dwordx8 s[16:23], s[6:7], 0x4
	s_load_dwordx4 s[24:27], s[6:7], 0x24
	s_load_dwordx8 s[8:15], s[2:3], 0x0
	s_add_u32 s6, s6, 48
	s_addc_u32 s7, s7, 0
	s_waitcnt lgkmcnt(0)
	v_mul_hi_u32 v1, s17, v0
	s_add_i32 s38, s38, 4
	s_add_u32 s2, s2, 32
	s_addc_u32 s3, s3, 0
	v_add_u32_e32 v1, v0, v1
	v_lshrrev_b32_e32 v1, s18, v1
	v_mul_lo_u32 v2, v1, s16
	v_mul_hi_u32 v3, s20, v1
	s_cmp_lg_u32 s36, s38
	v_sub_u32_e32 v0, v0, v2
	v_add_u32_e32 v2, v1, v3
	v_mul_lo_u32 v3, v0, s8
	v_mul_lo_u32 v4, v0, s9
	v_lshrrev_b32_e32 v0, s21, v2
	v_mul_lo_u32 v2, v0, s19
	v_mul_hi_u32 v5, s23, v0
	v_sub_u32_e32 v1, v1, v2
	v_add_u32_e32 v2, v0, v5
	v_lshrrev_b32_e32 v2, s24, v2
	v_mul_hi_u32 v7, s26, v2
	v_mul_lo_u32 v9, v2, s22
	v_mul_lo_u32 v5, v1, s10
	;; [unrolled: 1-line block ×3, first 2 shown]
	v_sub_u32_e32 v9, v0, v9
	v_add_u32_e32 v0, v2, v7
	v_lshrrev_b32_e32 v0, s27, v0
	v_mul_lo_u32 v7, v0, s25
	v_mul_lo_u32 v10, v9, s12
	;; [unrolled: 1-line block ×3, first 2 shown]
	v_add3_u32 v3, v3, v6, v5
	v_sub_u32_e32 v2, v2, v7
	v_mul_lo_u32 v7, v2, s14
	v_mul_lo_u32 v2, v2, s15
	v_add3_u32 v1, v4, v8, v1
	v_add3_u32 v6, v10, v3, v7
	;; [unrolled: 1-line block ×3, first 2 shown]
	s_cbranch_scc1 .LBB87_1075
; %bb.1076:
	s_and_b32 s8, s37, 3
	s_cmp_eq_u32 s8, 0
	s_cbranch_scc0 .LBB87_1080
	s_branch .LBB87_1082
.LBB87_1077:
                                        ; implicit-def: $vgpr6
                                        ; implicit-def: $vgpr8
	s_branch .LBB87_1083
.LBB87_1078:
	s_waitcnt vmcnt(0)
	v_mov_b32_e32 v6, 0
	v_mov_b32_e32 v8, 0
	s_branch .LBB87_1082
.LBB87_1079:
	s_waitcnt vmcnt(0)
	v_mov_b32_e32 v6, 0
	v_mov_b32_e32 v8, 0
	;; [unrolled: 1-line block ×3, first 2 shown]
	s_and_b32 s8, s37, 3
	s_cmp_eq_u32 s8, 0
	s_cbranch_scc1 .LBB87_1082
.LBB87_1080:
	s_lshl_b32 s2, s36, 3
	s_add_u32 s2, s34, s2
	s_addc_u32 s3, s35, 0
	s_add_u32 s2, s2, 0xc4
	s_addc_u32 s3, s3, 0
	s_mul_i32 s6, s36, 12
	s_add_u32 s6, s34, s6
	s_addc_u32 s7, s35, 0
.LBB87_1081:                            ; =>This Inner Loop Header: Depth=1
	s_load_dwordx2 s[10:11], s[6:7], 0x4
	s_load_dword s9, s[6:7], 0xc
	s_load_dwordx2 s[12:13], s[2:3], 0x0
	s_add_u32 s6, s6, 12
	s_addc_u32 s7, s7, 0
	s_waitcnt lgkmcnt(0)
	v_mul_hi_u32 v1, s11, v0
	s_add_u32 s2, s2, 8
	s_addc_u32 s3, s3, 0
	s_add_i32 s8, s8, -1
	v_add_u32_e32 v1, v0, v1
	v_lshrrev_b32_e32 v1, s9, v1
	v_mul_lo_u32 v2, v1, s10
	s_cmp_lg_u32 s8, 0
	v_sub_u32_e32 v0, v0, v2
	v_mad_u64_u32 v[6:7], s[10:11], v0, s12, v[6:7]
	v_mad_u64_u32 v[8:9], s[10:11], v0, s13, v[8:9]
	v_mov_b32_e32 v0, v1
	s_cbranch_scc1 .LBB87_1081
.LBB87_1082:
	s_cbranch_execnz .LBB87_1085
.LBB87_1083:
	s_load_dwordx4 s[8:11], s[34:35], 0x4
	s_load_dwordx2 s[2:3], s[34:35], 0xc4
	s_cmp_lt_u32 s33, 2
	s_waitcnt lgkmcnt(0)
	v_mul_hi_u32 v0, s9, v11
	v_add_u32_e32 v0, v11, v0
	v_lshrrev_b32_e32 v0, s10, v0
	v_mul_lo_u32 v1, v0, s8
	v_sub_u32_e32 v1, v11, v1
	s_waitcnt vmcnt(0)
	v_mul_lo_u32 v6, v1, s2
	v_mul_lo_u32 v8, v1, s3
	s_cbranch_scc1 .LBB87_1085
; %bb.1084:
	s_load_dwordx4 s[8:11], s[34:35], 0x10
	s_load_dwordx2 s[2:3], s[34:35], 0xcc
	s_waitcnt lgkmcnt(0)
	v_mul_hi_u32 v1, s9, v0
	v_add_u32_e32 v1, v0, v1
	v_lshrrev_b32_e32 v1, s10, v1
	v_mul_lo_u32 v1, v1, s8
	v_sub_u32_e32 v0, v0, v1
	v_mad_u64_u32 v[6:7], s[6:7], v0, s2, v[6:7]
	v_mad_u64_u32 v[8:9], s[2:3], v0, s3, v[8:9]
.LBB87_1085:
	s_and_b64 vcc, exec, s[0:1]
	v_add_u32_e32 v0, 0x80, v11
	s_cbranch_vccnz .LBB87_1091
; %bb.1086:
	s_cmp_lg_u32 s33, 0
	s_mov_b32 s36, 0
	s_cbranch_scc0 .LBB87_1092
; %bb.1087:
	s_min_u32 s37, s78, 15
	s_add_i32 s37, s37, 1
	s_cmp_eq_u32 s78, 2
	s_cbranch_scc1 .LBB87_1093
; %bb.1088:
	s_and_b32 s36, s37, 28
	s_add_u32 s2, s34, 0xc4
	s_addc_u32 s3, s35, 0
	v_mov_b32_e32 v9, 0
	s_mov_b32 s38, 0
	s_mov_b64 s[6:7], s[34:35]
	s_waitcnt vmcnt(0)
	v_mov_b32_e32 v4, 0
	v_mov_b32_e32 v1, v0
.LBB87_1089:                            ; =>This Inner Loop Header: Depth=1
	s_load_dwordx8 s[16:23], s[6:7], 0x4
	s_load_dwordx4 s[24:27], s[6:7], 0x24
	s_load_dwordx8 s[8:15], s[2:3], 0x0
	s_add_u32 s6, s6, 48
	s_addc_u32 s7, s7, 0
	s_waitcnt lgkmcnt(0)
	v_mul_hi_u32 v2, s17, v1
	s_add_i32 s38, s38, 4
	s_add_u32 s2, s2, 32
	s_addc_u32 s3, s3, 0
	v_add_u32_e32 v2, v1, v2
	v_lshrrev_b32_e32 v2, s18, v2
	v_mul_lo_u32 v3, v2, s16
	v_mul_hi_u32 v5, s20, v2
	s_cmp_lg_u32 s36, s38
	v_sub_u32_e32 v1, v1, v3
	v_add_u32_e32 v3, v2, v5
	v_mul_lo_u32 v5, v1, s8
	v_mul_lo_u32 v7, v1, s9
	v_lshrrev_b32_e32 v1, s21, v3
	v_mul_lo_u32 v3, v1, s19
	v_mul_hi_u32 v10, s23, v1
	v_sub_u32_e32 v2, v2, v3
	v_add_u32_e32 v3, v1, v10
	v_lshrrev_b32_e32 v3, s24, v3
	v_mul_hi_u32 v12, s26, v3
	v_mul_lo_u32 v13, v3, s22
	v_mul_lo_u32 v10, v2, s10
	;; [unrolled: 1-line block ×3, first 2 shown]
	v_sub_u32_e32 v13, v1, v13
	v_add_u32_e32 v1, v3, v12
	v_lshrrev_b32_e32 v1, s27, v1
	v_mul_lo_u32 v12, v1, s25
	v_mul_lo_u32 v14, v13, s12
	;; [unrolled: 1-line block ×3, first 2 shown]
	v_add3_u32 v4, v5, v4, v10
	v_sub_u32_e32 v3, v3, v12
	v_mul_lo_u32 v12, v3, s14
	v_mul_lo_u32 v3, v3, s15
	v_add3_u32 v2, v7, v9, v2
	v_add3_u32 v4, v14, v4, v12
	;; [unrolled: 1-line block ×3, first 2 shown]
	s_cbranch_scc1 .LBB87_1089
; %bb.1090:
	s_and_b32 s8, s37, 3
	s_cmp_eq_u32 s8, 0
	s_cbranch_scc0 .LBB87_1094
	s_branch .LBB87_1096
.LBB87_1091:
                                        ; implicit-def: $vgpr4
                                        ; implicit-def: $vgpr9
	s_branch .LBB87_1097
.LBB87_1092:
	s_waitcnt vmcnt(0)
	v_mov_b32_e32 v4, 0
	v_mov_b32_e32 v9, 0
	s_branch .LBB87_1096
.LBB87_1093:
	s_waitcnt vmcnt(0)
	v_mov_b32_e32 v4, 0
	v_mov_b32_e32 v9, 0
	;; [unrolled: 1-line block ×3, first 2 shown]
	s_and_b32 s8, s37, 3
	s_cmp_eq_u32 s8, 0
	s_cbranch_scc1 .LBB87_1096
.LBB87_1094:
	s_lshl_b32 s2, s36, 3
	s_add_u32 s2, s34, s2
	s_addc_u32 s3, s35, 0
	s_add_u32 s2, s2, 0xc4
	s_addc_u32 s3, s3, 0
	s_mul_i32 s6, s36, 12
	s_add_u32 s6, s34, s6
	s_addc_u32 s7, s35, 0
.LBB87_1095:                            ; =>This Inner Loop Header: Depth=1
	s_load_dwordx2 s[10:11], s[6:7], 0x4
	s_load_dword s9, s[6:7], 0xc
	s_load_dwordx2 s[12:13], s[2:3], 0x0
	s_add_u32 s6, s6, 12
	s_addc_u32 s7, s7, 0
	s_waitcnt lgkmcnt(0)
	v_mul_hi_u32 v2, s11, v1
	s_add_u32 s2, s2, 8
	s_addc_u32 s3, s3, 0
	s_add_i32 s8, s8, -1
	v_add_u32_e32 v2, v1, v2
	v_lshrrev_b32_e32 v2, s9, v2
	v_mul_lo_u32 v3, v2, s10
	s_cmp_lg_u32 s8, 0
	v_sub_u32_e32 v1, v1, v3
	v_mad_u64_u32 v[4:5], s[10:11], v1, s12, v[4:5]
	v_mad_u64_u32 v[9:10], s[10:11], v1, s13, v[9:10]
	v_mov_b32_e32 v1, v2
	s_cbranch_scc1 .LBB87_1095
.LBB87_1096:
	s_cbranch_execnz .LBB87_1099
.LBB87_1097:
	s_load_dwordx4 s[8:11], s[34:35], 0x4
	s_load_dwordx2 s[2:3], s[34:35], 0xc4
	s_cmp_lt_u32 s33, 2
	s_waitcnt lgkmcnt(0)
	v_mul_hi_u32 v1, s9, v0
	v_add_u32_e32 v1, v0, v1
	v_lshrrev_b32_e32 v1, s10, v1
	v_mul_lo_u32 v2, v1, s8
	v_sub_u32_e32 v0, v0, v2
	s_waitcnt vmcnt(0)
	v_mul_lo_u32 v4, v0, s2
	v_mul_lo_u32 v9, v0, s3
	s_cbranch_scc1 .LBB87_1099
; %bb.1098:
	s_load_dwordx4 s[8:11], s[34:35], 0x10
	s_load_dwordx2 s[2:3], s[34:35], 0xcc
	s_waitcnt lgkmcnt(0)
	v_mul_hi_u32 v0, s9, v1
	v_add_u32_e32 v0, v1, v0
	v_lshrrev_b32_e32 v0, s10, v0
	v_mul_lo_u32 v0, v0, s8
	v_sub_u32_e32 v0, v1, v0
	v_mad_u64_u32 v[4:5], s[6:7], v0, s2, v[4:5]
	v_mad_u64_u32 v[9:10], s[2:3], v0, s3, v[9:10]
.LBB87_1099:
	s_and_b64 vcc, exec, s[0:1]
	v_add_u32_e32 v0, 0x100, v11
	s_cbranch_vccnz .LBB87_1105
; %bb.1100:
	s_cmp_lg_u32 s33, 0
	s_mov_b32 s36, 0
	s_cbranch_scc0 .LBB87_1106
; %bb.1101:
	s_min_u32 s37, s78, 15
	s_add_i32 s37, s37, 1
	s_cmp_eq_u32 s78, 2
	s_cbranch_scc1 .LBB87_1107
; %bb.1102:
	s_and_b32 s36, s37, 28
	s_add_u32 s2, s34, 0xc4
	s_addc_u32 s3, s35, 0
	v_mov_b32_e32 v11, 0
	s_mov_b32 s38, 0
	s_mov_b64 s[6:7], s[34:35]
	v_mov_b32_e32 v2, 0
	v_mov_b32_e32 v1, v0
.LBB87_1103:                            ; =>This Inner Loop Header: Depth=1
	s_load_dwordx8 s[16:23], s[6:7], 0x4
	s_load_dwordx4 s[24:27], s[6:7], 0x24
	s_load_dwordx8 s[8:15], s[2:3], 0x0
	s_add_u32 s6, s6, 48
	s_addc_u32 s7, s7, 0
	s_waitcnt vmcnt(0) lgkmcnt(0)
	v_mul_hi_u32 v3, s17, v1
	s_add_i32 s38, s38, 4
	s_add_u32 s2, s2, 32
	s_addc_u32 s3, s3, 0
	v_add_u32_e32 v3, v1, v3
	v_lshrrev_b32_e32 v3, s18, v3
	v_mul_lo_u32 v5, v3, s16
	v_mul_hi_u32 v7, s20, v3
	s_cmp_lg_u32 s36, s38
	v_sub_u32_e32 v1, v1, v5
	v_add_u32_e32 v5, v3, v7
	v_mul_lo_u32 v7, v1, s8
	v_mul_lo_u32 v10, v1, s9
	v_lshrrev_b32_e32 v1, s21, v5
	v_mul_lo_u32 v5, v1, s19
	v_mul_hi_u32 v12, s23, v1
	v_sub_u32_e32 v3, v3, v5
	v_add_u32_e32 v5, v1, v12
	v_lshrrev_b32_e32 v5, s24, v5
	v_mul_hi_u32 v13, s26, v5
	v_mul_lo_u32 v14, v5, s22
	v_mul_lo_u32 v12, v3, s10
	;; [unrolled: 1-line block ×3, first 2 shown]
	v_sub_u32_e32 v14, v1, v14
	v_add_u32_e32 v1, v5, v13
	v_lshrrev_b32_e32 v1, s27, v1
	v_mul_lo_u32 v13, v1, s25
	v_mul_lo_u32 v16, v14, s12
	;; [unrolled: 1-line block ×3, first 2 shown]
	v_add3_u32 v2, v7, v2, v12
	v_sub_u32_e32 v5, v5, v13
	v_mul_lo_u32 v13, v5, s14
	v_mul_lo_u32 v5, v5, s15
	v_add3_u32 v3, v10, v11, v3
	v_add3_u32 v2, v16, v2, v13
	;; [unrolled: 1-line block ×3, first 2 shown]
	s_cbranch_scc1 .LBB87_1103
; %bb.1104:
	s_and_b32 s8, s37, 3
	s_cmp_eq_u32 s8, 0
	s_cbranch_scc0 .LBB87_1108
	s_branch .LBB87_1110
.LBB87_1105:
                                        ; implicit-def: $vgpr2
                                        ; implicit-def: $vgpr11
	s_branch .LBB87_1111
.LBB87_1106:
	v_mov_b32_e32 v2, 0
	v_mov_b32_e32 v11, 0
	s_branch .LBB87_1110
.LBB87_1107:
	v_mov_b32_e32 v2, 0
	v_mov_b32_e32 v11, 0
	;; [unrolled: 1-line block ×3, first 2 shown]
	s_and_b32 s8, s37, 3
	s_cmp_eq_u32 s8, 0
	s_cbranch_scc1 .LBB87_1110
.LBB87_1108:
	s_lshl_b32 s2, s36, 3
	s_add_u32 s2, s34, s2
	s_addc_u32 s3, s35, 0
	s_add_u32 s2, s2, 0xc4
	s_addc_u32 s3, s3, 0
	s_mul_i32 s6, s36, 12
	s_add_u32 s6, s34, s6
	s_addc_u32 s7, s35, 0
.LBB87_1109:                            ; =>This Inner Loop Header: Depth=1
	s_load_dwordx2 s[10:11], s[6:7], 0x4
	s_load_dword s9, s[6:7], 0xc
	s_load_dwordx2 s[12:13], s[2:3], 0x0
	s_add_u32 s6, s6, 12
	s_addc_u32 s7, s7, 0
	s_waitcnt vmcnt(0) lgkmcnt(0)
	v_mul_hi_u32 v3, s11, v1
	s_add_u32 s2, s2, 8
	s_addc_u32 s3, s3, 0
	s_add_i32 s8, s8, -1
	v_add_u32_e32 v3, v1, v3
	v_lshrrev_b32_e32 v5, s9, v3
	v_mul_lo_u32 v3, v5, s10
	s_cmp_lg_u32 s8, 0
	v_sub_u32_e32 v1, v1, v3
	v_mad_u64_u32 v[2:3], s[10:11], v1, s12, v[2:3]
	v_mad_u64_u32 v[11:12], s[10:11], v1, s13, v[11:12]
	v_mov_b32_e32 v1, v5
	s_cbranch_scc1 .LBB87_1109
.LBB87_1110:
	s_cbranch_execnz .LBB87_1113
.LBB87_1111:
	s_load_dwordx4 s[8:11], s[34:35], 0x4
	s_load_dwordx2 s[2:3], s[34:35], 0xc4
	s_cmp_lt_u32 s33, 2
	s_waitcnt lgkmcnt(0)
	v_mul_hi_u32 v1, s9, v0
	v_add_u32_e32 v1, v0, v1
	v_lshrrev_b32_e32 v1, s10, v1
	v_mul_lo_u32 v2, v1, s8
	v_sub_u32_e32 v0, v0, v2
	v_mul_lo_u32 v2, v0, s2
	v_mul_lo_u32 v11, v0, s3
	s_cbranch_scc1 .LBB87_1113
; %bb.1112:
	s_load_dwordx4 s[8:11], s[34:35], 0x10
	s_load_dwordx2 s[2:3], s[34:35], 0xcc
	s_waitcnt lgkmcnt(0)
	v_mul_hi_u32 v0, s9, v1
	v_add_u32_e32 v0, v1, v0
	v_lshrrev_b32_e32 v0, s10, v0
	v_mul_lo_u32 v0, v0, s8
	v_sub_u32_e32 v0, v1, v0
	s_waitcnt vmcnt(0)
	v_mad_u64_u32 v[2:3], s[6:7], v0, s2, v[2:3]
	v_mad_u64_u32 v[11:12], s[2:3], v0, s3, v[11:12]
.LBB87_1113:
	s_and_b64 vcc, exec, s[0:1]
	s_cbranch_vccnz .LBB87_1119
; %bb.1114:
	s_cmp_lg_u32 s33, 0
	s_mov_b32 s26, 0
	s_cbranch_scc0 .LBB87_1120
; %bb.1115:
	s_min_u32 s27, s78, 15
	s_add_i32 s27, s27, 1
	s_cmp_eq_u32 s78, 2
	s_cbranch_scc1 .LBB87_1121
; %bb.1116:
	s_and_b32 s26, s27, 28
	s_add_u32 s6, s34, 0xc4
	s_addc_u32 s7, s35, 0
	v_mov_b32_e32 v13, 0
	s_mov_b32 s36, 0
	s_mov_b64 s[24:25], s[34:35]
	v_mov_b32_e32 v0, 0
	v_mov_b32_e32 v1, v15
.LBB87_1117:                            ; =>This Inner Loop Header: Depth=1
	s_load_dwordx8 s[16:23], s[24:25], 0x4
	s_load_dwordx4 s[0:3], s[24:25], 0x24
	s_load_dwordx8 s[8:15], s[6:7], 0x0
	s_add_u32 s24, s24, 48
	s_addc_u32 s25, s25, 0
	s_waitcnt vmcnt(0) lgkmcnt(0)
	v_mul_hi_u32 v3, s17, v1
	s_add_i32 s36, s36, 4
	s_add_u32 s6, s6, 32
	s_addc_u32 s7, s7, 0
	v_add_u32_e32 v3, v1, v3
	v_lshrrev_b32_e32 v3, s18, v3
	v_mul_lo_u32 v5, v3, s16
	v_mul_hi_u32 v7, s20, v3
	s_cmp_lg_u32 s26, s36
	v_sub_u32_e32 v1, v1, v5
	v_add_u32_e32 v5, v3, v7
	v_mul_lo_u32 v7, v1, s8
	v_mul_lo_u32 v10, v1, s9
	v_lshrrev_b32_e32 v1, s21, v5
	v_mul_lo_u32 v5, v1, s19
	v_mul_hi_u32 v12, s23, v1
	v_sub_u32_e32 v3, v3, v5
	v_add_u32_e32 v5, v1, v12
	v_lshrrev_b32_e32 v5, s0, v5
	v_mul_hi_u32 v14, s2, v5
	v_mul_lo_u32 v16, v5, s22
	v_mul_lo_u32 v12, v3, s10
	;; [unrolled: 1-line block ×3, first 2 shown]
	v_sub_u32_e32 v16, v1, v16
	v_add_u32_e32 v1, v5, v14
	v_lshrrev_b32_e32 v1, s3, v1
	v_mul_lo_u32 v14, v1, s1
	v_mul_lo_u32 v17, v16, s12
	;; [unrolled: 1-line block ×3, first 2 shown]
	v_add3_u32 v0, v7, v0, v12
	v_sub_u32_e32 v5, v5, v14
	v_mul_lo_u32 v14, v5, s14
	v_mul_lo_u32 v5, v5, s15
	v_add3_u32 v3, v10, v13, v3
	v_add3_u32 v0, v17, v0, v14
	;; [unrolled: 1-line block ×3, first 2 shown]
	s_cbranch_scc1 .LBB87_1117
; %bb.1118:
	s_and_b32 s6, s27, 3
	s_cmp_eq_u32 s6, 0
	s_cbranch_scc0 .LBB87_1122
	s_branch .LBB87_1124
.LBB87_1119:
                                        ; implicit-def: $vgpr0
                                        ; implicit-def: $vgpr13
	s_branch .LBB87_1125
.LBB87_1120:
	v_mov_b32_e32 v0, 0
	v_mov_b32_e32 v13, 0
	s_branch .LBB87_1124
.LBB87_1121:
	v_mov_b32_e32 v0, 0
	v_mov_b32_e32 v13, 0
	;; [unrolled: 1-line block ×3, first 2 shown]
	s_and_b32 s6, s27, 3
	s_cmp_eq_u32 s6, 0
	s_cbranch_scc1 .LBB87_1124
.LBB87_1122:
	s_lshl_b32 s0, s26, 3
	s_add_u32 s0, s34, s0
	s_addc_u32 s1, s35, 0
	s_add_u32 s0, s0, 0xc4
	s_addc_u32 s1, s1, 0
	s_mul_i32 s2, s26, 12
	s_add_u32 s2, s34, s2
	s_addc_u32 s3, s35, 0
.LBB87_1123:                            ; =>This Inner Loop Header: Depth=1
	s_load_dwordx2 s[8:9], s[2:3], 0x4
	s_load_dword s7, s[2:3], 0xc
	s_load_dwordx2 s[10:11], s[0:1], 0x0
	s_add_u32 s2, s2, 12
	s_addc_u32 s3, s3, 0
	s_waitcnt vmcnt(0) lgkmcnt(0)
	v_mul_hi_u32 v3, s9, v1
	s_add_u32 s0, s0, 8
	s_addc_u32 s1, s1, 0
	s_add_i32 s6, s6, -1
	v_add_u32_e32 v3, v1, v3
	v_lshrrev_b32_e32 v3, s7, v3
	v_mul_lo_u32 v5, v3, s8
	s_cmp_lg_u32 s6, 0
	v_sub_u32_e32 v5, v1, v5
	v_mad_u64_u32 v[0:1], s[8:9], v5, s10, v[0:1]
	v_mad_u64_u32 v[13:14], s[8:9], v5, s11, v[13:14]
	v_mov_b32_e32 v1, v3
	s_cbranch_scc1 .LBB87_1123
.LBB87_1124:
	s_cbranch_execnz .LBB87_1127
.LBB87_1125:
	s_load_dwordx4 s[0:3], s[34:35], 0x4
	s_load_dwordx2 s[6:7], s[34:35], 0xc4
	s_cmp_lt_u32 s33, 2
	s_waitcnt lgkmcnt(0)
	v_mul_hi_u32 v0, s1, v15
	v_add_u32_e32 v0, v15, v0
	v_lshrrev_b32_e32 v1, s2, v0
	v_mul_lo_u32 v0, v1, s0
	s_waitcnt vmcnt(0)
	v_sub_u32_e32 v3, v15, v0
	v_mul_lo_u32 v0, v3, s6
	v_mul_lo_u32 v13, v3, s7
	s_cbranch_scc1 .LBB87_1127
; %bb.1126:
	s_load_dwordx4 s[0:3], s[34:35], 0x10
	s_load_dwordx2 s[6:7], s[34:35], 0xcc
	s_waitcnt lgkmcnt(0)
	v_mul_hi_u32 v3, s1, v1
	v_add_u32_e32 v3, v1, v3
	v_lshrrev_b32_e32 v3, s2, v3
	v_mul_lo_u32 v3, v3, s0
	v_sub_u32_e32 v3, v1, v3
	v_mad_u64_u32 v[0:1], s[0:1], v3, s6, v[0:1]
	v_mad_u64_u32 v[13:14], s[0:1], v3, s7, v[13:14]
.LBB87_1127:
	s_load_dwordx4 s[8:11], s[34:35], 0x148
	s_load_dword s12, s[4:5], 0x178
	s_waitcnt lgkmcnt(0)
	v_mov_b32_e32 v1, s11
	s_bfe_u32 s13, s12, 0x80008
	v_add_co_u32_e32 v14, vcc, s10, v8
	s_cmp_lt_i32 s13, 11
	v_addc_co_u32_e32 v15, vcc, 0, v1, vcc
	s_cbranch_scc1 .LBB87_1134
; %bb.1128:
	s_and_b32 s14, 0xffff, s13
	s_cmp_gt_i32 s14, 25
	s_mov_b64 s[4:5], 0
	s_cbranch_scc0 .LBB87_1136
; %bb.1129:
	s_cmp_gt_i32 s14, 28
	s_cbranch_scc0 .LBB87_1137
; %bb.1130:
	s_cmp_gt_i32 s14, 43
	;; [unrolled: 3-line block ×3, first 2 shown]
	s_cbranch_scc0 .LBB87_1139
; %bb.1132:
	s_cmp_eq_u32 s14, 46
	s_mov_b64 s[2:3], 0
	s_cbranch_scc0 .LBB87_1142
; %bb.1133:
	global_load_dword v1, v[14:15], off
	s_mov_b32 s0, 0x2f800000
	s_mov_b32 s1, 0xcf800000
	s_mov_b64 s[6:7], -1
	s_waitcnt vmcnt(0)
	v_lshlrev_b32_e32 v1, 16, v1
	v_trunc_f32_e32 v1, v1
	v_mul_f32_e64 v3, |v1|, s0
	v_floor_f32_e32 v3, v3
	v_fma_f32 v5, v3, s1, |v1|
	v_cvt_u32_f32_e32 v5, v5
	v_cvt_u32_f32_e32 v3, v3
	v_ashrrev_i32_e32 v1, 31, v1
	s_mov_b64 s[0:1], 0
	v_xor_b32_e32 v5, v5, v1
	v_xor_b32_e32 v3, v3, v1
	v_sub_co_u32_e32 v7, vcc, v5, v1
	v_subb_co_u32_e32 v8, vcc, v3, v1, vcc
	s_branch .LBB87_1143
.LBB87_1134:
	s_mov_b64 s[6:7], 0
                                        ; implicit-def: $vgpr7_vgpr8
	s_mov_b64 s[2:3], s[28:29]
	s_cbranch_execnz .LBB87_1201
.LBB87_1135:
	s_andn2_b64 vcc, exec, s[6:7]
	s_cbranch_vccz .LBB87_1246
	s_branch .LBB87_2055
.LBB87_1136:
	s_mov_b64 s[6:7], 0
	s_mov_b64 s[0:1], 0
                                        ; implicit-def: $vgpr7_vgpr8
	s_cbranch_execnz .LBB87_1170
	s_branch .LBB87_1197
.LBB87_1137:
	s_mov_b64 s[6:7], 0
	s_mov_b64 s[0:1], 0
                                        ; implicit-def: $vgpr7_vgpr8
	s_cbranch_execz .LBB87_1169
	s_branch .LBB87_1152
.LBB87_1138:
	s_mov_b64 s[6:7], 0
	s_mov_b64 s[0:1], 0
                                        ; implicit-def: $vgpr7_vgpr8
	s_cbranch_execnz .LBB87_1148
	s_branch .LBB87_1151
.LBB87_1139:
	s_mov_b64 s[2:3], -1
	s_mov_b64 s[6:7], 0
	s_mov_b64 s[0:1], 0
                                        ; implicit-def: $vgpr7_vgpr8
	s_branch .LBB87_1143
.LBB87_1140:
	s_andn2_saveexec_b64 s[14:15], s[14:15]
	s_cbranch_execz .LBB87_983
.LBB87_1141:
	s_mov_b32 s16, 0x46000000
	v_add_f32_e64 v5, |v0|, s16
	v_and_b32_e32 v5, 0xff, v5
	v_cmp_ne_u32_e32 vcc, 0, v5
	s_andn2_b64 s[12:13], s[12:13], exec
	s_and_b64 s[16:17], vcc, exec
	s_or_b64 s[12:13], s[12:13], s[16:17]
	s_or_b64 exec, exec, s[14:15]
	v_mov_b32_e32 v6, 0
	s_and_saveexec_b64 s[14:15], s[12:13]
	s_cbranch_execnz .LBB87_984
	s_branch .LBB87_985
.LBB87_1142:
	s_mov_b64 s[0:1], -1
                                        ; implicit-def: $vgpr7_vgpr8
	s_mov_b64 s[6:7], 0
.LBB87_1143:
	s_and_b64 vcc, exec, s[2:3]
	s_cbranch_vccz .LBB87_1146
; %bb.1144:
	s_cmp_eq_u32 s14, 44
	s_cbranch_scc0 .LBB87_1147
; %bb.1145:
	global_load_ubyte v1, v[14:15], off
	s_mov_b32 s0, 0x2f800000
	s_mov_b32 s1, 0xcf800000
	s_mov_b64 s[6:7], -1
	s_waitcnt vmcnt(0)
	v_lshlrev_b32_e32 v3, 23, v1
	v_trunc_f32_e32 v3, v3
	v_mul_f32_e64 v5, |v3|, s0
	v_floor_f32_e32 v5, v5
	v_fma_f32 v7, v5, s1, |v3|
	v_cvt_u32_f32_e32 v7, v7
	v_cvt_u32_f32_e32 v5, v5
	v_ashrrev_i32_e32 v3, 31, v3
	s_mov_b64 s[0:1], 0
	v_xor_b32_e32 v7, v7, v3
	v_xor_b32_e32 v5, v5, v3
	v_sub_co_u32_e32 v7, vcc, v7, v3
	v_subb_co_u32_e32 v3, vcc, v5, v3, vcc
	v_cmp_ne_u32_e32 vcc, 0, v1
	v_cndmask_b32_e32 v8, 0, v3, vcc
	v_cndmask_b32_e32 v7, 0, v7, vcc
.LBB87_1146:
	s_branch .LBB87_1151
.LBB87_1147:
	s_mov_b64 s[0:1], -1
                                        ; implicit-def: $vgpr7_vgpr8
	s_branch .LBB87_1151
.LBB87_1148:
	s_cmp_eq_u32 s14, 29
	s_cbranch_scc0 .LBB87_1150
; %bb.1149:
	global_load_dwordx2 v[7:8], v[14:15], off
	s_mov_b64 s[0:1], 0
	s_mov_b64 s[6:7], -1
	s_branch .LBB87_1151
.LBB87_1150:
	s_mov_b64 s[0:1], -1
                                        ; implicit-def: $vgpr7_vgpr8
.LBB87_1151:
	s_branch .LBB87_1169
.LBB87_1152:
	s_cmp_lt_i32 s14, 27
	s_cbranch_scc1 .LBB87_1155
; %bb.1153:
	s_cmp_gt_i32 s14, 27
	s_cbranch_scc0 .LBB87_1156
; %bb.1154:
	global_load_dword v7, v[14:15], off
	s_waitcnt vmcnt(1)
	v_mov_b32_e32 v8, 0
	s_mov_b64 s[2:3], 0
	s_branch .LBB87_1157
.LBB87_1155:
	s_mov_b64 s[2:3], -1
                                        ; implicit-def: $vgpr7_vgpr8
	s_branch .LBB87_1160
.LBB87_1156:
	s_mov_b64 s[2:3], -1
                                        ; implicit-def: $vgpr7_vgpr8
.LBB87_1157:
	s_andn2_b64 vcc, exec, s[2:3]
	s_cbranch_vccnz .LBB87_1159
; %bb.1158:
	global_load_ushort v1, v[14:15], off
	s_mov_b32 s2, 0
	s_waitcnt vmcnt(1)
	v_mov_b32_e32 v8, s2
	s_waitcnt vmcnt(0)
	v_and_b32_e32 v7, 0xffff, v1
.LBB87_1159:
	s_mov_b64 s[2:3], 0
.LBB87_1160:
	s_andn2_b64 vcc, exec, s[2:3]
	s_cbranch_vccnz .LBB87_1168
; %bb.1161:
	global_load_ubyte v1, v[14:15], off
	s_movk_i32 s2, 0x7f
	s_mov_b64 s[6:7], 0
	s_waitcnt vmcnt(0)
	v_cmp_lt_i16_e32 vcc, s2, v1
	s_and_saveexec_b64 s[2:3], vcc
	s_xor_b64 s[2:3], exec, s[2:3]
; %bb.1162:
	s_movk_i32 s6, 0x80
	v_cmp_ne_u16_e32 vcc, s6, v1
	s_and_b64 s[6:7], vcc, exec
; %bb.1163:
	s_andn2_saveexec_b64 s[2:3], s[2:3]
; %bb.1164:
	v_cmp_ne_u16_e32 vcc, 0, v1
	s_andn2_b64 s[6:7], s[6:7], exec
	s_and_b64 s[16:17], vcc, exec
	s_or_b64 s[6:7], s[6:7], s[16:17]
; %bb.1165:
	s_or_b64 exec, exec, s[2:3]
	v_mov_b32_e32 v7, 0
	v_mov_b32_e32 v8, 0
	s_and_saveexec_b64 s[2:3], s[6:7]
	s_cbranch_execz .LBB87_1167
; %bb.1166:
	v_lshlrev_b32_e32 v3, 24, v1
	v_and_b32_e32 v1, 0xffff, v1
	v_and_b32_e32 v5, 7, v1
	v_ffbh_u32_e32 v8, v5
	v_min_u32_e32 v8, 32, v8
	v_subrev_u32_e32 v10, 28, v8
	v_bfe_u32 v7, v1, 3, 4
	v_lshlrev_b32_e32 v1, v10, v1
	v_sub_u32_e32 v8, 29, v8
	v_and_b32_e32 v1, 7, v1
	v_cmp_eq_u32_e32 vcc, 0, v7
	v_cndmask_b32_e32 v7, v7, v8, vcc
	v_cndmask_b32_e32 v1, v5, v1, vcc
	v_mov_b32_e32 v5, 0x3b800000
	v_lshlrev_b32_e32 v1, 20, v1
	v_and_b32_e32 v3, 0x80000000, v3
	v_lshl_add_u32 v5, v7, 23, v5
	v_or3_b32 v1, v3, v5, v1
	v_trunc_f32_e32 v1, v1
	s_mov_b32 s6, 0x2f800000
	v_mul_f32_e64 v3, |v1|, s6
	v_floor_f32_e32 v3, v3
	s_mov_b32 s6, 0xcf800000
	v_fma_f32 v5, v3, s6, |v1|
	v_cvt_u32_f32_e32 v5, v5
	v_cvt_u32_f32_e32 v3, v3
	v_ashrrev_i32_e32 v1, 31, v1
	v_xor_b32_e32 v5, v5, v1
	v_xor_b32_e32 v3, v3, v1
	v_sub_co_u32_e32 v7, vcc, v5, v1
	v_subb_co_u32_e32 v8, vcc, v3, v1, vcc
.LBB87_1167:
	s_or_b64 exec, exec, s[2:3]
.LBB87_1168:
	s_mov_b64 s[6:7], -1
.LBB87_1169:
	s_branch .LBB87_1197
.LBB87_1170:
	s_cmp_gt_i32 s14, 22
	s_cbranch_scc0 .LBB87_1180
; %bb.1171:
	s_cmp_lt_i32 s14, 24
	s_cbranch_scc1 .LBB87_1181
; %bb.1172:
	s_cmp_gt_i32 s14, 24
	s_cbranch_scc0 .LBB87_1182
; %bb.1173:
	global_load_ubyte v1, v[14:15], off
	s_movk_i32 s2, 0x7f
	s_waitcnt vmcnt(0)
	v_cmp_lt_i16_e32 vcc, s2, v1
	s_and_saveexec_b64 s[2:3], vcc
	s_xor_b64 s[2:3], exec, s[2:3]
; %bb.1174:
	s_movk_i32 s4, 0x80
	v_cmp_ne_u16_e32 vcc, s4, v1
	s_and_b64 s[4:5], vcc, exec
; %bb.1175:
	s_andn2_saveexec_b64 s[2:3], s[2:3]
; %bb.1176:
	v_cmp_ne_u16_e32 vcc, 0, v1
	s_andn2_b64 s[4:5], s[4:5], exec
	s_and_b64 s[6:7], vcc, exec
	s_or_b64 s[4:5], s[4:5], s[6:7]
; %bb.1177:
	s_or_b64 exec, exec, s[2:3]
	v_mov_b32_e32 v7, 0
	v_mov_b32_e32 v8, 0
	s_and_saveexec_b64 s[2:3], s[4:5]
	s_cbranch_execz .LBB87_1179
; %bb.1178:
	v_lshlrev_b32_e32 v3, 24, v1
	v_and_b32_e32 v1, 0xffff, v1
	v_and_b32_e32 v5, 3, v1
	v_ffbh_u32_e32 v8, v5
	v_min_u32_e32 v8, 32, v8
	v_subrev_u32_e32 v10, 29, v8
	v_bfe_u32 v7, v1, 2, 5
	v_lshlrev_b32_e32 v1, v10, v1
	v_sub_u32_e32 v8, 30, v8
	v_and_b32_e32 v1, 3, v1
	v_cmp_eq_u32_e32 vcc, 0, v7
	v_cndmask_b32_e32 v7, v7, v8, vcc
	v_cndmask_b32_e32 v1, v5, v1, vcc
	v_mov_b32_e32 v5, 0x37800000
	v_lshlrev_b32_e32 v1, 21, v1
	v_and_b32_e32 v3, 0x80000000, v3
	v_lshl_add_u32 v5, v7, 23, v5
	v_or3_b32 v1, v3, v5, v1
	v_trunc_f32_e32 v1, v1
	s_mov_b32 s4, 0x2f800000
	v_mul_f32_e64 v3, |v1|, s4
	v_floor_f32_e32 v3, v3
	s_mov_b32 s4, 0xcf800000
	v_fma_f32 v5, v3, s4, |v1|
	v_cvt_u32_f32_e32 v5, v5
	v_cvt_u32_f32_e32 v3, v3
	v_ashrrev_i32_e32 v1, 31, v1
	v_xor_b32_e32 v5, v5, v1
	v_xor_b32_e32 v3, v3, v1
	v_sub_co_u32_e32 v7, vcc, v5, v1
	v_subb_co_u32_e32 v8, vcc, v3, v1, vcc
.LBB87_1179:
	s_or_b64 exec, exec, s[2:3]
	s_mov_b64 s[2:3], 0
	s_branch .LBB87_1183
.LBB87_1180:
                                        ; implicit-def: $vgpr7_vgpr8
	s_mov_b64 s[4:5], 0
	s_branch .LBB87_1189
.LBB87_1181:
	s_mov_b64 s[2:3], -1
                                        ; implicit-def: $vgpr7_vgpr8
	s_branch .LBB87_1186
.LBB87_1182:
	s_mov_b64 s[2:3], -1
                                        ; implicit-def: $vgpr7_vgpr8
.LBB87_1183:
	s_and_b64 vcc, exec, s[2:3]
	s_cbranch_vccz .LBB87_1185
; %bb.1184:
	global_load_ubyte v1, v[14:15], off
	s_mov_b32 s2, 0x7f800000
	s_brev_b32 s3, 1
	s_mov_b32 s4, 0x2f800000
	s_mov_b32 s5, 0xcf800000
	s_waitcnt vmcnt(0)
	v_lshlrev_b32_e32 v1, 24, v1
	v_and_b32_e32 v3, 0x7f000000, v1
	v_ffbh_u32_e32 v5, v3
	v_min_u32_e32 v5, 32, v5
	v_sub_u32_e64 v5, v5, 4 clamp
	v_lshlrev_b32_e32 v8, v5, v3
	v_lshlrev_b32_e32 v5, 23, v5
	v_lshrrev_b32_e32 v8, 4, v8
	v_add_u32_e32 v7, 0x1000000, v3
	v_sub_u32_e32 v5, v8, v5
	v_ashrrev_i32_e32 v7, 8, v7
	v_add_u32_e32 v5, 0x3c000000, v5
	v_and_or_b32 v5, v7, s2, v5
	v_cmp_ne_u32_e32 vcc, 0, v3
	v_cndmask_b32_e32 v3, 0, v5, vcc
	v_and_or_b32 v1, v1, s3, v3
	v_trunc_f32_e32 v1, v1
	v_mul_f32_e64 v3, |v1|, s4
	v_floor_f32_e32 v3, v3
	v_fma_f32 v5, v3, s5, |v1|
	v_cvt_u32_f32_e32 v5, v5
	v_cvt_u32_f32_e32 v3, v3
	v_ashrrev_i32_e32 v1, 31, v1
	v_xor_b32_e32 v5, v5, v1
	v_xor_b32_e32 v3, v3, v1
	v_sub_co_u32_e32 v7, vcc, v5, v1
	v_subb_co_u32_e32 v8, vcc, v3, v1, vcc
.LBB87_1185:
	s_mov_b64 s[2:3], 0
.LBB87_1186:
	s_andn2_b64 vcc, exec, s[2:3]
	s_cbranch_vccnz .LBB87_1188
; %bb.1187:
	global_load_ubyte v1, v[14:15], off
	s_movk_i32 s2, 0x7f00
	s_brev_b32 s3, 16
	s_brev_b32 s4, 1
	s_mov_b32 s5, 0x2f800000
	s_mov_b32 s6, 0xcf800000
	s_waitcnt vmcnt(0)
	v_lshlrev_b16_e32 v3, 8, v1
	v_lshlrev_b32_e32 v1, 25, v1
	v_lshrrev_b32_e32 v5, 4, v1
	v_and_or_b32 v7, v3, s2, 0.5
	v_or_b32_e32 v5, 0x70000000, v5
	v_add_f32_e32 v7, -0.5, v7
	v_mul_f32_e32 v5, 0x7800000, v5
	v_cmp_gt_u32_e32 vcc, s3, v1
	v_bfe_i32 v3, v3, 0, 16
	v_cndmask_b32_e32 v1, v5, v7, vcc
	v_and_or_b32 v1, v3, s4, v1
	v_trunc_f32_e32 v1, v1
	v_mul_f32_e64 v3, |v1|, s5
	v_floor_f32_e32 v3, v3
	v_fma_f32 v5, v3, s6, |v1|
	v_cvt_u32_f32_e32 v5, v5
	v_cvt_u32_f32_e32 v3, v3
	v_ashrrev_i32_e32 v1, 31, v1
	v_xor_b32_e32 v5, v5, v1
	v_xor_b32_e32 v3, v3, v1
	v_sub_co_u32_e32 v7, vcc, v5, v1
	v_subb_co_u32_e32 v8, vcc, v3, v1, vcc
.LBB87_1188:
	s_mov_b64 s[6:7], -1
	s_mov_b64 s[4:5], 0
	s_cbranch_execnz .LBB87_1197
.LBB87_1189:
	s_cmp_gt_i32 s14, 14
	s_cbranch_scc0 .LBB87_1192
; %bb.1190:
	s_cmp_eq_u32 s14, 15
	s_cbranch_scc0 .LBB87_1193
; %bb.1191:
	global_load_ushort v1, v[14:15], off
	s_mov_b32 s0, 0x2f800000
	s_mov_b32 s1, 0xcf800000
	s_mov_b64 s[6:7], -1
	s_waitcnt vmcnt(0)
	v_lshlrev_b32_e32 v1, 16, v1
	v_trunc_f32_e32 v1, v1
	v_mul_f32_e64 v3, |v1|, s0
	v_floor_f32_e32 v3, v3
	v_fma_f32 v5, v3, s1, |v1|
	v_cvt_u32_f32_e32 v5, v5
	v_cvt_u32_f32_e32 v3, v3
	v_ashrrev_i32_e32 v1, 31, v1
	s_mov_b64 s[0:1], 0
	v_xor_b32_e32 v5, v5, v1
	v_xor_b32_e32 v3, v3, v1
	v_sub_co_u32_e32 v7, vcc, v5, v1
	v_subb_co_u32_e32 v8, vcc, v3, v1, vcc
	s_branch .LBB87_1194
.LBB87_1192:
	s_mov_b64 s[2:3], -1
                                        ; implicit-def: $vgpr7_vgpr8
	s_branch .LBB87_1195
.LBB87_1193:
	s_mov_b64 s[0:1], -1
                                        ; implicit-def: $vgpr7_vgpr8
.LBB87_1194:
	s_mov_b64 s[2:3], 0
.LBB87_1195:
	s_and_b64 vcc, exec, s[2:3]
	s_cbranch_vccz .LBB87_1197
; %bb.1196:
	s_cmp_lg_u32 s14, 11
	s_mov_b64 s[4:5], -1
	s_cselect_b64 s[0:1], -1, 0
.LBB87_1197:
	s_and_b64 vcc, exec, s[0:1]
	s_mov_b64 s[2:3], s[28:29]
	s_cbranch_vccnz .LBB87_1258
; %bb.1198:
	s_andn2_b64 vcc, exec, s[4:5]
	s_cbranch_vccnz .LBB87_1200
.LBB87_1199:
	global_load_ubyte v1, v[14:15], off
	s_mov_b32 s0, 0
	s_waitcnt vmcnt(1)
	v_mov_b32_e32 v8, s0
	s_mov_b64 s[6:7], -1
	s_waitcnt vmcnt(0)
	v_cmp_ne_u16_e32 vcc, 0, v1
	v_cndmask_b32_e64 v7, 0, 1, vcc
.LBB87_1200:
	s_branch .LBB87_1135
.LBB87_1201:
	s_and_b32 s4, 0xffff, s13
	s_cmp_lt_i32 s4, 5
	s_cbranch_scc1 .LBB87_1206
; %bb.1202:
	s_cmp_lt_i32 s4, 8
	s_cbranch_scc1 .LBB87_1207
; %bb.1203:
	;; [unrolled: 3-line block ×3, first 2 shown]
	s_cmp_gt_i32 s4, 9
	s_cbranch_scc0 .LBB87_1209
; %bb.1205:
	global_load_dwordx2 v[7:8], v[14:15], off
	s_movk_i32 s0, 0xffe0
	s_waitcnt vmcnt(0)
	v_trunc_f64_e32 v[7:8], v[7:8]
	v_ldexp_f64 v[16:17], v[7:8], s0
	s_mov_b32 s0, 0
	s_mov_b32 s1, 0xc1f00000
	v_floor_f64_e32 v[16:17], v[16:17]
	v_fma_f64 v[18:19], v[16:17], s[0:1], v[7:8]
	v_cvt_i32_f64_e32 v8, v[16:17]
	s_mov_b64 s[0:1], 0
	v_cvt_u32_f64_e32 v7, v[18:19]
	s_branch .LBB87_1210
.LBB87_1206:
                                        ; implicit-def: $vgpr7_vgpr8
	s_branch .LBB87_1227
.LBB87_1207:
                                        ; implicit-def: $vgpr7_vgpr8
	s_branch .LBB87_1216
.LBB87_1208:
	s_mov_b64 s[0:1], -1
                                        ; implicit-def: $vgpr7_vgpr8
	s_branch .LBB87_1213
.LBB87_1209:
	s_mov_b64 s[0:1], -1
                                        ; implicit-def: $vgpr7_vgpr8
.LBB87_1210:
	s_andn2_b64 vcc, exec, s[0:1]
	s_cbranch_vccnz .LBB87_1212
; %bb.1211:
	global_load_dword v1, v[14:15], off
	s_mov_b32 s0, 0x2f800000
	s_mov_b32 s1, 0xcf800000
	s_waitcnt vmcnt(0)
	v_trunc_f32_e32 v1, v1
	v_mul_f32_e64 v3, |v1|, s0
	v_floor_f32_e32 v3, v3
	v_cvt_u32_f32_e32 v5, v3
	v_fma_f32 v3, v3, s1, |v1|
	v_cvt_u32_f32_e32 v3, v3
	v_ashrrev_i32_e32 v1, 31, v1
	v_xor_b32_e32 v5, v5, v1
	v_xor_b32_e32 v3, v3, v1
	v_sub_co_u32_e32 v7, vcc, v3, v1
	v_subb_co_u32_e32 v8, vcc, v5, v1, vcc
.LBB87_1212:
	s_mov_b64 s[0:1], 0
.LBB87_1213:
	s_andn2_b64 vcc, exec, s[0:1]
	s_cbranch_vccnz .LBB87_1215
; %bb.1214:
	global_load_dword v1, v[14:15], off
	s_waitcnt vmcnt(0)
	v_cvt_f32_f16_e32 v1, v1
	v_cvt_i32_f32_e32 v7, v1
	v_ashrrev_i32_e32 v8, 31, v7
.LBB87_1215:
	s_cbranch_execnz .LBB87_1226
.LBB87_1216:
	s_cmp_lt_i32 s4, 6
	s_cbranch_scc1 .LBB87_1219
; %bb.1217:
	s_cmp_gt_i32 s4, 6
	s_cbranch_scc0 .LBB87_1220
; %bb.1218:
	global_load_dwordx2 v[7:8], v[14:15], off
	s_movk_i32 s0, 0xffe0
	s_waitcnt vmcnt(0)
	v_trunc_f64_e32 v[7:8], v[7:8]
	v_ldexp_f64 v[16:17], v[7:8], s0
	s_mov_b32 s0, 0
	s_mov_b32 s1, 0xc1f00000
	v_floor_f64_e32 v[16:17], v[16:17]
	v_fma_f64 v[18:19], v[16:17], s[0:1], v[7:8]
	v_cvt_i32_f64_e32 v8, v[16:17]
	s_mov_b64 s[0:1], 0
	v_cvt_u32_f64_e32 v7, v[18:19]
	s_branch .LBB87_1221
.LBB87_1219:
	s_mov_b64 s[0:1], -1
                                        ; implicit-def: $vgpr7_vgpr8
	s_branch .LBB87_1224
.LBB87_1220:
	s_mov_b64 s[0:1], -1
                                        ; implicit-def: $vgpr7_vgpr8
.LBB87_1221:
	s_andn2_b64 vcc, exec, s[0:1]
	s_cbranch_vccnz .LBB87_1223
; %bb.1222:
	global_load_dword v1, v[14:15], off
	s_mov_b32 s0, 0x2f800000
	s_mov_b32 s1, 0xcf800000
	s_waitcnt vmcnt(0)
	v_trunc_f32_e32 v1, v1
	v_mul_f32_e64 v3, |v1|, s0
	v_floor_f32_e32 v3, v3
	v_cvt_u32_f32_e32 v5, v3
	v_fma_f32 v3, v3, s1, |v1|
	v_cvt_u32_f32_e32 v3, v3
	v_ashrrev_i32_e32 v1, 31, v1
	v_xor_b32_e32 v5, v5, v1
	v_xor_b32_e32 v3, v3, v1
	v_sub_co_u32_e32 v7, vcc, v3, v1
	v_subb_co_u32_e32 v8, vcc, v5, v1, vcc
.LBB87_1223:
	s_mov_b64 s[0:1], 0
.LBB87_1224:
	s_andn2_b64 vcc, exec, s[0:1]
	s_cbranch_vccnz .LBB87_1226
; %bb.1225:
	global_load_ushort v1, v[14:15], off
	s_waitcnt vmcnt(0)
	v_cvt_f32_f16_e32 v1, v1
	v_cvt_i32_f32_e32 v7, v1
	v_ashrrev_i32_e32 v8, 31, v7
.LBB87_1226:
	s_cbranch_execnz .LBB87_1245
.LBB87_1227:
	s_cmp_lt_i32 s4, 2
	s_cbranch_scc1 .LBB87_1231
; %bb.1228:
	s_cmp_lt_i32 s4, 3
	s_cbranch_scc1 .LBB87_1232
; %bb.1229:
	s_cmp_gt_i32 s4, 3
	s_cbranch_scc0 .LBB87_1233
; %bb.1230:
	global_load_dwordx2 v[7:8], v[14:15], off
	s_mov_b64 s[0:1], 0
	s_branch .LBB87_1234
.LBB87_1231:
                                        ; implicit-def: $vgpr7_vgpr8
	s_branch .LBB87_1240
.LBB87_1232:
	s_mov_b64 s[0:1], -1
                                        ; implicit-def: $vgpr7_vgpr8
	s_branch .LBB87_1237
.LBB87_1233:
	s_mov_b64 s[0:1], -1
                                        ; implicit-def: $vgpr7_vgpr8
.LBB87_1234:
	s_andn2_b64 vcc, exec, s[0:1]
	s_cbranch_vccnz .LBB87_1236
; %bb.1235:
	global_load_dword v7, v[14:15], off
	s_waitcnt vmcnt(0)
	v_ashrrev_i32_e32 v8, 31, v7
.LBB87_1236:
	s_mov_b64 s[0:1], 0
.LBB87_1237:
	s_andn2_b64 vcc, exec, s[0:1]
	s_cbranch_vccnz .LBB87_1239
; %bb.1238:
	global_load_ushort v1, v[14:15], off
	s_waitcnt vmcnt(0)
	v_bfe_i32 v7, v1, 0, 16
	v_ashrrev_i32_e32 v8, 31, v7
.LBB87_1239:
	s_cbranch_execnz .LBB87_1245
.LBB87_1240:
	s_cmp_gt_i32 s4, 0
	s_cbranch_scc0 .LBB87_1242
; %bb.1241:
	global_load_sbyte v1, v[14:15], off
	s_mov_b64 s[0:1], 0
	s_waitcnt vmcnt(0)
	v_bfe_i32 v7, v1, 0, 16
	v_ashrrev_i32_e32 v8, 31, v7
	s_branch .LBB87_1243
.LBB87_1242:
	s_mov_b64 s[0:1], -1
                                        ; implicit-def: $vgpr7_vgpr8
.LBB87_1243:
	s_andn2_b64 vcc, exec, s[0:1]
	s_cbranch_vccnz .LBB87_1245
; %bb.1244:
	global_load_ubyte v1, v[14:15], off
	s_mov_b32 s0, 0
	s_waitcnt vmcnt(1)
	v_mov_b32_e32 v8, s0
	s_waitcnt vmcnt(0)
	v_and_b32_e32 v7, 0xffff, v1
.LBB87_1245:
.LBB87_1246:
	s_lshr_b32 s0, s12, 8
	v_mov_b32_e32 v1, s11
	s_and_b32 s14, s0, 0xff
	v_add_co_u32_e32 v14, vcc, s10, v9
	s_cmp_lt_i32 s14, 11
	v_addc_co_u32_e32 v15, vcc, 0, v1, vcc
	s_cbranch_scc1 .LBB87_1253
; %bb.1247:
	s_and_b32 s15, 0xffff, s14
	s_cmp_gt_i32 s15, 25
	s_mov_b64 s[4:5], 0
	s_cbranch_scc0 .LBB87_1255
; %bb.1248:
	s_cmp_gt_i32 s15, 28
	s_cbranch_scc0 .LBB87_1256
; %bb.1249:
	s_cmp_gt_i32 s15, 43
	s_cbranch_scc0 .LBB87_1257
; %bb.1250:
	s_cmp_gt_i32 s15, 45
	s_cbranch_scc0 .LBB87_1259
; %bb.1251:
	s_cmp_eq_u32 s15, 46
	s_mov_b64 s[12:13], 0
	s_cbranch_scc0 .LBB87_1262
; %bb.1252:
	global_load_dword v1, v[14:15], off
	s_mov_b32 s0, 0x2f800000
	s_mov_b32 s1, 0xcf800000
	s_mov_b64 s[6:7], -1
	s_waitcnt vmcnt(0)
	v_lshlrev_b32_e32 v1, 16, v1
	v_trunc_f32_e32 v1, v1
	v_mul_f32_e64 v3, |v1|, s0
	v_floor_f32_e32 v3, v3
	v_fma_f32 v5, v3, s1, |v1|
	v_cvt_u32_f32_e32 v5, v5
	v_cvt_u32_f32_e32 v3, v3
	v_ashrrev_i32_e32 v1, 31, v1
	s_mov_b64 s[0:1], 0
	v_xor_b32_e32 v5, v5, v1
	v_xor_b32_e32 v3, v3, v1
	v_sub_co_u32_e32 v9, vcc, v5, v1
	v_subb_co_u32_e32 v10, vcc, v3, v1, vcc
	s_branch .LBB87_1263
.LBB87_1253:
	s_mov_b64 s[6:7], 0
                                        ; implicit-def: $vgpr9_vgpr10
	s_cbranch_execnz .LBB87_1324
.LBB87_1254:
	s_andn2_b64 vcc, exec, s[6:7]
	s_cbranch_vccnz .LBB87_2055
	s_branch .LBB87_1371
.LBB87_1255:
	s_mov_b64 s[6:7], 0
	s_mov_b64 s[0:1], 0
                                        ; implicit-def: $vgpr9_vgpr10
	s_cbranch_execnz .LBB87_1292
	s_branch .LBB87_1320
.LBB87_1256:
	s_mov_b64 s[12:13], -1
	s_mov_b64 s[6:7], 0
	s_mov_b64 s[0:1], 0
                                        ; implicit-def: $vgpr9_vgpr10
	s_branch .LBB87_1273
.LBB87_1257:
	s_mov_b64 s[12:13], -1
	s_mov_b64 s[6:7], 0
	s_mov_b64 s[0:1], 0
                                        ; implicit-def: $vgpr9_vgpr10
	s_branch .LBB87_1268
.LBB87_1258:
	s_or_b64 s[2:3], s[28:29], exec
	s_trap 2
	s_cbranch_execz .LBB87_1199
	s_branch .LBB87_1200
.LBB87_1259:
	s_mov_b64 s[12:13], -1
	s_mov_b64 s[6:7], 0
	s_mov_b64 s[0:1], 0
                                        ; implicit-def: $vgpr9_vgpr10
	s_branch .LBB87_1263
.LBB87_1260:
	s_andn2_saveexec_b64 s[16:17], s[16:17]
	s_cbranch_execz .LBB87_995
.LBB87_1261:
	s_mov_b32 s19, 0x42800000
	v_add_f32_e64 v5, |v0|, s19
	v_and_b32_e32 v5, 0xff, v5
	v_cmp_ne_u32_e32 vcc, 0, v5
	s_andn2_b64 s[14:15], s[14:15], exec
	s_and_b64 s[22:23], vcc, exec
	s_or_b64 s[14:15], s[14:15], s[22:23]
	s_or_b64 exec, exec, s[16:17]
	v_mov_b32_e32 v6, 0
	s_and_saveexec_b64 s[16:17], s[14:15]
	s_cbranch_execnz .LBB87_996
	s_branch .LBB87_997
.LBB87_1262:
	s_mov_b64 s[0:1], -1
                                        ; implicit-def: $vgpr9_vgpr10
	s_mov_b64 s[6:7], 0
.LBB87_1263:
	s_and_b64 vcc, exec, s[12:13]
	s_cbranch_vccz .LBB87_1267
; %bb.1264:
	s_cmp_eq_u32 s15, 44
	s_cbranch_scc0 .LBB87_1266
; %bb.1265:
	global_load_ubyte v1, v[14:15], off
	s_mov_b32 s0, 0x2f800000
	s_mov_b32 s1, 0xcf800000
	s_mov_b64 s[6:7], -1
	s_waitcnt vmcnt(0)
	v_lshlrev_b32_e32 v3, 23, v1
	v_trunc_f32_e32 v3, v3
	v_mul_f32_e64 v5, |v3|, s0
	v_floor_f32_e32 v5, v5
	v_fma_f32 v9, v5, s1, |v3|
	v_cvt_u32_f32_e32 v9, v9
	v_cvt_u32_f32_e32 v5, v5
	v_ashrrev_i32_e32 v3, 31, v3
	s_mov_b64 s[0:1], 0
	v_xor_b32_e32 v9, v9, v3
	v_xor_b32_e32 v5, v5, v3
	v_sub_co_u32_e32 v9, vcc, v9, v3
	v_subb_co_u32_e32 v3, vcc, v5, v3, vcc
	v_cmp_ne_u32_e32 vcc, 0, v1
	v_cndmask_b32_e32 v10, 0, v3, vcc
	v_cndmask_b32_e32 v9, 0, v9, vcc
	s_branch .LBB87_1267
.LBB87_1266:
	s_mov_b64 s[0:1], -1
                                        ; implicit-def: $vgpr9_vgpr10
.LBB87_1267:
	s_mov_b64 s[12:13], 0
.LBB87_1268:
	s_and_b64 vcc, exec, s[12:13]
	s_cbranch_vccz .LBB87_1272
; %bb.1269:
	s_cmp_eq_u32 s15, 29
	s_cbranch_scc0 .LBB87_1271
; %bb.1270:
	global_load_dwordx2 v[9:10], v[14:15], off
	s_mov_b64 s[0:1], 0
	s_mov_b64 s[6:7], -1
	s_branch .LBB87_1272
.LBB87_1271:
	s_mov_b64 s[0:1], -1
                                        ; implicit-def: $vgpr9_vgpr10
.LBB87_1272:
	s_mov_b64 s[12:13], 0
.LBB87_1273:
	s_and_b64 vcc, exec, s[12:13]
	s_cbranch_vccz .LBB87_1291
; %bb.1274:
	s_cmp_lt_i32 s15, 27
	s_cbranch_scc1 .LBB87_1277
; %bb.1275:
	s_cmp_gt_i32 s15, 27
	s_cbranch_scc0 .LBB87_1278
; %bb.1276:
	global_load_dword v9, v[14:15], off
	s_waitcnt vmcnt(1)
	v_mov_b32_e32 v10, 0
	s_mov_b64 s[6:7], 0
	s_branch .LBB87_1279
.LBB87_1277:
	s_mov_b64 s[6:7], -1
                                        ; implicit-def: $vgpr9_vgpr10
	s_branch .LBB87_1282
.LBB87_1278:
	s_mov_b64 s[6:7], -1
                                        ; implicit-def: $vgpr9_vgpr10
.LBB87_1279:
	s_andn2_b64 vcc, exec, s[6:7]
	s_cbranch_vccnz .LBB87_1281
; %bb.1280:
	global_load_ushort v1, v[14:15], off
	s_mov_b32 s6, 0
	s_waitcnt vmcnt(1)
	v_mov_b32_e32 v10, s6
	s_waitcnt vmcnt(0)
	v_and_b32_e32 v9, 0xffff, v1
.LBB87_1281:
	s_mov_b64 s[6:7], 0
.LBB87_1282:
	s_andn2_b64 vcc, exec, s[6:7]
	s_cbranch_vccnz .LBB87_1290
; %bb.1283:
	global_load_ubyte v1, v[14:15], off
	s_movk_i32 s6, 0x7f
	s_mov_b64 s[12:13], 0
	s_waitcnt vmcnt(0)
	v_cmp_lt_i16_e32 vcc, s6, v1
	s_and_saveexec_b64 s[6:7], vcc
	s_xor_b64 s[6:7], exec, s[6:7]
; %bb.1284:
	s_movk_i32 s12, 0x80
	v_cmp_ne_u16_e32 vcc, s12, v1
	s_and_b64 s[12:13], vcc, exec
; %bb.1285:
	s_andn2_saveexec_b64 s[6:7], s[6:7]
; %bb.1286:
	v_cmp_ne_u16_e32 vcc, 0, v1
	s_andn2_b64 s[12:13], s[12:13], exec
	s_and_b64 s[16:17], vcc, exec
	s_or_b64 s[12:13], s[12:13], s[16:17]
; %bb.1287:
	s_or_b64 exec, exec, s[6:7]
	v_mov_b32_e32 v9, 0
	v_mov_b32_e32 v10, 0
	s_and_saveexec_b64 s[6:7], s[12:13]
	s_cbranch_execz .LBB87_1289
; %bb.1288:
	v_lshlrev_b32_e32 v3, 24, v1
	v_and_b32_e32 v1, 0xffff, v1
	v_and_b32_e32 v5, 7, v1
	v_ffbh_u32_e32 v10, v5
	v_min_u32_e32 v10, 32, v10
	v_subrev_u32_e32 v12, 28, v10
	v_bfe_u32 v9, v1, 3, 4
	v_lshlrev_b32_e32 v1, v12, v1
	v_sub_u32_e32 v10, 29, v10
	v_and_b32_e32 v1, 7, v1
	v_cmp_eq_u32_e32 vcc, 0, v9
	v_cndmask_b32_e32 v9, v9, v10, vcc
	v_cndmask_b32_e32 v1, v5, v1, vcc
	v_mov_b32_e32 v5, 0x3b800000
	v_lshlrev_b32_e32 v1, 20, v1
	v_and_b32_e32 v3, 0x80000000, v3
	v_lshl_add_u32 v5, v9, 23, v5
	v_or3_b32 v1, v3, v5, v1
	v_trunc_f32_e32 v1, v1
	s_mov_b32 s12, 0x2f800000
	v_mul_f32_e64 v3, |v1|, s12
	v_floor_f32_e32 v3, v3
	s_mov_b32 s12, 0xcf800000
	v_fma_f32 v5, v3, s12, |v1|
	v_cvt_u32_f32_e32 v5, v5
	v_cvt_u32_f32_e32 v3, v3
	v_ashrrev_i32_e32 v1, 31, v1
	v_xor_b32_e32 v5, v5, v1
	v_xor_b32_e32 v3, v3, v1
	v_sub_co_u32_e32 v9, vcc, v5, v1
	v_subb_co_u32_e32 v10, vcc, v3, v1, vcc
.LBB87_1289:
	s_or_b64 exec, exec, s[6:7]
.LBB87_1290:
	s_mov_b64 s[6:7], -1
.LBB87_1291:
	s_branch .LBB87_1320
.LBB87_1292:
	s_cmp_gt_i32 s15, 22
	s_cbranch_scc0 .LBB87_1302
; %bb.1293:
	s_cmp_lt_i32 s15, 24
	s_cbranch_scc1 .LBB87_1303
; %bb.1294:
	s_cmp_gt_i32 s15, 24
	s_cbranch_scc0 .LBB87_1304
; %bb.1295:
	global_load_ubyte v1, v[14:15], off
	s_movk_i32 s4, 0x7f
	s_mov_b64 s[6:7], 0
	s_waitcnt vmcnt(0)
	v_cmp_lt_i16_e32 vcc, s4, v1
	s_and_saveexec_b64 s[4:5], vcc
	s_xor_b64 s[4:5], exec, s[4:5]
; %bb.1296:
	s_movk_i32 s6, 0x80
	v_cmp_ne_u16_e32 vcc, s6, v1
	s_and_b64 s[6:7], vcc, exec
; %bb.1297:
	s_andn2_saveexec_b64 s[4:5], s[4:5]
; %bb.1298:
	v_cmp_ne_u16_e32 vcc, 0, v1
	s_andn2_b64 s[6:7], s[6:7], exec
	s_and_b64 s[12:13], vcc, exec
	s_or_b64 s[6:7], s[6:7], s[12:13]
; %bb.1299:
	s_or_b64 exec, exec, s[4:5]
	v_mov_b32_e32 v9, 0
	v_mov_b32_e32 v10, 0
	s_and_saveexec_b64 s[4:5], s[6:7]
	s_cbranch_execz .LBB87_1301
; %bb.1300:
	v_lshlrev_b32_e32 v3, 24, v1
	v_and_b32_e32 v1, 0xffff, v1
	v_and_b32_e32 v5, 3, v1
	v_ffbh_u32_e32 v10, v5
	v_min_u32_e32 v10, 32, v10
	v_subrev_u32_e32 v12, 29, v10
	v_bfe_u32 v9, v1, 2, 5
	v_lshlrev_b32_e32 v1, v12, v1
	v_sub_u32_e32 v10, 30, v10
	v_and_b32_e32 v1, 3, v1
	v_cmp_eq_u32_e32 vcc, 0, v9
	v_cndmask_b32_e32 v9, v9, v10, vcc
	v_cndmask_b32_e32 v1, v5, v1, vcc
	v_mov_b32_e32 v5, 0x37800000
	v_lshlrev_b32_e32 v1, 21, v1
	v_and_b32_e32 v3, 0x80000000, v3
	v_lshl_add_u32 v5, v9, 23, v5
	v_or3_b32 v1, v3, v5, v1
	v_trunc_f32_e32 v1, v1
	s_mov_b32 s6, 0x2f800000
	v_mul_f32_e64 v3, |v1|, s6
	v_floor_f32_e32 v3, v3
	s_mov_b32 s6, 0xcf800000
	v_fma_f32 v5, v3, s6, |v1|
	v_cvt_u32_f32_e32 v5, v5
	v_cvt_u32_f32_e32 v3, v3
	v_ashrrev_i32_e32 v1, 31, v1
	v_xor_b32_e32 v5, v5, v1
	v_xor_b32_e32 v3, v3, v1
	v_sub_co_u32_e32 v9, vcc, v5, v1
	v_subb_co_u32_e32 v10, vcc, v3, v1, vcc
.LBB87_1301:
	s_or_b64 exec, exec, s[4:5]
	s_mov_b64 s[4:5], 0
	s_branch .LBB87_1305
.LBB87_1302:
	s_mov_b64 s[4:5], -1
                                        ; implicit-def: $vgpr9_vgpr10
	s_branch .LBB87_1311
.LBB87_1303:
	s_mov_b64 s[4:5], -1
                                        ; implicit-def: $vgpr9_vgpr10
	s_branch .LBB87_1308
.LBB87_1304:
	s_mov_b64 s[4:5], -1
                                        ; implicit-def: $vgpr9_vgpr10
.LBB87_1305:
	s_and_b64 vcc, exec, s[4:5]
	s_cbranch_vccz .LBB87_1307
; %bb.1306:
	global_load_ubyte v1, v[14:15], off
	s_mov_b32 s4, 0x7f800000
	s_brev_b32 s5, 1
	s_mov_b32 s6, 0x2f800000
	s_mov_b32 s7, 0xcf800000
	s_waitcnt vmcnt(0)
	v_lshlrev_b32_e32 v1, 24, v1
	v_and_b32_e32 v3, 0x7f000000, v1
	v_ffbh_u32_e32 v5, v3
	v_min_u32_e32 v5, 32, v5
	v_sub_u32_e64 v5, v5, 4 clamp
	v_lshlrev_b32_e32 v10, v5, v3
	v_lshlrev_b32_e32 v5, 23, v5
	v_lshrrev_b32_e32 v10, 4, v10
	v_add_u32_e32 v9, 0x1000000, v3
	v_sub_u32_e32 v5, v10, v5
	v_ashrrev_i32_e32 v9, 8, v9
	v_add_u32_e32 v5, 0x3c000000, v5
	v_and_or_b32 v5, v9, s4, v5
	v_cmp_ne_u32_e32 vcc, 0, v3
	v_cndmask_b32_e32 v3, 0, v5, vcc
	v_and_or_b32 v1, v1, s5, v3
	v_trunc_f32_e32 v1, v1
	v_mul_f32_e64 v3, |v1|, s6
	v_floor_f32_e32 v3, v3
	v_fma_f32 v5, v3, s7, |v1|
	v_cvt_u32_f32_e32 v5, v5
	v_cvt_u32_f32_e32 v3, v3
	v_ashrrev_i32_e32 v1, 31, v1
	v_xor_b32_e32 v5, v5, v1
	v_xor_b32_e32 v3, v3, v1
	v_sub_co_u32_e32 v9, vcc, v5, v1
	v_subb_co_u32_e32 v10, vcc, v3, v1, vcc
.LBB87_1307:
	s_mov_b64 s[4:5], 0
.LBB87_1308:
	s_andn2_b64 vcc, exec, s[4:5]
	s_cbranch_vccnz .LBB87_1310
; %bb.1309:
	global_load_ubyte v1, v[14:15], off
	s_movk_i32 s4, 0x7f00
	s_brev_b32 s5, 16
	s_brev_b32 s6, 1
	s_mov_b32 s7, 0x2f800000
	s_mov_b32 s12, 0xcf800000
	s_waitcnt vmcnt(0)
	v_lshlrev_b16_e32 v3, 8, v1
	v_lshlrev_b32_e32 v1, 25, v1
	v_lshrrev_b32_e32 v5, 4, v1
	v_and_or_b32 v9, v3, s4, 0.5
	v_or_b32_e32 v5, 0x70000000, v5
	v_add_f32_e32 v9, -0.5, v9
	v_mul_f32_e32 v5, 0x7800000, v5
	v_cmp_gt_u32_e32 vcc, s5, v1
	v_bfe_i32 v3, v3, 0, 16
	v_cndmask_b32_e32 v1, v5, v9, vcc
	v_and_or_b32 v1, v3, s6, v1
	v_trunc_f32_e32 v1, v1
	v_mul_f32_e64 v3, |v1|, s7
	v_floor_f32_e32 v3, v3
	v_fma_f32 v5, v3, s12, |v1|
	v_cvt_u32_f32_e32 v5, v5
	v_cvt_u32_f32_e32 v3, v3
	v_ashrrev_i32_e32 v1, 31, v1
	v_xor_b32_e32 v5, v5, v1
	v_xor_b32_e32 v3, v3, v1
	v_sub_co_u32_e32 v9, vcc, v5, v1
	v_subb_co_u32_e32 v10, vcc, v3, v1, vcc
.LBB87_1310:
	s_mov_b64 s[4:5], 0
	s_mov_b64 s[6:7], -1
.LBB87_1311:
	s_andn2_b64 vcc, exec, s[4:5]
	s_mov_b64 s[4:5], 0
	s_cbranch_vccnz .LBB87_1320
; %bb.1312:
	s_cmp_gt_i32 s15, 14
	s_cbranch_scc0 .LBB87_1315
; %bb.1313:
	s_cmp_eq_u32 s15, 15
	s_cbranch_scc0 .LBB87_1316
; %bb.1314:
	global_load_ushort v1, v[14:15], off
	s_mov_b32 s0, 0x2f800000
	s_mov_b32 s1, 0xcf800000
	s_mov_b64 s[6:7], -1
	s_waitcnt vmcnt(0)
	v_lshlrev_b32_e32 v1, 16, v1
	v_trunc_f32_e32 v1, v1
	v_mul_f32_e64 v3, |v1|, s0
	v_floor_f32_e32 v3, v3
	v_fma_f32 v5, v3, s1, |v1|
	v_cvt_u32_f32_e32 v5, v5
	v_cvt_u32_f32_e32 v3, v3
	v_ashrrev_i32_e32 v1, 31, v1
	s_mov_b64 s[0:1], 0
	v_xor_b32_e32 v5, v5, v1
	v_xor_b32_e32 v3, v3, v1
	v_sub_co_u32_e32 v9, vcc, v5, v1
	v_subb_co_u32_e32 v10, vcc, v3, v1, vcc
	s_branch .LBB87_1317
.LBB87_1315:
	s_mov_b64 s[12:13], -1
                                        ; implicit-def: $vgpr9_vgpr10
	s_branch .LBB87_1318
.LBB87_1316:
	s_mov_b64 s[0:1], -1
                                        ; implicit-def: $vgpr9_vgpr10
.LBB87_1317:
	s_mov_b64 s[12:13], 0
.LBB87_1318:
	s_and_b64 vcc, exec, s[12:13]
	s_cbranch_vccz .LBB87_1320
; %bb.1319:
	s_cmp_lg_u32 s15, 11
	s_mov_b64 s[4:5], -1
	s_cselect_b64 s[0:1], -1, 0
.LBB87_1320:
	s_and_b64 vcc, exec, s[0:1]
	s_cbranch_vccnz .LBB87_1383
; %bb.1321:
	s_andn2_b64 vcc, exec, s[4:5]
	s_cbranch_vccnz .LBB87_1323
.LBB87_1322:
	global_load_ubyte v1, v[14:15], off
	s_mov_b32 s0, 0
	s_waitcnt vmcnt(1)
	v_mov_b32_e32 v10, s0
	s_mov_b64 s[6:7], -1
	s_waitcnt vmcnt(0)
	v_cmp_ne_u16_e32 vcc, 0, v1
	v_cndmask_b32_e64 v9, 0, 1, vcc
.LBB87_1323:
	s_branch .LBB87_1254
.LBB87_1324:
	s_and_b32 s4, 0xffff, s14
	s_cmp_lt_i32 s4, 5
	s_cbranch_scc1 .LBB87_1329
; %bb.1325:
	s_cmp_lt_i32 s4, 8
	s_cbranch_scc1 .LBB87_1330
; %bb.1326:
	;; [unrolled: 3-line block ×3, first 2 shown]
	s_cmp_gt_i32 s4, 9
	s_cbranch_scc0 .LBB87_1332
; %bb.1328:
	global_load_dwordx2 v[9:10], v[14:15], off
	s_movk_i32 s0, 0xffe0
	s_waitcnt vmcnt(0)
	v_trunc_f64_e32 v[9:10], v[9:10]
	v_ldexp_f64 v[16:17], v[9:10], s0
	s_mov_b32 s0, 0
	s_mov_b32 s1, 0xc1f00000
	v_floor_f64_e32 v[16:17], v[16:17]
	v_fma_f64 v[18:19], v[16:17], s[0:1], v[9:10]
	v_cvt_i32_f64_e32 v10, v[16:17]
	s_mov_b64 s[0:1], 0
	v_cvt_u32_f64_e32 v9, v[18:19]
	s_branch .LBB87_1333
.LBB87_1329:
                                        ; implicit-def: $vgpr9_vgpr10
	s_branch .LBB87_1351
.LBB87_1330:
	s_mov_b64 s[0:1], -1
                                        ; implicit-def: $vgpr9_vgpr10
	s_branch .LBB87_1339
.LBB87_1331:
	s_mov_b64 s[0:1], -1
                                        ; implicit-def: $vgpr9_vgpr10
	s_branch .LBB87_1336
.LBB87_1332:
	s_mov_b64 s[0:1], -1
                                        ; implicit-def: $vgpr9_vgpr10
.LBB87_1333:
	s_andn2_b64 vcc, exec, s[0:1]
	s_cbranch_vccnz .LBB87_1335
; %bb.1334:
	global_load_dword v1, v[14:15], off
	s_mov_b32 s0, 0x2f800000
	s_mov_b32 s1, 0xcf800000
	s_waitcnt vmcnt(0)
	v_trunc_f32_e32 v1, v1
	v_mul_f32_e64 v3, |v1|, s0
	v_floor_f32_e32 v3, v3
	v_cvt_u32_f32_e32 v5, v3
	v_fma_f32 v3, v3, s1, |v1|
	v_cvt_u32_f32_e32 v3, v3
	v_ashrrev_i32_e32 v1, 31, v1
	v_xor_b32_e32 v5, v5, v1
	v_xor_b32_e32 v3, v3, v1
	v_sub_co_u32_e32 v9, vcc, v3, v1
	v_subb_co_u32_e32 v10, vcc, v5, v1, vcc
.LBB87_1335:
	s_mov_b64 s[0:1], 0
.LBB87_1336:
	s_andn2_b64 vcc, exec, s[0:1]
	s_cbranch_vccnz .LBB87_1338
; %bb.1337:
	global_load_dword v1, v[14:15], off
	s_waitcnt vmcnt(0)
	v_cvt_f32_f16_e32 v1, v1
	v_cvt_i32_f32_e32 v9, v1
	v_ashrrev_i32_e32 v10, 31, v9
.LBB87_1338:
	s_mov_b64 s[0:1], 0
.LBB87_1339:
	s_andn2_b64 vcc, exec, s[0:1]
	s_cbranch_vccnz .LBB87_1350
; %bb.1340:
	s_cmp_lt_i32 s4, 6
	s_cbranch_scc1 .LBB87_1343
; %bb.1341:
	s_cmp_gt_i32 s4, 6
	s_cbranch_scc0 .LBB87_1344
; %bb.1342:
	global_load_dwordx2 v[9:10], v[14:15], off
	s_movk_i32 s0, 0xffe0
	s_waitcnt vmcnt(0)
	v_trunc_f64_e32 v[9:10], v[9:10]
	v_ldexp_f64 v[16:17], v[9:10], s0
	s_mov_b32 s0, 0
	s_mov_b32 s1, 0xc1f00000
	v_floor_f64_e32 v[16:17], v[16:17]
	v_fma_f64 v[18:19], v[16:17], s[0:1], v[9:10]
	v_cvt_i32_f64_e32 v10, v[16:17]
	s_mov_b64 s[0:1], 0
	v_cvt_u32_f64_e32 v9, v[18:19]
	s_branch .LBB87_1345
.LBB87_1343:
	s_mov_b64 s[0:1], -1
                                        ; implicit-def: $vgpr9_vgpr10
	s_branch .LBB87_1348
.LBB87_1344:
	s_mov_b64 s[0:1], -1
                                        ; implicit-def: $vgpr9_vgpr10
.LBB87_1345:
	s_andn2_b64 vcc, exec, s[0:1]
	s_cbranch_vccnz .LBB87_1347
; %bb.1346:
	global_load_dword v1, v[14:15], off
	s_mov_b32 s0, 0x2f800000
	s_mov_b32 s1, 0xcf800000
	s_waitcnt vmcnt(0)
	v_trunc_f32_e32 v1, v1
	v_mul_f32_e64 v3, |v1|, s0
	v_floor_f32_e32 v3, v3
	v_cvt_u32_f32_e32 v5, v3
	v_fma_f32 v3, v3, s1, |v1|
	v_cvt_u32_f32_e32 v3, v3
	v_ashrrev_i32_e32 v1, 31, v1
	v_xor_b32_e32 v5, v5, v1
	v_xor_b32_e32 v3, v3, v1
	v_sub_co_u32_e32 v9, vcc, v3, v1
	v_subb_co_u32_e32 v10, vcc, v5, v1, vcc
.LBB87_1347:
	s_mov_b64 s[0:1], 0
.LBB87_1348:
	s_andn2_b64 vcc, exec, s[0:1]
	s_cbranch_vccnz .LBB87_1350
; %bb.1349:
	global_load_ushort v1, v[14:15], off
	s_waitcnt vmcnt(0)
	v_cvt_f32_f16_e32 v1, v1
	v_cvt_i32_f32_e32 v9, v1
	v_ashrrev_i32_e32 v10, 31, v9
.LBB87_1350:
	s_cbranch_execnz .LBB87_1370
.LBB87_1351:
	s_cmp_lt_i32 s4, 2
	s_cbranch_scc1 .LBB87_1355
; %bb.1352:
	s_cmp_lt_i32 s4, 3
	s_cbranch_scc1 .LBB87_1356
; %bb.1353:
	s_cmp_gt_i32 s4, 3
	s_cbranch_scc0 .LBB87_1357
; %bb.1354:
	global_load_dwordx2 v[9:10], v[14:15], off
	s_mov_b64 s[0:1], 0
	s_branch .LBB87_1358
.LBB87_1355:
	s_mov_b64 s[0:1], -1
                                        ; implicit-def: $vgpr9_vgpr10
	s_branch .LBB87_1364
.LBB87_1356:
	s_mov_b64 s[0:1], -1
                                        ; implicit-def: $vgpr9_vgpr10
	s_branch .LBB87_1361
.LBB87_1357:
	s_mov_b64 s[0:1], -1
                                        ; implicit-def: $vgpr9_vgpr10
.LBB87_1358:
	s_andn2_b64 vcc, exec, s[0:1]
	s_cbranch_vccnz .LBB87_1360
; %bb.1359:
	global_load_dword v9, v[14:15], off
	s_waitcnt vmcnt(0)
	v_ashrrev_i32_e32 v10, 31, v9
.LBB87_1360:
	s_mov_b64 s[0:1], 0
.LBB87_1361:
	s_andn2_b64 vcc, exec, s[0:1]
	s_cbranch_vccnz .LBB87_1363
; %bb.1362:
	global_load_ushort v1, v[14:15], off
	s_waitcnt vmcnt(0)
	v_bfe_i32 v9, v1, 0, 16
	v_ashrrev_i32_e32 v10, 31, v9
.LBB87_1363:
	s_mov_b64 s[0:1], 0
.LBB87_1364:
	s_andn2_b64 vcc, exec, s[0:1]
	s_cbranch_vccnz .LBB87_1370
; %bb.1365:
	s_cmp_gt_i32 s4, 0
	s_cbranch_scc0 .LBB87_1367
; %bb.1366:
	global_load_sbyte v1, v[14:15], off
	s_mov_b64 s[0:1], 0
	s_waitcnt vmcnt(0)
	v_bfe_i32 v9, v1, 0, 16
	v_ashrrev_i32_e32 v10, 31, v9
	s_branch .LBB87_1368
.LBB87_1367:
	s_mov_b64 s[0:1], -1
                                        ; implicit-def: $vgpr9_vgpr10
.LBB87_1368:
	s_andn2_b64 vcc, exec, s[0:1]
	s_cbranch_vccnz .LBB87_1370
; %bb.1369:
	global_load_ubyte v1, v[14:15], off
	s_mov_b32 s0, 0
	s_waitcnt vmcnt(1)
	v_mov_b32_e32 v10, s0
	s_waitcnt vmcnt(0)
	v_and_b32_e32 v9, 0xffff, v1
.LBB87_1370:
.LBB87_1371:
	v_mov_b32_e32 v1, s11
	v_add_co_u32_e32 v14, vcc, s10, v11
	s_cmp_lt_i32 s14, 11
	v_addc_co_u32_e32 v15, vcc, 0, v1, vcc
	s_cbranch_scc1 .LBB87_1378
; %bb.1372:
	s_and_b32 s15, 0xffff, s14
	s_cmp_gt_i32 s15, 25
	s_mov_b64 s[4:5], 0
	s_cbranch_scc0 .LBB87_1380
; %bb.1373:
	s_cmp_gt_i32 s15, 28
	s_cbranch_scc0 .LBB87_1381
; %bb.1374:
	s_cmp_gt_i32 s15, 43
	;; [unrolled: 3-line block ×3, first 2 shown]
	s_cbranch_scc0 .LBB87_1384
; %bb.1376:
	s_cmp_eq_u32 s15, 46
	s_mov_b64 s[12:13], 0
	s_cbranch_scc0 .LBB87_1385
; %bb.1377:
	global_load_dword v1, v[14:15], off
	s_mov_b32 s0, 0x2f800000
	s_mov_b32 s1, 0xcf800000
	s_mov_b64 s[6:7], -1
	s_waitcnt vmcnt(0)
	v_lshlrev_b32_e32 v1, 16, v1
	v_trunc_f32_e32 v1, v1
	v_mul_f32_e64 v3, |v1|, s0
	v_floor_f32_e32 v3, v3
	v_fma_f32 v5, v3, s1, |v1|
	v_cvt_u32_f32_e32 v5, v5
	v_cvt_u32_f32_e32 v3, v3
	v_ashrrev_i32_e32 v1, 31, v1
	s_mov_b64 s[0:1], 0
	v_xor_b32_e32 v5, v5, v1
	v_xor_b32_e32 v3, v3, v1
	v_sub_co_u32_e32 v11, vcc, v5, v1
	v_subb_co_u32_e32 v12, vcc, v3, v1, vcc
	s_branch .LBB87_1386
.LBB87_1378:
	s_mov_b64 s[6:7], 0
                                        ; implicit-def: $vgpr11_vgpr12
	s_cbranch_execnz .LBB87_1448
.LBB87_1379:
	s_andn2_b64 vcc, exec, s[6:7]
	s_cbranch_vccnz .LBB87_2055
	s_branch .LBB87_1496
.LBB87_1380:
	s_mov_b64 s[12:13], -1
	s_mov_b64 s[6:7], 0
	s_mov_b64 s[0:1], 0
                                        ; implicit-def: $vgpr11_vgpr12
	s_branch .LBB87_1415
.LBB87_1381:
	s_mov_b64 s[12:13], -1
	s_mov_b64 s[6:7], 0
	s_mov_b64 s[0:1], 0
                                        ; implicit-def: $vgpr11_vgpr12
	s_branch .LBB87_1396
.LBB87_1382:
	s_mov_b64 s[12:13], -1
	s_mov_b64 s[6:7], 0
	s_mov_b64 s[0:1], 0
                                        ; implicit-def: $vgpr11_vgpr12
	s_branch .LBB87_1391
.LBB87_1383:
	s_trap 2
	s_or_b64 s[2:3], s[2:3], exec
	s_cbranch_execz .LBB87_1322
	s_branch .LBB87_1323
.LBB87_1384:
	s_mov_b64 s[12:13], -1
	s_mov_b64 s[6:7], 0
	s_mov_b64 s[0:1], 0
                                        ; implicit-def: $vgpr11_vgpr12
	s_branch .LBB87_1386
.LBB87_1385:
	s_mov_b64 s[0:1], -1
                                        ; implicit-def: $vgpr11_vgpr12
	s_mov_b64 s[6:7], 0
.LBB87_1386:
	s_and_b64 vcc, exec, s[12:13]
	s_cbranch_vccz .LBB87_1390
; %bb.1387:
	s_cmp_eq_u32 s15, 44
	s_cbranch_scc0 .LBB87_1389
; %bb.1388:
	global_load_ubyte v1, v[14:15], off
	s_mov_b32 s0, 0x2f800000
	s_mov_b32 s1, 0xcf800000
	s_mov_b64 s[6:7], -1
	s_waitcnt vmcnt(0)
	v_lshlrev_b32_e32 v3, 23, v1
	v_trunc_f32_e32 v3, v3
	v_mul_f32_e64 v5, |v3|, s0
	v_floor_f32_e32 v5, v5
	v_fma_f32 v11, v5, s1, |v3|
	v_cvt_u32_f32_e32 v11, v11
	v_cvt_u32_f32_e32 v5, v5
	v_ashrrev_i32_e32 v3, 31, v3
	s_mov_b64 s[0:1], 0
	v_xor_b32_e32 v11, v11, v3
	v_xor_b32_e32 v5, v5, v3
	v_sub_co_u32_e32 v11, vcc, v11, v3
	v_subb_co_u32_e32 v3, vcc, v5, v3, vcc
	v_cmp_ne_u32_e32 vcc, 0, v1
	v_cndmask_b32_e32 v12, 0, v3, vcc
	v_cndmask_b32_e32 v11, 0, v11, vcc
	s_branch .LBB87_1390
.LBB87_1389:
	s_mov_b64 s[0:1], -1
                                        ; implicit-def: $vgpr11_vgpr12
.LBB87_1390:
	s_mov_b64 s[12:13], 0
.LBB87_1391:
	s_and_b64 vcc, exec, s[12:13]
	s_cbranch_vccz .LBB87_1395
; %bb.1392:
	s_cmp_eq_u32 s15, 29
	s_cbranch_scc0 .LBB87_1394
; %bb.1393:
	global_load_dwordx2 v[11:12], v[14:15], off
	s_mov_b64 s[0:1], 0
	s_mov_b64 s[6:7], -1
	s_branch .LBB87_1395
.LBB87_1394:
	s_mov_b64 s[0:1], -1
                                        ; implicit-def: $vgpr11_vgpr12
.LBB87_1395:
	s_mov_b64 s[12:13], 0
.LBB87_1396:
	s_and_b64 vcc, exec, s[12:13]
	s_cbranch_vccz .LBB87_1414
; %bb.1397:
	s_cmp_lt_i32 s15, 27
	s_cbranch_scc1 .LBB87_1400
; %bb.1398:
	s_cmp_gt_i32 s15, 27
	s_cbranch_scc0 .LBB87_1401
; %bb.1399:
	global_load_dword v11, v[14:15], off
	s_waitcnt vmcnt(1)
	v_mov_b32_e32 v12, 0
	s_mov_b64 s[6:7], 0
	s_branch .LBB87_1402
.LBB87_1400:
	s_mov_b64 s[6:7], -1
                                        ; implicit-def: $vgpr11_vgpr12
	s_branch .LBB87_1405
.LBB87_1401:
	s_mov_b64 s[6:7], -1
                                        ; implicit-def: $vgpr11_vgpr12
.LBB87_1402:
	s_andn2_b64 vcc, exec, s[6:7]
	s_cbranch_vccnz .LBB87_1404
; %bb.1403:
	global_load_ushort v1, v[14:15], off
	s_mov_b32 s6, 0
	s_waitcnt vmcnt(1)
	v_mov_b32_e32 v12, s6
	s_waitcnt vmcnt(0)
	v_and_b32_e32 v11, 0xffff, v1
.LBB87_1404:
	s_mov_b64 s[6:7], 0
.LBB87_1405:
	s_andn2_b64 vcc, exec, s[6:7]
	s_cbranch_vccnz .LBB87_1413
; %bb.1406:
	global_load_ubyte v1, v[14:15], off
	s_movk_i32 s6, 0x7f
	s_mov_b64 s[12:13], 0
	s_waitcnt vmcnt(0)
	v_cmp_lt_i16_e32 vcc, s6, v1
	s_and_saveexec_b64 s[6:7], vcc
	s_xor_b64 s[6:7], exec, s[6:7]
; %bb.1407:
	s_movk_i32 s12, 0x80
	v_cmp_ne_u16_e32 vcc, s12, v1
	s_and_b64 s[12:13], vcc, exec
; %bb.1408:
	s_andn2_saveexec_b64 s[6:7], s[6:7]
; %bb.1409:
	v_cmp_ne_u16_e32 vcc, 0, v1
	s_andn2_b64 s[12:13], s[12:13], exec
	s_and_b64 s[16:17], vcc, exec
	s_or_b64 s[12:13], s[12:13], s[16:17]
; %bb.1410:
	s_or_b64 exec, exec, s[6:7]
	v_mov_b32_e32 v11, 0
	v_mov_b32_e32 v12, 0
	s_and_saveexec_b64 s[6:7], s[12:13]
	s_cbranch_execz .LBB87_1412
; %bb.1411:
	v_lshlrev_b32_e32 v3, 24, v1
	v_and_b32_e32 v1, 0xffff, v1
	v_and_b32_e32 v5, 7, v1
	v_ffbh_u32_e32 v12, v5
	v_min_u32_e32 v12, 32, v12
	v_subrev_u32_e32 v16, 28, v12
	v_bfe_u32 v11, v1, 3, 4
	v_lshlrev_b32_e32 v1, v16, v1
	v_sub_u32_e32 v12, 29, v12
	v_and_b32_e32 v1, 7, v1
	v_cmp_eq_u32_e32 vcc, 0, v11
	v_cndmask_b32_e32 v11, v11, v12, vcc
	v_cndmask_b32_e32 v1, v5, v1, vcc
	v_mov_b32_e32 v5, 0x3b800000
	v_lshlrev_b32_e32 v1, 20, v1
	v_and_b32_e32 v3, 0x80000000, v3
	v_lshl_add_u32 v5, v11, 23, v5
	v_or3_b32 v1, v3, v5, v1
	v_trunc_f32_e32 v1, v1
	s_mov_b32 s12, 0x2f800000
	v_mul_f32_e64 v3, |v1|, s12
	v_floor_f32_e32 v3, v3
	s_mov_b32 s12, 0xcf800000
	v_fma_f32 v5, v3, s12, |v1|
	v_cvt_u32_f32_e32 v5, v5
	v_cvt_u32_f32_e32 v3, v3
	v_ashrrev_i32_e32 v1, 31, v1
	v_xor_b32_e32 v5, v5, v1
	v_xor_b32_e32 v3, v3, v1
	v_sub_co_u32_e32 v11, vcc, v5, v1
	v_subb_co_u32_e32 v12, vcc, v3, v1, vcc
.LBB87_1412:
	s_or_b64 exec, exec, s[6:7]
.LBB87_1413:
	s_mov_b64 s[6:7], -1
.LBB87_1414:
	s_mov_b64 s[12:13], 0
.LBB87_1415:
	s_and_b64 vcc, exec, s[12:13]
	s_cbranch_vccz .LBB87_1444
; %bb.1416:
	s_cmp_gt_i32 s15, 22
	s_cbranch_scc0 .LBB87_1426
; %bb.1417:
	s_cmp_lt_i32 s15, 24
	s_cbranch_scc1 .LBB87_1427
; %bb.1418:
	s_cmp_gt_i32 s15, 24
	s_cbranch_scc0 .LBB87_1428
; %bb.1419:
	global_load_ubyte v1, v[14:15], off
	s_movk_i32 s4, 0x7f
	s_mov_b64 s[6:7], 0
	s_waitcnt vmcnt(0)
	v_cmp_lt_i16_e32 vcc, s4, v1
	s_and_saveexec_b64 s[4:5], vcc
	s_xor_b64 s[4:5], exec, s[4:5]
; %bb.1420:
	s_movk_i32 s6, 0x80
	v_cmp_ne_u16_e32 vcc, s6, v1
	s_and_b64 s[6:7], vcc, exec
; %bb.1421:
	s_andn2_saveexec_b64 s[4:5], s[4:5]
; %bb.1422:
	v_cmp_ne_u16_e32 vcc, 0, v1
	s_andn2_b64 s[6:7], s[6:7], exec
	s_and_b64 s[12:13], vcc, exec
	s_or_b64 s[6:7], s[6:7], s[12:13]
; %bb.1423:
	s_or_b64 exec, exec, s[4:5]
	v_mov_b32_e32 v11, 0
	v_mov_b32_e32 v12, 0
	s_and_saveexec_b64 s[4:5], s[6:7]
	s_cbranch_execz .LBB87_1425
; %bb.1424:
	v_lshlrev_b32_e32 v3, 24, v1
	v_and_b32_e32 v1, 0xffff, v1
	v_and_b32_e32 v5, 3, v1
	v_ffbh_u32_e32 v12, v5
	v_min_u32_e32 v12, 32, v12
	v_subrev_u32_e32 v16, 29, v12
	v_bfe_u32 v11, v1, 2, 5
	v_lshlrev_b32_e32 v1, v16, v1
	v_sub_u32_e32 v12, 30, v12
	v_and_b32_e32 v1, 3, v1
	v_cmp_eq_u32_e32 vcc, 0, v11
	v_cndmask_b32_e32 v11, v11, v12, vcc
	v_cndmask_b32_e32 v1, v5, v1, vcc
	v_mov_b32_e32 v5, 0x37800000
	v_lshlrev_b32_e32 v1, 21, v1
	v_and_b32_e32 v3, 0x80000000, v3
	v_lshl_add_u32 v5, v11, 23, v5
	v_or3_b32 v1, v3, v5, v1
	v_trunc_f32_e32 v1, v1
	s_mov_b32 s6, 0x2f800000
	v_mul_f32_e64 v3, |v1|, s6
	v_floor_f32_e32 v3, v3
	s_mov_b32 s6, 0xcf800000
	v_fma_f32 v5, v3, s6, |v1|
	v_cvt_u32_f32_e32 v5, v5
	v_cvt_u32_f32_e32 v3, v3
	v_ashrrev_i32_e32 v1, 31, v1
	v_xor_b32_e32 v5, v5, v1
	v_xor_b32_e32 v3, v3, v1
	v_sub_co_u32_e32 v11, vcc, v5, v1
	v_subb_co_u32_e32 v12, vcc, v3, v1, vcc
.LBB87_1425:
	s_or_b64 exec, exec, s[4:5]
	s_mov_b64 s[4:5], 0
	s_branch .LBB87_1429
.LBB87_1426:
	s_mov_b64 s[4:5], -1
                                        ; implicit-def: $vgpr11_vgpr12
	s_branch .LBB87_1435
.LBB87_1427:
	s_mov_b64 s[4:5], -1
                                        ; implicit-def: $vgpr11_vgpr12
	s_branch .LBB87_1432
.LBB87_1428:
	s_mov_b64 s[4:5], -1
                                        ; implicit-def: $vgpr11_vgpr12
.LBB87_1429:
	s_and_b64 vcc, exec, s[4:5]
	s_cbranch_vccz .LBB87_1431
; %bb.1430:
	global_load_ubyte v1, v[14:15], off
	s_mov_b32 s4, 0x7f800000
	s_brev_b32 s5, 1
	s_mov_b32 s6, 0x2f800000
	s_mov_b32 s7, 0xcf800000
	s_waitcnt vmcnt(0)
	v_lshlrev_b32_e32 v1, 24, v1
	v_and_b32_e32 v3, 0x7f000000, v1
	v_ffbh_u32_e32 v5, v3
	v_min_u32_e32 v5, 32, v5
	v_sub_u32_e64 v5, v5, 4 clamp
	v_lshlrev_b32_e32 v12, v5, v3
	v_lshlrev_b32_e32 v5, 23, v5
	v_lshrrev_b32_e32 v12, 4, v12
	v_add_u32_e32 v11, 0x1000000, v3
	v_sub_u32_e32 v5, v12, v5
	v_ashrrev_i32_e32 v11, 8, v11
	v_add_u32_e32 v5, 0x3c000000, v5
	v_and_or_b32 v5, v11, s4, v5
	v_cmp_ne_u32_e32 vcc, 0, v3
	v_cndmask_b32_e32 v3, 0, v5, vcc
	v_and_or_b32 v1, v1, s5, v3
	v_trunc_f32_e32 v1, v1
	v_mul_f32_e64 v3, |v1|, s6
	v_floor_f32_e32 v3, v3
	v_fma_f32 v5, v3, s7, |v1|
	v_cvt_u32_f32_e32 v5, v5
	v_cvt_u32_f32_e32 v3, v3
	v_ashrrev_i32_e32 v1, 31, v1
	v_xor_b32_e32 v5, v5, v1
	v_xor_b32_e32 v3, v3, v1
	v_sub_co_u32_e32 v11, vcc, v5, v1
	v_subb_co_u32_e32 v12, vcc, v3, v1, vcc
.LBB87_1431:
	s_mov_b64 s[4:5], 0
.LBB87_1432:
	s_andn2_b64 vcc, exec, s[4:5]
	s_cbranch_vccnz .LBB87_1434
; %bb.1433:
	global_load_ubyte v1, v[14:15], off
	s_movk_i32 s4, 0x7f00
	s_brev_b32 s5, 16
	s_brev_b32 s6, 1
	s_mov_b32 s7, 0x2f800000
	s_mov_b32 s12, 0xcf800000
	s_waitcnt vmcnt(0)
	v_lshlrev_b16_e32 v3, 8, v1
	v_lshlrev_b32_e32 v1, 25, v1
	v_lshrrev_b32_e32 v5, 4, v1
	v_and_or_b32 v11, v3, s4, 0.5
	v_or_b32_e32 v5, 0x70000000, v5
	v_add_f32_e32 v11, -0.5, v11
	v_mul_f32_e32 v5, 0x7800000, v5
	v_cmp_gt_u32_e32 vcc, s5, v1
	v_bfe_i32 v3, v3, 0, 16
	v_cndmask_b32_e32 v1, v5, v11, vcc
	v_and_or_b32 v1, v3, s6, v1
	v_trunc_f32_e32 v1, v1
	v_mul_f32_e64 v3, |v1|, s7
	v_floor_f32_e32 v3, v3
	v_fma_f32 v5, v3, s12, |v1|
	v_cvt_u32_f32_e32 v5, v5
	v_cvt_u32_f32_e32 v3, v3
	v_ashrrev_i32_e32 v1, 31, v1
	v_xor_b32_e32 v5, v5, v1
	v_xor_b32_e32 v3, v3, v1
	v_sub_co_u32_e32 v11, vcc, v5, v1
	v_subb_co_u32_e32 v12, vcc, v3, v1, vcc
.LBB87_1434:
	s_mov_b64 s[4:5], 0
	s_mov_b64 s[6:7], -1
.LBB87_1435:
	s_andn2_b64 vcc, exec, s[4:5]
	s_mov_b64 s[4:5], 0
	s_cbranch_vccnz .LBB87_1444
; %bb.1436:
	s_cmp_gt_i32 s15, 14
	s_cbranch_scc0 .LBB87_1439
; %bb.1437:
	s_cmp_eq_u32 s15, 15
	s_cbranch_scc0 .LBB87_1440
; %bb.1438:
	global_load_ushort v1, v[14:15], off
	s_mov_b32 s0, 0x2f800000
	s_mov_b32 s1, 0xcf800000
	s_mov_b64 s[6:7], -1
	s_waitcnt vmcnt(0)
	v_lshlrev_b32_e32 v1, 16, v1
	v_trunc_f32_e32 v1, v1
	v_mul_f32_e64 v3, |v1|, s0
	v_floor_f32_e32 v3, v3
	v_fma_f32 v5, v3, s1, |v1|
	v_cvt_u32_f32_e32 v5, v5
	v_cvt_u32_f32_e32 v3, v3
	v_ashrrev_i32_e32 v1, 31, v1
	s_mov_b64 s[0:1], 0
	v_xor_b32_e32 v5, v5, v1
	v_xor_b32_e32 v3, v3, v1
	v_sub_co_u32_e32 v11, vcc, v5, v1
	v_subb_co_u32_e32 v12, vcc, v3, v1, vcc
	s_branch .LBB87_1441
.LBB87_1439:
	s_mov_b64 s[12:13], -1
                                        ; implicit-def: $vgpr11_vgpr12
	s_branch .LBB87_1442
.LBB87_1440:
	s_mov_b64 s[0:1], -1
                                        ; implicit-def: $vgpr11_vgpr12
.LBB87_1441:
	s_mov_b64 s[12:13], 0
.LBB87_1442:
	s_and_b64 vcc, exec, s[12:13]
	s_cbranch_vccz .LBB87_1444
; %bb.1443:
	s_cmp_lg_u32 s15, 11
	s_mov_b64 s[4:5], -1
	s_cselect_b64 s[0:1], -1, 0
.LBB87_1444:
	s_and_b64 vcc, exec, s[0:1]
	s_cbranch_vccnz .LBB87_1507
; %bb.1445:
	s_andn2_b64 vcc, exec, s[4:5]
	s_cbranch_vccnz .LBB87_1447
.LBB87_1446:
	global_load_ubyte v1, v[14:15], off
	s_mov_b32 s0, 0
	s_waitcnt vmcnt(1)
	v_mov_b32_e32 v12, s0
	s_mov_b64 s[6:7], -1
	s_waitcnt vmcnt(0)
	v_cmp_ne_u16_e32 vcc, 0, v1
	v_cndmask_b32_e64 v11, 0, 1, vcc
.LBB87_1447:
	s_branch .LBB87_1379
.LBB87_1448:
	s_and_b32 s4, 0xffff, s14
	s_cmp_lt_i32 s4, 5
	s_cbranch_scc1 .LBB87_1453
; %bb.1449:
	s_cmp_lt_i32 s4, 8
	s_cbranch_scc1 .LBB87_1454
; %bb.1450:
	;; [unrolled: 3-line block ×3, first 2 shown]
	s_cmp_gt_i32 s4, 9
	s_cbranch_scc0 .LBB87_1456
; %bb.1452:
	global_load_dwordx2 v[11:12], v[14:15], off
	s_movk_i32 s0, 0xffe0
	s_waitcnt vmcnt(0)
	v_trunc_f64_e32 v[11:12], v[11:12]
	v_ldexp_f64 v[16:17], v[11:12], s0
	s_mov_b32 s0, 0
	s_mov_b32 s1, 0xc1f00000
	v_floor_f64_e32 v[16:17], v[16:17]
	v_fma_f64 v[18:19], v[16:17], s[0:1], v[11:12]
	v_cvt_i32_f64_e32 v12, v[16:17]
	s_mov_b64 s[0:1], 0
	v_cvt_u32_f64_e32 v11, v[18:19]
	s_branch .LBB87_1457
.LBB87_1453:
	s_mov_b64 s[0:1], -1
                                        ; implicit-def: $vgpr11_vgpr12
	s_branch .LBB87_1475
.LBB87_1454:
	s_mov_b64 s[0:1], -1
                                        ; implicit-def: $vgpr11_vgpr12
	s_branch .LBB87_1463
.LBB87_1455:
	s_mov_b64 s[0:1], -1
                                        ; implicit-def: $vgpr11_vgpr12
	s_branch .LBB87_1460
.LBB87_1456:
	s_mov_b64 s[0:1], -1
                                        ; implicit-def: $vgpr11_vgpr12
.LBB87_1457:
	s_andn2_b64 vcc, exec, s[0:1]
	s_cbranch_vccnz .LBB87_1459
; %bb.1458:
	global_load_dword v1, v[14:15], off
	s_mov_b32 s0, 0x2f800000
	s_mov_b32 s1, 0xcf800000
	s_waitcnt vmcnt(0)
	v_trunc_f32_e32 v1, v1
	v_mul_f32_e64 v3, |v1|, s0
	v_floor_f32_e32 v3, v3
	v_cvt_u32_f32_e32 v5, v3
	v_fma_f32 v3, v3, s1, |v1|
	v_cvt_u32_f32_e32 v3, v3
	v_ashrrev_i32_e32 v1, 31, v1
	v_xor_b32_e32 v5, v5, v1
	v_xor_b32_e32 v3, v3, v1
	v_sub_co_u32_e32 v11, vcc, v3, v1
	v_subb_co_u32_e32 v12, vcc, v5, v1, vcc
.LBB87_1459:
	s_mov_b64 s[0:1], 0
.LBB87_1460:
	s_andn2_b64 vcc, exec, s[0:1]
	s_cbranch_vccnz .LBB87_1462
; %bb.1461:
	global_load_dword v1, v[14:15], off
	s_waitcnt vmcnt(0)
	v_cvt_f32_f16_e32 v1, v1
	v_cvt_i32_f32_e32 v11, v1
	v_ashrrev_i32_e32 v12, 31, v11
.LBB87_1462:
	s_mov_b64 s[0:1], 0
.LBB87_1463:
	s_andn2_b64 vcc, exec, s[0:1]
	s_cbranch_vccnz .LBB87_1474
; %bb.1464:
	s_cmp_lt_i32 s4, 6
	s_cbranch_scc1 .LBB87_1467
; %bb.1465:
	s_cmp_gt_i32 s4, 6
	s_cbranch_scc0 .LBB87_1468
; %bb.1466:
	global_load_dwordx2 v[11:12], v[14:15], off
	s_movk_i32 s0, 0xffe0
	s_waitcnt vmcnt(0)
	v_trunc_f64_e32 v[11:12], v[11:12]
	v_ldexp_f64 v[16:17], v[11:12], s0
	s_mov_b32 s0, 0
	s_mov_b32 s1, 0xc1f00000
	v_floor_f64_e32 v[16:17], v[16:17]
	v_fma_f64 v[18:19], v[16:17], s[0:1], v[11:12]
	v_cvt_i32_f64_e32 v12, v[16:17]
	s_mov_b64 s[0:1], 0
	v_cvt_u32_f64_e32 v11, v[18:19]
	s_branch .LBB87_1469
.LBB87_1467:
	s_mov_b64 s[0:1], -1
                                        ; implicit-def: $vgpr11_vgpr12
	s_branch .LBB87_1472
.LBB87_1468:
	s_mov_b64 s[0:1], -1
                                        ; implicit-def: $vgpr11_vgpr12
.LBB87_1469:
	s_andn2_b64 vcc, exec, s[0:1]
	s_cbranch_vccnz .LBB87_1471
; %bb.1470:
	global_load_dword v1, v[14:15], off
	s_mov_b32 s0, 0x2f800000
	s_mov_b32 s1, 0xcf800000
	s_waitcnt vmcnt(0)
	v_trunc_f32_e32 v1, v1
	v_mul_f32_e64 v3, |v1|, s0
	v_floor_f32_e32 v3, v3
	v_cvt_u32_f32_e32 v5, v3
	v_fma_f32 v3, v3, s1, |v1|
	v_cvt_u32_f32_e32 v3, v3
	v_ashrrev_i32_e32 v1, 31, v1
	v_xor_b32_e32 v5, v5, v1
	v_xor_b32_e32 v3, v3, v1
	v_sub_co_u32_e32 v11, vcc, v3, v1
	v_subb_co_u32_e32 v12, vcc, v5, v1, vcc
.LBB87_1471:
	s_mov_b64 s[0:1], 0
.LBB87_1472:
	s_andn2_b64 vcc, exec, s[0:1]
	s_cbranch_vccnz .LBB87_1474
; %bb.1473:
	global_load_ushort v1, v[14:15], off
	s_waitcnt vmcnt(0)
	v_cvt_f32_f16_e32 v1, v1
	v_cvt_i32_f32_e32 v11, v1
	v_ashrrev_i32_e32 v12, 31, v11
.LBB87_1474:
	s_mov_b64 s[0:1], 0
.LBB87_1475:
	s_andn2_b64 vcc, exec, s[0:1]
	s_cbranch_vccnz .LBB87_1495
; %bb.1476:
	s_cmp_lt_i32 s4, 2
	s_cbranch_scc1 .LBB87_1480
; %bb.1477:
	s_cmp_lt_i32 s4, 3
	s_cbranch_scc1 .LBB87_1481
; %bb.1478:
	s_cmp_gt_i32 s4, 3
	s_cbranch_scc0 .LBB87_1482
; %bb.1479:
	global_load_dwordx2 v[11:12], v[14:15], off
	s_mov_b64 s[0:1], 0
	s_branch .LBB87_1483
.LBB87_1480:
	s_mov_b64 s[0:1], -1
                                        ; implicit-def: $vgpr11_vgpr12
	s_branch .LBB87_1489
.LBB87_1481:
	s_mov_b64 s[0:1], -1
                                        ; implicit-def: $vgpr11_vgpr12
	s_branch .LBB87_1486
.LBB87_1482:
	s_mov_b64 s[0:1], -1
                                        ; implicit-def: $vgpr11_vgpr12
.LBB87_1483:
	s_andn2_b64 vcc, exec, s[0:1]
	s_cbranch_vccnz .LBB87_1485
; %bb.1484:
	global_load_dword v11, v[14:15], off
	s_waitcnt vmcnt(0)
	v_ashrrev_i32_e32 v12, 31, v11
.LBB87_1485:
	s_mov_b64 s[0:1], 0
.LBB87_1486:
	s_andn2_b64 vcc, exec, s[0:1]
	s_cbranch_vccnz .LBB87_1488
; %bb.1487:
	global_load_ushort v1, v[14:15], off
	s_waitcnt vmcnt(0)
	v_bfe_i32 v11, v1, 0, 16
	v_ashrrev_i32_e32 v12, 31, v11
.LBB87_1488:
	s_mov_b64 s[0:1], 0
.LBB87_1489:
	s_andn2_b64 vcc, exec, s[0:1]
	s_cbranch_vccnz .LBB87_1495
; %bb.1490:
	s_cmp_gt_i32 s4, 0
	s_cbranch_scc0 .LBB87_1492
; %bb.1491:
	global_load_sbyte v1, v[14:15], off
	s_mov_b64 s[0:1], 0
	s_waitcnt vmcnt(0)
	v_bfe_i32 v11, v1, 0, 16
	v_ashrrev_i32_e32 v12, 31, v11
	s_branch .LBB87_1493
.LBB87_1492:
	s_mov_b64 s[0:1], -1
                                        ; implicit-def: $vgpr11_vgpr12
.LBB87_1493:
	s_andn2_b64 vcc, exec, s[0:1]
	s_cbranch_vccnz .LBB87_1495
; %bb.1494:
	global_load_ubyte v1, v[14:15], off
	s_mov_b32 s0, 0
	s_waitcnt vmcnt(1)
	v_mov_b32_e32 v12, s0
	s_waitcnt vmcnt(0)
	v_and_b32_e32 v11, 0xffff, v1
.LBB87_1495:
.LBB87_1496:
	v_mov_b32_e32 v1, s11
	v_add_co_u32_e32 v15, vcc, s10, v13
	s_cmp_lt_i32 s14, 11
	v_addc_co_u32_e32 v16, vcc, 0, v1, vcc
	s_cbranch_scc1 .LBB87_1503
; %bb.1497:
	s_and_b32 s12, 0xffff, s14
	s_cmp_gt_i32 s12, 25
	s_mov_b64 s[4:5], 0
	s_cbranch_scc0 .LBB87_1504
; %bb.1498:
	s_cmp_gt_i32 s12, 28
	s_cbranch_scc0 .LBB87_1505
; %bb.1499:
	s_cmp_gt_i32 s12, 43
	;; [unrolled: 3-line block ×3, first 2 shown]
	s_cbranch_scc0 .LBB87_1508
; %bb.1501:
	s_cmp_eq_u32 s12, 46
	s_mov_b64 s[10:11], 0
	s_cbranch_scc0 .LBB87_1509
; %bb.1502:
	global_load_dword v1, v[15:16], off
	s_mov_b32 s0, 0x2f800000
	s_mov_b32 s1, 0xcf800000
	s_mov_b64 s[6:7], -1
	s_waitcnt vmcnt(0)
	v_lshlrev_b32_e32 v1, 16, v1
	v_trunc_f32_e32 v1, v1
	v_mul_f32_e64 v3, |v1|, s0
	v_floor_f32_e32 v3, v3
	v_fma_f32 v5, v3, s1, |v1|
	v_cvt_u32_f32_e32 v5, v5
	v_cvt_u32_f32_e32 v3, v3
	v_ashrrev_i32_e32 v1, 31, v1
	s_mov_b64 s[0:1], 0
	v_xor_b32_e32 v5, v5, v1
	v_xor_b32_e32 v3, v3, v1
	v_sub_co_u32_e32 v13, vcc, v5, v1
	v_subb_co_u32_e32 v14, vcc, v3, v1, vcc
	s_branch .LBB87_1510
.LBB87_1503:
	s_mov_b64 s[0:1], -1
	s_mov_b64 s[6:7], 0
                                        ; implicit-def: $vgpr13_vgpr14
	s_branch .LBB87_1572
.LBB87_1504:
	s_mov_b64 s[10:11], -1
	s_mov_b64 s[6:7], 0
	s_mov_b64 s[0:1], 0
                                        ; implicit-def: $vgpr13_vgpr14
	s_branch .LBB87_1539
.LBB87_1505:
	s_mov_b64 s[10:11], -1
	s_mov_b64 s[6:7], 0
	s_mov_b64 s[0:1], 0
                                        ; implicit-def: $vgpr13_vgpr14
	s_branch .LBB87_1520
.LBB87_1506:
	s_mov_b64 s[10:11], -1
	s_mov_b64 s[6:7], 0
	s_mov_b64 s[0:1], 0
                                        ; implicit-def: $vgpr13_vgpr14
	s_branch .LBB87_1515
.LBB87_1507:
	s_trap 2
	s_or_b64 s[2:3], s[2:3], exec
	s_cbranch_execz .LBB87_1446
	s_branch .LBB87_1447
.LBB87_1508:
	s_mov_b64 s[10:11], -1
	s_mov_b64 s[6:7], 0
	s_mov_b64 s[0:1], 0
                                        ; implicit-def: $vgpr13_vgpr14
	s_branch .LBB87_1510
.LBB87_1509:
	s_mov_b64 s[0:1], -1
                                        ; implicit-def: $vgpr13_vgpr14
	s_mov_b64 s[6:7], 0
.LBB87_1510:
	s_and_b64 vcc, exec, s[10:11]
	s_cbranch_vccz .LBB87_1514
; %bb.1511:
	s_cmp_eq_u32 s12, 44
	s_cbranch_scc0 .LBB87_1513
; %bb.1512:
	global_load_ubyte v1, v[15:16], off
	s_mov_b32 s0, 0x2f800000
	s_mov_b32 s1, 0xcf800000
	s_mov_b64 s[6:7], -1
	s_waitcnt vmcnt(0)
	v_lshlrev_b32_e32 v3, 23, v1
	v_trunc_f32_e32 v3, v3
	v_mul_f32_e64 v5, |v3|, s0
	v_floor_f32_e32 v5, v5
	v_fma_f32 v13, v5, s1, |v3|
	v_cvt_u32_f32_e32 v13, v13
	v_cvt_u32_f32_e32 v5, v5
	v_ashrrev_i32_e32 v3, 31, v3
	s_mov_b64 s[0:1], 0
	v_xor_b32_e32 v13, v13, v3
	v_xor_b32_e32 v5, v5, v3
	v_sub_co_u32_e32 v13, vcc, v13, v3
	v_subb_co_u32_e32 v3, vcc, v5, v3, vcc
	v_cmp_ne_u32_e32 vcc, 0, v1
	v_cndmask_b32_e32 v14, 0, v3, vcc
	v_cndmask_b32_e32 v13, 0, v13, vcc
	s_branch .LBB87_1514
.LBB87_1513:
	s_mov_b64 s[0:1], -1
                                        ; implicit-def: $vgpr13_vgpr14
.LBB87_1514:
	s_mov_b64 s[10:11], 0
.LBB87_1515:
	s_and_b64 vcc, exec, s[10:11]
	s_cbranch_vccz .LBB87_1519
; %bb.1516:
	s_cmp_eq_u32 s12, 29
	s_cbranch_scc0 .LBB87_1518
; %bb.1517:
	global_load_dwordx2 v[13:14], v[15:16], off
	s_mov_b64 s[0:1], 0
	s_mov_b64 s[6:7], -1
	s_branch .LBB87_1519
.LBB87_1518:
	s_mov_b64 s[0:1], -1
                                        ; implicit-def: $vgpr13_vgpr14
.LBB87_1519:
	s_mov_b64 s[10:11], 0
.LBB87_1520:
	s_and_b64 vcc, exec, s[10:11]
	s_cbranch_vccz .LBB87_1538
; %bb.1521:
	s_cmp_lt_i32 s12, 27
	s_cbranch_scc1 .LBB87_1524
; %bb.1522:
	s_cmp_gt_i32 s12, 27
	s_cbranch_scc0 .LBB87_1525
; %bb.1523:
	global_load_dword v13, v[15:16], off
	s_waitcnt vmcnt(1)
	v_mov_b32_e32 v14, 0
	s_mov_b64 s[6:7], 0
	s_branch .LBB87_1526
.LBB87_1524:
	s_mov_b64 s[6:7], -1
                                        ; implicit-def: $vgpr13_vgpr14
	s_branch .LBB87_1529
.LBB87_1525:
	s_mov_b64 s[6:7], -1
                                        ; implicit-def: $vgpr13_vgpr14
.LBB87_1526:
	s_andn2_b64 vcc, exec, s[6:7]
	s_cbranch_vccnz .LBB87_1528
; %bb.1527:
	global_load_ushort v1, v[15:16], off
	s_mov_b32 s6, 0
	s_waitcnt vmcnt(1)
	v_mov_b32_e32 v14, s6
	s_waitcnt vmcnt(0)
	v_and_b32_e32 v13, 0xffff, v1
.LBB87_1528:
	s_mov_b64 s[6:7], 0
.LBB87_1529:
	s_andn2_b64 vcc, exec, s[6:7]
	s_cbranch_vccnz .LBB87_1537
; %bb.1530:
	global_load_ubyte v1, v[15:16], off
	s_movk_i32 s6, 0x7f
	s_mov_b64 s[10:11], 0
	s_waitcnt vmcnt(0)
	v_cmp_lt_i16_e32 vcc, s6, v1
	s_and_saveexec_b64 s[6:7], vcc
	s_xor_b64 s[6:7], exec, s[6:7]
; %bb.1531:
	s_movk_i32 s10, 0x80
	v_cmp_ne_u16_e32 vcc, s10, v1
	s_and_b64 s[10:11], vcc, exec
; %bb.1532:
	s_andn2_saveexec_b64 s[6:7], s[6:7]
; %bb.1533:
	v_cmp_ne_u16_e32 vcc, 0, v1
	s_andn2_b64 s[10:11], s[10:11], exec
	s_and_b64 s[16:17], vcc, exec
	s_or_b64 s[10:11], s[10:11], s[16:17]
; %bb.1534:
	s_or_b64 exec, exec, s[6:7]
	v_mov_b32_e32 v13, 0
	v_mov_b32_e32 v14, 0
	s_and_saveexec_b64 s[6:7], s[10:11]
	s_cbranch_execz .LBB87_1536
; %bb.1535:
	v_lshlrev_b32_e32 v3, 24, v1
	v_and_b32_e32 v1, 0xffff, v1
	v_and_b32_e32 v5, 7, v1
	v_ffbh_u32_e32 v14, v5
	v_min_u32_e32 v14, 32, v14
	v_subrev_u32_e32 v17, 28, v14
	v_bfe_u32 v13, v1, 3, 4
	v_lshlrev_b32_e32 v1, v17, v1
	v_sub_u32_e32 v14, 29, v14
	v_and_b32_e32 v1, 7, v1
	v_cmp_eq_u32_e32 vcc, 0, v13
	v_cndmask_b32_e32 v13, v13, v14, vcc
	v_cndmask_b32_e32 v1, v5, v1, vcc
	v_mov_b32_e32 v5, 0x3b800000
	v_lshlrev_b32_e32 v1, 20, v1
	v_and_b32_e32 v3, 0x80000000, v3
	v_lshl_add_u32 v5, v13, 23, v5
	v_or3_b32 v1, v3, v5, v1
	v_trunc_f32_e32 v1, v1
	s_mov_b32 s10, 0x2f800000
	v_mul_f32_e64 v3, |v1|, s10
	v_floor_f32_e32 v3, v3
	s_mov_b32 s10, 0xcf800000
	v_fma_f32 v5, v3, s10, |v1|
	v_cvt_u32_f32_e32 v5, v5
	v_cvt_u32_f32_e32 v3, v3
	v_ashrrev_i32_e32 v1, 31, v1
	v_xor_b32_e32 v5, v5, v1
	v_xor_b32_e32 v3, v3, v1
	v_sub_co_u32_e32 v13, vcc, v5, v1
	v_subb_co_u32_e32 v14, vcc, v3, v1, vcc
.LBB87_1536:
	s_or_b64 exec, exec, s[6:7]
.LBB87_1537:
	s_mov_b64 s[6:7], -1
.LBB87_1538:
	s_mov_b64 s[10:11], 0
.LBB87_1539:
	s_and_b64 vcc, exec, s[10:11]
	s_cbranch_vccz .LBB87_1568
; %bb.1540:
	s_cmp_gt_i32 s12, 22
	s_cbranch_scc0 .LBB87_1550
; %bb.1541:
	s_cmp_lt_i32 s12, 24
	s_cbranch_scc1 .LBB87_1551
; %bb.1542:
	s_cmp_gt_i32 s12, 24
	s_cbranch_scc0 .LBB87_1552
; %bb.1543:
	global_load_ubyte v1, v[15:16], off
	s_movk_i32 s4, 0x7f
	s_mov_b64 s[6:7], 0
	s_waitcnt vmcnt(0)
	v_cmp_lt_i16_e32 vcc, s4, v1
	s_and_saveexec_b64 s[4:5], vcc
	s_xor_b64 s[4:5], exec, s[4:5]
; %bb.1544:
	s_movk_i32 s6, 0x80
	v_cmp_ne_u16_e32 vcc, s6, v1
	s_and_b64 s[6:7], vcc, exec
; %bb.1545:
	s_andn2_saveexec_b64 s[4:5], s[4:5]
; %bb.1546:
	v_cmp_ne_u16_e32 vcc, 0, v1
	s_andn2_b64 s[6:7], s[6:7], exec
	s_and_b64 s[10:11], vcc, exec
	s_or_b64 s[6:7], s[6:7], s[10:11]
; %bb.1547:
	s_or_b64 exec, exec, s[4:5]
	v_mov_b32_e32 v13, 0
	v_mov_b32_e32 v14, 0
	s_and_saveexec_b64 s[4:5], s[6:7]
	s_cbranch_execz .LBB87_1549
; %bb.1548:
	v_lshlrev_b32_e32 v3, 24, v1
	v_and_b32_e32 v1, 0xffff, v1
	v_and_b32_e32 v5, 3, v1
	v_ffbh_u32_e32 v14, v5
	v_min_u32_e32 v14, 32, v14
	v_subrev_u32_e32 v17, 29, v14
	v_bfe_u32 v13, v1, 2, 5
	v_lshlrev_b32_e32 v1, v17, v1
	v_sub_u32_e32 v14, 30, v14
	v_and_b32_e32 v1, 3, v1
	v_cmp_eq_u32_e32 vcc, 0, v13
	v_cndmask_b32_e32 v13, v13, v14, vcc
	v_cndmask_b32_e32 v1, v5, v1, vcc
	v_mov_b32_e32 v5, 0x37800000
	v_lshlrev_b32_e32 v1, 21, v1
	v_and_b32_e32 v3, 0x80000000, v3
	v_lshl_add_u32 v5, v13, 23, v5
	v_or3_b32 v1, v3, v5, v1
	v_trunc_f32_e32 v1, v1
	s_mov_b32 s6, 0x2f800000
	v_mul_f32_e64 v3, |v1|, s6
	v_floor_f32_e32 v3, v3
	s_mov_b32 s6, 0xcf800000
	v_fma_f32 v5, v3, s6, |v1|
	v_cvt_u32_f32_e32 v5, v5
	v_cvt_u32_f32_e32 v3, v3
	v_ashrrev_i32_e32 v1, 31, v1
	v_xor_b32_e32 v5, v5, v1
	v_xor_b32_e32 v3, v3, v1
	v_sub_co_u32_e32 v13, vcc, v5, v1
	v_subb_co_u32_e32 v14, vcc, v3, v1, vcc
.LBB87_1549:
	s_or_b64 exec, exec, s[4:5]
	s_mov_b64 s[4:5], 0
	s_branch .LBB87_1553
.LBB87_1550:
	s_mov_b64 s[4:5], -1
                                        ; implicit-def: $vgpr13_vgpr14
	s_branch .LBB87_1559
.LBB87_1551:
	s_mov_b64 s[4:5], -1
                                        ; implicit-def: $vgpr13_vgpr14
	s_branch .LBB87_1556
.LBB87_1552:
	s_mov_b64 s[4:5], -1
                                        ; implicit-def: $vgpr13_vgpr14
.LBB87_1553:
	s_and_b64 vcc, exec, s[4:5]
	s_cbranch_vccz .LBB87_1555
; %bb.1554:
	global_load_ubyte v1, v[15:16], off
	s_mov_b32 s4, 0x7f800000
	s_brev_b32 s5, 1
	s_mov_b32 s6, 0x2f800000
	s_mov_b32 s7, 0xcf800000
	s_waitcnt vmcnt(0)
	v_lshlrev_b32_e32 v1, 24, v1
	v_and_b32_e32 v3, 0x7f000000, v1
	v_ffbh_u32_e32 v5, v3
	v_min_u32_e32 v5, 32, v5
	v_sub_u32_e64 v5, v5, 4 clamp
	v_lshlrev_b32_e32 v14, v5, v3
	v_lshlrev_b32_e32 v5, 23, v5
	v_lshrrev_b32_e32 v14, 4, v14
	v_add_u32_e32 v13, 0x1000000, v3
	v_sub_u32_e32 v5, v14, v5
	v_ashrrev_i32_e32 v13, 8, v13
	v_add_u32_e32 v5, 0x3c000000, v5
	v_and_or_b32 v5, v13, s4, v5
	v_cmp_ne_u32_e32 vcc, 0, v3
	v_cndmask_b32_e32 v3, 0, v5, vcc
	v_and_or_b32 v1, v1, s5, v3
	v_trunc_f32_e32 v1, v1
	v_mul_f32_e64 v3, |v1|, s6
	v_floor_f32_e32 v3, v3
	v_fma_f32 v5, v3, s7, |v1|
	v_cvt_u32_f32_e32 v5, v5
	v_cvt_u32_f32_e32 v3, v3
	v_ashrrev_i32_e32 v1, 31, v1
	v_xor_b32_e32 v5, v5, v1
	v_xor_b32_e32 v3, v3, v1
	v_sub_co_u32_e32 v13, vcc, v5, v1
	v_subb_co_u32_e32 v14, vcc, v3, v1, vcc
.LBB87_1555:
	s_mov_b64 s[4:5], 0
.LBB87_1556:
	s_andn2_b64 vcc, exec, s[4:5]
	s_cbranch_vccnz .LBB87_1558
; %bb.1557:
	global_load_ubyte v1, v[15:16], off
	s_movk_i32 s4, 0x7f00
	s_brev_b32 s5, 16
	s_brev_b32 s6, 1
	s_mov_b32 s7, 0x2f800000
	s_mov_b32 s10, 0xcf800000
	s_waitcnt vmcnt(0)
	v_lshlrev_b16_e32 v3, 8, v1
	v_lshlrev_b32_e32 v1, 25, v1
	v_lshrrev_b32_e32 v5, 4, v1
	v_and_or_b32 v13, v3, s4, 0.5
	v_or_b32_e32 v5, 0x70000000, v5
	v_add_f32_e32 v13, -0.5, v13
	v_mul_f32_e32 v5, 0x7800000, v5
	v_cmp_gt_u32_e32 vcc, s5, v1
	v_bfe_i32 v3, v3, 0, 16
	v_cndmask_b32_e32 v1, v5, v13, vcc
	v_and_or_b32 v1, v3, s6, v1
	v_trunc_f32_e32 v1, v1
	v_mul_f32_e64 v3, |v1|, s7
	v_floor_f32_e32 v3, v3
	v_fma_f32 v5, v3, s10, |v1|
	v_cvt_u32_f32_e32 v5, v5
	v_cvt_u32_f32_e32 v3, v3
	v_ashrrev_i32_e32 v1, 31, v1
	v_xor_b32_e32 v5, v5, v1
	v_xor_b32_e32 v3, v3, v1
	v_sub_co_u32_e32 v13, vcc, v5, v1
	v_subb_co_u32_e32 v14, vcc, v3, v1, vcc
.LBB87_1558:
	s_mov_b64 s[4:5], 0
	s_mov_b64 s[6:7], -1
.LBB87_1559:
	s_andn2_b64 vcc, exec, s[4:5]
	s_mov_b64 s[4:5], 0
	s_cbranch_vccnz .LBB87_1568
; %bb.1560:
	s_cmp_gt_i32 s12, 14
	s_cbranch_scc0 .LBB87_1563
; %bb.1561:
	s_cmp_eq_u32 s12, 15
	s_cbranch_scc0 .LBB87_1564
; %bb.1562:
	global_load_ushort v1, v[15:16], off
	s_mov_b32 s0, 0x2f800000
	s_mov_b32 s1, 0xcf800000
	s_mov_b64 s[6:7], -1
	s_waitcnt vmcnt(0)
	v_lshlrev_b32_e32 v1, 16, v1
	v_trunc_f32_e32 v1, v1
	v_mul_f32_e64 v3, |v1|, s0
	v_floor_f32_e32 v3, v3
	v_fma_f32 v5, v3, s1, |v1|
	v_cvt_u32_f32_e32 v5, v5
	v_cvt_u32_f32_e32 v3, v3
	v_ashrrev_i32_e32 v1, 31, v1
	s_mov_b64 s[0:1], 0
	v_xor_b32_e32 v5, v5, v1
	v_xor_b32_e32 v3, v3, v1
	v_sub_co_u32_e32 v13, vcc, v5, v1
	v_subb_co_u32_e32 v14, vcc, v3, v1, vcc
	s_branch .LBB87_1565
.LBB87_1563:
	s_mov_b64 s[10:11], -1
                                        ; implicit-def: $vgpr13_vgpr14
	s_branch .LBB87_1566
.LBB87_1564:
	s_mov_b64 s[0:1], -1
                                        ; implicit-def: $vgpr13_vgpr14
.LBB87_1565:
	s_mov_b64 s[10:11], 0
.LBB87_1566:
	s_and_b64 vcc, exec, s[10:11]
	s_cbranch_vccz .LBB87_1568
; %bb.1567:
	s_cmp_lg_u32 s12, 11
	s_mov_b64 s[4:5], -1
	s_cselect_b64 s[0:1], -1, 0
.LBB87_1568:
	s_and_b64 vcc, exec, s[0:1]
	s_cbranch_vccnz .LBB87_2101
; %bb.1569:
	s_andn2_b64 vcc, exec, s[4:5]
	s_cbranch_vccnz .LBB87_1571
.LBB87_1570:
	global_load_ubyte v1, v[15:16], off
	s_mov_b32 s0, 0
	s_waitcnt vmcnt(1)
	v_mov_b32_e32 v14, s0
	s_mov_b64 s[6:7], -1
	s_waitcnt vmcnt(0)
	v_cmp_ne_u16_e32 vcc, 0, v1
	v_cndmask_b32_e64 v13, 0, 1, vcc
.LBB87_1571:
	s_mov_b64 s[0:1], 0
.LBB87_1572:
	s_and_b64 vcc, exec, s[0:1]
	s_cbranch_vccz .LBB87_1621
; %bb.1573:
	s_and_b32 s4, 0xffff, s14
	s_cmp_lt_i32 s4, 5
	s_cbranch_scc1 .LBB87_1578
; %bb.1574:
	s_cmp_lt_i32 s4, 8
	s_cbranch_scc1 .LBB87_1579
; %bb.1575:
	;; [unrolled: 3-line block ×3, first 2 shown]
	s_cmp_gt_i32 s4, 9
	s_cbranch_scc0 .LBB87_1581
; %bb.1577:
	global_load_dwordx2 v[13:14], v[15:16], off
	s_movk_i32 s0, 0xffe0
	s_waitcnt vmcnt(0)
	v_trunc_f64_e32 v[13:14], v[13:14]
	v_ldexp_f64 v[17:18], v[13:14], s0
	s_mov_b32 s0, 0
	s_mov_b32 s1, 0xc1f00000
	v_floor_f64_e32 v[17:18], v[17:18]
	v_fma_f64 v[19:20], v[17:18], s[0:1], v[13:14]
	v_cvt_i32_f64_e32 v14, v[17:18]
	s_mov_b64 s[0:1], 0
	v_cvt_u32_f64_e32 v13, v[19:20]
	s_branch .LBB87_1582
.LBB87_1578:
	s_mov_b64 s[0:1], -1
                                        ; implicit-def: $vgpr13_vgpr14
	s_branch .LBB87_1600
.LBB87_1579:
	s_mov_b64 s[0:1], -1
                                        ; implicit-def: $vgpr13_vgpr14
	s_branch .LBB87_1588
.LBB87_1580:
	s_mov_b64 s[0:1], -1
                                        ; implicit-def: $vgpr13_vgpr14
	s_branch .LBB87_1585
.LBB87_1581:
	s_mov_b64 s[0:1], -1
                                        ; implicit-def: $vgpr13_vgpr14
.LBB87_1582:
	s_andn2_b64 vcc, exec, s[0:1]
	s_cbranch_vccnz .LBB87_1584
; %bb.1583:
	global_load_dword v1, v[15:16], off
	s_mov_b32 s0, 0x2f800000
	s_mov_b32 s1, 0xcf800000
	s_waitcnt vmcnt(0)
	v_trunc_f32_e32 v1, v1
	v_mul_f32_e64 v3, |v1|, s0
	v_floor_f32_e32 v3, v3
	v_cvt_u32_f32_e32 v5, v3
	v_fma_f32 v3, v3, s1, |v1|
	v_cvt_u32_f32_e32 v3, v3
	v_ashrrev_i32_e32 v1, 31, v1
	v_xor_b32_e32 v5, v5, v1
	v_xor_b32_e32 v3, v3, v1
	v_sub_co_u32_e32 v13, vcc, v3, v1
	v_subb_co_u32_e32 v14, vcc, v5, v1, vcc
.LBB87_1584:
	s_mov_b64 s[0:1], 0
.LBB87_1585:
	s_andn2_b64 vcc, exec, s[0:1]
	s_cbranch_vccnz .LBB87_1587
; %bb.1586:
	global_load_dword v1, v[15:16], off
	s_waitcnt vmcnt(0)
	v_cvt_f32_f16_e32 v1, v1
	v_cvt_i32_f32_e32 v13, v1
	v_ashrrev_i32_e32 v14, 31, v13
.LBB87_1587:
	s_mov_b64 s[0:1], 0
.LBB87_1588:
	s_andn2_b64 vcc, exec, s[0:1]
	s_cbranch_vccnz .LBB87_1599
; %bb.1589:
	s_cmp_lt_i32 s4, 6
	s_cbranch_scc1 .LBB87_1592
; %bb.1590:
	s_cmp_gt_i32 s4, 6
	s_cbranch_scc0 .LBB87_1593
; %bb.1591:
	global_load_dwordx2 v[13:14], v[15:16], off
	s_movk_i32 s0, 0xffe0
	s_waitcnt vmcnt(0)
	v_trunc_f64_e32 v[13:14], v[13:14]
	v_ldexp_f64 v[17:18], v[13:14], s0
	s_mov_b32 s0, 0
	s_mov_b32 s1, 0xc1f00000
	v_floor_f64_e32 v[17:18], v[17:18]
	v_fma_f64 v[19:20], v[17:18], s[0:1], v[13:14]
	v_cvt_i32_f64_e32 v14, v[17:18]
	s_mov_b64 s[0:1], 0
	v_cvt_u32_f64_e32 v13, v[19:20]
	s_branch .LBB87_1594
.LBB87_1592:
	s_mov_b64 s[0:1], -1
                                        ; implicit-def: $vgpr13_vgpr14
	s_branch .LBB87_1597
.LBB87_1593:
	s_mov_b64 s[0:1], -1
                                        ; implicit-def: $vgpr13_vgpr14
.LBB87_1594:
	s_andn2_b64 vcc, exec, s[0:1]
	s_cbranch_vccnz .LBB87_1596
; %bb.1595:
	global_load_dword v1, v[15:16], off
	s_mov_b32 s0, 0x2f800000
	s_mov_b32 s1, 0xcf800000
	s_waitcnt vmcnt(0)
	v_trunc_f32_e32 v1, v1
	v_mul_f32_e64 v3, |v1|, s0
	v_floor_f32_e32 v3, v3
	v_cvt_u32_f32_e32 v5, v3
	v_fma_f32 v3, v3, s1, |v1|
	v_cvt_u32_f32_e32 v3, v3
	v_ashrrev_i32_e32 v1, 31, v1
	v_xor_b32_e32 v5, v5, v1
	v_xor_b32_e32 v3, v3, v1
	v_sub_co_u32_e32 v13, vcc, v3, v1
	v_subb_co_u32_e32 v14, vcc, v5, v1, vcc
.LBB87_1596:
	s_mov_b64 s[0:1], 0
.LBB87_1597:
	s_andn2_b64 vcc, exec, s[0:1]
	s_cbranch_vccnz .LBB87_1599
; %bb.1598:
	global_load_ushort v1, v[15:16], off
	s_waitcnt vmcnt(0)
	v_cvt_f32_f16_e32 v1, v1
	v_cvt_i32_f32_e32 v13, v1
	v_ashrrev_i32_e32 v14, 31, v13
.LBB87_1599:
	s_mov_b64 s[0:1], 0
.LBB87_1600:
	s_andn2_b64 vcc, exec, s[0:1]
	s_cbranch_vccnz .LBB87_1620
; %bb.1601:
	s_cmp_lt_i32 s4, 2
	s_cbranch_scc1 .LBB87_1605
; %bb.1602:
	s_cmp_lt_i32 s4, 3
	s_cbranch_scc1 .LBB87_1606
; %bb.1603:
	s_cmp_gt_i32 s4, 3
	s_cbranch_scc0 .LBB87_1607
; %bb.1604:
	global_load_dwordx2 v[13:14], v[15:16], off
	s_mov_b64 s[0:1], 0
	s_branch .LBB87_1608
.LBB87_1605:
	s_mov_b64 s[0:1], -1
                                        ; implicit-def: $vgpr13_vgpr14
	s_branch .LBB87_1614
.LBB87_1606:
	s_mov_b64 s[0:1], -1
                                        ; implicit-def: $vgpr13_vgpr14
	s_branch .LBB87_1611
.LBB87_1607:
	s_mov_b64 s[0:1], -1
                                        ; implicit-def: $vgpr13_vgpr14
.LBB87_1608:
	s_andn2_b64 vcc, exec, s[0:1]
	s_cbranch_vccnz .LBB87_1610
; %bb.1609:
	global_load_dword v13, v[15:16], off
	s_waitcnt vmcnt(0)
	v_ashrrev_i32_e32 v14, 31, v13
.LBB87_1610:
	s_mov_b64 s[0:1], 0
.LBB87_1611:
	s_andn2_b64 vcc, exec, s[0:1]
	s_cbranch_vccnz .LBB87_1613
; %bb.1612:
	global_load_ushort v1, v[15:16], off
	s_waitcnt vmcnt(0)
	v_bfe_i32 v13, v1, 0, 16
	v_ashrrev_i32_e32 v14, 31, v13
.LBB87_1613:
	s_mov_b64 s[0:1], 0
.LBB87_1614:
	s_andn2_b64 vcc, exec, s[0:1]
	s_cbranch_vccnz .LBB87_1620
; %bb.1615:
	s_cmp_gt_i32 s4, 0
	s_cbranch_scc0 .LBB87_1617
; %bb.1616:
	global_load_sbyte v1, v[15:16], off
	s_mov_b64 s[0:1], 0
	s_waitcnt vmcnt(0)
	v_bfe_i32 v13, v1, 0, 16
	v_ashrrev_i32_e32 v14, 31, v13
	s_branch .LBB87_1618
.LBB87_1617:
	s_mov_b64 s[0:1], -1
                                        ; implicit-def: $vgpr13_vgpr14
.LBB87_1618:
	s_andn2_b64 vcc, exec, s[0:1]
	s_cbranch_vccnz .LBB87_1620
; %bb.1619:
	global_load_ubyte v1, v[15:16], off
	s_mov_b32 s0, 0
	s_waitcnt vmcnt(1)
	v_mov_b32_e32 v14, s0
	s_waitcnt vmcnt(0)
	v_and_b32_e32 v13, 0xffff, v1
.LBB87_1620:
	s_mov_b64 s[6:7], -1
.LBB87_1621:
	s_andn2_b64 vcc, exec, s[6:7]
	s_cbranch_vccnz .LBB87_2055
; %bb.1622:
	s_load_dword s0, s[34:35], 0x170
	s_load_dwordx4 s[4:7], s[34:35], 0x158
	s_load_dwordx2 s[10:11], s[34:35], 0x168
	s_waitcnt lgkmcnt(0)
	s_and_b32 s20, s0, 0xff
	s_waitcnt vmcnt(0)
	v_cmp_lt_i64_e32 vcc, s[4:5], v[7:8]
	v_mov_b32_e32 v1, s7
	v_mov_b32_e32 v3, s11
	v_cndmask_b32_e32 v8, v1, v3, vcc
	v_mov_b32_e32 v1, s6
	v_mov_b32_e32 v3, s10
	v_cndmask_b32_e32 v7, v1, v3, vcc
	v_mov_b32_e32 v1, s9
	v_add_co_u32_e32 v5, vcc, s8, v6
	s_cmp_lt_i32 s20, 11
	v_addc_co_u32_e32 v6, vcc, 0, v1, vcc
	s_cbranch_scc1 .LBB87_1700
; %bb.1623:
	s_and_b32 s21, 0xffff, s20
	s_mov_b64 s[16:17], -1
	s_mov_b64 s[12:13], 0
	s_cmp_gt_i32 s21, 25
	s_mov_b64 s[14:15], 0
	s_mov_b64 s[0:1], 0
	s_cbranch_scc0 .LBB87_1656
; %bb.1624:
	s_cmp_gt_i32 s21, 28
	s_cbranch_scc0 .LBB87_1639
; %bb.1625:
	s_cmp_gt_i32 s21, 43
	;; [unrolled: 3-line block ×3, first 2 shown]
	s_cbranch_scc0 .LBB87_1629
; %bb.1627:
	s_mov_b64 s[0:1], -1
	s_mov_b64 s[16:17], 0
	s_cmp_eq_u32 s21, 46
	s_cbranch_scc0 .LBB87_1629
; %bb.1628:
	v_xor_b32_e32 v3, v7, v8
	v_ffbh_i32_e32 v1, v8
	v_ashrrev_i32_e32 v3, 31, v3
	v_add_u32_e32 v1, -1, v1
	v_add_u32_e32 v3, 32, v3
	v_min_u32_e32 v1, v1, v3
	v_lshlrev_b64 v[15:16], v1, v[7:8]
	v_sub_u32_e32 v1, 32, v1
	v_min_u32_e32 v3, 1, v15
	v_or_b32_e32 v3, v16, v3
	v_cvt_f32_i32_e32 v3, v3
	s_movk_i32 s0, 0x7fff
	s_mov_b64 s[14:15], -1
	v_ldexp_f32 v1, v3, v1
	v_bfe_u32 v3, v1, 16, 1
	v_add3_u32 v1, v1, v3, s0
	v_lshrrev_b32_e32 v1, 16, v1
	global_store_dword v[5:6], v1, off
	s_mov_b64 s[0:1], 0
.LBB87_1629:
	s_and_b64 vcc, exec, s[16:17]
	s_cbranch_vccz .LBB87_1634
; %bb.1630:
	s_cmp_eq_u32 s21, 44
	s_mov_b64 s[0:1], -1
	s_cbranch_scc0 .LBB87_1634
; %bb.1631:
	v_xor_b32_e32 v3, v7, v8
	v_ffbh_i32_e32 v1, v8
	v_ashrrev_i32_e32 v3, 31, v3
	v_add_u32_e32 v1, -1, v1
	v_add_u32_e32 v3, 32, v3
	v_min_u32_e32 v1, v1, v3
	v_lshlrev_b64 v[15:16], v1, v[7:8]
	v_sub_u32_e32 v1, 32, v1
	v_min_u32_e32 v3, 1, v15
	v_or_b32_e32 v3, v16, v3
	v_cvt_f32_i32_e32 v3, v3
	s_movk_i32 s0, 0xff
	v_mov_b32_e32 v15, 0xff
	v_ldexp_f32 v1, v3, v1
	v_bfe_u32 v3, v1, 23, 8
	v_cmp_ne_u32_e32 vcc, s0, v3
	s_and_saveexec_b64 s[14:15], vcc
; %bb.1632:
	s_mov_b32 s0, 0x3fffff
	v_lshrrev_b32_e32 v15, 23, v1
	v_and_b32_e32 v16, 0x400000, v1
	v_and_or_b32 v1, v1, s0, v3
	v_cmp_ne_u32_e32 vcc, 0, v16
	v_cmp_ne_u32_e64 s[0:1], 0, v1
	s_and_b64 s[0:1], vcc, s[0:1]
	v_cndmask_b32_e64 v1, 0, 1, s[0:1]
	v_add_u32_e32 v15, v15, v1
; %bb.1633:
	s_or_b64 exec, exec, s[14:15]
	s_mov_b64 s[0:1], 0
	s_mov_b64 s[14:15], -1
	global_store_byte v[5:6], v15, off
.LBB87_1634:
	s_mov_b64 s[16:17], 0
.LBB87_1635:
	s_and_b64 vcc, exec, s[16:17]
	s_cbranch_vccz .LBB87_1638
; %bb.1636:
	s_cmp_eq_u32 s21, 29
	s_mov_b64 s[0:1], -1
	s_cbranch_scc0 .LBB87_1638
; %bb.1637:
	global_store_dwordx2 v[5:6], v[7:8], off
	s_mov_b64 s[0:1], 0
	s_mov_b64 s[14:15], -1
.LBB87_1638:
	s_mov_b64 s[16:17], 0
.LBB87_1639:
	s_and_b64 vcc, exec, s[16:17]
	s_cbranch_vccz .LBB87_1655
; %bb.1640:
	s_cmp_lt_i32 s21, 27
	s_mov_b64 s[14:15], -1
	s_cbranch_scc1 .LBB87_1646
; %bb.1641:
	s_cmp_gt_i32 s21, 27
	s_cbranch_scc0 .LBB87_1643
; %bb.1642:
	s_mov_b64 s[14:15], 0
	global_store_dword v[5:6], v7, off
.LBB87_1643:
	s_andn2_b64 vcc, exec, s[14:15]
	s_cbranch_vccnz .LBB87_1645
; %bb.1644:
	global_store_short v[5:6], v7, off
.LBB87_1645:
	s_mov_b64 s[14:15], 0
.LBB87_1646:
	s_andn2_b64 vcc, exec, s[14:15]
	s_cbranch_vccnz .LBB87_1654
; %bb.1647:
	v_xor_b32_e32 v3, v7, v8
	v_ffbh_i32_e32 v1, v8
	v_ashrrev_i32_e32 v3, 31, v3
	v_add_u32_e32 v1, -1, v1
	v_add_u32_e32 v3, 32, v3
	v_min_u32_e32 v1, v1, v3
	v_lshlrev_b64 v[15:16], v1, v[7:8]
	v_sub_u32_e32 v1, 32, v1
	v_min_u32_e32 v3, 1, v15
	v_or_b32_e32 v3, v16, v3
	v_cvt_f32_i32_e32 v3, v3
	s_mov_b32 s14, 0x43800000
	v_mov_b32_e32 v15, 0x80
	v_ldexp_f32 v1, v3, v1
	v_and_b32_e32 v3, 0x7fffffff, v1
	v_cmp_gt_u32_e32 vcc, s14, v3
	s_and_saveexec_b64 s[14:15], vcc
	s_cbranch_execz .LBB87_1653
; %bb.1648:
	s_mov_b32 s16, 0x3bffffff
	v_cmp_lt_u32_e32 vcc, s16, v3
	s_mov_b64 s[16:17], 0
                                        ; implicit-def: $vgpr3
	s_and_saveexec_b64 s[18:19], vcc
	s_xor_b64 s[18:19], exec, s[18:19]
	s_cbranch_execz .LBB87_2102
; %bb.1649:
	v_bfe_u32 v3, v1, 20, 1
	s_mov_b32 s22, 0x487ffff
	v_add3_u32 v3, v1, v3, s22
	s_mov_b64 s[16:17], exec
	v_lshrrev_b32_e32 v3, 20, v3
	s_andn2_saveexec_b64 s[18:19], s[18:19]
	s_cbranch_execnz .LBB87_2103
.LBB87_1650:
	s_or_b64 exec, exec, s[18:19]
	v_mov_b32_e32 v15, 0
	s_and_saveexec_b64 s[18:19], s[16:17]
.LBB87_1651:
	v_lshrrev_b32_e32 v1, 24, v1
	s_movk_i32 s16, 0x80
	v_and_or_b32 v15, v1, s16, v3
.LBB87_1652:
	s_or_b64 exec, exec, s[18:19]
.LBB87_1653:
	s_or_b64 exec, exec, s[14:15]
	global_store_byte v[5:6], v15, off
.LBB87_1654:
	s_mov_b64 s[14:15], -1
.LBB87_1655:
	s_mov_b64 s[16:17], 0
.LBB87_1656:
	s_and_b64 vcc, exec, s[16:17]
	s_cbranch_vccz .LBB87_1696
; %bb.1657:
	s_cmp_gt_i32 s21, 22
	s_mov_b64 s[12:13], -1
	s_cbranch_scc0 .LBB87_1689
; %bb.1658:
	s_cmp_lt_i32 s21, 24
	s_cbranch_scc1 .LBB87_1678
; %bb.1659:
	s_cmp_gt_i32 s21, 24
	s_cbranch_scc0 .LBB87_1667
; %bb.1660:
	v_xor_b32_e32 v3, v7, v8
	v_ffbh_i32_e32 v1, v8
	v_ashrrev_i32_e32 v3, 31, v3
	v_add_u32_e32 v1, -1, v1
	v_add_u32_e32 v3, 32, v3
	v_min_u32_e32 v1, v1, v3
	v_lshlrev_b64 v[15:16], v1, v[7:8]
	v_sub_u32_e32 v1, 32, v1
	v_min_u32_e32 v3, 1, v15
	v_or_b32_e32 v3, v16, v3
	v_cvt_f32_i32_e32 v3, v3
	s_mov_b32 s12, 0x47800000
	v_mov_b32_e32 v15, 0x80
	v_ldexp_f32 v1, v3, v1
	v_and_b32_e32 v3, 0x7fffffff, v1
	v_cmp_gt_u32_e32 vcc, s12, v3
	s_and_saveexec_b64 s[12:13], vcc
	s_cbranch_execz .LBB87_1666
; %bb.1661:
	s_mov_b32 s14, 0x37ffffff
	v_cmp_lt_u32_e32 vcc, s14, v3
	s_mov_b64 s[14:15], 0
                                        ; implicit-def: $vgpr3
	s_and_saveexec_b64 s[16:17], vcc
	s_xor_b64 s[16:17], exec, s[16:17]
	s_cbranch_execz .LBB87_2105
; %bb.1662:
	v_bfe_u32 v3, v1, 21, 1
	s_mov_b32 s18, 0x88fffff
	v_add3_u32 v3, v1, v3, s18
	s_mov_b64 s[14:15], exec
	v_lshrrev_b32_e32 v3, 21, v3
	s_andn2_saveexec_b64 s[16:17], s[16:17]
	s_cbranch_execnz .LBB87_2106
.LBB87_1663:
	s_or_b64 exec, exec, s[16:17]
	v_mov_b32_e32 v15, 0
	s_and_saveexec_b64 s[16:17], s[14:15]
.LBB87_1664:
	v_lshrrev_b32_e32 v1, 24, v1
	s_movk_i32 s14, 0x80
	v_and_or_b32 v15, v1, s14, v3
.LBB87_1665:
	s_or_b64 exec, exec, s[16:17]
.LBB87_1666:
	s_or_b64 exec, exec, s[12:13]
	s_mov_b64 s[12:13], 0
	global_store_byte v[5:6], v15, off
.LBB87_1667:
	s_and_b64 vcc, exec, s[12:13]
	s_cbranch_vccz .LBB87_1677
; %bb.1668:
	v_xor_b32_e32 v3, v7, v8
	v_ffbh_i32_e32 v1, v8
	v_ashrrev_i32_e32 v3, 31, v3
	v_add_u32_e32 v1, -1, v1
	v_add_u32_e32 v3, 32, v3
	v_min_u32_e32 v1, v1, v3
	v_lshlrev_b64 v[15:16], v1, v[7:8]
	v_sub_u32_e32 v1, 32, v1
	v_min_u32_e32 v3, 1, v15
	v_or_b32_e32 v3, v16, v3
	v_cvt_f32_i32_e32 v3, v3
	s_mov_b32 s12, 0x43f00000
	v_ldexp_f32 v1, v3, v1
	v_and_b32_e32 v15, 0x7fffffff, v1
	v_cmp_gt_u32_e32 vcc, s12, v15
                                        ; implicit-def: $vgpr3
	s_and_saveexec_b64 s[12:13], vcc
	s_xor_b64 s[12:13], exec, s[12:13]
	s_cbranch_execz .LBB87_1674
; %bb.1669:
	s_mov_b32 s14, 0x3c7fffff
	v_cmp_lt_u32_e32 vcc, s14, v15
                                        ; implicit-def: $vgpr3
	s_and_saveexec_b64 s[14:15], vcc
	s_xor_b64 s[14:15], exec, s[14:15]
; %bb.1670:
	v_bfe_u32 v3, v1, 20, 1
	s_mov_b32 s16, 0x407ffff
	v_add3_u32 v3, v1, v3, s16
	v_lshrrev_b32_e32 v15, 20, v3
	v_and_b32_e32 v3, 0xff00000, v3
	s_mov_b32 s16, 0x7f00000
	v_mov_b32_e32 v16, 0x7e
	v_cmp_ne_u32_e32 vcc, s16, v3
	v_cndmask_b32_e32 v3, v16, v15, vcc
; %bb.1671:
	s_andn2_saveexec_b64 s[14:15], s[14:15]
; %bb.1672:
	s_mov_b32 s16, 0x46800000
	v_add_f32_e64 v3, |v1|, s16
; %bb.1673:
	s_or_b64 exec, exec, s[14:15]
                                        ; implicit-def: $vgpr15
.LBB87_1674:
	s_andn2_saveexec_b64 s[12:13], s[12:13]
; %bb.1675:
	s_mov_b32 s14, 0x7f800000
	v_mov_b32_e32 v3, 0x7e
	v_mov_b32_e32 v16, 0x7f
	v_cmp_lt_u32_e32 vcc, s14, v15
	v_cndmask_b32_e32 v3, v3, v16, vcc
; %bb.1676:
	s_or_b64 exec, exec, s[12:13]
	v_lshrrev_b32_e32 v1, 24, v1
	s_movk_i32 s12, 0x80
	v_and_or_b32 v1, v1, s12, v3
	global_store_byte v[5:6], v1, off
.LBB87_1677:
	s_mov_b64 s[12:13], 0
.LBB87_1678:
	s_andn2_b64 vcc, exec, s[12:13]
	s_cbranch_vccnz .LBB87_1688
; %bb.1679:
	v_xor_b32_e32 v3, v7, v8
	v_ffbh_i32_e32 v1, v8
	v_ashrrev_i32_e32 v3, 31, v3
	v_add_u32_e32 v1, -1, v1
	v_add_u32_e32 v3, 32, v3
	v_min_u32_e32 v1, v1, v3
	v_lshlrev_b64 v[15:16], v1, v[7:8]
	v_sub_u32_e32 v1, 32, v1
	v_min_u32_e32 v3, 1, v15
	v_or_b32_e32 v3, v16, v3
	v_cvt_f32_i32_e32 v3, v3
	s_mov_b32 s12, 0x47800000
	v_ldexp_f32 v1, v3, v1
	v_and_b32_e32 v15, 0x7fffffff, v1
	v_cmp_gt_u32_e32 vcc, s12, v15
                                        ; implicit-def: $vgpr3
	s_and_saveexec_b64 s[12:13], vcc
	s_xor_b64 s[12:13], exec, s[12:13]
	s_cbranch_execz .LBB87_1685
; %bb.1680:
	s_mov_b32 s14, 0x387fffff
	v_cmp_lt_u32_e32 vcc, s14, v15
                                        ; implicit-def: $vgpr3
	s_and_saveexec_b64 s[14:15], vcc
	s_xor_b64 s[14:15], exec, s[14:15]
; %bb.1681:
	v_bfe_u32 v3, v1, 21, 1
	s_mov_b32 s16, 0x80fffff
	v_add3_u32 v3, v1, v3, s16
	v_lshrrev_b32_e32 v3, 21, v3
; %bb.1682:
	s_andn2_saveexec_b64 s[14:15], s[14:15]
; %bb.1683:
	s_mov_b32 s16, 0x43000000
	v_add_f32_e64 v3, |v1|, s16
; %bb.1684:
	s_or_b64 exec, exec, s[14:15]
                                        ; implicit-def: $vgpr15
.LBB87_1685:
	s_andn2_saveexec_b64 s[12:13], s[12:13]
; %bb.1686:
	s_mov_b32 s14, 0x7f800000
	v_mov_b32_e32 v3, 0x7c
	v_mov_b32_e32 v16, 0x7f
	v_cmp_lt_u32_e32 vcc, s14, v15
	v_cndmask_b32_e32 v3, v3, v16, vcc
; %bb.1687:
	s_or_b64 exec, exec, s[12:13]
	v_lshrrev_b32_e32 v1, 24, v1
	s_movk_i32 s12, 0x80
	v_and_or_b32 v1, v1, s12, v3
	global_store_byte v[5:6], v1, off
.LBB87_1688:
	s_mov_b64 s[12:13], 0
	s_mov_b64 s[14:15], -1
.LBB87_1689:
	s_andn2_b64 vcc, exec, s[12:13]
	s_mov_b64 s[12:13], 0
	s_cbranch_vccnz .LBB87_1696
; %bb.1690:
	s_cmp_gt_i32 s21, 14
	s_mov_b64 s[16:17], -1
	s_cbranch_scc0 .LBB87_1694
; %bb.1691:
	s_cmp_eq_u32 s21, 15
	s_mov_b64 s[0:1], -1
	s_cbranch_scc0 .LBB87_1693
; %bb.1692:
	v_xor_b32_e32 v3, v7, v8
	v_ffbh_i32_e32 v1, v8
	v_ashrrev_i32_e32 v3, 31, v3
	v_add_u32_e32 v1, -1, v1
	v_add_u32_e32 v3, 32, v3
	v_min_u32_e32 v1, v1, v3
	v_lshlrev_b64 v[15:16], v1, v[7:8]
	v_sub_u32_e32 v1, 32, v1
	v_min_u32_e32 v3, 1, v15
	v_or_b32_e32 v3, v16, v3
	v_cvt_f32_i32_e32 v3, v3
	s_movk_i32 s0, 0x7fff
	s_mov_b64 s[14:15], -1
	v_ldexp_f32 v1, v3, v1
	v_bfe_u32 v3, v1, 16, 1
	v_add3_u32 v1, v1, v3, s0
	global_store_short_d16_hi v[5:6], v1, off
	s_mov_b64 s[0:1], 0
.LBB87_1693:
	s_mov_b64 s[16:17], 0
.LBB87_1694:
	s_and_b64 vcc, exec, s[16:17]
	s_cbranch_vccz .LBB87_1696
; %bb.1695:
	s_cmp_lg_u32 s21, 11
	s_mov_b64 s[12:13], -1
	s_cselect_b64 s[0:1], -1, 0
.LBB87_1696:
	s_and_b64 vcc, exec, s[0:1]
	s_cbranch_vccnz .LBB87_2104
; %bb.1697:
	s_andn2_b64 vcc, exec, s[12:13]
	s_cbranch_vccnz .LBB87_1699
.LBB87_1698:
	v_cmp_ne_u64_e32 vcc, 0, v[7:8]
	s_mov_b64 s[14:15], -1
	v_cndmask_b32_e64 v1, 0, 1, vcc
	global_store_byte v[5:6], v1, off
.LBB87_1699:
	s_mov_b64 s[0:1], 0
	s_branch .LBB87_1701
.LBB87_1700:
	s_mov_b64 s[0:1], -1
	s_mov_b64 s[14:15], 0
.LBB87_1701:
	s_and_b64 vcc, exec, s[0:1]
	s_cbranch_vccz .LBB87_1740
; %bb.1702:
	s_and_b32 s12, 0xffff, s20
	s_cmp_lt_i32 s12, 5
	s_mov_b64 s[0:1], -1
	s_cbranch_scc1 .LBB87_1723
; %bb.1703:
	s_cmp_lt_i32 s12, 8
	s_cbranch_scc1 .LBB87_1713
; %bb.1704:
	s_cmp_lt_i32 s12, 9
	s_cbranch_scc1 .LBB87_1710
; %bb.1705:
	s_cmp_gt_i32 s12, 9
	s_cbranch_scc0 .LBB87_1707
; %bb.1706:
	v_cvt_f64_i32_e32 v[15:16], v8
	v_cvt_f64_u32_e32 v[17:18], v7
	s_mov_b64 s[0:1], 0
	v_ldexp_f64 v[15:16], v[15:16], 32
	v_add_f64 v[15:16], v[15:16], v[17:18]
	v_mov_b32_e32 v17, 0
	v_mov_b32_e32 v18, v17
	global_store_dwordx4 v[5:6], v[15:18], off
.LBB87_1707:
	s_andn2_b64 vcc, exec, s[0:1]
	s_cbranch_vccnz .LBB87_1709
; %bb.1708:
	v_xor_b32_e32 v3, v7, v8
	v_ffbh_i32_e32 v1, v8
	v_ashrrev_i32_e32 v3, 31, v3
	v_add_u32_e32 v1, -1, v1
	v_add_u32_e32 v3, 32, v3
	v_min_u32_e32 v1, v1, v3
	v_lshlrev_b64 v[15:16], v1, v[7:8]
	v_sub_u32_e32 v1, 32, v1
	v_min_u32_e32 v3, 1, v15
	v_or_b32_e32 v3, v16, v3
	v_cvt_f32_i32_e32 v3, v3
	v_mov_b32_e32 v16, 0
	v_ldexp_f32 v15, v3, v1
	global_store_dwordx2 v[5:6], v[15:16], off
.LBB87_1709:
	s_mov_b64 s[0:1], 0
.LBB87_1710:
	s_andn2_b64 vcc, exec, s[0:1]
	s_cbranch_vccnz .LBB87_1712
; %bb.1711:
	v_xor_b32_e32 v3, v7, v8
	v_ffbh_i32_e32 v1, v8
	v_ashrrev_i32_e32 v3, 31, v3
	v_add_u32_e32 v1, -1, v1
	v_add_u32_e32 v3, 32, v3
	v_min_u32_e32 v1, v1, v3
	v_lshlrev_b64 v[15:16], v1, v[7:8]
	v_sub_u32_e32 v1, 32, v1
	v_min_u32_e32 v3, 1, v15
	v_or_b32_e32 v3, v16, v3
	v_cvt_f32_i32_e32 v3, v3
	v_ldexp_f32 v1, v3, v1
	v_cvt_f16_f32_e32 v1, v1
	global_store_dword v[5:6], v1, off
.LBB87_1712:
	s_mov_b64 s[0:1], 0
.LBB87_1713:
	s_andn2_b64 vcc, exec, s[0:1]
	s_cbranch_vccnz .LBB87_1722
; %bb.1714:
	s_cmp_lt_i32 s12, 6
	s_mov_b64 s[0:1], -1
	s_cbranch_scc1 .LBB87_1720
; %bb.1715:
	s_cmp_gt_i32 s12, 6
	s_cbranch_scc0 .LBB87_1717
; %bb.1716:
	v_cvt_f64_i32_e32 v[15:16], v8
	v_cvt_f64_u32_e32 v[17:18], v7
	s_mov_b64 s[0:1], 0
	v_ldexp_f64 v[15:16], v[15:16], 32
	v_add_f64 v[15:16], v[15:16], v[17:18]
	global_store_dwordx2 v[5:6], v[15:16], off
.LBB87_1717:
	s_andn2_b64 vcc, exec, s[0:1]
	s_cbranch_vccnz .LBB87_1719
; %bb.1718:
	v_xor_b32_e32 v3, v7, v8
	v_ffbh_i32_e32 v1, v8
	v_ashrrev_i32_e32 v3, 31, v3
	v_add_u32_e32 v1, -1, v1
	v_add_u32_e32 v3, 32, v3
	v_min_u32_e32 v1, v1, v3
	v_lshlrev_b64 v[15:16], v1, v[7:8]
	v_sub_u32_e32 v1, 32, v1
	v_min_u32_e32 v3, 1, v15
	v_or_b32_e32 v3, v16, v3
	v_cvt_f32_i32_e32 v3, v3
	v_ldexp_f32 v1, v3, v1
	global_store_dword v[5:6], v1, off
.LBB87_1719:
	s_mov_b64 s[0:1], 0
.LBB87_1720:
	s_andn2_b64 vcc, exec, s[0:1]
	s_cbranch_vccnz .LBB87_1722
; %bb.1721:
	v_xor_b32_e32 v3, v7, v8
	v_ffbh_i32_e32 v1, v8
	v_ashrrev_i32_e32 v3, 31, v3
	v_add_u32_e32 v1, -1, v1
	v_add_u32_e32 v3, 32, v3
	v_min_u32_e32 v1, v1, v3
	v_lshlrev_b64 v[15:16], v1, v[7:8]
	v_sub_u32_e32 v1, 32, v1
	v_min_u32_e32 v3, 1, v15
	v_or_b32_e32 v3, v16, v3
	v_cvt_f32_i32_e32 v3, v3
	v_ldexp_f32 v1, v3, v1
	v_cvt_f16_f32_e32 v1, v1
	global_store_short v[5:6], v1, off
.LBB87_1722:
	s_mov_b64 s[0:1], 0
.LBB87_1723:
	s_andn2_b64 vcc, exec, s[0:1]
	s_cbranch_vccnz .LBB87_1739
; %bb.1724:
	s_cmp_lt_i32 s12, 2
	s_mov_b64 s[0:1], -1
	s_cbranch_scc1 .LBB87_1734
; %bb.1725:
	s_cmp_lt_i32 s12, 3
	s_cbranch_scc1 .LBB87_1731
; %bb.1726:
	s_cmp_gt_i32 s12, 3
	s_cbranch_scc0 .LBB87_1728
; %bb.1727:
	global_store_dwordx2 v[5:6], v[7:8], off
	s_mov_b64 s[0:1], 0
.LBB87_1728:
	s_andn2_b64 vcc, exec, s[0:1]
	s_cbranch_vccnz .LBB87_1730
; %bb.1729:
	global_store_dword v[5:6], v7, off
.LBB87_1730:
	s_mov_b64 s[0:1], 0
.LBB87_1731:
	s_andn2_b64 vcc, exec, s[0:1]
	s_cbranch_vccnz .LBB87_1733
; %bb.1732:
	global_store_short v[5:6], v7, off
.LBB87_1733:
	s_mov_b64 s[0:1], 0
.LBB87_1734:
	s_andn2_b64 vcc, exec, s[0:1]
	s_cbranch_vccnz .LBB87_1739
; %bb.1735:
	s_cmp_gt_i32 s12, 0
	s_mov_b64 s[0:1], -1
	s_cbranch_scc0 .LBB87_1737
; %bb.1736:
	global_store_byte v[5:6], v7, off
	s_mov_b64 s[0:1], 0
.LBB87_1737:
	s_andn2_b64 vcc, exec, s[0:1]
	s_cbranch_vccnz .LBB87_1739
; %bb.1738:
	global_store_byte v[5:6], v7, off
.LBB87_1739:
	s_mov_b64 s[14:15], -1
.LBB87_1740:
	s_andn2_b64 vcc, exec, s[14:15]
	s_cbranch_vccnz .LBB87_2055
; %bb.1741:
	v_cmp_lt_i64_e32 vcc, s[4:5], v[9:10]
	v_mov_b32_e32 v1, s7
	v_mov_b32_e32 v3, s11
	v_cndmask_b32_e32 v6, v1, v3, vcc
	v_mov_b32_e32 v1, s6
	v_mov_b32_e32 v3, s10
	v_cndmask_b32_e32 v5, v1, v3, vcc
	v_mov_b32_e32 v1, s9
	s_and_b32 s21, 0xffff, s20
	v_add_co_u32_e32 v3, vcc, s8, v4
	s_cmp_lt_i32 s21, 11
	v_addc_co_u32_e32 v4, vcc, 0, v1, vcc
	s_cbranch_scc1 .LBB87_1819
; %bb.1742:
	s_mov_b64 s[16:17], -1
	s_mov_b64 s[12:13], 0
	s_cmp_gt_i32 s21, 25
	s_mov_b64 s[14:15], 0
	s_mov_b64 s[0:1], 0
	s_cbranch_scc0 .LBB87_1775
; %bb.1743:
	s_cmp_gt_i32 s21, 28
	s_cbranch_scc0 .LBB87_1758
; %bb.1744:
	s_cmp_gt_i32 s21, 43
	;; [unrolled: 3-line block ×3, first 2 shown]
	s_cbranch_scc0 .LBB87_1748
; %bb.1746:
	s_mov_b64 s[0:1], -1
	s_mov_b64 s[16:17], 0
	s_cmp_eq_u32 s21, 46
	s_cbranch_scc0 .LBB87_1748
; %bb.1747:
	v_xor_b32_e32 v7, v5, v6
	v_ffbh_i32_e32 v1, v6
	v_ashrrev_i32_e32 v7, 31, v7
	v_add_u32_e32 v1, -1, v1
	v_add_u32_e32 v7, 32, v7
	v_min_u32_e32 v1, v1, v7
	v_lshlrev_b64 v[7:8], v1, v[5:6]
	v_sub_u32_e32 v1, 32, v1
	v_min_u32_e32 v7, 1, v7
	v_or_b32_e32 v7, v8, v7
	v_cvt_f32_i32_e32 v7, v7
	s_movk_i32 s0, 0x7fff
	s_mov_b64 s[14:15], -1
	v_ldexp_f32 v1, v7, v1
	v_bfe_u32 v7, v1, 16, 1
	v_add3_u32 v1, v1, v7, s0
	v_lshrrev_b32_e32 v1, 16, v1
	global_store_dword v[3:4], v1, off
	s_mov_b64 s[0:1], 0
.LBB87_1748:
	s_and_b64 vcc, exec, s[16:17]
	s_cbranch_vccz .LBB87_1753
; %bb.1749:
	s_cmp_eq_u32 s21, 44
	s_mov_b64 s[0:1], -1
	s_cbranch_scc0 .LBB87_1753
; %bb.1750:
	v_xor_b32_e32 v7, v5, v6
	v_ffbh_i32_e32 v1, v6
	v_ashrrev_i32_e32 v7, 31, v7
	v_add_u32_e32 v1, -1, v1
	v_add_u32_e32 v7, 32, v7
	v_min_u32_e32 v1, v1, v7
	v_lshlrev_b64 v[7:8], v1, v[5:6]
	v_sub_u32_e32 v1, 32, v1
	v_min_u32_e32 v7, 1, v7
	v_or_b32_e32 v7, v8, v7
	v_cvt_f32_i32_e32 v7, v7
	s_movk_i32 s0, 0xff
	v_mov_b32_e32 v8, 0xff
	v_ldexp_f32 v1, v7, v1
	v_bfe_u32 v7, v1, 23, 8
	v_cmp_ne_u32_e32 vcc, s0, v7
	s_and_saveexec_b64 s[14:15], vcc
; %bb.1751:
	s_mov_b32 s0, 0x3fffff
	v_lshrrev_b32_e32 v8, 23, v1
	v_and_b32_e32 v9, 0x400000, v1
	v_and_or_b32 v1, v1, s0, v7
	v_cmp_ne_u32_e32 vcc, 0, v9
	v_cmp_ne_u32_e64 s[0:1], 0, v1
	s_and_b64 s[0:1], vcc, s[0:1]
	v_cndmask_b32_e64 v1, 0, 1, s[0:1]
	v_add_u32_e32 v8, v8, v1
; %bb.1752:
	s_or_b64 exec, exec, s[14:15]
	s_mov_b64 s[0:1], 0
	s_mov_b64 s[14:15], -1
	global_store_byte v[3:4], v8, off
.LBB87_1753:
	s_mov_b64 s[16:17], 0
.LBB87_1754:
	s_and_b64 vcc, exec, s[16:17]
	s_cbranch_vccz .LBB87_1757
; %bb.1755:
	s_cmp_eq_u32 s21, 29
	s_mov_b64 s[0:1], -1
	s_cbranch_scc0 .LBB87_1757
; %bb.1756:
	global_store_dwordx2 v[3:4], v[5:6], off
	s_mov_b64 s[0:1], 0
	s_mov_b64 s[14:15], -1
.LBB87_1757:
	s_mov_b64 s[16:17], 0
.LBB87_1758:
	s_and_b64 vcc, exec, s[16:17]
	s_cbranch_vccz .LBB87_1774
; %bb.1759:
	s_cmp_lt_i32 s21, 27
	s_mov_b64 s[14:15], -1
	s_cbranch_scc1 .LBB87_1765
; %bb.1760:
	s_cmp_gt_i32 s21, 27
	s_cbranch_scc0 .LBB87_1762
; %bb.1761:
	s_mov_b64 s[14:15], 0
	global_store_dword v[3:4], v5, off
.LBB87_1762:
	s_andn2_b64 vcc, exec, s[14:15]
	s_cbranch_vccnz .LBB87_1764
; %bb.1763:
	global_store_short v[3:4], v5, off
.LBB87_1764:
	s_mov_b64 s[14:15], 0
.LBB87_1765:
	s_andn2_b64 vcc, exec, s[14:15]
	s_cbranch_vccnz .LBB87_1773
; %bb.1766:
	v_xor_b32_e32 v7, v5, v6
	v_ffbh_i32_e32 v1, v6
	v_ashrrev_i32_e32 v7, 31, v7
	v_add_u32_e32 v1, -1, v1
	v_add_u32_e32 v7, 32, v7
	v_min_u32_e32 v1, v1, v7
	v_lshlrev_b64 v[7:8], v1, v[5:6]
	v_sub_u32_e32 v1, 32, v1
	v_min_u32_e32 v7, 1, v7
	v_or_b32_e32 v7, v8, v7
	v_cvt_f32_i32_e32 v7, v7
	s_mov_b32 s14, 0x43800000
	v_mov_b32_e32 v8, 0x80
	v_ldexp_f32 v1, v7, v1
	v_and_b32_e32 v7, 0x7fffffff, v1
	v_cmp_gt_u32_e32 vcc, s14, v7
	s_and_saveexec_b64 s[14:15], vcc
	s_cbranch_execz .LBB87_1772
; %bb.1767:
	s_mov_b32 s16, 0x3bffffff
	v_cmp_lt_u32_e32 vcc, s16, v7
	s_mov_b64 s[16:17], 0
                                        ; implicit-def: $vgpr7
	s_and_saveexec_b64 s[18:19], vcc
	s_xor_b64 s[18:19], exec, s[18:19]
	s_cbranch_execz .LBB87_2107
; %bb.1768:
	v_bfe_u32 v7, v1, 20, 1
	s_mov_b32 s22, 0x487ffff
	v_add3_u32 v7, v1, v7, s22
	s_mov_b64 s[16:17], exec
	v_lshrrev_b32_e32 v7, 20, v7
	s_andn2_saveexec_b64 s[18:19], s[18:19]
	s_cbranch_execnz .LBB87_2108
.LBB87_1769:
	s_or_b64 exec, exec, s[18:19]
	v_mov_b32_e32 v8, 0
	s_and_saveexec_b64 s[18:19], s[16:17]
.LBB87_1770:
	v_lshrrev_b32_e32 v1, 24, v1
	s_movk_i32 s16, 0x80
	v_and_or_b32 v8, v1, s16, v7
.LBB87_1771:
	s_or_b64 exec, exec, s[18:19]
.LBB87_1772:
	s_or_b64 exec, exec, s[14:15]
	global_store_byte v[3:4], v8, off
.LBB87_1773:
	s_mov_b64 s[14:15], -1
.LBB87_1774:
	s_mov_b64 s[16:17], 0
.LBB87_1775:
	s_and_b64 vcc, exec, s[16:17]
	s_cbranch_vccz .LBB87_1815
; %bb.1776:
	s_cmp_gt_i32 s21, 22
	s_mov_b64 s[12:13], -1
	s_cbranch_scc0 .LBB87_1808
; %bb.1777:
	s_cmp_lt_i32 s21, 24
	s_cbranch_scc1 .LBB87_1797
; %bb.1778:
	s_cmp_gt_i32 s21, 24
	s_cbranch_scc0 .LBB87_1786
; %bb.1779:
	v_xor_b32_e32 v7, v5, v6
	v_ffbh_i32_e32 v1, v6
	v_ashrrev_i32_e32 v7, 31, v7
	v_add_u32_e32 v1, -1, v1
	v_add_u32_e32 v7, 32, v7
	v_min_u32_e32 v1, v1, v7
	v_lshlrev_b64 v[7:8], v1, v[5:6]
	v_sub_u32_e32 v1, 32, v1
	v_min_u32_e32 v7, 1, v7
	v_or_b32_e32 v7, v8, v7
	v_cvt_f32_i32_e32 v7, v7
	s_mov_b32 s12, 0x47800000
	v_mov_b32_e32 v8, 0x80
	v_ldexp_f32 v1, v7, v1
	v_and_b32_e32 v7, 0x7fffffff, v1
	v_cmp_gt_u32_e32 vcc, s12, v7
	s_and_saveexec_b64 s[12:13], vcc
	s_cbranch_execz .LBB87_1785
; %bb.1780:
	s_mov_b32 s14, 0x37ffffff
	v_cmp_lt_u32_e32 vcc, s14, v7
	s_mov_b64 s[14:15], 0
                                        ; implicit-def: $vgpr7
	s_and_saveexec_b64 s[16:17], vcc
	s_xor_b64 s[16:17], exec, s[16:17]
	s_cbranch_execz .LBB87_2110
; %bb.1781:
	v_bfe_u32 v7, v1, 21, 1
	s_mov_b32 s18, 0x88fffff
	v_add3_u32 v7, v1, v7, s18
	s_mov_b64 s[14:15], exec
	v_lshrrev_b32_e32 v7, 21, v7
	s_andn2_saveexec_b64 s[16:17], s[16:17]
	s_cbranch_execnz .LBB87_2111
.LBB87_1782:
	s_or_b64 exec, exec, s[16:17]
	v_mov_b32_e32 v8, 0
	s_and_saveexec_b64 s[16:17], s[14:15]
.LBB87_1783:
	v_lshrrev_b32_e32 v1, 24, v1
	s_movk_i32 s14, 0x80
	v_and_or_b32 v8, v1, s14, v7
.LBB87_1784:
	s_or_b64 exec, exec, s[16:17]
.LBB87_1785:
	s_or_b64 exec, exec, s[12:13]
	s_mov_b64 s[12:13], 0
	global_store_byte v[3:4], v8, off
.LBB87_1786:
	s_and_b64 vcc, exec, s[12:13]
	s_cbranch_vccz .LBB87_1796
; %bb.1787:
	v_xor_b32_e32 v7, v5, v6
	v_ffbh_i32_e32 v1, v6
	v_ashrrev_i32_e32 v7, 31, v7
	v_add_u32_e32 v1, -1, v1
	v_add_u32_e32 v7, 32, v7
	v_min_u32_e32 v1, v1, v7
	v_lshlrev_b64 v[7:8], v1, v[5:6]
	v_sub_u32_e32 v1, 32, v1
	v_min_u32_e32 v7, 1, v7
	v_or_b32_e32 v7, v8, v7
	v_cvt_f32_i32_e32 v7, v7
	s_mov_b32 s12, 0x43f00000
	v_ldexp_f32 v1, v7, v1
	v_and_b32_e32 v8, 0x7fffffff, v1
	v_cmp_gt_u32_e32 vcc, s12, v8
                                        ; implicit-def: $vgpr7
	s_and_saveexec_b64 s[12:13], vcc
	s_xor_b64 s[12:13], exec, s[12:13]
	s_cbranch_execz .LBB87_1793
; %bb.1788:
	s_mov_b32 s14, 0x3c7fffff
	v_cmp_lt_u32_e32 vcc, s14, v8
                                        ; implicit-def: $vgpr7
	s_and_saveexec_b64 s[14:15], vcc
	s_xor_b64 s[14:15], exec, s[14:15]
; %bb.1789:
	v_bfe_u32 v7, v1, 20, 1
	s_mov_b32 s16, 0x407ffff
	v_add3_u32 v7, v1, v7, s16
	v_lshrrev_b32_e32 v8, 20, v7
	v_and_b32_e32 v7, 0xff00000, v7
	s_mov_b32 s16, 0x7f00000
	v_mov_b32_e32 v9, 0x7e
	v_cmp_ne_u32_e32 vcc, s16, v7
	v_cndmask_b32_e32 v7, v9, v8, vcc
; %bb.1790:
	s_andn2_saveexec_b64 s[14:15], s[14:15]
; %bb.1791:
	s_mov_b32 s16, 0x46800000
	v_add_f32_e64 v7, |v1|, s16
; %bb.1792:
	s_or_b64 exec, exec, s[14:15]
                                        ; implicit-def: $vgpr8
.LBB87_1793:
	s_andn2_saveexec_b64 s[12:13], s[12:13]
; %bb.1794:
	s_mov_b32 s14, 0x7f800000
	v_mov_b32_e32 v7, 0x7e
	v_mov_b32_e32 v9, 0x7f
	v_cmp_lt_u32_e32 vcc, s14, v8
	v_cndmask_b32_e32 v7, v7, v9, vcc
; %bb.1795:
	s_or_b64 exec, exec, s[12:13]
	v_lshrrev_b32_e32 v1, 24, v1
	s_movk_i32 s12, 0x80
	v_and_or_b32 v1, v1, s12, v7
	global_store_byte v[3:4], v1, off
.LBB87_1796:
	s_mov_b64 s[12:13], 0
.LBB87_1797:
	s_andn2_b64 vcc, exec, s[12:13]
	s_cbranch_vccnz .LBB87_1807
; %bb.1798:
	v_xor_b32_e32 v7, v5, v6
	v_ffbh_i32_e32 v1, v6
	v_ashrrev_i32_e32 v7, 31, v7
	v_add_u32_e32 v1, -1, v1
	v_add_u32_e32 v7, 32, v7
	v_min_u32_e32 v1, v1, v7
	v_lshlrev_b64 v[7:8], v1, v[5:6]
	v_sub_u32_e32 v1, 32, v1
	v_min_u32_e32 v7, 1, v7
	v_or_b32_e32 v7, v8, v7
	v_cvt_f32_i32_e32 v7, v7
	s_mov_b32 s12, 0x47800000
	v_ldexp_f32 v1, v7, v1
	v_and_b32_e32 v8, 0x7fffffff, v1
	v_cmp_gt_u32_e32 vcc, s12, v8
                                        ; implicit-def: $vgpr7
	s_and_saveexec_b64 s[12:13], vcc
	s_xor_b64 s[12:13], exec, s[12:13]
	s_cbranch_execz .LBB87_1804
; %bb.1799:
	s_mov_b32 s14, 0x387fffff
	v_cmp_lt_u32_e32 vcc, s14, v8
                                        ; implicit-def: $vgpr7
	s_and_saveexec_b64 s[14:15], vcc
	s_xor_b64 s[14:15], exec, s[14:15]
; %bb.1800:
	v_bfe_u32 v7, v1, 21, 1
	s_mov_b32 s16, 0x80fffff
	v_add3_u32 v7, v1, v7, s16
	v_lshrrev_b32_e32 v7, 21, v7
; %bb.1801:
	s_andn2_saveexec_b64 s[14:15], s[14:15]
; %bb.1802:
	s_mov_b32 s16, 0x43000000
	v_add_f32_e64 v7, |v1|, s16
; %bb.1803:
	s_or_b64 exec, exec, s[14:15]
                                        ; implicit-def: $vgpr8
.LBB87_1804:
	s_andn2_saveexec_b64 s[12:13], s[12:13]
; %bb.1805:
	s_mov_b32 s14, 0x7f800000
	v_mov_b32_e32 v7, 0x7c
	v_mov_b32_e32 v9, 0x7f
	v_cmp_lt_u32_e32 vcc, s14, v8
	v_cndmask_b32_e32 v7, v7, v9, vcc
; %bb.1806:
	s_or_b64 exec, exec, s[12:13]
	v_lshrrev_b32_e32 v1, 24, v1
	s_movk_i32 s12, 0x80
	v_and_or_b32 v1, v1, s12, v7
	global_store_byte v[3:4], v1, off
.LBB87_1807:
	s_mov_b64 s[12:13], 0
	s_mov_b64 s[14:15], -1
.LBB87_1808:
	s_andn2_b64 vcc, exec, s[12:13]
	s_mov_b64 s[12:13], 0
	s_cbranch_vccnz .LBB87_1815
; %bb.1809:
	s_cmp_gt_i32 s21, 14
	s_mov_b64 s[16:17], -1
	s_cbranch_scc0 .LBB87_1813
; %bb.1810:
	s_cmp_eq_u32 s21, 15
	s_mov_b64 s[0:1], -1
	s_cbranch_scc0 .LBB87_1812
; %bb.1811:
	v_xor_b32_e32 v7, v5, v6
	v_ffbh_i32_e32 v1, v6
	v_ashrrev_i32_e32 v7, 31, v7
	v_add_u32_e32 v1, -1, v1
	v_add_u32_e32 v7, 32, v7
	v_min_u32_e32 v1, v1, v7
	v_lshlrev_b64 v[7:8], v1, v[5:6]
	v_sub_u32_e32 v1, 32, v1
	v_min_u32_e32 v7, 1, v7
	v_or_b32_e32 v7, v8, v7
	v_cvt_f32_i32_e32 v7, v7
	s_movk_i32 s0, 0x7fff
	s_mov_b64 s[14:15], -1
	v_ldexp_f32 v1, v7, v1
	v_bfe_u32 v7, v1, 16, 1
	v_add3_u32 v1, v1, v7, s0
	global_store_short_d16_hi v[3:4], v1, off
	s_mov_b64 s[0:1], 0
.LBB87_1812:
	s_mov_b64 s[16:17], 0
.LBB87_1813:
	s_and_b64 vcc, exec, s[16:17]
	s_cbranch_vccz .LBB87_1815
; %bb.1814:
	s_cmp_lg_u32 s21, 11
	s_mov_b64 s[12:13], -1
	s_cselect_b64 s[0:1], -1, 0
.LBB87_1815:
	s_and_b64 vcc, exec, s[0:1]
	s_cbranch_vccnz .LBB87_2109
; %bb.1816:
	s_andn2_b64 vcc, exec, s[12:13]
	s_cbranch_vccnz .LBB87_1818
.LBB87_1817:
	v_cmp_ne_u64_e32 vcc, 0, v[5:6]
	s_mov_b64 s[14:15], -1
	v_cndmask_b32_e64 v1, 0, 1, vcc
	global_store_byte v[3:4], v1, off
.LBB87_1818:
	s_mov_b64 s[0:1], 0
	s_branch .LBB87_1820
.LBB87_1819:
	s_mov_b64 s[0:1], -1
	s_mov_b64 s[14:15], 0
.LBB87_1820:
	s_and_b64 vcc, exec, s[0:1]
	s_cbranch_vccz .LBB87_1859
; %bb.1821:
	s_cmp_lt_i32 s21, 5
	s_mov_b64 s[0:1], -1
	s_cbranch_scc1 .LBB87_1842
; %bb.1822:
	s_cmp_lt_i32 s21, 8
	s_cbranch_scc1 .LBB87_1832
; %bb.1823:
	s_cmp_lt_i32 s21, 9
	s_cbranch_scc1 .LBB87_1829
; %bb.1824:
	s_cmp_gt_i32 s21, 9
	s_cbranch_scc0 .LBB87_1826
; %bb.1825:
	v_cvt_f64_i32_e32 v[7:8], v6
	v_cvt_f64_u32_e32 v[9:10], v5
	s_mov_b64 s[0:1], 0
	v_ldexp_f64 v[7:8], v[7:8], 32
	v_add_f64 v[7:8], v[7:8], v[9:10]
	v_mov_b32_e32 v9, 0
	v_mov_b32_e32 v10, v9
	global_store_dwordx4 v[3:4], v[7:10], off
.LBB87_1826:
	s_andn2_b64 vcc, exec, s[0:1]
	s_cbranch_vccnz .LBB87_1828
; %bb.1827:
	v_xor_b32_e32 v7, v5, v6
	v_ffbh_i32_e32 v1, v6
	v_ashrrev_i32_e32 v7, 31, v7
	v_add_u32_e32 v1, -1, v1
	v_add_u32_e32 v7, 32, v7
	v_min_u32_e32 v1, v1, v7
	v_lshlrev_b64 v[7:8], v1, v[5:6]
	v_sub_u32_e32 v1, 32, v1
	v_min_u32_e32 v7, 1, v7
	v_or_b32_e32 v7, v8, v7
	v_cvt_f32_i32_e32 v7, v7
	v_mov_b32_e32 v8, 0
	v_ldexp_f32 v7, v7, v1
	global_store_dwordx2 v[3:4], v[7:8], off
.LBB87_1828:
	s_mov_b64 s[0:1], 0
.LBB87_1829:
	s_andn2_b64 vcc, exec, s[0:1]
	s_cbranch_vccnz .LBB87_1831
; %bb.1830:
	v_xor_b32_e32 v7, v5, v6
	v_ffbh_i32_e32 v1, v6
	v_ashrrev_i32_e32 v7, 31, v7
	v_add_u32_e32 v1, -1, v1
	v_add_u32_e32 v7, 32, v7
	v_min_u32_e32 v1, v1, v7
	v_lshlrev_b64 v[7:8], v1, v[5:6]
	v_sub_u32_e32 v1, 32, v1
	v_min_u32_e32 v7, 1, v7
	v_or_b32_e32 v7, v8, v7
	v_cvt_f32_i32_e32 v7, v7
	v_ldexp_f32 v1, v7, v1
	v_cvt_f16_f32_e32 v1, v1
	global_store_dword v[3:4], v1, off
.LBB87_1831:
	s_mov_b64 s[0:1], 0
.LBB87_1832:
	s_andn2_b64 vcc, exec, s[0:1]
	s_cbranch_vccnz .LBB87_1841
; %bb.1833:
	s_cmp_lt_i32 s21, 6
	s_mov_b64 s[0:1], -1
	s_cbranch_scc1 .LBB87_1839
; %bb.1834:
	s_cmp_gt_i32 s21, 6
	s_cbranch_scc0 .LBB87_1836
; %bb.1835:
	v_cvt_f64_i32_e32 v[7:8], v6
	v_cvt_f64_u32_e32 v[9:10], v5
	s_mov_b64 s[0:1], 0
	v_ldexp_f64 v[7:8], v[7:8], 32
	v_add_f64 v[7:8], v[7:8], v[9:10]
	global_store_dwordx2 v[3:4], v[7:8], off
.LBB87_1836:
	s_andn2_b64 vcc, exec, s[0:1]
	s_cbranch_vccnz .LBB87_1838
; %bb.1837:
	v_xor_b32_e32 v7, v5, v6
	v_ffbh_i32_e32 v1, v6
	v_ashrrev_i32_e32 v7, 31, v7
	v_add_u32_e32 v1, -1, v1
	v_add_u32_e32 v7, 32, v7
	v_min_u32_e32 v1, v1, v7
	v_lshlrev_b64 v[7:8], v1, v[5:6]
	v_sub_u32_e32 v1, 32, v1
	v_min_u32_e32 v7, 1, v7
	v_or_b32_e32 v7, v8, v7
	v_cvt_f32_i32_e32 v7, v7
	v_ldexp_f32 v1, v7, v1
	global_store_dword v[3:4], v1, off
.LBB87_1838:
	s_mov_b64 s[0:1], 0
.LBB87_1839:
	s_andn2_b64 vcc, exec, s[0:1]
	s_cbranch_vccnz .LBB87_1841
; %bb.1840:
	v_xor_b32_e32 v7, v5, v6
	v_ffbh_i32_e32 v1, v6
	v_ashrrev_i32_e32 v7, 31, v7
	v_add_u32_e32 v1, -1, v1
	v_add_u32_e32 v7, 32, v7
	v_min_u32_e32 v1, v1, v7
	v_lshlrev_b64 v[7:8], v1, v[5:6]
	v_sub_u32_e32 v1, 32, v1
	v_min_u32_e32 v7, 1, v7
	v_or_b32_e32 v7, v8, v7
	v_cvt_f32_i32_e32 v7, v7
	v_ldexp_f32 v1, v7, v1
	v_cvt_f16_f32_e32 v1, v1
	global_store_short v[3:4], v1, off
.LBB87_1841:
	s_mov_b64 s[0:1], 0
.LBB87_1842:
	s_andn2_b64 vcc, exec, s[0:1]
	s_cbranch_vccnz .LBB87_1858
; %bb.1843:
	s_cmp_lt_i32 s21, 2
	s_mov_b64 s[0:1], -1
	s_cbranch_scc1 .LBB87_1853
; %bb.1844:
	s_cmp_lt_i32 s21, 3
	s_cbranch_scc1 .LBB87_1850
; %bb.1845:
	s_cmp_gt_i32 s21, 3
	s_cbranch_scc0 .LBB87_1847
; %bb.1846:
	global_store_dwordx2 v[3:4], v[5:6], off
	s_mov_b64 s[0:1], 0
.LBB87_1847:
	s_andn2_b64 vcc, exec, s[0:1]
	s_cbranch_vccnz .LBB87_1849
; %bb.1848:
	global_store_dword v[3:4], v5, off
.LBB87_1849:
	s_mov_b64 s[0:1], 0
.LBB87_1850:
	s_andn2_b64 vcc, exec, s[0:1]
	s_cbranch_vccnz .LBB87_1852
; %bb.1851:
	global_store_short v[3:4], v5, off
.LBB87_1852:
	s_mov_b64 s[0:1], 0
.LBB87_1853:
	s_andn2_b64 vcc, exec, s[0:1]
	s_cbranch_vccnz .LBB87_1858
; %bb.1854:
	s_cmp_gt_i32 s21, 0
	s_mov_b64 s[0:1], -1
	s_cbranch_scc0 .LBB87_1856
; %bb.1855:
	global_store_byte v[3:4], v5, off
	s_mov_b64 s[0:1], 0
.LBB87_1856:
	s_andn2_b64 vcc, exec, s[0:1]
	s_cbranch_vccnz .LBB87_1858
; %bb.1857:
	global_store_byte v[3:4], v5, off
.LBB87_1858:
	s_mov_b64 s[14:15], -1
.LBB87_1859:
	s_andn2_b64 vcc, exec, s[14:15]
	s_cbranch_vccnz .LBB87_2055
; %bb.1860:
	v_cmp_lt_i64_e32 vcc, s[4:5], v[11:12]
	v_mov_b32_e32 v1, s7
	v_mov_b32_e32 v3, s11
	v_cndmask_b32_e32 v4, v1, v3, vcc
	v_mov_b32_e32 v1, s6
	v_mov_b32_e32 v3, s10
	v_cndmask_b32_e32 v3, v1, v3, vcc
	v_mov_b32_e32 v5, s9
	v_add_co_u32_e32 v1, vcc, s8, v2
	s_cmp_lt_i32 s21, 11
	v_addc_co_u32_e32 v2, vcc, 0, v5, vcc
	s_cbranch_scc1 .LBB87_1938
; %bb.1861:
	s_mov_b64 s[16:17], -1
	s_mov_b64 s[12:13], 0
	s_cmp_gt_i32 s21, 25
	s_mov_b64 s[14:15], 0
	s_mov_b64 s[0:1], 0
	s_cbranch_scc0 .LBB87_1894
; %bb.1862:
	s_cmp_gt_i32 s21, 28
	s_cbranch_scc0 .LBB87_1877
; %bb.1863:
	s_cmp_gt_i32 s21, 43
	;; [unrolled: 3-line block ×3, first 2 shown]
	s_cbranch_scc0 .LBB87_1867
; %bb.1865:
	s_mov_b64 s[0:1], -1
	s_mov_b64 s[16:17], 0
	s_cmp_eq_u32 s21, 46
	s_cbranch_scc0 .LBB87_1867
; %bb.1866:
	v_xor_b32_e32 v6, v3, v4
	v_ffbh_i32_e32 v5, v4
	v_ashrrev_i32_e32 v6, 31, v6
	v_add_u32_e32 v5, -1, v5
	v_add_u32_e32 v6, 32, v6
	v_min_u32_e32 v7, v5, v6
	v_lshlrev_b64 v[5:6], v7, v[3:4]
	s_movk_i32 s0, 0x7fff
	v_min_u32_e32 v5, 1, v5
	v_or_b32_e32 v5, v6, v5
	v_cvt_f32_i32_e32 v5, v5
	v_sub_u32_e32 v6, 32, v7
	s_mov_b64 s[14:15], -1
	v_ldexp_f32 v5, v5, v6
	v_bfe_u32 v6, v5, 16, 1
	v_add3_u32 v5, v5, v6, s0
	v_lshrrev_b32_e32 v5, 16, v5
	global_store_dword v[1:2], v5, off
	s_mov_b64 s[0:1], 0
.LBB87_1867:
	s_and_b64 vcc, exec, s[16:17]
	s_cbranch_vccz .LBB87_1872
; %bb.1868:
	s_cmp_eq_u32 s21, 44
	s_mov_b64 s[0:1], -1
	s_cbranch_scc0 .LBB87_1872
; %bb.1869:
	v_xor_b32_e32 v6, v3, v4
	v_ffbh_i32_e32 v5, v4
	v_ashrrev_i32_e32 v6, 31, v6
	v_add_u32_e32 v5, -1, v5
	v_add_u32_e32 v6, 32, v6
	v_min_u32_e32 v7, v5, v6
	v_lshlrev_b64 v[5:6], v7, v[3:4]
	s_movk_i32 s0, 0xff
	v_min_u32_e32 v5, 1, v5
	v_or_b32_e32 v5, v6, v5
	v_cvt_f32_i32_e32 v5, v5
	v_sub_u32_e32 v6, 32, v7
	v_mov_b32_e32 v7, 0xff
	v_ldexp_f32 v5, v5, v6
	v_bfe_u32 v6, v5, 23, 8
	v_cmp_ne_u32_e32 vcc, s0, v6
	s_and_saveexec_b64 s[14:15], vcc
; %bb.1870:
	s_mov_b32 s0, 0x3fffff
	v_lshrrev_b32_e32 v7, 23, v5
	v_and_b32_e32 v8, 0x400000, v5
	v_and_or_b32 v5, v5, s0, v6
	v_cmp_ne_u32_e32 vcc, 0, v8
	v_cmp_ne_u32_e64 s[0:1], 0, v5
	s_and_b64 s[0:1], vcc, s[0:1]
	v_cndmask_b32_e64 v5, 0, 1, s[0:1]
	v_add_u32_e32 v7, v7, v5
; %bb.1871:
	s_or_b64 exec, exec, s[14:15]
	s_mov_b64 s[0:1], 0
	s_mov_b64 s[14:15], -1
	global_store_byte v[1:2], v7, off
.LBB87_1872:
	s_mov_b64 s[16:17], 0
.LBB87_1873:
	s_and_b64 vcc, exec, s[16:17]
	s_cbranch_vccz .LBB87_1876
; %bb.1874:
	s_cmp_eq_u32 s21, 29
	s_mov_b64 s[0:1], -1
	s_cbranch_scc0 .LBB87_1876
; %bb.1875:
	global_store_dwordx2 v[1:2], v[3:4], off
	s_mov_b64 s[0:1], 0
	s_mov_b64 s[14:15], -1
.LBB87_1876:
	s_mov_b64 s[16:17], 0
.LBB87_1877:
	s_and_b64 vcc, exec, s[16:17]
	s_cbranch_vccz .LBB87_1893
; %bb.1878:
	s_cmp_lt_i32 s21, 27
	s_mov_b64 s[14:15], -1
	s_cbranch_scc1 .LBB87_1884
; %bb.1879:
	s_cmp_gt_i32 s21, 27
	s_cbranch_scc0 .LBB87_1881
; %bb.1880:
	s_mov_b64 s[14:15], 0
	global_store_dword v[1:2], v3, off
.LBB87_1881:
	s_andn2_b64 vcc, exec, s[14:15]
	s_cbranch_vccnz .LBB87_1883
; %bb.1882:
	global_store_short v[1:2], v3, off
.LBB87_1883:
	s_mov_b64 s[14:15], 0
.LBB87_1884:
	s_andn2_b64 vcc, exec, s[14:15]
	s_cbranch_vccnz .LBB87_1892
; %bb.1885:
	v_xor_b32_e32 v6, v3, v4
	v_ffbh_i32_e32 v5, v4
	v_ashrrev_i32_e32 v6, 31, v6
	v_add_u32_e32 v5, -1, v5
	v_add_u32_e32 v6, 32, v6
	v_min_u32_e32 v7, v5, v6
	v_lshlrev_b64 v[5:6], v7, v[3:4]
	s_mov_b32 s14, 0x43800000
	v_min_u32_e32 v5, 1, v5
	v_or_b32_e32 v5, v6, v5
	v_cvt_f32_i32_e32 v5, v5
	v_sub_u32_e32 v6, 32, v7
	v_mov_b32_e32 v7, 0x80
	v_ldexp_f32 v5, v5, v6
	v_and_b32_e32 v6, 0x7fffffff, v5
	v_cmp_gt_u32_e32 vcc, s14, v6
	s_and_saveexec_b64 s[14:15], vcc
	s_cbranch_execz .LBB87_1891
; %bb.1886:
	s_mov_b32 s16, 0x3bffffff
	v_cmp_lt_u32_e32 vcc, s16, v6
	s_mov_b64 s[16:17], 0
                                        ; implicit-def: $vgpr6
	s_and_saveexec_b64 s[18:19], vcc
	s_xor_b64 s[18:19], exec, s[18:19]
	s_cbranch_execz .LBB87_2112
; %bb.1887:
	v_bfe_u32 v6, v5, 20, 1
	s_mov_b32 s22, 0x487ffff
	v_add3_u32 v6, v5, v6, s22
	s_mov_b64 s[16:17], exec
	v_lshrrev_b32_e32 v6, 20, v6
	s_andn2_saveexec_b64 s[18:19], s[18:19]
	s_cbranch_execnz .LBB87_2113
.LBB87_1888:
	s_or_b64 exec, exec, s[18:19]
	v_mov_b32_e32 v7, 0
	s_and_saveexec_b64 s[18:19], s[16:17]
.LBB87_1889:
	v_lshrrev_b32_e32 v5, 24, v5
	s_movk_i32 s16, 0x80
	v_and_or_b32 v7, v5, s16, v6
.LBB87_1890:
	s_or_b64 exec, exec, s[18:19]
.LBB87_1891:
	s_or_b64 exec, exec, s[14:15]
	global_store_byte v[1:2], v7, off
.LBB87_1892:
	s_mov_b64 s[14:15], -1
.LBB87_1893:
	s_mov_b64 s[16:17], 0
.LBB87_1894:
	s_and_b64 vcc, exec, s[16:17]
	s_cbranch_vccz .LBB87_1934
; %bb.1895:
	s_cmp_gt_i32 s21, 22
	s_mov_b64 s[12:13], -1
	s_cbranch_scc0 .LBB87_1927
; %bb.1896:
	s_cmp_lt_i32 s21, 24
	s_cbranch_scc1 .LBB87_1916
; %bb.1897:
	s_cmp_gt_i32 s21, 24
	s_cbranch_scc0 .LBB87_1905
; %bb.1898:
	v_xor_b32_e32 v6, v3, v4
	v_ffbh_i32_e32 v5, v4
	v_ashrrev_i32_e32 v6, 31, v6
	v_add_u32_e32 v5, -1, v5
	v_add_u32_e32 v6, 32, v6
	v_min_u32_e32 v7, v5, v6
	v_lshlrev_b64 v[5:6], v7, v[3:4]
	s_mov_b32 s12, 0x47800000
	v_min_u32_e32 v5, 1, v5
	v_or_b32_e32 v5, v6, v5
	v_cvt_f32_i32_e32 v5, v5
	v_sub_u32_e32 v6, 32, v7
	v_mov_b32_e32 v7, 0x80
	v_ldexp_f32 v5, v5, v6
	v_and_b32_e32 v6, 0x7fffffff, v5
	v_cmp_gt_u32_e32 vcc, s12, v6
	s_and_saveexec_b64 s[12:13], vcc
	s_cbranch_execz .LBB87_1904
; %bb.1899:
	s_mov_b32 s14, 0x37ffffff
	v_cmp_lt_u32_e32 vcc, s14, v6
	s_mov_b64 s[14:15], 0
                                        ; implicit-def: $vgpr6
	s_and_saveexec_b64 s[16:17], vcc
	s_xor_b64 s[16:17], exec, s[16:17]
	s_cbranch_execz .LBB87_2115
; %bb.1900:
	v_bfe_u32 v6, v5, 21, 1
	s_mov_b32 s18, 0x88fffff
	v_add3_u32 v6, v5, v6, s18
	s_mov_b64 s[14:15], exec
	v_lshrrev_b32_e32 v6, 21, v6
	s_andn2_saveexec_b64 s[16:17], s[16:17]
	s_cbranch_execnz .LBB87_2116
.LBB87_1901:
	s_or_b64 exec, exec, s[16:17]
	v_mov_b32_e32 v7, 0
	s_and_saveexec_b64 s[16:17], s[14:15]
.LBB87_1902:
	v_lshrrev_b32_e32 v5, 24, v5
	s_movk_i32 s14, 0x80
	v_and_or_b32 v7, v5, s14, v6
.LBB87_1903:
	s_or_b64 exec, exec, s[16:17]
.LBB87_1904:
	s_or_b64 exec, exec, s[12:13]
	s_mov_b64 s[12:13], 0
	global_store_byte v[1:2], v7, off
.LBB87_1905:
	s_and_b64 vcc, exec, s[12:13]
	s_cbranch_vccz .LBB87_1915
; %bb.1906:
	v_xor_b32_e32 v6, v3, v4
	v_ffbh_i32_e32 v5, v4
	v_ashrrev_i32_e32 v6, 31, v6
	v_add_u32_e32 v5, -1, v5
	v_add_u32_e32 v6, 32, v6
	v_min_u32_e32 v7, v5, v6
	v_lshlrev_b64 v[5:6], v7, v[3:4]
	s_mov_b32 s12, 0x43f00000
	v_min_u32_e32 v5, 1, v5
	v_or_b32_e32 v5, v6, v5
	v_cvt_f32_i32_e32 v5, v5
	v_sub_u32_e32 v6, 32, v7
	v_ldexp_f32 v5, v5, v6
	v_and_b32_e32 v7, 0x7fffffff, v5
	v_cmp_gt_u32_e32 vcc, s12, v7
                                        ; implicit-def: $vgpr6
	s_and_saveexec_b64 s[12:13], vcc
	s_xor_b64 s[12:13], exec, s[12:13]
	s_cbranch_execz .LBB87_1912
; %bb.1907:
	s_mov_b32 s14, 0x3c7fffff
	v_cmp_lt_u32_e32 vcc, s14, v7
                                        ; implicit-def: $vgpr6
	s_and_saveexec_b64 s[14:15], vcc
	s_xor_b64 s[14:15], exec, s[14:15]
; %bb.1908:
	v_bfe_u32 v6, v5, 20, 1
	s_mov_b32 s16, 0x407ffff
	v_add3_u32 v6, v5, v6, s16
	v_lshrrev_b32_e32 v7, 20, v6
	v_and_b32_e32 v6, 0xff00000, v6
	s_mov_b32 s16, 0x7f00000
	v_mov_b32_e32 v8, 0x7e
	v_cmp_ne_u32_e32 vcc, s16, v6
	v_cndmask_b32_e32 v6, v8, v7, vcc
; %bb.1909:
	s_andn2_saveexec_b64 s[14:15], s[14:15]
; %bb.1910:
	s_mov_b32 s16, 0x46800000
	v_add_f32_e64 v6, |v5|, s16
; %bb.1911:
	s_or_b64 exec, exec, s[14:15]
                                        ; implicit-def: $vgpr7
.LBB87_1912:
	s_andn2_saveexec_b64 s[12:13], s[12:13]
; %bb.1913:
	s_mov_b32 s14, 0x7f800000
	v_mov_b32_e32 v6, 0x7e
	v_mov_b32_e32 v8, 0x7f
	v_cmp_lt_u32_e32 vcc, s14, v7
	v_cndmask_b32_e32 v6, v6, v8, vcc
; %bb.1914:
	s_or_b64 exec, exec, s[12:13]
	v_lshrrev_b32_e32 v5, 24, v5
	s_movk_i32 s12, 0x80
	v_and_or_b32 v5, v5, s12, v6
	global_store_byte v[1:2], v5, off
.LBB87_1915:
	s_mov_b64 s[12:13], 0
.LBB87_1916:
	s_andn2_b64 vcc, exec, s[12:13]
	s_cbranch_vccnz .LBB87_1926
; %bb.1917:
	v_xor_b32_e32 v6, v3, v4
	v_ffbh_i32_e32 v5, v4
	v_ashrrev_i32_e32 v6, 31, v6
	v_add_u32_e32 v5, -1, v5
	v_add_u32_e32 v6, 32, v6
	v_min_u32_e32 v7, v5, v6
	v_lshlrev_b64 v[5:6], v7, v[3:4]
	s_mov_b32 s12, 0x47800000
	v_min_u32_e32 v5, 1, v5
	v_or_b32_e32 v5, v6, v5
	v_cvt_f32_i32_e32 v5, v5
	v_sub_u32_e32 v6, 32, v7
	v_ldexp_f32 v5, v5, v6
	v_and_b32_e32 v7, 0x7fffffff, v5
	v_cmp_gt_u32_e32 vcc, s12, v7
                                        ; implicit-def: $vgpr6
	s_and_saveexec_b64 s[12:13], vcc
	s_xor_b64 s[12:13], exec, s[12:13]
	s_cbranch_execz .LBB87_1923
; %bb.1918:
	s_mov_b32 s14, 0x387fffff
	v_cmp_lt_u32_e32 vcc, s14, v7
                                        ; implicit-def: $vgpr6
	s_and_saveexec_b64 s[14:15], vcc
	s_xor_b64 s[14:15], exec, s[14:15]
; %bb.1919:
	v_bfe_u32 v6, v5, 21, 1
	s_mov_b32 s16, 0x80fffff
	v_add3_u32 v6, v5, v6, s16
	v_lshrrev_b32_e32 v6, 21, v6
; %bb.1920:
	s_andn2_saveexec_b64 s[14:15], s[14:15]
; %bb.1921:
	s_mov_b32 s16, 0x43000000
	v_add_f32_e64 v6, |v5|, s16
; %bb.1922:
	s_or_b64 exec, exec, s[14:15]
                                        ; implicit-def: $vgpr7
.LBB87_1923:
	s_andn2_saveexec_b64 s[12:13], s[12:13]
; %bb.1924:
	s_mov_b32 s14, 0x7f800000
	v_mov_b32_e32 v6, 0x7c
	v_mov_b32_e32 v8, 0x7f
	v_cmp_lt_u32_e32 vcc, s14, v7
	v_cndmask_b32_e32 v6, v6, v8, vcc
; %bb.1925:
	s_or_b64 exec, exec, s[12:13]
	v_lshrrev_b32_e32 v5, 24, v5
	s_movk_i32 s12, 0x80
	v_and_or_b32 v5, v5, s12, v6
	global_store_byte v[1:2], v5, off
.LBB87_1926:
	s_mov_b64 s[12:13], 0
	s_mov_b64 s[14:15], -1
.LBB87_1927:
	s_andn2_b64 vcc, exec, s[12:13]
	s_mov_b64 s[12:13], 0
	s_cbranch_vccnz .LBB87_1934
; %bb.1928:
	s_cmp_gt_i32 s21, 14
	s_mov_b64 s[16:17], -1
	s_cbranch_scc0 .LBB87_1932
; %bb.1929:
	s_cmp_eq_u32 s21, 15
	s_mov_b64 s[0:1], -1
	s_cbranch_scc0 .LBB87_1931
; %bb.1930:
	v_xor_b32_e32 v6, v3, v4
	v_ffbh_i32_e32 v5, v4
	v_ashrrev_i32_e32 v6, 31, v6
	v_add_u32_e32 v5, -1, v5
	v_add_u32_e32 v6, 32, v6
	v_min_u32_e32 v7, v5, v6
	v_lshlrev_b64 v[5:6], v7, v[3:4]
	s_movk_i32 s0, 0x7fff
	v_min_u32_e32 v5, 1, v5
	v_or_b32_e32 v5, v6, v5
	v_cvt_f32_i32_e32 v5, v5
	v_sub_u32_e32 v6, 32, v7
	s_mov_b64 s[14:15], -1
	v_ldexp_f32 v5, v5, v6
	v_bfe_u32 v6, v5, 16, 1
	v_add3_u32 v5, v5, v6, s0
	global_store_short_d16_hi v[1:2], v5, off
	s_mov_b64 s[0:1], 0
.LBB87_1931:
	s_mov_b64 s[16:17], 0
.LBB87_1932:
	s_and_b64 vcc, exec, s[16:17]
	s_cbranch_vccz .LBB87_1934
; %bb.1933:
	s_cmp_lg_u32 s21, 11
	s_mov_b64 s[12:13], -1
	s_cselect_b64 s[0:1], -1, 0
.LBB87_1934:
	s_and_b64 vcc, exec, s[0:1]
	s_cbranch_vccnz .LBB87_2114
; %bb.1935:
	s_andn2_b64 vcc, exec, s[12:13]
	s_cbranch_vccnz .LBB87_1937
.LBB87_1936:
	v_cmp_ne_u64_e32 vcc, 0, v[3:4]
	s_mov_b64 s[14:15], -1
	v_cndmask_b32_e64 v5, 0, 1, vcc
	global_store_byte v[1:2], v5, off
.LBB87_1937:
	s_mov_b64 s[0:1], 0
	s_branch .LBB87_1939
.LBB87_1938:
	s_mov_b64 s[0:1], -1
	s_mov_b64 s[14:15], 0
.LBB87_1939:
	s_and_b64 vcc, exec, s[0:1]
	s_cbranch_vccz .LBB87_1978
; %bb.1940:
	s_cmp_lt_i32 s21, 5
	s_mov_b64 s[0:1], -1
	s_cbranch_scc1 .LBB87_1961
; %bb.1941:
	s_cmp_lt_i32 s21, 8
	s_cbranch_scc1 .LBB87_1951
; %bb.1942:
	s_cmp_lt_i32 s21, 9
	s_cbranch_scc1 .LBB87_1948
; %bb.1943:
	s_cmp_gt_i32 s21, 9
	s_cbranch_scc0 .LBB87_1945
; %bb.1944:
	v_cvt_f64_i32_e32 v[5:6], v4
	v_cvt_f64_u32_e32 v[7:8], v3
	s_mov_b64 s[0:1], 0
	v_ldexp_f64 v[5:6], v[5:6], 32
	v_add_f64 v[5:6], v[5:6], v[7:8]
	v_mov_b32_e32 v7, 0
	v_mov_b32_e32 v8, v7
	global_store_dwordx4 v[1:2], v[5:8], off
.LBB87_1945:
	s_andn2_b64 vcc, exec, s[0:1]
	s_cbranch_vccnz .LBB87_1947
; %bb.1946:
	v_xor_b32_e32 v6, v3, v4
	v_ffbh_i32_e32 v5, v4
	v_ashrrev_i32_e32 v6, 31, v6
	v_add_u32_e32 v5, -1, v5
	v_add_u32_e32 v6, 32, v6
	v_min_u32_e32 v7, v5, v6
	v_lshlrev_b64 v[5:6], v7, v[3:4]
	v_min_u32_e32 v5, 1, v5
	v_or_b32_e32 v5, v6, v5
	v_cvt_f32_i32_e32 v5, v5
	v_sub_u32_e32 v6, 32, v7
	v_ldexp_f32 v5, v5, v6
	v_mov_b32_e32 v6, 0
	global_store_dwordx2 v[1:2], v[5:6], off
.LBB87_1947:
	s_mov_b64 s[0:1], 0
.LBB87_1948:
	s_andn2_b64 vcc, exec, s[0:1]
	s_cbranch_vccnz .LBB87_1950
; %bb.1949:
	v_xor_b32_e32 v6, v3, v4
	v_ffbh_i32_e32 v5, v4
	v_ashrrev_i32_e32 v6, 31, v6
	v_add_u32_e32 v5, -1, v5
	v_add_u32_e32 v6, 32, v6
	v_min_u32_e32 v7, v5, v6
	v_lshlrev_b64 v[5:6], v7, v[3:4]
	v_min_u32_e32 v5, 1, v5
	v_or_b32_e32 v5, v6, v5
	v_cvt_f32_i32_e32 v5, v5
	v_sub_u32_e32 v6, 32, v7
	v_ldexp_f32 v5, v5, v6
	v_cvt_f16_f32_e32 v5, v5
	global_store_dword v[1:2], v5, off
.LBB87_1950:
	s_mov_b64 s[0:1], 0
.LBB87_1951:
	s_andn2_b64 vcc, exec, s[0:1]
	s_cbranch_vccnz .LBB87_1960
; %bb.1952:
	s_cmp_lt_i32 s21, 6
	s_mov_b64 s[0:1], -1
	s_cbranch_scc1 .LBB87_1958
; %bb.1953:
	s_cmp_gt_i32 s21, 6
	s_cbranch_scc0 .LBB87_1955
; %bb.1954:
	v_cvt_f64_i32_e32 v[5:6], v4
	v_cvt_f64_u32_e32 v[7:8], v3
	s_mov_b64 s[0:1], 0
	v_ldexp_f64 v[5:6], v[5:6], 32
	v_add_f64 v[5:6], v[5:6], v[7:8]
	global_store_dwordx2 v[1:2], v[5:6], off
.LBB87_1955:
	s_andn2_b64 vcc, exec, s[0:1]
	s_cbranch_vccnz .LBB87_1957
; %bb.1956:
	v_xor_b32_e32 v6, v3, v4
	v_ffbh_i32_e32 v5, v4
	v_ashrrev_i32_e32 v6, 31, v6
	v_add_u32_e32 v5, -1, v5
	v_add_u32_e32 v6, 32, v6
	v_min_u32_e32 v7, v5, v6
	v_lshlrev_b64 v[5:6], v7, v[3:4]
	v_min_u32_e32 v5, 1, v5
	v_or_b32_e32 v5, v6, v5
	v_cvt_f32_i32_e32 v5, v5
	v_sub_u32_e32 v6, 32, v7
	v_ldexp_f32 v5, v5, v6
	global_store_dword v[1:2], v5, off
.LBB87_1957:
	s_mov_b64 s[0:1], 0
.LBB87_1958:
	s_andn2_b64 vcc, exec, s[0:1]
	s_cbranch_vccnz .LBB87_1960
; %bb.1959:
	v_xor_b32_e32 v6, v3, v4
	v_ffbh_i32_e32 v5, v4
	v_ashrrev_i32_e32 v6, 31, v6
	v_add_u32_e32 v5, -1, v5
	v_add_u32_e32 v6, 32, v6
	v_min_u32_e32 v7, v5, v6
	v_lshlrev_b64 v[5:6], v7, v[3:4]
	v_min_u32_e32 v5, 1, v5
	v_or_b32_e32 v5, v6, v5
	v_cvt_f32_i32_e32 v5, v5
	v_sub_u32_e32 v6, 32, v7
	v_ldexp_f32 v5, v5, v6
	v_cvt_f16_f32_e32 v5, v5
	global_store_short v[1:2], v5, off
.LBB87_1960:
	s_mov_b64 s[0:1], 0
.LBB87_1961:
	s_andn2_b64 vcc, exec, s[0:1]
	s_cbranch_vccnz .LBB87_1977
; %bb.1962:
	s_cmp_lt_i32 s21, 2
	s_mov_b64 s[0:1], -1
	s_cbranch_scc1 .LBB87_1972
; %bb.1963:
	s_cmp_lt_i32 s21, 3
	s_cbranch_scc1 .LBB87_1969
; %bb.1964:
	s_cmp_gt_i32 s21, 3
	s_cbranch_scc0 .LBB87_1966
; %bb.1965:
	global_store_dwordx2 v[1:2], v[3:4], off
	s_mov_b64 s[0:1], 0
.LBB87_1966:
	s_andn2_b64 vcc, exec, s[0:1]
	s_cbranch_vccnz .LBB87_1968
; %bb.1967:
	global_store_dword v[1:2], v3, off
.LBB87_1968:
	s_mov_b64 s[0:1], 0
.LBB87_1969:
	s_andn2_b64 vcc, exec, s[0:1]
	s_cbranch_vccnz .LBB87_1971
; %bb.1970:
	global_store_short v[1:2], v3, off
.LBB87_1971:
	s_mov_b64 s[0:1], 0
.LBB87_1972:
	s_andn2_b64 vcc, exec, s[0:1]
	s_cbranch_vccnz .LBB87_1977
; %bb.1973:
	s_cmp_gt_i32 s21, 0
	s_mov_b64 s[0:1], -1
	s_cbranch_scc0 .LBB87_1975
; %bb.1974:
	global_store_byte v[1:2], v3, off
	s_mov_b64 s[0:1], 0
.LBB87_1975:
	s_andn2_b64 vcc, exec, s[0:1]
	s_cbranch_vccnz .LBB87_1977
; %bb.1976:
	global_store_byte v[1:2], v3, off
.LBB87_1977:
	s_mov_b64 s[14:15], -1
.LBB87_1978:
	s_andn2_b64 vcc, exec, s[14:15]
	s_cbranch_vccnz .LBB87_2055
; %bb.1979:
	v_cmp_lt_i64_e32 vcc, s[4:5], v[13:14]
	v_mov_b32_e32 v1, s7
	v_mov_b32_e32 v2, s11
	v_cndmask_b32_e32 v3, v1, v2, vcc
	v_mov_b32_e32 v1, s6
	v_mov_b32_e32 v2, s10
	v_cndmask_b32_e32 v2, v1, v2, vcc
	v_mov_b32_e32 v1, s9
	v_add_co_u32_e32 v0, vcc, s8, v0
	s_cmp_lt_i32 s21, 11
	v_addc_co_u32_e32 v1, vcc, 0, v1, vcc
	s_cbranch_scc1 .LBB87_2100
; %bb.1980:
	s_mov_b64 s[6:7], -1
	s_mov_b64 s[4:5], 0
	s_cmp_gt_i32 s21, 25
	s_mov_b64 s[0:1], 0
	s_cbranch_scc0 .LBB87_2013
; %bb.1981:
	s_cmp_gt_i32 s21, 28
	s_cbranch_scc0 .LBB87_1997
; %bb.1982:
	s_cmp_gt_i32 s21, 43
	;; [unrolled: 3-line block ×3, first 2 shown]
	s_cbranch_scc0 .LBB87_1987
; %bb.1984:
	s_cmp_eq_u32 s21, 46
	s_mov_b64 s[0:1], -1
	s_cbranch_scc0 .LBB87_1986
; %bb.1985:
	v_xor_b32_e32 v5, v2, v3
	v_ffbh_i32_e32 v4, v3
	v_ashrrev_i32_e32 v5, 31, v5
	v_add_u32_e32 v4, -1, v4
	v_add_u32_e32 v5, 32, v5
	v_min_u32_e32 v6, v4, v5
	v_lshlrev_b64 v[4:5], v6, v[2:3]
	s_movk_i32 s0, 0x7fff
	v_min_u32_e32 v4, 1, v4
	v_or_b32_e32 v4, v5, v4
	v_cvt_f32_i32_e32 v4, v4
	v_sub_u32_e32 v5, 32, v6
	v_ldexp_f32 v4, v4, v5
	v_bfe_u32 v5, v4, 16, 1
	v_add3_u32 v4, v4, v5, s0
	v_lshrrev_b32_e32 v4, 16, v4
	global_store_dword v[0:1], v4, off
	s_mov_b64 s[0:1], 0
.LBB87_1986:
	s_mov_b64 s[6:7], 0
.LBB87_1987:
	s_and_b64 vcc, exec, s[6:7]
	s_cbranch_vccz .LBB87_1992
; %bb.1988:
	s_cmp_eq_u32 s21, 44
	s_mov_b64 s[0:1], -1
	s_cbranch_scc0 .LBB87_1992
; %bb.1989:
	v_xor_b32_e32 v5, v2, v3
	v_ffbh_i32_e32 v4, v3
	v_ashrrev_i32_e32 v5, 31, v5
	v_add_u32_e32 v4, -1, v4
	v_add_u32_e32 v5, 32, v5
	v_min_u32_e32 v6, v4, v5
	v_lshlrev_b64 v[4:5], v6, v[2:3]
	s_movk_i32 s0, 0xff
	v_min_u32_e32 v4, 1, v4
	v_or_b32_e32 v4, v5, v4
	v_cvt_f32_i32_e32 v4, v4
	v_sub_u32_e32 v5, 32, v6
	v_mov_b32_e32 v6, 0xff
	v_ldexp_f32 v4, v4, v5
	v_bfe_u32 v5, v4, 23, 8
	v_cmp_ne_u32_e32 vcc, s0, v5
	s_and_saveexec_b64 s[6:7], vcc
; %bb.1990:
	s_mov_b32 s0, 0x3fffff
	v_lshrrev_b32_e32 v6, 23, v4
	v_and_b32_e32 v7, 0x400000, v4
	v_and_or_b32 v4, v4, s0, v5
	v_cmp_ne_u32_e32 vcc, 0, v7
	v_cmp_ne_u32_e64 s[0:1], 0, v4
	s_and_b64 s[0:1], vcc, s[0:1]
	v_cndmask_b32_e64 v4, 0, 1, s[0:1]
	v_add_u32_e32 v6, v6, v4
; %bb.1991:
	s_or_b64 exec, exec, s[6:7]
	s_mov_b64 s[0:1], 0
	global_store_byte v[0:1], v6, off
.LBB87_1992:
	s_mov_b64 s[6:7], 0
.LBB87_1993:
	s_and_b64 vcc, exec, s[6:7]
	s_cbranch_vccz .LBB87_1996
; %bb.1994:
	s_cmp_eq_u32 s21, 29
	s_mov_b64 s[0:1], -1
	s_cbranch_scc0 .LBB87_1996
; %bb.1995:
	global_store_dwordx2 v[0:1], v[2:3], off
	s_mov_b64 s[0:1], 0
.LBB87_1996:
	s_mov_b64 s[6:7], 0
.LBB87_1997:
	s_and_b64 vcc, exec, s[6:7]
	s_cbranch_vccz .LBB87_2012
; %bb.1998:
	s_cmp_lt_i32 s21, 27
	s_mov_b64 s[6:7], -1
	s_cbranch_scc1 .LBB87_2004
; %bb.1999:
	s_cmp_gt_i32 s21, 27
	s_cbranch_scc0 .LBB87_2001
; %bb.2000:
	global_store_dword v[0:1], v2, off
	s_mov_b64 s[6:7], 0
.LBB87_2001:
	s_andn2_b64 vcc, exec, s[6:7]
	s_cbranch_vccnz .LBB87_2003
; %bb.2002:
	global_store_short v[0:1], v2, off
.LBB87_2003:
	s_mov_b64 s[6:7], 0
.LBB87_2004:
	s_andn2_b64 vcc, exec, s[6:7]
	s_cbranch_vccnz .LBB87_2012
; %bb.2005:
	v_xor_b32_e32 v5, v2, v3
	v_ffbh_i32_e32 v4, v3
	v_ashrrev_i32_e32 v5, 31, v5
	v_add_u32_e32 v4, -1, v4
	v_add_u32_e32 v5, 32, v5
	v_min_u32_e32 v6, v4, v5
	v_lshlrev_b64 v[4:5], v6, v[2:3]
	s_mov_b32 s6, 0x43800000
	v_min_u32_e32 v4, 1, v4
	v_or_b32_e32 v4, v5, v4
	v_cvt_f32_i32_e32 v4, v4
	v_sub_u32_e32 v5, 32, v6
	v_mov_b32_e32 v6, 0x80
	v_ldexp_f32 v4, v4, v5
	v_and_b32_e32 v5, 0x7fffffff, v4
	v_cmp_gt_u32_e32 vcc, s6, v5
	s_and_saveexec_b64 s[6:7], vcc
	s_cbranch_execz .LBB87_2011
; %bb.2006:
	s_mov_b32 s8, 0x3bffffff
	v_cmp_lt_u32_e32 vcc, s8, v5
	s_mov_b64 s[8:9], 0
                                        ; implicit-def: $vgpr5
	s_and_saveexec_b64 s[10:11], vcc
	s_xor_b64 s[10:11], exec, s[10:11]
	s_cbranch_execz .LBB87_2117
; %bb.2007:
	v_bfe_u32 v5, v4, 20, 1
	s_mov_b32 s12, 0x487ffff
	v_add3_u32 v5, v4, v5, s12
	s_mov_b64 s[8:9], exec
	v_lshrrev_b32_e32 v5, 20, v5
	s_andn2_saveexec_b64 s[10:11], s[10:11]
	s_cbranch_execnz .LBB87_2118
.LBB87_2008:
	s_or_b64 exec, exec, s[10:11]
	v_mov_b32_e32 v6, 0
	s_and_saveexec_b64 s[10:11], s[8:9]
.LBB87_2009:
	v_lshrrev_b32_e32 v4, 24, v4
	s_movk_i32 s8, 0x80
	v_and_or_b32 v6, v4, s8, v5
.LBB87_2010:
	s_or_b64 exec, exec, s[10:11]
.LBB87_2011:
	s_or_b64 exec, exec, s[6:7]
	global_store_byte v[0:1], v6, off
.LBB87_2012:
	s_mov_b64 s[6:7], 0
.LBB87_2013:
	s_and_b64 vcc, exec, s[6:7]
	s_cbranch_vccz .LBB87_2053
; %bb.2014:
	s_cmp_gt_i32 s21, 22
	s_mov_b64 s[4:5], -1
	s_cbranch_scc0 .LBB87_2046
; %bb.2015:
	s_cmp_lt_i32 s21, 24
	s_cbranch_scc1 .LBB87_2035
; %bb.2016:
	s_cmp_gt_i32 s21, 24
	s_cbranch_scc0 .LBB87_2024
; %bb.2017:
	v_xor_b32_e32 v5, v2, v3
	v_ffbh_i32_e32 v4, v3
	v_ashrrev_i32_e32 v5, 31, v5
	v_add_u32_e32 v4, -1, v4
	v_add_u32_e32 v5, 32, v5
	v_min_u32_e32 v6, v4, v5
	v_lshlrev_b64 v[4:5], v6, v[2:3]
	s_mov_b32 s4, 0x47800000
	v_min_u32_e32 v4, 1, v4
	v_or_b32_e32 v4, v5, v4
	v_cvt_f32_i32_e32 v4, v4
	v_sub_u32_e32 v5, 32, v6
	v_mov_b32_e32 v6, 0x80
	v_ldexp_f32 v4, v4, v5
	v_and_b32_e32 v5, 0x7fffffff, v4
	v_cmp_gt_u32_e32 vcc, s4, v5
	s_and_saveexec_b64 s[4:5], vcc
	s_cbranch_execz .LBB87_2023
; %bb.2018:
	s_mov_b32 s6, 0x37ffffff
	v_cmp_lt_u32_e32 vcc, s6, v5
	s_mov_b64 s[6:7], 0
                                        ; implicit-def: $vgpr5
	s_and_saveexec_b64 s[8:9], vcc
	s_xor_b64 s[8:9], exec, s[8:9]
	s_cbranch_execz .LBB87_2120
; %bb.2019:
	v_bfe_u32 v5, v4, 21, 1
	s_mov_b32 s10, 0x88fffff
	v_add3_u32 v5, v4, v5, s10
	s_mov_b64 s[6:7], exec
	v_lshrrev_b32_e32 v5, 21, v5
	s_andn2_saveexec_b64 s[8:9], s[8:9]
	s_cbranch_execnz .LBB87_2121
.LBB87_2020:
	s_or_b64 exec, exec, s[8:9]
	v_mov_b32_e32 v6, 0
	s_and_saveexec_b64 s[8:9], s[6:7]
.LBB87_2021:
	v_lshrrev_b32_e32 v4, 24, v4
	s_movk_i32 s6, 0x80
	v_and_or_b32 v6, v4, s6, v5
.LBB87_2022:
	s_or_b64 exec, exec, s[8:9]
.LBB87_2023:
	s_or_b64 exec, exec, s[4:5]
	s_mov_b64 s[4:5], 0
	global_store_byte v[0:1], v6, off
.LBB87_2024:
	s_and_b64 vcc, exec, s[4:5]
	s_cbranch_vccz .LBB87_2034
; %bb.2025:
	v_xor_b32_e32 v5, v2, v3
	v_ffbh_i32_e32 v4, v3
	v_ashrrev_i32_e32 v5, 31, v5
	v_add_u32_e32 v4, -1, v4
	v_add_u32_e32 v5, 32, v5
	v_min_u32_e32 v6, v4, v5
	v_lshlrev_b64 v[4:5], v6, v[2:3]
	s_mov_b32 s4, 0x43f00000
	v_min_u32_e32 v4, 1, v4
	v_or_b32_e32 v4, v5, v4
	v_cvt_f32_i32_e32 v4, v4
	v_sub_u32_e32 v5, 32, v6
	v_ldexp_f32 v4, v4, v5
	v_and_b32_e32 v6, 0x7fffffff, v4
	v_cmp_gt_u32_e32 vcc, s4, v6
                                        ; implicit-def: $vgpr5
	s_and_saveexec_b64 s[4:5], vcc
	s_xor_b64 s[4:5], exec, s[4:5]
	s_cbranch_execz .LBB87_2031
; %bb.2026:
	s_mov_b32 s6, 0x3c7fffff
	v_cmp_lt_u32_e32 vcc, s6, v6
                                        ; implicit-def: $vgpr5
	s_and_saveexec_b64 s[6:7], vcc
	s_xor_b64 s[6:7], exec, s[6:7]
; %bb.2027:
	v_bfe_u32 v5, v4, 20, 1
	s_mov_b32 s8, 0x407ffff
	v_add3_u32 v5, v4, v5, s8
	v_lshrrev_b32_e32 v6, 20, v5
	v_and_b32_e32 v5, 0xff00000, v5
	s_mov_b32 s8, 0x7f00000
	v_mov_b32_e32 v7, 0x7e
	v_cmp_ne_u32_e32 vcc, s8, v5
	v_cndmask_b32_e32 v5, v7, v6, vcc
; %bb.2028:
	s_andn2_saveexec_b64 s[6:7], s[6:7]
; %bb.2029:
	s_mov_b32 s8, 0x46800000
	v_add_f32_e64 v5, |v4|, s8
; %bb.2030:
	s_or_b64 exec, exec, s[6:7]
                                        ; implicit-def: $vgpr6
.LBB87_2031:
	s_andn2_saveexec_b64 s[4:5], s[4:5]
; %bb.2032:
	s_mov_b32 s6, 0x7f800000
	v_mov_b32_e32 v5, 0x7e
	v_mov_b32_e32 v7, 0x7f
	v_cmp_lt_u32_e32 vcc, s6, v6
	v_cndmask_b32_e32 v5, v5, v7, vcc
; %bb.2033:
	s_or_b64 exec, exec, s[4:5]
	v_lshrrev_b32_e32 v4, 24, v4
	s_movk_i32 s4, 0x80
	v_and_or_b32 v4, v4, s4, v5
	global_store_byte v[0:1], v4, off
.LBB87_2034:
	s_mov_b64 s[4:5], 0
.LBB87_2035:
	s_andn2_b64 vcc, exec, s[4:5]
	s_cbranch_vccnz .LBB87_2045
; %bb.2036:
	v_xor_b32_e32 v5, v2, v3
	v_ffbh_i32_e32 v4, v3
	v_ashrrev_i32_e32 v5, 31, v5
	v_add_u32_e32 v4, -1, v4
	v_add_u32_e32 v5, 32, v5
	v_min_u32_e32 v6, v4, v5
	v_lshlrev_b64 v[4:5], v6, v[2:3]
	s_mov_b32 s4, 0x47800000
	v_min_u32_e32 v4, 1, v4
	v_or_b32_e32 v4, v5, v4
	v_cvt_f32_i32_e32 v4, v4
	v_sub_u32_e32 v5, 32, v6
	v_ldexp_f32 v4, v4, v5
	v_and_b32_e32 v6, 0x7fffffff, v4
	v_cmp_gt_u32_e32 vcc, s4, v6
                                        ; implicit-def: $vgpr5
	s_and_saveexec_b64 s[4:5], vcc
	s_xor_b64 s[4:5], exec, s[4:5]
	s_cbranch_execz .LBB87_2042
; %bb.2037:
	s_mov_b32 s6, 0x387fffff
	v_cmp_lt_u32_e32 vcc, s6, v6
                                        ; implicit-def: $vgpr5
	s_and_saveexec_b64 s[6:7], vcc
	s_xor_b64 s[6:7], exec, s[6:7]
; %bb.2038:
	v_bfe_u32 v5, v4, 21, 1
	s_mov_b32 s8, 0x80fffff
	v_add3_u32 v5, v4, v5, s8
	v_lshrrev_b32_e32 v5, 21, v5
; %bb.2039:
	s_andn2_saveexec_b64 s[6:7], s[6:7]
; %bb.2040:
	s_mov_b32 s8, 0x43000000
	v_add_f32_e64 v5, |v4|, s8
; %bb.2041:
	s_or_b64 exec, exec, s[6:7]
                                        ; implicit-def: $vgpr6
.LBB87_2042:
	s_andn2_saveexec_b64 s[4:5], s[4:5]
; %bb.2043:
	s_mov_b32 s6, 0x7f800000
	v_mov_b32_e32 v5, 0x7c
	v_mov_b32_e32 v7, 0x7f
	v_cmp_lt_u32_e32 vcc, s6, v6
	v_cndmask_b32_e32 v5, v5, v7, vcc
; %bb.2044:
	s_or_b64 exec, exec, s[4:5]
	v_lshrrev_b32_e32 v4, 24, v4
	s_movk_i32 s4, 0x80
	v_and_or_b32 v4, v4, s4, v5
	global_store_byte v[0:1], v4, off
.LBB87_2045:
	s_mov_b64 s[4:5], 0
.LBB87_2046:
	s_andn2_b64 vcc, exec, s[4:5]
	s_mov_b64 s[4:5], 0
	s_cbranch_vccnz .LBB87_2053
; %bb.2047:
	s_cmp_gt_i32 s21, 14
	s_mov_b64 s[6:7], -1
	s_cbranch_scc0 .LBB87_2051
; %bb.2048:
	s_cmp_eq_u32 s21, 15
	s_mov_b64 s[0:1], -1
	s_cbranch_scc0 .LBB87_2050
; %bb.2049:
	v_xor_b32_e32 v5, v2, v3
	v_ffbh_i32_e32 v4, v3
	v_ashrrev_i32_e32 v5, 31, v5
	v_add_u32_e32 v4, -1, v4
	v_add_u32_e32 v5, 32, v5
	v_min_u32_e32 v6, v4, v5
	v_lshlrev_b64 v[4:5], v6, v[2:3]
	s_movk_i32 s0, 0x7fff
	v_min_u32_e32 v4, 1, v4
	v_or_b32_e32 v4, v5, v4
	v_cvt_f32_i32_e32 v4, v4
	v_sub_u32_e32 v5, 32, v6
	v_ldexp_f32 v4, v4, v5
	v_bfe_u32 v5, v4, 16, 1
	v_add3_u32 v4, v4, v5, s0
	global_store_short_d16_hi v[0:1], v4, off
	s_mov_b64 s[0:1], 0
.LBB87_2050:
	s_mov_b64 s[6:7], 0
.LBB87_2051:
	s_and_b64 vcc, exec, s[6:7]
	s_cbranch_vccz .LBB87_2053
; %bb.2052:
	s_cmp_lg_u32 s21, 11
	s_mov_b64 s[4:5], -1
	s_cselect_b64 s[0:1], -1, 0
.LBB87_2053:
	s_and_b64 vcc, exec, s[0:1]
	s_cbranch_vccnz .LBB87_2119
.LBB87_2054:
	s_mov_b64 s[0:1], 0
	s_branch .LBB87_2056
.LBB87_2055:
	s_mov_b64 s[0:1], 0
	s_mov_b64 s[4:5], 0
                                        ; implicit-def: $vgpr0_vgpr1
                                        ; implicit-def: $sgpr20
                                        ; implicit-def: $vgpr2_vgpr3
.LBB87_2056:
	s_and_b64 s[6:7], s[4:5], exec
	s_andn2_b64 s[4:5], s[28:29], exec
	s_and_b64 s[2:3], s[2:3], exec
	s_and_b64 s[0:1], s[0:1], exec
	s_or_b64 s[28:29], s[4:5], s[2:3]
.LBB87_2057:
	s_or_b64 exec, exec, s[30:31]
	s_and_saveexec_b64 s[2:3], s[28:29]
	s_cbranch_execz .LBB87_2060
; %bb.2058:
	; divergent unreachable
	s_or_b64 exec, exec, s[2:3]
	s_and_saveexec_b64 s[2:3], s[6:7]
	s_xor_b64 s[2:3], exec, s[2:3]
	s_cbranch_execnz .LBB87_2061
.LBB87_2059:
	s_or_b64 exec, exec, s[2:3]
	s_and_saveexec_b64 s[2:3], s[0:1]
	s_cbranch_execnz .LBB87_2062
	s_branch .LBB87_2099
.LBB87_2060:
	s_or_b64 exec, exec, s[2:3]
	s_and_saveexec_b64 s[2:3], s[6:7]
	s_xor_b64 s[2:3], exec, s[2:3]
	s_cbranch_execz .LBB87_2059
.LBB87_2061:
	s_waitcnt vmcnt(0)
	v_cmp_ne_u64_e32 vcc, 0, v[2:3]
	v_cndmask_b32_e64 v4, 0, 1, vcc
	global_store_byte v[0:1], v4, off
	s_or_b64 exec, exec, s[2:3]
	s_and_saveexec_b64 s[2:3], s[0:1]
	s_cbranch_execz .LBB87_2099
.LBB87_2062:
	s_sext_i32_i16 s2, s20
	s_cmp_lt_i32 s2, 5
	s_mov_b64 s[0:1], -1
	s_cbranch_scc1 .LBB87_2083
; %bb.2063:
	s_cmp_lt_i32 s2, 8
	s_cbranch_scc1 .LBB87_2073
; %bb.2064:
	s_cmp_lt_i32 s2, 9
	s_cbranch_scc1 .LBB87_2070
; %bb.2065:
	s_cmp_gt_i32 s2, 9
	s_cbranch_scc0 .LBB87_2067
; %bb.2066:
	s_waitcnt vmcnt(0)
	v_cvt_f64_i32_e32 v[4:5], v3
	v_cvt_f64_u32_e32 v[6:7], v2
	s_mov_b64 s[0:1], 0
	v_ldexp_f64 v[4:5], v[4:5], 32
	v_add_f64 v[4:5], v[4:5], v[6:7]
	v_mov_b32_e32 v6, 0
	v_mov_b32_e32 v7, v6
	global_store_dwordx4 v[0:1], v[4:7], off
.LBB87_2067:
	s_andn2_b64 vcc, exec, s[0:1]
	s_cbranch_vccnz .LBB87_2069
; %bb.2068:
	s_waitcnt vmcnt(0)
	v_xor_b32_e32 v5, v2, v3
	v_ffbh_i32_e32 v4, v3
	v_ashrrev_i32_e32 v5, 31, v5
	v_add_u32_e32 v4, -1, v4
	v_add_u32_e32 v5, 32, v5
	v_min_u32_e32 v6, v4, v5
	v_lshlrev_b64 v[4:5], v6, v[2:3]
	v_min_u32_e32 v4, 1, v4
	v_or_b32_e32 v4, v5, v4
	v_cvt_f32_i32_e32 v4, v4
	v_sub_u32_e32 v5, 32, v6
	v_ldexp_f32 v4, v4, v5
	v_mov_b32_e32 v5, 0
	global_store_dwordx2 v[0:1], v[4:5], off
.LBB87_2069:
	s_mov_b64 s[0:1], 0
.LBB87_2070:
	s_andn2_b64 vcc, exec, s[0:1]
	s_cbranch_vccnz .LBB87_2072
; %bb.2071:
	s_waitcnt vmcnt(0)
	v_xor_b32_e32 v5, v2, v3
	v_ffbh_i32_e32 v4, v3
	v_ashrrev_i32_e32 v5, 31, v5
	v_add_u32_e32 v4, -1, v4
	v_add_u32_e32 v5, 32, v5
	v_min_u32_e32 v6, v4, v5
	v_lshlrev_b64 v[4:5], v6, v[2:3]
	v_min_u32_e32 v4, 1, v4
	v_or_b32_e32 v4, v5, v4
	v_cvt_f32_i32_e32 v4, v4
	v_sub_u32_e32 v5, 32, v6
	v_ldexp_f32 v4, v4, v5
	v_cvt_f16_f32_e32 v4, v4
	global_store_dword v[0:1], v4, off
.LBB87_2072:
	s_mov_b64 s[0:1], 0
.LBB87_2073:
	s_andn2_b64 vcc, exec, s[0:1]
	s_cbranch_vccnz .LBB87_2082
; %bb.2074:
	s_sext_i32_i16 s2, s20
	s_cmp_lt_i32 s2, 6
	s_mov_b64 s[0:1], -1
	s_cbranch_scc1 .LBB87_2080
; %bb.2075:
	s_cmp_gt_i32 s2, 6
	s_cbranch_scc0 .LBB87_2077
; %bb.2076:
	s_waitcnt vmcnt(0)
	v_cvt_f64_i32_e32 v[4:5], v3
	v_cvt_f64_u32_e32 v[6:7], v2
	s_mov_b64 s[0:1], 0
	v_ldexp_f64 v[4:5], v[4:5], 32
	v_add_f64 v[4:5], v[4:5], v[6:7]
	global_store_dwordx2 v[0:1], v[4:5], off
.LBB87_2077:
	s_andn2_b64 vcc, exec, s[0:1]
	s_cbranch_vccnz .LBB87_2079
; %bb.2078:
	s_waitcnt vmcnt(0)
	v_xor_b32_e32 v5, v2, v3
	v_ffbh_i32_e32 v4, v3
	v_ashrrev_i32_e32 v5, 31, v5
	v_add_u32_e32 v4, -1, v4
	v_add_u32_e32 v5, 32, v5
	v_min_u32_e32 v6, v4, v5
	v_lshlrev_b64 v[4:5], v6, v[2:3]
	v_min_u32_e32 v4, 1, v4
	v_or_b32_e32 v4, v5, v4
	v_cvt_f32_i32_e32 v4, v4
	v_sub_u32_e32 v5, 32, v6
	v_ldexp_f32 v4, v4, v5
	global_store_dword v[0:1], v4, off
.LBB87_2079:
	s_mov_b64 s[0:1], 0
.LBB87_2080:
	s_andn2_b64 vcc, exec, s[0:1]
	s_cbranch_vccnz .LBB87_2082
; %bb.2081:
	s_waitcnt vmcnt(0)
	v_xor_b32_e32 v5, v2, v3
	v_ffbh_i32_e32 v4, v3
	v_ashrrev_i32_e32 v5, 31, v5
	v_add_u32_e32 v4, -1, v4
	v_add_u32_e32 v5, 32, v5
	v_min_u32_e32 v6, v4, v5
	v_lshlrev_b64 v[4:5], v6, v[2:3]
	v_min_u32_e32 v4, 1, v4
	v_or_b32_e32 v4, v5, v4
	v_cvt_f32_i32_e32 v4, v4
	v_sub_u32_e32 v5, 32, v6
	v_ldexp_f32 v4, v4, v5
	v_cvt_f16_f32_e32 v4, v4
	global_store_short v[0:1], v4, off
.LBB87_2082:
	s_mov_b64 s[0:1], 0
.LBB87_2083:
	s_andn2_b64 vcc, exec, s[0:1]
	s_cbranch_vccnz .LBB87_2099
; %bb.2084:
	s_sext_i32_i16 s2, s20
	s_cmp_lt_i32 s2, 2
	s_mov_b64 s[0:1], -1
	s_cbranch_scc1 .LBB87_2094
; %bb.2085:
	s_cmp_lt_i32 s2, 3
	s_cbranch_scc1 .LBB87_2091
; %bb.2086:
	s_cmp_gt_i32 s2, 3
	s_cbranch_scc0 .LBB87_2088
; %bb.2087:
	s_waitcnt vmcnt(0)
	global_store_dwordx2 v[0:1], v[2:3], off
	s_mov_b64 s[0:1], 0
.LBB87_2088:
	s_andn2_b64 vcc, exec, s[0:1]
	s_cbranch_vccnz .LBB87_2090
; %bb.2089:
	global_store_dword v[0:1], v2, off
.LBB87_2090:
	s_mov_b64 s[0:1], 0
.LBB87_2091:
	s_andn2_b64 vcc, exec, s[0:1]
	s_cbranch_vccnz .LBB87_2093
; %bb.2092:
	global_store_short v[0:1], v2, off
.LBB87_2093:
	s_mov_b64 s[0:1], 0
.LBB87_2094:
	s_andn2_b64 vcc, exec, s[0:1]
	s_cbranch_vccnz .LBB87_2099
; %bb.2095:
	s_sext_i32_i16 s0, s20
	s_cmp_gt_i32 s0, 0
	s_mov_b64 s[0:1], -1
	s_cbranch_scc0 .LBB87_2097
; %bb.2096:
	global_store_byte v[0:1], v2, off
	s_mov_b64 s[0:1], 0
.LBB87_2097:
	s_andn2_b64 vcc, exec, s[0:1]
	s_cbranch_vccnz .LBB87_2099
; %bb.2098:
	global_store_byte v[0:1], v2, off
	s_endpgm
.LBB87_2099:
	s_endpgm
.LBB87_2100:
	s_mov_b64 s[4:5], 0
	s_mov_b64 s[0:1], -1
	s_branch .LBB87_2056
.LBB87_2101:
	s_trap 2
	s_or_b64 s[2:3], s[2:3], exec
	s_cbranch_execz .LBB87_1570
	s_branch .LBB87_1571
.LBB87_2102:
	s_andn2_saveexec_b64 s[18:19], s[18:19]
	s_cbranch_execz .LBB87_1650
.LBB87_2103:
	s_mov_b32 s22, 0x46000000
	v_add_f32_e64 v3, |v1|, s22
	v_and_b32_e32 v3, 0xff, v3
	v_cmp_ne_u32_e32 vcc, 0, v3
	s_andn2_b64 s[16:17], s[16:17], exec
	s_and_b64 s[22:23], vcc, exec
	s_or_b64 s[16:17], s[16:17], s[22:23]
	s_or_b64 exec, exec, s[18:19]
	v_mov_b32_e32 v15, 0
	s_and_saveexec_b64 s[18:19], s[16:17]
	s_cbranch_execnz .LBB87_1651
	s_branch .LBB87_1652
.LBB87_2104:
	s_trap 2
	s_or_b64 s[2:3], s[2:3], exec
	s_cbranch_execz .LBB87_1698
	s_branch .LBB87_1699
.LBB87_2105:
	s_andn2_saveexec_b64 s[16:17], s[16:17]
	s_cbranch_execz .LBB87_1663
.LBB87_2106:
	s_mov_b32 s18, 0x42800000
	v_add_f32_e64 v3, |v1|, s18
	v_and_b32_e32 v3, 0xff, v3
	v_cmp_ne_u32_e32 vcc, 0, v3
	s_andn2_b64 s[14:15], s[14:15], exec
	s_and_b64 s[18:19], vcc, exec
	s_or_b64 s[14:15], s[14:15], s[18:19]
	s_or_b64 exec, exec, s[16:17]
	v_mov_b32_e32 v15, 0
	s_and_saveexec_b64 s[16:17], s[14:15]
	s_cbranch_execnz .LBB87_1664
	s_branch .LBB87_1665
.LBB87_2107:
	s_andn2_saveexec_b64 s[18:19], s[18:19]
	s_cbranch_execz .LBB87_1769
.LBB87_2108:
	s_mov_b32 s22, 0x46000000
	v_add_f32_e64 v7, |v1|, s22
	v_and_b32_e32 v7, 0xff, v7
	v_cmp_ne_u32_e32 vcc, 0, v7
	s_andn2_b64 s[16:17], s[16:17], exec
	s_and_b64 s[22:23], vcc, exec
	s_or_b64 s[16:17], s[16:17], s[22:23]
	s_or_b64 exec, exec, s[18:19]
	v_mov_b32_e32 v8, 0
	s_and_saveexec_b64 s[18:19], s[16:17]
	s_cbranch_execnz .LBB87_1770
	s_branch .LBB87_1771
.LBB87_2109:
	s_trap 2
	s_or_b64 s[2:3], s[2:3], exec
	s_cbranch_execz .LBB87_1817
	s_branch .LBB87_1818
.LBB87_2110:
	s_andn2_saveexec_b64 s[16:17], s[16:17]
	s_cbranch_execz .LBB87_1782
.LBB87_2111:
	s_mov_b32 s18, 0x42800000
	v_add_f32_e64 v7, |v1|, s18
	v_and_b32_e32 v7, 0xff, v7
	v_cmp_ne_u32_e32 vcc, 0, v7
	s_andn2_b64 s[14:15], s[14:15], exec
	s_and_b64 s[18:19], vcc, exec
	s_or_b64 s[14:15], s[14:15], s[18:19]
	s_or_b64 exec, exec, s[16:17]
	v_mov_b32_e32 v8, 0
	s_and_saveexec_b64 s[16:17], s[14:15]
	s_cbranch_execnz .LBB87_1783
	s_branch .LBB87_1784
.LBB87_2112:
	s_andn2_saveexec_b64 s[18:19], s[18:19]
	s_cbranch_execz .LBB87_1888
.LBB87_2113:
	s_mov_b32 s22, 0x46000000
	v_add_f32_e64 v6, |v5|, s22
	v_and_b32_e32 v6, 0xff, v6
	v_cmp_ne_u32_e32 vcc, 0, v6
	s_andn2_b64 s[16:17], s[16:17], exec
	s_and_b64 s[22:23], vcc, exec
	s_or_b64 s[16:17], s[16:17], s[22:23]
	s_or_b64 exec, exec, s[18:19]
	v_mov_b32_e32 v7, 0
	s_and_saveexec_b64 s[18:19], s[16:17]
	s_cbranch_execnz .LBB87_1889
	s_branch .LBB87_1890
.LBB87_2114:
	s_trap 2
	s_or_b64 s[2:3], s[2:3], exec
	s_cbranch_execz .LBB87_1936
	s_branch .LBB87_1937
.LBB87_2115:
	s_andn2_saveexec_b64 s[16:17], s[16:17]
	s_cbranch_execz .LBB87_1901
.LBB87_2116:
	s_mov_b32 s18, 0x42800000
	v_add_f32_e64 v6, |v5|, s18
	v_and_b32_e32 v6, 0xff, v6
	v_cmp_ne_u32_e32 vcc, 0, v6
	s_andn2_b64 s[14:15], s[14:15], exec
	s_and_b64 s[18:19], vcc, exec
	s_or_b64 s[14:15], s[14:15], s[18:19]
	s_or_b64 exec, exec, s[16:17]
	v_mov_b32_e32 v7, 0
	s_and_saveexec_b64 s[16:17], s[14:15]
	s_cbranch_execnz .LBB87_1902
	s_branch .LBB87_1903
.LBB87_2117:
	s_andn2_saveexec_b64 s[10:11], s[10:11]
	s_cbranch_execz .LBB87_2008
.LBB87_2118:
	s_mov_b32 s12, 0x46000000
	v_add_f32_e64 v5, |v4|, s12
	v_and_b32_e32 v5, 0xff, v5
	v_cmp_ne_u32_e32 vcc, 0, v5
	s_andn2_b64 s[8:9], s[8:9], exec
	s_and_b64 s[12:13], vcc, exec
	s_or_b64 s[8:9], s[8:9], s[12:13]
	s_or_b64 exec, exec, s[10:11]
	v_mov_b32_e32 v6, 0
	s_and_saveexec_b64 s[10:11], s[8:9]
	s_cbranch_execnz .LBB87_2009
	s_branch .LBB87_2010
.LBB87_2119:
	s_mov_b64 s[4:5], 0
	s_or_b64 s[2:3], s[2:3], exec
	s_trap 2
	s_branch .LBB87_2054
.LBB87_2120:
	s_andn2_saveexec_b64 s[8:9], s[8:9]
	s_cbranch_execz .LBB87_2020
.LBB87_2121:
	s_mov_b32 s10, 0x42800000
	v_add_f32_e64 v5, |v4|, s10
	v_and_b32_e32 v5, 0xff, v5
	v_cmp_ne_u32_e32 vcc, 0, v5
	s_andn2_b64 s[6:7], s[6:7], exec
	s_and_b64 s[10:11], vcc, exec
	s_or_b64 s[6:7], s[6:7], s[10:11]
	s_or_b64 exec, exec, s[8:9]
	v_mov_b32_e32 v6, 0
	s_and_saveexec_b64 s[8:9], s[6:7]
	s_cbranch_execnz .LBB87_2021
	s_branch .LBB87_2022
	.section	.rodata,"a",@progbits
	.p2align	6, 0x0
	.amdhsa_kernel _ZN2at6native32elementwise_kernel_manual_unrollILi128ELi4EZNS0_15gpu_kernel_implINS0_13BUnaryFunctorIlllZNS0_12_GLOBAL__N_121threshold_kernel_implIlEEvRNS_18TensorIteratorBaseET_S8_EUlllE_EEEEvS7_RKS8_EUlibE0_EEviT1_
		.amdhsa_group_segment_fixed_size 0
		.amdhsa_private_segment_fixed_size 0
		.amdhsa_kernarg_size 384
		.amdhsa_user_sgpr_count 6
		.amdhsa_user_sgpr_private_segment_buffer 1
		.amdhsa_user_sgpr_dispatch_ptr 0
		.amdhsa_user_sgpr_queue_ptr 0
		.amdhsa_user_sgpr_kernarg_segment_ptr 1
		.amdhsa_user_sgpr_dispatch_id 0
		.amdhsa_user_sgpr_flat_scratch_init 0
		.amdhsa_user_sgpr_private_segment_size 0
		.amdhsa_uses_dynamic_stack 0
		.amdhsa_system_sgpr_private_segment_wavefront_offset 0
		.amdhsa_system_sgpr_workgroup_id_x 1
		.amdhsa_system_sgpr_workgroup_id_y 0
		.amdhsa_system_sgpr_workgroup_id_z 0
		.amdhsa_system_sgpr_workgroup_info 0
		.amdhsa_system_vgpr_workitem_id 0
		.amdhsa_next_free_vgpr 21
		.amdhsa_next_free_sgpr 84
		.amdhsa_reserve_vcc 1
		.amdhsa_reserve_flat_scratch 0
		.amdhsa_float_round_mode_32 0
		.amdhsa_float_round_mode_16_64 0
		.amdhsa_float_denorm_mode_32 3
		.amdhsa_float_denorm_mode_16_64 3
		.amdhsa_dx10_clamp 1
		.amdhsa_ieee_mode 1
		.amdhsa_fp16_overflow 0
		.amdhsa_exception_fp_ieee_invalid_op 0
		.amdhsa_exception_fp_denorm_src 0
		.amdhsa_exception_fp_ieee_div_zero 0
		.amdhsa_exception_fp_ieee_overflow 0
		.amdhsa_exception_fp_ieee_underflow 0
		.amdhsa_exception_fp_ieee_inexact 0
		.amdhsa_exception_int_div_zero 0
	.end_amdhsa_kernel
	.section	.text._ZN2at6native32elementwise_kernel_manual_unrollILi128ELi4EZNS0_15gpu_kernel_implINS0_13BUnaryFunctorIlllZNS0_12_GLOBAL__N_121threshold_kernel_implIlEEvRNS_18TensorIteratorBaseET_S8_EUlllE_EEEEvS7_RKS8_EUlibE0_EEviT1_,"axG",@progbits,_ZN2at6native32elementwise_kernel_manual_unrollILi128ELi4EZNS0_15gpu_kernel_implINS0_13BUnaryFunctorIlllZNS0_12_GLOBAL__N_121threshold_kernel_implIlEEvRNS_18TensorIteratorBaseET_S8_EUlllE_EEEEvS7_RKS8_EUlibE0_EEviT1_,comdat
.Lfunc_end87:
	.size	_ZN2at6native32elementwise_kernel_manual_unrollILi128ELi4EZNS0_15gpu_kernel_implINS0_13BUnaryFunctorIlllZNS0_12_GLOBAL__N_121threshold_kernel_implIlEEvRNS_18TensorIteratorBaseET_S8_EUlllE_EEEEvS7_RKS8_EUlibE0_EEviT1_, .Lfunc_end87-_ZN2at6native32elementwise_kernel_manual_unrollILi128ELi4EZNS0_15gpu_kernel_implINS0_13BUnaryFunctorIlllZNS0_12_GLOBAL__N_121threshold_kernel_implIlEEvRNS_18TensorIteratorBaseET_S8_EUlllE_EEEEvS7_RKS8_EUlibE0_EEviT1_
                                        ; -- End function
	.set _ZN2at6native32elementwise_kernel_manual_unrollILi128ELi4EZNS0_15gpu_kernel_implINS0_13BUnaryFunctorIlllZNS0_12_GLOBAL__N_121threshold_kernel_implIlEEvRNS_18TensorIteratorBaseET_S8_EUlllE_EEEEvS7_RKS8_EUlibE0_EEviT1_.num_vgpr, 21
	.set _ZN2at6native32elementwise_kernel_manual_unrollILi128ELi4EZNS0_15gpu_kernel_implINS0_13BUnaryFunctorIlllZNS0_12_GLOBAL__N_121threshold_kernel_implIlEEvRNS_18TensorIteratorBaseET_S8_EUlllE_EEEEvS7_RKS8_EUlibE0_EEviT1_.num_agpr, 0
	.set _ZN2at6native32elementwise_kernel_manual_unrollILi128ELi4EZNS0_15gpu_kernel_implINS0_13BUnaryFunctorIlllZNS0_12_GLOBAL__N_121threshold_kernel_implIlEEvRNS_18TensorIteratorBaseET_S8_EUlllE_EEEEvS7_RKS8_EUlibE0_EEviT1_.numbered_sgpr, 84
	.set _ZN2at6native32elementwise_kernel_manual_unrollILi128ELi4EZNS0_15gpu_kernel_implINS0_13BUnaryFunctorIlllZNS0_12_GLOBAL__N_121threshold_kernel_implIlEEvRNS_18TensorIteratorBaseET_S8_EUlllE_EEEEvS7_RKS8_EUlibE0_EEviT1_.num_named_barrier, 0
	.set _ZN2at6native32elementwise_kernel_manual_unrollILi128ELi4EZNS0_15gpu_kernel_implINS0_13BUnaryFunctorIlllZNS0_12_GLOBAL__N_121threshold_kernel_implIlEEvRNS_18TensorIteratorBaseET_S8_EUlllE_EEEEvS7_RKS8_EUlibE0_EEviT1_.private_seg_size, 0
	.set _ZN2at6native32elementwise_kernel_manual_unrollILi128ELi4EZNS0_15gpu_kernel_implINS0_13BUnaryFunctorIlllZNS0_12_GLOBAL__N_121threshold_kernel_implIlEEvRNS_18TensorIteratorBaseET_S8_EUlllE_EEEEvS7_RKS8_EUlibE0_EEviT1_.uses_vcc, 1
	.set _ZN2at6native32elementwise_kernel_manual_unrollILi128ELi4EZNS0_15gpu_kernel_implINS0_13BUnaryFunctorIlllZNS0_12_GLOBAL__N_121threshold_kernel_implIlEEvRNS_18TensorIteratorBaseET_S8_EUlllE_EEEEvS7_RKS8_EUlibE0_EEviT1_.uses_flat_scratch, 0
	.set _ZN2at6native32elementwise_kernel_manual_unrollILi128ELi4EZNS0_15gpu_kernel_implINS0_13BUnaryFunctorIlllZNS0_12_GLOBAL__N_121threshold_kernel_implIlEEvRNS_18TensorIteratorBaseET_S8_EUlllE_EEEEvS7_RKS8_EUlibE0_EEviT1_.has_dyn_sized_stack, 0
	.set _ZN2at6native32elementwise_kernel_manual_unrollILi128ELi4EZNS0_15gpu_kernel_implINS0_13BUnaryFunctorIlllZNS0_12_GLOBAL__N_121threshold_kernel_implIlEEvRNS_18TensorIteratorBaseET_S8_EUlllE_EEEEvS7_RKS8_EUlibE0_EEviT1_.has_recursion, 0
	.set _ZN2at6native32elementwise_kernel_manual_unrollILi128ELi4EZNS0_15gpu_kernel_implINS0_13BUnaryFunctorIlllZNS0_12_GLOBAL__N_121threshold_kernel_implIlEEvRNS_18TensorIteratorBaseET_S8_EUlllE_EEEEvS7_RKS8_EUlibE0_EEviT1_.has_indirect_call, 0
	.section	.AMDGPU.csdata,"",@progbits
; Kernel info:
; codeLenInByte = 45380
; TotalNumSgprs: 88
; NumVgprs: 21
; ScratchSize: 0
; MemoryBound: 1
; FloatMode: 240
; IeeeMode: 1
; LDSByteSize: 0 bytes/workgroup (compile time only)
; SGPRBlocks: 10
; VGPRBlocks: 5
; NumSGPRsForWavesPerEU: 88
; NumVGPRsForWavesPerEU: 21
; Occupancy: 9
; WaveLimiterHint : 1
; COMPUTE_PGM_RSRC2:SCRATCH_EN: 0
; COMPUTE_PGM_RSRC2:USER_SGPR: 6
; COMPUTE_PGM_RSRC2:TRAP_HANDLER: 0
; COMPUTE_PGM_RSRC2:TGID_X_EN: 1
; COMPUTE_PGM_RSRC2:TGID_Y_EN: 0
; COMPUTE_PGM_RSRC2:TGID_Z_EN: 0
; COMPUTE_PGM_RSRC2:TIDIG_COMP_CNT: 0
	.section	.text._ZN2at6native29vectorized_elementwise_kernelILi16ENS0_13BinaryFunctorIlllZNS0_12_GLOBAL__N_121threshold_kernel_implIlEEvRNS_18TensorIteratorBaseET_S7_EUlllE_EESt5arrayIPcLm3EEEEviT0_T1_,"axG",@progbits,_ZN2at6native29vectorized_elementwise_kernelILi16ENS0_13BinaryFunctorIlllZNS0_12_GLOBAL__N_121threshold_kernel_implIlEEvRNS_18TensorIteratorBaseET_S7_EUlllE_EESt5arrayIPcLm3EEEEviT0_T1_,comdat
	.globl	_ZN2at6native29vectorized_elementwise_kernelILi16ENS0_13BinaryFunctorIlllZNS0_12_GLOBAL__N_121threshold_kernel_implIlEEvRNS_18TensorIteratorBaseET_S7_EUlllE_EESt5arrayIPcLm3EEEEviT0_T1_ ; -- Begin function _ZN2at6native29vectorized_elementwise_kernelILi16ENS0_13BinaryFunctorIlllZNS0_12_GLOBAL__N_121threshold_kernel_implIlEEvRNS_18TensorIteratorBaseET_S7_EUlllE_EESt5arrayIPcLm3EEEEviT0_T1_
	.p2align	8
	.type	_ZN2at6native29vectorized_elementwise_kernelILi16ENS0_13BinaryFunctorIlllZNS0_12_GLOBAL__N_121threshold_kernel_implIlEEvRNS_18TensorIteratorBaseET_S7_EUlllE_EESt5arrayIPcLm3EEEEviT0_T1_,@function
_ZN2at6native29vectorized_elementwise_kernelILi16ENS0_13BinaryFunctorIlllZNS0_12_GLOBAL__N_121threshold_kernel_implIlEEvRNS_18TensorIteratorBaseET_S7_EUlllE_EESt5arrayIPcLm3EEEEviT0_T1_: ; @_ZN2at6native29vectorized_elementwise_kernelILi16ENS0_13BinaryFunctorIlllZNS0_12_GLOBAL__N_121threshold_kernel_implIlEEvRNS_18TensorIteratorBaseET_S7_EUlllE_EESt5arrayIPcLm3EEEEviT0_T1_
; %bb.0:
	s_load_dword s0, s[4:5], 0x0
	s_load_dwordx8 s[8:15], s[4:5], 0x8
	s_load_dwordx2 s[16:17], s[4:5], 0x28
	s_lshl_b32 s2, s6, 10
	s_waitcnt lgkmcnt(0)
	s_sub_i32 s6, s0, s2
	s_cmpk_gt_i32 s6, 0x3ff
	s_mov_b64 s[0:1], -1
	s_cbranch_scc0 .LBB88_2
; %bb.1:
	s_ashr_i32 s3, s2, 31
	s_lshl_b64 s[0:1], s[2:3], 3
	s_add_u32 s4, s14, s0
	s_addc_u32 s5, s15, s1
	v_lshlrev_b32_e32 v17, 5, v0
	global_load_dwordx4 v[1:4], v17, s[4:5]
	s_add_u32 s18, s16, s0
	s_addc_u32 s19, s17, s1
	global_load_dwordx4 v[5:8], v17, s[18:19]
	global_load_dwordx4 v[9:12], v17, s[4:5] offset:16
	global_load_dwordx4 v[13:16], v17, s[18:19] offset:16
	v_mov_b32_e32 v18, s11
	v_mov_b32_e32 v19, s10
	s_add_u32 s4, s12, s0
	s_addc_u32 s5, s13, s1
	s_waitcnt vmcnt(3)
	v_cmp_lt_i64_e32 vcc, s[8:9], v[3:4]
	v_cmp_lt_i64_e64 s[0:1], s[8:9], v[1:2]
	s_waitcnt vmcnt(2)
	v_cndmask_b32_e32 v4, v18, v8, vcc
	v_cndmask_b32_e32 v3, v19, v7, vcc
	s_waitcnt vmcnt(1)
	v_cmp_lt_i64_e32 vcc, s[8:9], v[9:10]
	v_cndmask_b32_e64 v2, v18, v6, s[0:1]
	v_cndmask_b32_e64 v1, v19, v5, s[0:1]
	s_waitcnt vmcnt(0)
	v_cndmask_b32_e32 v6, v18, v14, vcc
	v_cndmask_b32_e32 v5, v19, v13, vcc
	v_cmp_lt_i64_e32 vcc, s[8:9], v[11:12]
	s_mov_b64 s[0:1], 0
	v_cndmask_b32_e32 v8, v18, v16, vcc
	v_cndmask_b32_e32 v7, v19, v15, vcc
	global_store_dwordx4 v17, v[1:4], s[4:5]
	global_store_dwordx4 v17, v[5:8], s[4:5] offset:16
.LBB88_2:
	s_andn2_b64 vcc, exec, s[0:1]
	s_cbranch_vccnz .LBB88_15
; %bb.3:
	v_mov_b32_e32 v1, 0
	v_mov_b32_e32 v9, 0
	;; [unrolled: 1-line block ×3, first 2 shown]
	v_cmp_gt_i32_e32 vcc, s6, v0
	v_mov_b32_e32 v2, 0
	v_or_b32_e32 v3, s2, v0
	v_mov_b32_e32 v10, 0
	v_mov_b32_e32 v8, 0
	;; [unrolled: 1-line block ×3, first 2 shown]
	s_and_saveexec_b64 s[4:5], vcc
	s_cbranch_execz .LBB88_5
; %bb.4:
	v_mov_b32_e32 v4, 0
	v_lshlrev_b64 v[4:5], 3, v[3:4]
	v_mov_b32_e32 v6, s17
	v_add_co_u32_e64 v11, s[0:1], s16, v4
	v_addc_co_u32_e64 v12, s[0:1], v6, v5, s[0:1]
	v_mov_b32_e32 v6, s15
	v_add_co_u32_e64 v4, s[0:1], s14, v4
	v_addc_co_u32_e64 v5, s[0:1], v6, v5, s[0:1]
	global_load_dwordx2 v[9:10], v[4:5], off
	global_load_dwordx2 v[7:8], v[11:12], off
	v_or_b32_e32 v4, 0x100, v0
.LBB88_5:
	s_or_b64 exec, exec, s[4:5]
	v_mov_b32_e32 v11, 0
	v_mov_b32_e32 v12, 0
	v_cmp_gt_i32_e64 s[0:1], s6, v4
	s_and_saveexec_b64 s[4:5], s[0:1]
	s_cbranch_execz .LBB88_7
; %bb.6:
	v_add_u32_e32 v1, s2, v4
	v_mov_b32_e32 v2, 0
	v_lshlrev_b64 v[1:2], 3, v[1:2]
	v_mov_b32_e32 v6, s17
	v_add_co_u32_e64 v5, s[0:1], s16, v1
	v_addc_co_u32_e64 v6, s[0:1], v6, v2, s[0:1]
	v_mov_b32_e32 v11, s15
	v_add_co_u32_e64 v13, s[0:1], s14, v1
	v_addc_co_u32_e64 v14, s[0:1], v11, v2, s[0:1]
	global_load_dwordx2 v[1:2], v[13:14], off
	global_load_dwordx2 v[11:12], v[5:6], off
	v_add_u32_e32 v4, 0x100, v4
.LBB88_7:
	s_or_b64 exec, exec, s[4:5]
	v_mov_b32_e32 v5, 0
	v_mov_b32_e32 v15, 0
	;; [unrolled: 1-line block ×6, first 2 shown]
	v_cmp_gt_i32_e64 s[0:1], s6, v4
	s_and_saveexec_b64 s[4:5], s[0:1]
	s_cbranch_execz .LBB88_9
; %bb.8:
	v_add_u32_e32 v13, s2, v4
	v_mov_b32_e32 v14, 0
	v_lshlrev_b64 v[13:14], 3, v[13:14]
	v_mov_b32_e32 v15, s17
	v_add_co_u32_e64 v17, s[0:1], s16, v13
	v_addc_co_u32_e64 v18, s[0:1], v15, v14, s[0:1]
	v_mov_b32_e32 v15, s15
	v_add_co_u32_e64 v19, s[0:1], s14, v13
	v_addc_co_u32_e64 v20, s[0:1], v15, v14, s[0:1]
	global_load_dwordx2 v[15:16], v[19:20], off
	global_load_dwordx2 v[13:14], v[17:18], off
	v_add_u32_e32 v4, 0x100, v4
.LBB88_9:
	s_or_b64 exec, exec, s[4:5]
	v_mov_b32_e32 v17, 0
	v_mov_b32_e32 v18, 0
	v_cmp_gt_i32_e64 s[0:1], s6, v4
	s_and_saveexec_b64 s[4:5], s[0:1]
	s_cbranch_execnz .LBB88_16
; %bb.10:
	s_or_b64 exec, exec, s[4:5]
	s_and_saveexec_b64 s[0:1], vcc
	s_cbranch_execnz .LBB88_17
.LBB88_11:
	s_or_b64 exec, exec, s[0:1]
	v_cmp_gt_i32_e32 vcc, s6, v0
	s_and_saveexec_b64 s[0:1], vcc
	s_cbranch_execnz .LBB88_18
.LBB88_12:
	s_or_b64 exec, exec, s[0:1]
	v_cmp_gt_i32_e32 vcc, s6, v0
	s_and_saveexec_b64 s[0:1], vcc
	s_cbranch_execnz .LBB88_19
.LBB88_13:
	s_or_b64 exec, exec, s[0:1]
	v_cmp_gt_i32_e32 vcc, s6, v0
	s_and_saveexec_b64 s[0:1], vcc
	s_cbranch_execz .LBB88_15
.LBB88_14:
	s_waitcnt vmcnt(1)
	v_cmp_lt_i64_e32 vcc, s[8:9], v[5:6]
	v_add_u32_e32 v3, s2, v0
	v_mov_b32_e32 v4, 0
	v_mov_b32_e32 v1, s11
	v_lshlrev_b64 v[3:4], 3, v[3:4]
	s_waitcnt vmcnt(0)
	v_cndmask_b32_e32 v2, v1, v18, vcc
	v_mov_b32_e32 v1, s10
	v_cndmask_b32_e32 v1, v1, v17, vcc
	v_mov_b32_e32 v0, s13
	v_add_co_u32_e32 v3, vcc, s12, v3
	v_addc_co_u32_e32 v4, vcc, v0, v4, vcc
	global_store_dwordx2 v[3:4], v[1:2], off
.LBB88_15:
	s_endpgm
.LBB88_16:
	v_add_u32_e32 v4, s2, v4
	v_mov_b32_e32 v5, 0
	v_lshlrev_b64 v[4:5], 3, v[4:5]
	v_mov_b32_e32 v6, s17
	v_add_co_u32_e64 v19, s[0:1], s16, v4
	v_addc_co_u32_e64 v20, s[0:1], v6, v5, s[0:1]
	v_mov_b32_e32 v6, s15
	v_add_co_u32_e64 v21, s[0:1], s14, v4
	v_addc_co_u32_e64 v22, s[0:1], v6, v5, s[0:1]
	global_load_dwordx2 v[5:6], v[21:22], off
	global_load_dwordx2 v[17:18], v[19:20], off
	s_or_b64 exec, exec, s[4:5]
	s_and_saveexec_b64 s[0:1], vcc
	s_cbranch_execz .LBB88_11
.LBB88_17:
	s_waitcnt vmcnt(1)
	v_cmp_lt_i64_e32 vcc, s[8:9], v[9:10]
	v_mov_b32_e32 v4, s11
	s_waitcnt vmcnt(0)
	v_cndmask_b32_e32 v8, v4, v8, vcc
	v_mov_b32_e32 v4, s10
	v_cndmask_b32_e32 v7, v4, v7, vcc
	v_mov_b32_e32 v4, 0
	v_lshlrev_b64 v[3:4], 3, v[3:4]
	v_mov_b32_e32 v9, s13
	v_add_co_u32_e32 v3, vcc, s12, v3
	v_or_b32_e32 v0, 0x100, v0
	v_addc_co_u32_e32 v4, vcc, v9, v4, vcc
	global_store_dwordx2 v[3:4], v[7:8], off
	s_or_b64 exec, exec, s[0:1]
	v_cmp_gt_i32_e32 vcc, s6, v0
	s_and_saveexec_b64 s[0:1], vcc
	s_cbranch_execz .LBB88_12
.LBB88_18:
	s_waitcnt vmcnt(1)
	v_cmp_lt_i64_e32 vcc, s[8:9], v[1:2]
	v_mov_b32_e32 v3, s11
	s_waitcnt vmcnt(0)
	v_cndmask_b32_e32 v2, v3, v12, vcc
	v_add_u32_e32 v3, s2, v0
	v_mov_b32_e32 v4, 0
	v_lshlrev_b64 v[3:4], 3, v[3:4]
	v_mov_b32_e32 v1, s10
	v_cndmask_b32_e32 v1, v1, v11, vcc
	v_mov_b32_e32 v7, s13
	v_add_co_u32_e32 v3, vcc, s12, v3
	v_addc_co_u32_e32 v4, vcc, v7, v4, vcc
	v_add_u32_e32 v0, 0x100, v0
	global_store_dwordx2 v[3:4], v[1:2], off
	s_or_b64 exec, exec, s[0:1]
	v_cmp_gt_i32_e32 vcc, s6, v0
	s_and_saveexec_b64 s[0:1], vcc
	s_cbranch_execz .LBB88_13
.LBB88_19:
	s_waitcnt vmcnt(1)
	v_cmp_lt_i64_e32 vcc, s[8:9], v[15:16]
	v_add_u32_e32 v3, s2, v0
	v_mov_b32_e32 v4, 0
	v_mov_b32_e32 v1, s11
	v_lshlrev_b64 v[3:4], 3, v[3:4]
	s_waitcnt vmcnt(0)
	v_cndmask_b32_e32 v2, v1, v14, vcc
	v_mov_b32_e32 v1, s10
	v_cndmask_b32_e32 v1, v1, v13, vcc
	v_mov_b32_e32 v7, s13
	v_add_co_u32_e32 v3, vcc, s12, v3
	v_addc_co_u32_e32 v4, vcc, v7, v4, vcc
	v_add_u32_e32 v0, 0x100, v0
	global_store_dwordx2 v[3:4], v[1:2], off
	s_or_b64 exec, exec, s[0:1]
	v_cmp_gt_i32_e32 vcc, s6, v0
	s_and_saveexec_b64 s[0:1], vcc
	s_cbranch_execnz .LBB88_14
	s_branch .LBB88_15
	.section	.rodata,"a",@progbits
	.p2align	6, 0x0
	.amdhsa_kernel _ZN2at6native29vectorized_elementwise_kernelILi16ENS0_13BinaryFunctorIlllZNS0_12_GLOBAL__N_121threshold_kernel_implIlEEvRNS_18TensorIteratorBaseET_S7_EUlllE_EESt5arrayIPcLm3EEEEviT0_T1_
		.amdhsa_group_segment_fixed_size 0
		.amdhsa_private_segment_fixed_size 0
		.amdhsa_kernarg_size 48
		.amdhsa_user_sgpr_count 6
		.amdhsa_user_sgpr_private_segment_buffer 1
		.amdhsa_user_sgpr_dispatch_ptr 0
		.amdhsa_user_sgpr_queue_ptr 0
		.amdhsa_user_sgpr_kernarg_segment_ptr 1
		.amdhsa_user_sgpr_dispatch_id 0
		.amdhsa_user_sgpr_flat_scratch_init 0
		.amdhsa_user_sgpr_private_segment_size 0
		.amdhsa_uses_dynamic_stack 0
		.amdhsa_system_sgpr_private_segment_wavefront_offset 0
		.amdhsa_system_sgpr_workgroup_id_x 1
		.amdhsa_system_sgpr_workgroup_id_y 0
		.amdhsa_system_sgpr_workgroup_id_z 0
		.amdhsa_system_sgpr_workgroup_info 0
		.amdhsa_system_vgpr_workitem_id 0
		.amdhsa_next_free_vgpr 23
		.amdhsa_next_free_sgpr 20
		.amdhsa_reserve_vcc 1
		.amdhsa_reserve_flat_scratch 0
		.amdhsa_float_round_mode_32 0
		.amdhsa_float_round_mode_16_64 0
		.amdhsa_float_denorm_mode_32 3
		.amdhsa_float_denorm_mode_16_64 3
		.amdhsa_dx10_clamp 1
		.amdhsa_ieee_mode 1
		.amdhsa_fp16_overflow 0
		.amdhsa_exception_fp_ieee_invalid_op 0
		.amdhsa_exception_fp_denorm_src 0
		.amdhsa_exception_fp_ieee_div_zero 0
		.amdhsa_exception_fp_ieee_overflow 0
		.amdhsa_exception_fp_ieee_underflow 0
		.amdhsa_exception_fp_ieee_inexact 0
		.amdhsa_exception_int_div_zero 0
	.end_amdhsa_kernel
	.section	.text._ZN2at6native29vectorized_elementwise_kernelILi16ENS0_13BinaryFunctorIlllZNS0_12_GLOBAL__N_121threshold_kernel_implIlEEvRNS_18TensorIteratorBaseET_S7_EUlllE_EESt5arrayIPcLm3EEEEviT0_T1_,"axG",@progbits,_ZN2at6native29vectorized_elementwise_kernelILi16ENS0_13BinaryFunctorIlllZNS0_12_GLOBAL__N_121threshold_kernel_implIlEEvRNS_18TensorIteratorBaseET_S7_EUlllE_EESt5arrayIPcLm3EEEEviT0_T1_,comdat
.Lfunc_end88:
	.size	_ZN2at6native29vectorized_elementwise_kernelILi16ENS0_13BinaryFunctorIlllZNS0_12_GLOBAL__N_121threshold_kernel_implIlEEvRNS_18TensorIteratorBaseET_S7_EUlllE_EESt5arrayIPcLm3EEEEviT0_T1_, .Lfunc_end88-_ZN2at6native29vectorized_elementwise_kernelILi16ENS0_13BinaryFunctorIlllZNS0_12_GLOBAL__N_121threshold_kernel_implIlEEvRNS_18TensorIteratorBaseET_S7_EUlllE_EESt5arrayIPcLm3EEEEviT0_T1_
                                        ; -- End function
	.set _ZN2at6native29vectorized_elementwise_kernelILi16ENS0_13BinaryFunctorIlllZNS0_12_GLOBAL__N_121threshold_kernel_implIlEEvRNS_18TensorIteratorBaseET_S7_EUlllE_EESt5arrayIPcLm3EEEEviT0_T1_.num_vgpr, 23
	.set _ZN2at6native29vectorized_elementwise_kernelILi16ENS0_13BinaryFunctorIlllZNS0_12_GLOBAL__N_121threshold_kernel_implIlEEvRNS_18TensorIteratorBaseET_S7_EUlllE_EESt5arrayIPcLm3EEEEviT0_T1_.num_agpr, 0
	.set _ZN2at6native29vectorized_elementwise_kernelILi16ENS0_13BinaryFunctorIlllZNS0_12_GLOBAL__N_121threshold_kernel_implIlEEvRNS_18TensorIteratorBaseET_S7_EUlllE_EESt5arrayIPcLm3EEEEviT0_T1_.numbered_sgpr, 20
	.set _ZN2at6native29vectorized_elementwise_kernelILi16ENS0_13BinaryFunctorIlllZNS0_12_GLOBAL__N_121threshold_kernel_implIlEEvRNS_18TensorIteratorBaseET_S7_EUlllE_EESt5arrayIPcLm3EEEEviT0_T1_.num_named_barrier, 0
	.set _ZN2at6native29vectorized_elementwise_kernelILi16ENS0_13BinaryFunctorIlllZNS0_12_GLOBAL__N_121threshold_kernel_implIlEEvRNS_18TensorIteratorBaseET_S7_EUlllE_EESt5arrayIPcLm3EEEEviT0_T1_.private_seg_size, 0
	.set _ZN2at6native29vectorized_elementwise_kernelILi16ENS0_13BinaryFunctorIlllZNS0_12_GLOBAL__N_121threshold_kernel_implIlEEvRNS_18TensorIteratorBaseET_S7_EUlllE_EESt5arrayIPcLm3EEEEviT0_T1_.uses_vcc, 1
	.set _ZN2at6native29vectorized_elementwise_kernelILi16ENS0_13BinaryFunctorIlllZNS0_12_GLOBAL__N_121threshold_kernel_implIlEEvRNS_18TensorIteratorBaseET_S7_EUlllE_EESt5arrayIPcLm3EEEEviT0_T1_.uses_flat_scratch, 0
	.set _ZN2at6native29vectorized_elementwise_kernelILi16ENS0_13BinaryFunctorIlllZNS0_12_GLOBAL__N_121threshold_kernel_implIlEEvRNS_18TensorIteratorBaseET_S7_EUlllE_EESt5arrayIPcLm3EEEEviT0_T1_.has_dyn_sized_stack, 0
	.set _ZN2at6native29vectorized_elementwise_kernelILi16ENS0_13BinaryFunctorIlllZNS0_12_GLOBAL__N_121threshold_kernel_implIlEEvRNS_18TensorIteratorBaseET_S7_EUlllE_EESt5arrayIPcLm3EEEEviT0_T1_.has_recursion, 0
	.set _ZN2at6native29vectorized_elementwise_kernelILi16ENS0_13BinaryFunctorIlllZNS0_12_GLOBAL__N_121threshold_kernel_implIlEEvRNS_18TensorIteratorBaseET_S7_EUlllE_EESt5arrayIPcLm3EEEEviT0_T1_.has_indirect_call, 0
	.section	.AMDGPU.csdata,"",@progbits
; Kernel info:
; codeLenInByte = 1084
; TotalNumSgprs: 24
; NumVgprs: 23
; ScratchSize: 0
; MemoryBound: 0
; FloatMode: 240
; IeeeMode: 1
; LDSByteSize: 0 bytes/workgroup (compile time only)
; SGPRBlocks: 2
; VGPRBlocks: 5
; NumSGPRsForWavesPerEU: 24
; NumVGPRsForWavesPerEU: 23
; Occupancy: 10
; WaveLimiterHint : 0
; COMPUTE_PGM_RSRC2:SCRATCH_EN: 0
; COMPUTE_PGM_RSRC2:USER_SGPR: 6
; COMPUTE_PGM_RSRC2:TRAP_HANDLER: 0
; COMPUTE_PGM_RSRC2:TGID_X_EN: 1
; COMPUTE_PGM_RSRC2:TGID_Y_EN: 0
; COMPUTE_PGM_RSRC2:TGID_Z_EN: 0
; COMPUTE_PGM_RSRC2:TIDIG_COMP_CNT: 0
	.section	.text._ZN2at6native29vectorized_elementwise_kernelILi8ENS0_13BinaryFunctorIlllZNS0_12_GLOBAL__N_121threshold_kernel_implIlEEvRNS_18TensorIteratorBaseET_S7_EUlllE_EESt5arrayIPcLm3EEEEviT0_T1_,"axG",@progbits,_ZN2at6native29vectorized_elementwise_kernelILi8ENS0_13BinaryFunctorIlllZNS0_12_GLOBAL__N_121threshold_kernel_implIlEEvRNS_18TensorIteratorBaseET_S7_EUlllE_EESt5arrayIPcLm3EEEEviT0_T1_,comdat
	.globl	_ZN2at6native29vectorized_elementwise_kernelILi8ENS0_13BinaryFunctorIlllZNS0_12_GLOBAL__N_121threshold_kernel_implIlEEvRNS_18TensorIteratorBaseET_S7_EUlllE_EESt5arrayIPcLm3EEEEviT0_T1_ ; -- Begin function _ZN2at6native29vectorized_elementwise_kernelILi8ENS0_13BinaryFunctorIlllZNS0_12_GLOBAL__N_121threshold_kernel_implIlEEvRNS_18TensorIteratorBaseET_S7_EUlllE_EESt5arrayIPcLm3EEEEviT0_T1_
	.p2align	8
	.type	_ZN2at6native29vectorized_elementwise_kernelILi8ENS0_13BinaryFunctorIlllZNS0_12_GLOBAL__N_121threshold_kernel_implIlEEvRNS_18TensorIteratorBaseET_S7_EUlllE_EESt5arrayIPcLm3EEEEviT0_T1_,@function
_ZN2at6native29vectorized_elementwise_kernelILi8ENS0_13BinaryFunctorIlllZNS0_12_GLOBAL__N_121threshold_kernel_implIlEEvRNS_18TensorIteratorBaseET_S7_EUlllE_EESt5arrayIPcLm3EEEEviT0_T1_: ; @_ZN2at6native29vectorized_elementwise_kernelILi8ENS0_13BinaryFunctorIlllZNS0_12_GLOBAL__N_121threshold_kernel_implIlEEvRNS_18TensorIteratorBaseET_S7_EUlllE_EESt5arrayIPcLm3EEEEviT0_T1_
; %bb.0:
	s_load_dword s0, s[4:5], 0x0
	s_load_dwordx8 s[8:15], s[4:5], 0x8
	s_load_dwordx2 s[16:17], s[4:5], 0x28
	s_lshl_b32 s2, s6, 10
	s_waitcnt lgkmcnt(0)
	s_sub_i32 s6, s0, s2
	s_cmpk_gt_i32 s6, 0x3ff
	s_mov_b64 s[0:1], -1
	s_cbranch_scc0 .LBB89_2
; %bb.1:
	s_ashr_i32 s3, s2, 31
	s_lshl_b64 s[0:1], s[2:3], 3
	s_add_u32 s4, s14, s0
	s_addc_u32 s5, s15, s1
	v_lshlrev_b32_e32 v17, 5, v0
	global_load_dwordx4 v[1:4], v17, s[4:5]
	s_add_u32 s18, s16, s0
	s_addc_u32 s19, s17, s1
	global_load_dwordx4 v[5:8], v17, s[18:19]
	global_load_dwordx4 v[9:12], v17, s[4:5] offset:16
	global_load_dwordx4 v[13:16], v17, s[18:19] offset:16
	v_mov_b32_e32 v18, s11
	v_mov_b32_e32 v19, s10
	s_add_u32 s4, s12, s0
	s_addc_u32 s5, s13, s1
	s_waitcnt vmcnt(3)
	v_cmp_lt_i64_e32 vcc, s[8:9], v[3:4]
	v_cmp_lt_i64_e64 s[0:1], s[8:9], v[1:2]
	s_waitcnt vmcnt(2)
	v_cndmask_b32_e32 v4, v18, v8, vcc
	v_cndmask_b32_e32 v3, v19, v7, vcc
	s_waitcnt vmcnt(1)
	v_cmp_lt_i64_e32 vcc, s[8:9], v[9:10]
	v_cndmask_b32_e64 v2, v18, v6, s[0:1]
	v_cndmask_b32_e64 v1, v19, v5, s[0:1]
	s_waitcnt vmcnt(0)
	v_cndmask_b32_e32 v6, v18, v14, vcc
	v_cndmask_b32_e32 v5, v19, v13, vcc
	v_cmp_lt_i64_e32 vcc, s[8:9], v[11:12]
	s_mov_b64 s[0:1], 0
	v_cndmask_b32_e32 v8, v18, v16, vcc
	v_cndmask_b32_e32 v7, v19, v15, vcc
	global_store_dwordx4 v17, v[1:4], s[4:5]
	global_store_dwordx4 v17, v[5:8], s[4:5] offset:16
.LBB89_2:
	s_andn2_b64 vcc, exec, s[0:1]
	s_cbranch_vccnz .LBB89_15
; %bb.3:
	v_mov_b32_e32 v1, 0
	v_mov_b32_e32 v9, 0
	;; [unrolled: 1-line block ×3, first 2 shown]
	v_cmp_gt_i32_e32 vcc, s6, v0
	v_mov_b32_e32 v2, 0
	v_or_b32_e32 v3, s2, v0
	v_mov_b32_e32 v10, 0
	v_mov_b32_e32 v8, 0
	;; [unrolled: 1-line block ×3, first 2 shown]
	s_and_saveexec_b64 s[4:5], vcc
	s_cbranch_execz .LBB89_5
; %bb.4:
	v_mov_b32_e32 v4, 0
	v_lshlrev_b64 v[4:5], 3, v[3:4]
	v_mov_b32_e32 v6, s17
	v_add_co_u32_e64 v11, s[0:1], s16, v4
	v_addc_co_u32_e64 v12, s[0:1], v6, v5, s[0:1]
	v_mov_b32_e32 v6, s15
	v_add_co_u32_e64 v4, s[0:1], s14, v4
	v_addc_co_u32_e64 v5, s[0:1], v6, v5, s[0:1]
	global_load_dwordx2 v[9:10], v[4:5], off
	global_load_dwordx2 v[7:8], v[11:12], off
	v_or_b32_e32 v4, 0x100, v0
.LBB89_5:
	s_or_b64 exec, exec, s[4:5]
	v_mov_b32_e32 v11, 0
	v_mov_b32_e32 v12, 0
	v_cmp_gt_i32_e64 s[0:1], s6, v4
	s_and_saveexec_b64 s[4:5], s[0:1]
	s_cbranch_execz .LBB89_7
; %bb.6:
	v_add_u32_e32 v1, s2, v4
	v_mov_b32_e32 v2, 0
	v_lshlrev_b64 v[1:2], 3, v[1:2]
	v_mov_b32_e32 v6, s17
	v_add_co_u32_e64 v5, s[0:1], s16, v1
	v_addc_co_u32_e64 v6, s[0:1], v6, v2, s[0:1]
	v_mov_b32_e32 v11, s15
	v_add_co_u32_e64 v13, s[0:1], s14, v1
	v_addc_co_u32_e64 v14, s[0:1], v11, v2, s[0:1]
	global_load_dwordx2 v[1:2], v[13:14], off
	global_load_dwordx2 v[11:12], v[5:6], off
	v_add_u32_e32 v4, 0x100, v4
.LBB89_7:
	s_or_b64 exec, exec, s[4:5]
	v_mov_b32_e32 v5, 0
	v_mov_b32_e32 v15, 0
	;; [unrolled: 1-line block ×6, first 2 shown]
	v_cmp_gt_i32_e64 s[0:1], s6, v4
	s_and_saveexec_b64 s[4:5], s[0:1]
	s_cbranch_execz .LBB89_9
; %bb.8:
	v_add_u32_e32 v13, s2, v4
	v_mov_b32_e32 v14, 0
	v_lshlrev_b64 v[13:14], 3, v[13:14]
	v_mov_b32_e32 v15, s17
	v_add_co_u32_e64 v17, s[0:1], s16, v13
	v_addc_co_u32_e64 v18, s[0:1], v15, v14, s[0:1]
	v_mov_b32_e32 v15, s15
	v_add_co_u32_e64 v19, s[0:1], s14, v13
	v_addc_co_u32_e64 v20, s[0:1], v15, v14, s[0:1]
	global_load_dwordx2 v[15:16], v[19:20], off
	global_load_dwordx2 v[13:14], v[17:18], off
	v_add_u32_e32 v4, 0x100, v4
.LBB89_9:
	s_or_b64 exec, exec, s[4:5]
	v_mov_b32_e32 v17, 0
	v_mov_b32_e32 v18, 0
	v_cmp_gt_i32_e64 s[0:1], s6, v4
	s_and_saveexec_b64 s[4:5], s[0:1]
	s_cbranch_execnz .LBB89_16
; %bb.10:
	s_or_b64 exec, exec, s[4:5]
	s_and_saveexec_b64 s[0:1], vcc
	s_cbranch_execnz .LBB89_17
.LBB89_11:
	s_or_b64 exec, exec, s[0:1]
	v_cmp_gt_i32_e32 vcc, s6, v0
	s_and_saveexec_b64 s[0:1], vcc
	s_cbranch_execnz .LBB89_18
.LBB89_12:
	s_or_b64 exec, exec, s[0:1]
	v_cmp_gt_i32_e32 vcc, s6, v0
	s_and_saveexec_b64 s[0:1], vcc
	s_cbranch_execnz .LBB89_19
.LBB89_13:
	s_or_b64 exec, exec, s[0:1]
	v_cmp_gt_i32_e32 vcc, s6, v0
	s_and_saveexec_b64 s[0:1], vcc
	s_cbranch_execz .LBB89_15
.LBB89_14:
	s_waitcnt vmcnt(1)
	v_cmp_lt_i64_e32 vcc, s[8:9], v[5:6]
	v_add_u32_e32 v3, s2, v0
	v_mov_b32_e32 v4, 0
	v_mov_b32_e32 v1, s11
	v_lshlrev_b64 v[3:4], 3, v[3:4]
	s_waitcnt vmcnt(0)
	v_cndmask_b32_e32 v2, v1, v18, vcc
	v_mov_b32_e32 v1, s10
	v_cndmask_b32_e32 v1, v1, v17, vcc
	v_mov_b32_e32 v0, s13
	v_add_co_u32_e32 v3, vcc, s12, v3
	v_addc_co_u32_e32 v4, vcc, v0, v4, vcc
	global_store_dwordx2 v[3:4], v[1:2], off
.LBB89_15:
	s_endpgm
.LBB89_16:
	v_add_u32_e32 v4, s2, v4
	v_mov_b32_e32 v5, 0
	v_lshlrev_b64 v[4:5], 3, v[4:5]
	v_mov_b32_e32 v6, s17
	v_add_co_u32_e64 v19, s[0:1], s16, v4
	v_addc_co_u32_e64 v20, s[0:1], v6, v5, s[0:1]
	v_mov_b32_e32 v6, s15
	v_add_co_u32_e64 v21, s[0:1], s14, v4
	v_addc_co_u32_e64 v22, s[0:1], v6, v5, s[0:1]
	global_load_dwordx2 v[5:6], v[21:22], off
	global_load_dwordx2 v[17:18], v[19:20], off
	s_or_b64 exec, exec, s[4:5]
	s_and_saveexec_b64 s[0:1], vcc
	s_cbranch_execz .LBB89_11
.LBB89_17:
	s_waitcnt vmcnt(1)
	v_cmp_lt_i64_e32 vcc, s[8:9], v[9:10]
	v_mov_b32_e32 v4, s11
	s_waitcnt vmcnt(0)
	v_cndmask_b32_e32 v8, v4, v8, vcc
	v_mov_b32_e32 v4, s10
	v_cndmask_b32_e32 v7, v4, v7, vcc
	v_mov_b32_e32 v4, 0
	v_lshlrev_b64 v[3:4], 3, v[3:4]
	v_mov_b32_e32 v9, s13
	v_add_co_u32_e32 v3, vcc, s12, v3
	v_or_b32_e32 v0, 0x100, v0
	v_addc_co_u32_e32 v4, vcc, v9, v4, vcc
	global_store_dwordx2 v[3:4], v[7:8], off
	s_or_b64 exec, exec, s[0:1]
	v_cmp_gt_i32_e32 vcc, s6, v0
	s_and_saveexec_b64 s[0:1], vcc
	s_cbranch_execz .LBB89_12
.LBB89_18:
	s_waitcnt vmcnt(1)
	v_cmp_lt_i64_e32 vcc, s[8:9], v[1:2]
	v_mov_b32_e32 v3, s11
	s_waitcnt vmcnt(0)
	v_cndmask_b32_e32 v2, v3, v12, vcc
	v_add_u32_e32 v3, s2, v0
	v_mov_b32_e32 v4, 0
	v_lshlrev_b64 v[3:4], 3, v[3:4]
	v_mov_b32_e32 v1, s10
	v_cndmask_b32_e32 v1, v1, v11, vcc
	v_mov_b32_e32 v7, s13
	v_add_co_u32_e32 v3, vcc, s12, v3
	v_addc_co_u32_e32 v4, vcc, v7, v4, vcc
	v_add_u32_e32 v0, 0x100, v0
	global_store_dwordx2 v[3:4], v[1:2], off
	s_or_b64 exec, exec, s[0:1]
	v_cmp_gt_i32_e32 vcc, s6, v0
	s_and_saveexec_b64 s[0:1], vcc
	s_cbranch_execz .LBB89_13
.LBB89_19:
	s_waitcnt vmcnt(1)
	v_cmp_lt_i64_e32 vcc, s[8:9], v[15:16]
	v_add_u32_e32 v3, s2, v0
	v_mov_b32_e32 v4, 0
	v_mov_b32_e32 v1, s11
	v_lshlrev_b64 v[3:4], 3, v[3:4]
	s_waitcnt vmcnt(0)
	v_cndmask_b32_e32 v2, v1, v14, vcc
	v_mov_b32_e32 v1, s10
	v_cndmask_b32_e32 v1, v1, v13, vcc
	v_mov_b32_e32 v7, s13
	v_add_co_u32_e32 v3, vcc, s12, v3
	v_addc_co_u32_e32 v4, vcc, v7, v4, vcc
	v_add_u32_e32 v0, 0x100, v0
	global_store_dwordx2 v[3:4], v[1:2], off
	s_or_b64 exec, exec, s[0:1]
	v_cmp_gt_i32_e32 vcc, s6, v0
	s_and_saveexec_b64 s[0:1], vcc
	s_cbranch_execnz .LBB89_14
	s_branch .LBB89_15
	.section	.rodata,"a",@progbits
	.p2align	6, 0x0
	.amdhsa_kernel _ZN2at6native29vectorized_elementwise_kernelILi8ENS0_13BinaryFunctorIlllZNS0_12_GLOBAL__N_121threshold_kernel_implIlEEvRNS_18TensorIteratorBaseET_S7_EUlllE_EESt5arrayIPcLm3EEEEviT0_T1_
		.amdhsa_group_segment_fixed_size 0
		.amdhsa_private_segment_fixed_size 0
		.amdhsa_kernarg_size 48
		.amdhsa_user_sgpr_count 6
		.amdhsa_user_sgpr_private_segment_buffer 1
		.amdhsa_user_sgpr_dispatch_ptr 0
		.amdhsa_user_sgpr_queue_ptr 0
		.amdhsa_user_sgpr_kernarg_segment_ptr 1
		.amdhsa_user_sgpr_dispatch_id 0
		.amdhsa_user_sgpr_flat_scratch_init 0
		.amdhsa_user_sgpr_private_segment_size 0
		.amdhsa_uses_dynamic_stack 0
		.amdhsa_system_sgpr_private_segment_wavefront_offset 0
		.amdhsa_system_sgpr_workgroup_id_x 1
		.amdhsa_system_sgpr_workgroup_id_y 0
		.amdhsa_system_sgpr_workgroup_id_z 0
		.amdhsa_system_sgpr_workgroup_info 0
		.amdhsa_system_vgpr_workitem_id 0
		.amdhsa_next_free_vgpr 23
		.amdhsa_next_free_sgpr 20
		.amdhsa_reserve_vcc 1
		.amdhsa_reserve_flat_scratch 0
		.amdhsa_float_round_mode_32 0
		.amdhsa_float_round_mode_16_64 0
		.amdhsa_float_denorm_mode_32 3
		.amdhsa_float_denorm_mode_16_64 3
		.amdhsa_dx10_clamp 1
		.amdhsa_ieee_mode 1
		.amdhsa_fp16_overflow 0
		.amdhsa_exception_fp_ieee_invalid_op 0
		.amdhsa_exception_fp_denorm_src 0
		.amdhsa_exception_fp_ieee_div_zero 0
		.amdhsa_exception_fp_ieee_overflow 0
		.amdhsa_exception_fp_ieee_underflow 0
		.amdhsa_exception_fp_ieee_inexact 0
		.amdhsa_exception_int_div_zero 0
	.end_amdhsa_kernel
	.section	.text._ZN2at6native29vectorized_elementwise_kernelILi8ENS0_13BinaryFunctorIlllZNS0_12_GLOBAL__N_121threshold_kernel_implIlEEvRNS_18TensorIteratorBaseET_S7_EUlllE_EESt5arrayIPcLm3EEEEviT0_T1_,"axG",@progbits,_ZN2at6native29vectorized_elementwise_kernelILi8ENS0_13BinaryFunctorIlllZNS0_12_GLOBAL__N_121threshold_kernel_implIlEEvRNS_18TensorIteratorBaseET_S7_EUlllE_EESt5arrayIPcLm3EEEEviT0_T1_,comdat
.Lfunc_end89:
	.size	_ZN2at6native29vectorized_elementwise_kernelILi8ENS0_13BinaryFunctorIlllZNS0_12_GLOBAL__N_121threshold_kernel_implIlEEvRNS_18TensorIteratorBaseET_S7_EUlllE_EESt5arrayIPcLm3EEEEviT0_T1_, .Lfunc_end89-_ZN2at6native29vectorized_elementwise_kernelILi8ENS0_13BinaryFunctorIlllZNS0_12_GLOBAL__N_121threshold_kernel_implIlEEvRNS_18TensorIteratorBaseET_S7_EUlllE_EESt5arrayIPcLm3EEEEviT0_T1_
                                        ; -- End function
	.set _ZN2at6native29vectorized_elementwise_kernelILi8ENS0_13BinaryFunctorIlllZNS0_12_GLOBAL__N_121threshold_kernel_implIlEEvRNS_18TensorIteratorBaseET_S7_EUlllE_EESt5arrayIPcLm3EEEEviT0_T1_.num_vgpr, 23
	.set _ZN2at6native29vectorized_elementwise_kernelILi8ENS0_13BinaryFunctorIlllZNS0_12_GLOBAL__N_121threshold_kernel_implIlEEvRNS_18TensorIteratorBaseET_S7_EUlllE_EESt5arrayIPcLm3EEEEviT0_T1_.num_agpr, 0
	.set _ZN2at6native29vectorized_elementwise_kernelILi8ENS0_13BinaryFunctorIlllZNS0_12_GLOBAL__N_121threshold_kernel_implIlEEvRNS_18TensorIteratorBaseET_S7_EUlllE_EESt5arrayIPcLm3EEEEviT0_T1_.numbered_sgpr, 20
	.set _ZN2at6native29vectorized_elementwise_kernelILi8ENS0_13BinaryFunctorIlllZNS0_12_GLOBAL__N_121threshold_kernel_implIlEEvRNS_18TensorIteratorBaseET_S7_EUlllE_EESt5arrayIPcLm3EEEEviT0_T1_.num_named_barrier, 0
	.set _ZN2at6native29vectorized_elementwise_kernelILi8ENS0_13BinaryFunctorIlllZNS0_12_GLOBAL__N_121threshold_kernel_implIlEEvRNS_18TensorIteratorBaseET_S7_EUlllE_EESt5arrayIPcLm3EEEEviT0_T1_.private_seg_size, 0
	.set _ZN2at6native29vectorized_elementwise_kernelILi8ENS0_13BinaryFunctorIlllZNS0_12_GLOBAL__N_121threshold_kernel_implIlEEvRNS_18TensorIteratorBaseET_S7_EUlllE_EESt5arrayIPcLm3EEEEviT0_T1_.uses_vcc, 1
	.set _ZN2at6native29vectorized_elementwise_kernelILi8ENS0_13BinaryFunctorIlllZNS0_12_GLOBAL__N_121threshold_kernel_implIlEEvRNS_18TensorIteratorBaseET_S7_EUlllE_EESt5arrayIPcLm3EEEEviT0_T1_.uses_flat_scratch, 0
	.set _ZN2at6native29vectorized_elementwise_kernelILi8ENS0_13BinaryFunctorIlllZNS0_12_GLOBAL__N_121threshold_kernel_implIlEEvRNS_18TensorIteratorBaseET_S7_EUlllE_EESt5arrayIPcLm3EEEEviT0_T1_.has_dyn_sized_stack, 0
	.set _ZN2at6native29vectorized_elementwise_kernelILi8ENS0_13BinaryFunctorIlllZNS0_12_GLOBAL__N_121threshold_kernel_implIlEEvRNS_18TensorIteratorBaseET_S7_EUlllE_EESt5arrayIPcLm3EEEEviT0_T1_.has_recursion, 0
	.set _ZN2at6native29vectorized_elementwise_kernelILi8ENS0_13BinaryFunctorIlllZNS0_12_GLOBAL__N_121threshold_kernel_implIlEEvRNS_18TensorIteratorBaseET_S7_EUlllE_EESt5arrayIPcLm3EEEEviT0_T1_.has_indirect_call, 0
	.section	.AMDGPU.csdata,"",@progbits
; Kernel info:
; codeLenInByte = 1084
; TotalNumSgprs: 24
; NumVgprs: 23
; ScratchSize: 0
; MemoryBound: 0
; FloatMode: 240
; IeeeMode: 1
; LDSByteSize: 0 bytes/workgroup (compile time only)
; SGPRBlocks: 2
; VGPRBlocks: 5
; NumSGPRsForWavesPerEU: 24
; NumVGPRsForWavesPerEU: 23
; Occupancy: 10
; WaveLimiterHint : 0
; COMPUTE_PGM_RSRC2:SCRATCH_EN: 0
; COMPUTE_PGM_RSRC2:USER_SGPR: 6
; COMPUTE_PGM_RSRC2:TRAP_HANDLER: 0
; COMPUTE_PGM_RSRC2:TGID_X_EN: 1
; COMPUTE_PGM_RSRC2:TGID_Y_EN: 0
; COMPUTE_PGM_RSRC2:TGID_Z_EN: 0
; COMPUTE_PGM_RSRC2:TIDIG_COMP_CNT: 0
	.section	.text._ZN2at6native29vectorized_elementwise_kernelILi4ENS0_13BinaryFunctorIlllZNS0_12_GLOBAL__N_121threshold_kernel_implIlEEvRNS_18TensorIteratorBaseET_S7_EUlllE_EESt5arrayIPcLm3EEEEviT0_T1_,"axG",@progbits,_ZN2at6native29vectorized_elementwise_kernelILi4ENS0_13BinaryFunctorIlllZNS0_12_GLOBAL__N_121threshold_kernel_implIlEEvRNS_18TensorIteratorBaseET_S7_EUlllE_EESt5arrayIPcLm3EEEEviT0_T1_,comdat
	.globl	_ZN2at6native29vectorized_elementwise_kernelILi4ENS0_13BinaryFunctorIlllZNS0_12_GLOBAL__N_121threshold_kernel_implIlEEvRNS_18TensorIteratorBaseET_S7_EUlllE_EESt5arrayIPcLm3EEEEviT0_T1_ ; -- Begin function _ZN2at6native29vectorized_elementwise_kernelILi4ENS0_13BinaryFunctorIlllZNS0_12_GLOBAL__N_121threshold_kernel_implIlEEvRNS_18TensorIteratorBaseET_S7_EUlllE_EESt5arrayIPcLm3EEEEviT0_T1_
	.p2align	8
	.type	_ZN2at6native29vectorized_elementwise_kernelILi4ENS0_13BinaryFunctorIlllZNS0_12_GLOBAL__N_121threshold_kernel_implIlEEvRNS_18TensorIteratorBaseET_S7_EUlllE_EESt5arrayIPcLm3EEEEviT0_T1_,@function
_ZN2at6native29vectorized_elementwise_kernelILi4ENS0_13BinaryFunctorIlllZNS0_12_GLOBAL__N_121threshold_kernel_implIlEEvRNS_18TensorIteratorBaseET_S7_EUlllE_EESt5arrayIPcLm3EEEEviT0_T1_: ; @_ZN2at6native29vectorized_elementwise_kernelILi4ENS0_13BinaryFunctorIlllZNS0_12_GLOBAL__N_121threshold_kernel_implIlEEvRNS_18TensorIteratorBaseET_S7_EUlllE_EESt5arrayIPcLm3EEEEviT0_T1_
; %bb.0:
	s_load_dword s0, s[4:5], 0x0
	s_load_dwordx8 s[8:15], s[4:5], 0x8
	s_load_dwordx2 s[16:17], s[4:5], 0x28
	s_lshl_b32 s2, s6, 10
	s_waitcnt lgkmcnt(0)
	s_sub_i32 s6, s0, s2
	s_cmpk_gt_i32 s6, 0x3ff
	s_mov_b64 s[0:1], -1
	s_cbranch_scc0 .LBB90_2
; %bb.1:
	s_ashr_i32 s3, s2, 31
	s_lshl_b64 s[0:1], s[2:3], 3
	s_add_u32 s4, s14, s0
	s_addc_u32 s5, s15, s1
	v_lshlrev_b32_e32 v17, 5, v0
	global_load_dwordx4 v[1:4], v17, s[4:5]
	s_add_u32 s18, s16, s0
	s_addc_u32 s19, s17, s1
	global_load_dwordx4 v[5:8], v17, s[18:19]
	global_load_dwordx4 v[9:12], v17, s[4:5] offset:16
	global_load_dwordx4 v[13:16], v17, s[18:19] offset:16
	v_mov_b32_e32 v18, s11
	v_mov_b32_e32 v19, s10
	s_add_u32 s4, s12, s0
	s_addc_u32 s5, s13, s1
	s_waitcnt vmcnt(3)
	v_cmp_lt_i64_e32 vcc, s[8:9], v[3:4]
	v_cmp_lt_i64_e64 s[0:1], s[8:9], v[1:2]
	s_waitcnt vmcnt(2)
	v_cndmask_b32_e32 v4, v18, v8, vcc
	v_cndmask_b32_e32 v3, v19, v7, vcc
	s_waitcnt vmcnt(1)
	v_cmp_lt_i64_e32 vcc, s[8:9], v[9:10]
	v_cndmask_b32_e64 v2, v18, v6, s[0:1]
	v_cndmask_b32_e64 v1, v19, v5, s[0:1]
	s_waitcnt vmcnt(0)
	v_cndmask_b32_e32 v6, v18, v14, vcc
	v_cndmask_b32_e32 v5, v19, v13, vcc
	v_cmp_lt_i64_e32 vcc, s[8:9], v[11:12]
	s_mov_b64 s[0:1], 0
	v_cndmask_b32_e32 v8, v18, v16, vcc
	v_cndmask_b32_e32 v7, v19, v15, vcc
	global_store_dwordx4 v17, v[1:4], s[4:5]
	global_store_dwordx4 v17, v[5:8], s[4:5] offset:16
.LBB90_2:
	s_andn2_b64 vcc, exec, s[0:1]
	s_cbranch_vccnz .LBB90_15
; %bb.3:
	v_mov_b32_e32 v1, 0
	v_mov_b32_e32 v9, 0
	;; [unrolled: 1-line block ×3, first 2 shown]
	v_cmp_gt_i32_e32 vcc, s6, v0
	v_mov_b32_e32 v2, 0
	v_or_b32_e32 v3, s2, v0
	v_mov_b32_e32 v10, 0
	v_mov_b32_e32 v8, 0
	v_mov_b32_e32 v4, v0
	s_and_saveexec_b64 s[4:5], vcc
	s_cbranch_execz .LBB90_5
; %bb.4:
	v_mov_b32_e32 v4, 0
	v_lshlrev_b64 v[4:5], 3, v[3:4]
	v_mov_b32_e32 v6, s17
	v_add_co_u32_e64 v11, s[0:1], s16, v4
	v_addc_co_u32_e64 v12, s[0:1], v6, v5, s[0:1]
	v_mov_b32_e32 v6, s15
	v_add_co_u32_e64 v4, s[0:1], s14, v4
	v_addc_co_u32_e64 v5, s[0:1], v6, v5, s[0:1]
	global_load_dwordx2 v[9:10], v[4:5], off
	global_load_dwordx2 v[7:8], v[11:12], off
	v_or_b32_e32 v4, 0x100, v0
.LBB90_5:
	s_or_b64 exec, exec, s[4:5]
	v_mov_b32_e32 v11, 0
	v_mov_b32_e32 v12, 0
	v_cmp_gt_i32_e64 s[0:1], s6, v4
	s_and_saveexec_b64 s[4:5], s[0:1]
	s_cbranch_execz .LBB90_7
; %bb.6:
	v_add_u32_e32 v1, s2, v4
	v_mov_b32_e32 v2, 0
	v_lshlrev_b64 v[1:2], 3, v[1:2]
	v_mov_b32_e32 v6, s17
	v_add_co_u32_e64 v5, s[0:1], s16, v1
	v_addc_co_u32_e64 v6, s[0:1], v6, v2, s[0:1]
	v_mov_b32_e32 v11, s15
	v_add_co_u32_e64 v13, s[0:1], s14, v1
	v_addc_co_u32_e64 v14, s[0:1], v11, v2, s[0:1]
	global_load_dwordx2 v[1:2], v[13:14], off
	global_load_dwordx2 v[11:12], v[5:6], off
	v_add_u32_e32 v4, 0x100, v4
.LBB90_7:
	s_or_b64 exec, exec, s[4:5]
	v_mov_b32_e32 v5, 0
	v_mov_b32_e32 v15, 0
	;; [unrolled: 1-line block ×6, first 2 shown]
	v_cmp_gt_i32_e64 s[0:1], s6, v4
	s_and_saveexec_b64 s[4:5], s[0:1]
	s_cbranch_execz .LBB90_9
; %bb.8:
	v_add_u32_e32 v13, s2, v4
	v_mov_b32_e32 v14, 0
	v_lshlrev_b64 v[13:14], 3, v[13:14]
	v_mov_b32_e32 v15, s17
	v_add_co_u32_e64 v17, s[0:1], s16, v13
	v_addc_co_u32_e64 v18, s[0:1], v15, v14, s[0:1]
	v_mov_b32_e32 v15, s15
	v_add_co_u32_e64 v19, s[0:1], s14, v13
	v_addc_co_u32_e64 v20, s[0:1], v15, v14, s[0:1]
	global_load_dwordx2 v[15:16], v[19:20], off
	global_load_dwordx2 v[13:14], v[17:18], off
	v_add_u32_e32 v4, 0x100, v4
.LBB90_9:
	s_or_b64 exec, exec, s[4:5]
	v_mov_b32_e32 v17, 0
	v_mov_b32_e32 v18, 0
	v_cmp_gt_i32_e64 s[0:1], s6, v4
	s_and_saveexec_b64 s[4:5], s[0:1]
	s_cbranch_execnz .LBB90_16
; %bb.10:
	s_or_b64 exec, exec, s[4:5]
	s_and_saveexec_b64 s[0:1], vcc
	s_cbranch_execnz .LBB90_17
.LBB90_11:
	s_or_b64 exec, exec, s[0:1]
	v_cmp_gt_i32_e32 vcc, s6, v0
	s_and_saveexec_b64 s[0:1], vcc
	s_cbranch_execnz .LBB90_18
.LBB90_12:
	s_or_b64 exec, exec, s[0:1]
	v_cmp_gt_i32_e32 vcc, s6, v0
	s_and_saveexec_b64 s[0:1], vcc
	s_cbranch_execnz .LBB90_19
.LBB90_13:
	s_or_b64 exec, exec, s[0:1]
	v_cmp_gt_i32_e32 vcc, s6, v0
	s_and_saveexec_b64 s[0:1], vcc
	s_cbranch_execz .LBB90_15
.LBB90_14:
	s_waitcnt vmcnt(1)
	v_cmp_lt_i64_e32 vcc, s[8:9], v[5:6]
	v_add_u32_e32 v3, s2, v0
	v_mov_b32_e32 v4, 0
	v_mov_b32_e32 v1, s11
	v_lshlrev_b64 v[3:4], 3, v[3:4]
	s_waitcnt vmcnt(0)
	v_cndmask_b32_e32 v2, v1, v18, vcc
	v_mov_b32_e32 v1, s10
	v_cndmask_b32_e32 v1, v1, v17, vcc
	v_mov_b32_e32 v0, s13
	v_add_co_u32_e32 v3, vcc, s12, v3
	v_addc_co_u32_e32 v4, vcc, v0, v4, vcc
	global_store_dwordx2 v[3:4], v[1:2], off
.LBB90_15:
	s_endpgm
.LBB90_16:
	v_add_u32_e32 v4, s2, v4
	v_mov_b32_e32 v5, 0
	v_lshlrev_b64 v[4:5], 3, v[4:5]
	v_mov_b32_e32 v6, s17
	v_add_co_u32_e64 v19, s[0:1], s16, v4
	v_addc_co_u32_e64 v20, s[0:1], v6, v5, s[0:1]
	v_mov_b32_e32 v6, s15
	v_add_co_u32_e64 v21, s[0:1], s14, v4
	v_addc_co_u32_e64 v22, s[0:1], v6, v5, s[0:1]
	global_load_dwordx2 v[5:6], v[21:22], off
	global_load_dwordx2 v[17:18], v[19:20], off
	s_or_b64 exec, exec, s[4:5]
	s_and_saveexec_b64 s[0:1], vcc
	s_cbranch_execz .LBB90_11
.LBB90_17:
	s_waitcnt vmcnt(1)
	v_cmp_lt_i64_e32 vcc, s[8:9], v[9:10]
	v_mov_b32_e32 v4, s11
	s_waitcnt vmcnt(0)
	v_cndmask_b32_e32 v8, v4, v8, vcc
	v_mov_b32_e32 v4, s10
	v_cndmask_b32_e32 v7, v4, v7, vcc
	v_mov_b32_e32 v4, 0
	v_lshlrev_b64 v[3:4], 3, v[3:4]
	v_mov_b32_e32 v9, s13
	v_add_co_u32_e32 v3, vcc, s12, v3
	v_or_b32_e32 v0, 0x100, v0
	v_addc_co_u32_e32 v4, vcc, v9, v4, vcc
	global_store_dwordx2 v[3:4], v[7:8], off
	s_or_b64 exec, exec, s[0:1]
	v_cmp_gt_i32_e32 vcc, s6, v0
	s_and_saveexec_b64 s[0:1], vcc
	s_cbranch_execz .LBB90_12
.LBB90_18:
	s_waitcnt vmcnt(1)
	v_cmp_lt_i64_e32 vcc, s[8:9], v[1:2]
	v_mov_b32_e32 v3, s11
	s_waitcnt vmcnt(0)
	v_cndmask_b32_e32 v2, v3, v12, vcc
	v_add_u32_e32 v3, s2, v0
	v_mov_b32_e32 v4, 0
	v_lshlrev_b64 v[3:4], 3, v[3:4]
	v_mov_b32_e32 v1, s10
	v_cndmask_b32_e32 v1, v1, v11, vcc
	v_mov_b32_e32 v7, s13
	v_add_co_u32_e32 v3, vcc, s12, v3
	v_addc_co_u32_e32 v4, vcc, v7, v4, vcc
	v_add_u32_e32 v0, 0x100, v0
	global_store_dwordx2 v[3:4], v[1:2], off
	s_or_b64 exec, exec, s[0:1]
	v_cmp_gt_i32_e32 vcc, s6, v0
	s_and_saveexec_b64 s[0:1], vcc
	s_cbranch_execz .LBB90_13
.LBB90_19:
	s_waitcnt vmcnt(1)
	v_cmp_lt_i64_e32 vcc, s[8:9], v[15:16]
	v_add_u32_e32 v3, s2, v0
	v_mov_b32_e32 v4, 0
	v_mov_b32_e32 v1, s11
	v_lshlrev_b64 v[3:4], 3, v[3:4]
	s_waitcnt vmcnt(0)
	v_cndmask_b32_e32 v2, v1, v14, vcc
	v_mov_b32_e32 v1, s10
	v_cndmask_b32_e32 v1, v1, v13, vcc
	v_mov_b32_e32 v7, s13
	v_add_co_u32_e32 v3, vcc, s12, v3
	v_addc_co_u32_e32 v4, vcc, v7, v4, vcc
	v_add_u32_e32 v0, 0x100, v0
	global_store_dwordx2 v[3:4], v[1:2], off
	s_or_b64 exec, exec, s[0:1]
	v_cmp_gt_i32_e32 vcc, s6, v0
	s_and_saveexec_b64 s[0:1], vcc
	s_cbranch_execnz .LBB90_14
	s_branch .LBB90_15
	.section	.rodata,"a",@progbits
	.p2align	6, 0x0
	.amdhsa_kernel _ZN2at6native29vectorized_elementwise_kernelILi4ENS0_13BinaryFunctorIlllZNS0_12_GLOBAL__N_121threshold_kernel_implIlEEvRNS_18TensorIteratorBaseET_S7_EUlllE_EESt5arrayIPcLm3EEEEviT0_T1_
		.amdhsa_group_segment_fixed_size 0
		.amdhsa_private_segment_fixed_size 0
		.amdhsa_kernarg_size 48
		.amdhsa_user_sgpr_count 6
		.amdhsa_user_sgpr_private_segment_buffer 1
		.amdhsa_user_sgpr_dispatch_ptr 0
		.amdhsa_user_sgpr_queue_ptr 0
		.amdhsa_user_sgpr_kernarg_segment_ptr 1
		.amdhsa_user_sgpr_dispatch_id 0
		.amdhsa_user_sgpr_flat_scratch_init 0
		.amdhsa_user_sgpr_private_segment_size 0
		.amdhsa_uses_dynamic_stack 0
		.amdhsa_system_sgpr_private_segment_wavefront_offset 0
		.amdhsa_system_sgpr_workgroup_id_x 1
		.amdhsa_system_sgpr_workgroup_id_y 0
		.amdhsa_system_sgpr_workgroup_id_z 0
		.amdhsa_system_sgpr_workgroup_info 0
		.amdhsa_system_vgpr_workitem_id 0
		.amdhsa_next_free_vgpr 23
		.amdhsa_next_free_sgpr 20
		.amdhsa_reserve_vcc 1
		.amdhsa_reserve_flat_scratch 0
		.amdhsa_float_round_mode_32 0
		.amdhsa_float_round_mode_16_64 0
		.amdhsa_float_denorm_mode_32 3
		.amdhsa_float_denorm_mode_16_64 3
		.amdhsa_dx10_clamp 1
		.amdhsa_ieee_mode 1
		.amdhsa_fp16_overflow 0
		.amdhsa_exception_fp_ieee_invalid_op 0
		.amdhsa_exception_fp_denorm_src 0
		.amdhsa_exception_fp_ieee_div_zero 0
		.amdhsa_exception_fp_ieee_overflow 0
		.amdhsa_exception_fp_ieee_underflow 0
		.amdhsa_exception_fp_ieee_inexact 0
		.amdhsa_exception_int_div_zero 0
	.end_amdhsa_kernel
	.section	.text._ZN2at6native29vectorized_elementwise_kernelILi4ENS0_13BinaryFunctorIlllZNS0_12_GLOBAL__N_121threshold_kernel_implIlEEvRNS_18TensorIteratorBaseET_S7_EUlllE_EESt5arrayIPcLm3EEEEviT0_T1_,"axG",@progbits,_ZN2at6native29vectorized_elementwise_kernelILi4ENS0_13BinaryFunctorIlllZNS0_12_GLOBAL__N_121threshold_kernel_implIlEEvRNS_18TensorIteratorBaseET_S7_EUlllE_EESt5arrayIPcLm3EEEEviT0_T1_,comdat
.Lfunc_end90:
	.size	_ZN2at6native29vectorized_elementwise_kernelILi4ENS0_13BinaryFunctorIlllZNS0_12_GLOBAL__N_121threshold_kernel_implIlEEvRNS_18TensorIteratorBaseET_S7_EUlllE_EESt5arrayIPcLm3EEEEviT0_T1_, .Lfunc_end90-_ZN2at6native29vectorized_elementwise_kernelILi4ENS0_13BinaryFunctorIlllZNS0_12_GLOBAL__N_121threshold_kernel_implIlEEvRNS_18TensorIteratorBaseET_S7_EUlllE_EESt5arrayIPcLm3EEEEviT0_T1_
                                        ; -- End function
	.set _ZN2at6native29vectorized_elementwise_kernelILi4ENS0_13BinaryFunctorIlllZNS0_12_GLOBAL__N_121threshold_kernel_implIlEEvRNS_18TensorIteratorBaseET_S7_EUlllE_EESt5arrayIPcLm3EEEEviT0_T1_.num_vgpr, 23
	.set _ZN2at6native29vectorized_elementwise_kernelILi4ENS0_13BinaryFunctorIlllZNS0_12_GLOBAL__N_121threshold_kernel_implIlEEvRNS_18TensorIteratorBaseET_S7_EUlllE_EESt5arrayIPcLm3EEEEviT0_T1_.num_agpr, 0
	.set _ZN2at6native29vectorized_elementwise_kernelILi4ENS0_13BinaryFunctorIlllZNS0_12_GLOBAL__N_121threshold_kernel_implIlEEvRNS_18TensorIteratorBaseET_S7_EUlllE_EESt5arrayIPcLm3EEEEviT0_T1_.numbered_sgpr, 20
	.set _ZN2at6native29vectorized_elementwise_kernelILi4ENS0_13BinaryFunctorIlllZNS0_12_GLOBAL__N_121threshold_kernel_implIlEEvRNS_18TensorIteratorBaseET_S7_EUlllE_EESt5arrayIPcLm3EEEEviT0_T1_.num_named_barrier, 0
	.set _ZN2at6native29vectorized_elementwise_kernelILi4ENS0_13BinaryFunctorIlllZNS0_12_GLOBAL__N_121threshold_kernel_implIlEEvRNS_18TensorIteratorBaseET_S7_EUlllE_EESt5arrayIPcLm3EEEEviT0_T1_.private_seg_size, 0
	.set _ZN2at6native29vectorized_elementwise_kernelILi4ENS0_13BinaryFunctorIlllZNS0_12_GLOBAL__N_121threshold_kernel_implIlEEvRNS_18TensorIteratorBaseET_S7_EUlllE_EESt5arrayIPcLm3EEEEviT0_T1_.uses_vcc, 1
	.set _ZN2at6native29vectorized_elementwise_kernelILi4ENS0_13BinaryFunctorIlllZNS0_12_GLOBAL__N_121threshold_kernel_implIlEEvRNS_18TensorIteratorBaseET_S7_EUlllE_EESt5arrayIPcLm3EEEEviT0_T1_.uses_flat_scratch, 0
	.set _ZN2at6native29vectorized_elementwise_kernelILi4ENS0_13BinaryFunctorIlllZNS0_12_GLOBAL__N_121threshold_kernel_implIlEEvRNS_18TensorIteratorBaseET_S7_EUlllE_EESt5arrayIPcLm3EEEEviT0_T1_.has_dyn_sized_stack, 0
	.set _ZN2at6native29vectorized_elementwise_kernelILi4ENS0_13BinaryFunctorIlllZNS0_12_GLOBAL__N_121threshold_kernel_implIlEEvRNS_18TensorIteratorBaseET_S7_EUlllE_EESt5arrayIPcLm3EEEEviT0_T1_.has_recursion, 0
	.set _ZN2at6native29vectorized_elementwise_kernelILi4ENS0_13BinaryFunctorIlllZNS0_12_GLOBAL__N_121threshold_kernel_implIlEEvRNS_18TensorIteratorBaseET_S7_EUlllE_EESt5arrayIPcLm3EEEEviT0_T1_.has_indirect_call, 0
	.section	.AMDGPU.csdata,"",@progbits
; Kernel info:
; codeLenInByte = 1084
; TotalNumSgprs: 24
; NumVgprs: 23
; ScratchSize: 0
; MemoryBound: 0
; FloatMode: 240
; IeeeMode: 1
; LDSByteSize: 0 bytes/workgroup (compile time only)
; SGPRBlocks: 2
; VGPRBlocks: 5
; NumSGPRsForWavesPerEU: 24
; NumVGPRsForWavesPerEU: 23
; Occupancy: 10
; WaveLimiterHint : 0
; COMPUTE_PGM_RSRC2:SCRATCH_EN: 0
; COMPUTE_PGM_RSRC2:USER_SGPR: 6
; COMPUTE_PGM_RSRC2:TRAP_HANDLER: 0
; COMPUTE_PGM_RSRC2:TGID_X_EN: 1
; COMPUTE_PGM_RSRC2:TGID_Y_EN: 0
; COMPUTE_PGM_RSRC2:TGID_Z_EN: 0
; COMPUTE_PGM_RSRC2:TIDIG_COMP_CNT: 0
	.section	.text._ZN2at6native29vectorized_elementwise_kernelILi2ENS0_13BinaryFunctorIlllZNS0_12_GLOBAL__N_121threshold_kernel_implIlEEvRNS_18TensorIteratorBaseET_S7_EUlllE_EESt5arrayIPcLm3EEEEviT0_T1_,"axG",@progbits,_ZN2at6native29vectorized_elementwise_kernelILi2ENS0_13BinaryFunctorIlllZNS0_12_GLOBAL__N_121threshold_kernel_implIlEEvRNS_18TensorIteratorBaseET_S7_EUlllE_EESt5arrayIPcLm3EEEEviT0_T1_,comdat
	.globl	_ZN2at6native29vectorized_elementwise_kernelILi2ENS0_13BinaryFunctorIlllZNS0_12_GLOBAL__N_121threshold_kernel_implIlEEvRNS_18TensorIteratorBaseET_S7_EUlllE_EESt5arrayIPcLm3EEEEviT0_T1_ ; -- Begin function _ZN2at6native29vectorized_elementwise_kernelILi2ENS0_13BinaryFunctorIlllZNS0_12_GLOBAL__N_121threshold_kernel_implIlEEvRNS_18TensorIteratorBaseET_S7_EUlllE_EESt5arrayIPcLm3EEEEviT0_T1_
	.p2align	8
	.type	_ZN2at6native29vectorized_elementwise_kernelILi2ENS0_13BinaryFunctorIlllZNS0_12_GLOBAL__N_121threshold_kernel_implIlEEvRNS_18TensorIteratorBaseET_S7_EUlllE_EESt5arrayIPcLm3EEEEviT0_T1_,@function
_ZN2at6native29vectorized_elementwise_kernelILi2ENS0_13BinaryFunctorIlllZNS0_12_GLOBAL__N_121threshold_kernel_implIlEEvRNS_18TensorIteratorBaseET_S7_EUlllE_EESt5arrayIPcLm3EEEEviT0_T1_: ; @_ZN2at6native29vectorized_elementwise_kernelILi2ENS0_13BinaryFunctorIlllZNS0_12_GLOBAL__N_121threshold_kernel_implIlEEvRNS_18TensorIteratorBaseET_S7_EUlllE_EESt5arrayIPcLm3EEEEviT0_T1_
; %bb.0:
	s_load_dword s0, s[4:5], 0x0
	s_load_dwordx8 s[8:15], s[4:5], 0x8
	s_load_dwordx2 s[16:17], s[4:5], 0x28
	s_lshl_b32 s2, s6, 10
	s_waitcnt lgkmcnt(0)
	s_sub_i32 s6, s0, s2
	s_cmpk_gt_i32 s6, 0x3ff
	s_mov_b64 s[0:1], -1
	s_cbranch_scc0 .LBB91_2
; %bb.1:
	s_ashr_i32 s3, s2, 31
	s_lshl_b64 s[0:1], s[2:3], 3
	s_add_u32 s4, s14, s0
	s_addc_u32 s5, s15, s1
	v_lshlrev_b32_e32 v17, 4, v0
	v_mov_b32_e32 v1, s5
	v_add_co_u32_e32 v9, vcc, s4, v17
	s_add_u32 s18, s16, s0
	v_addc_co_u32_e32 v10, vcc, 0, v1, vcc
	s_addc_u32 s19, s17, s1
	global_load_dwordx4 v[1:4], v17, s[4:5]
	global_load_dwordx4 v[5:8], v17, s[18:19]
	v_add_co_u32_e32 v9, vcc, 0x1000, v9
	v_addc_co_u32_e32 v10, vcc, 0, v10, vcc
	v_mov_b32_e32 v13, s19
	v_add_co_u32_e32 v14, vcc, s18, v17
	s_movk_i32 s3, 0x1000
	v_addc_co_u32_e32 v15, vcc, 0, v13, vcc
	global_load_dwordx4 v[9:12], v[9:10], off
	v_add_co_u32_e32 v13, vcc, s3, v14
	v_addc_co_u32_e32 v14, vcc, 0, v15, vcc
	global_load_dwordx4 v[13:16], v[13:14], off
	s_add_u32 s4, s12, s0
	s_addc_u32 s5, s13, s1
	v_mov_b32_e32 v18, s11
	v_mov_b32_e32 v19, s10
	s_waitcnt vmcnt(3)
	v_cmp_lt_i64_e32 vcc, s[8:9], v[3:4]
	v_cmp_lt_i64_e64 s[0:1], s[8:9], v[1:2]
	s_waitcnt vmcnt(2)
	v_cndmask_b32_e32 v4, v18, v8, vcc
	v_cndmask_b32_e64 v2, v18, v6, s[0:1]
	v_cndmask_b32_e64 v1, v19, v5, s[0:1]
	v_cndmask_b32_e32 v3, v19, v7, vcc
	v_mov_b32_e32 v5, s5
	v_add_co_u32_e32 v6, vcc, s4, v17
	v_addc_co_u32_e32 v7, vcc, 0, v5, vcc
	v_add_co_u32_e32 v5, vcc, 0x1000, v6
	v_addc_co_u32_e32 v6, vcc, 0, v7, vcc
	s_waitcnt vmcnt(1)
	v_cmp_lt_i64_e32 vcc, s[8:9], v[9:10]
	global_store_dwordx4 v17, v[1:4], s[4:5]
	s_mov_b64 s[0:1], 0
	s_waitcnt vmcnt(1)
	v_cndmask_b32_e32 v2, v18, v14, vcc
	v_cndmask_b32_e32 v1, v19, v13, vcc
	v_cmp_lt_i64_e32 vcc, s[8:9], v[11:12]
	v_cndmask_b32_e32 v4, v18, v16, vcc
	v_cndmask_b32_e32 v3, v19, v15, vcc
	global_store_dwordx4 v[5:6], v[1:4], off
.LBB91_2:
	s_andn2_b64 vcc, exec, s[0:1]
	s_cbranch_vccnz .LBB91_15
; %bb.3:
	v_mov_b32_e32 v1, 0
	v_mov_b32_e32 v9, 0
	;; [unrolled: 1-line block ×3, first 2 shown]
	v_cmp_gt_i32_e32 vcc, s6, v0
	v_mov_b32_e32 v2, 0
	v_or_b32_e32 v3, s2, v0
	v_mov_b32_e32 v10, 0
	v_mov_b32_e32 v8, 0
	;; [unrolled: 1-line block ×3, first 2 shown]
	s_and_saveexec_b64 s[4:5], vcc
	s_cbranch_execz .LBB91_5
; %bb.4:
	v_mov_b32_e32 v4, 0
	v_lshlrev_b64 v[4:5], 3, v[3:4]
	v_mov_b32_e32 v6, s17
	v_add_co_u32_e64 v11, s[0:1], s16, v4
	v_addc_co_u32_e64 v12, s[0:1], v6, v5, s[0:1]
	v_mov_b32_e32 v6, s15
	v_add_co_u32_e64 v4, s[0:1], s14, v4
	v_addc_co_u32_e64 v5, s[0:1], v6, v5, s[0:1]
	global_load_dwordx2 v[9:10], v[4:5], off
	global_load_dwordx2 v[7:8], v[11:12], off
	v_or_b32_e32 v4, 0x100, v0
.LBB91_5:
	s_or_b64 exec, exec, s[4:5]
	v_mov_b32_e32 v11, 0
	v_mov_b32_e32 v12, 0
	v_cmp_gt_i32_e64 s[0:1], s6, v4
	s_and_saveexec_b64 s[4:5], s[0:1]
	s_cbranch_execz .LBB91_7
; %bb.6:
	v_add_u32_e32 v1, s2, v4
	v_mov_b32_e32 v2, 0
	v_lshlrev_b64 v[1:2], 3, v[1:2]
	v_mov_b32_e32 v6, s17
	v_add_co_u32_e64 v5, s[0:1], s16, v1
	v_addc_co_u32_e64 v6, s[0:1], v6, v2, s[0:1]
	v_mov_b32_e32 v11, s15
	v_add_co_u32_e64 v13, s[0:1], s14, v1
	v_addc_co_u32_e64 v14, s[0:1], v11, v2, s[0:1]
	global_load_dwordx2 v[1:2], v[13:14], off
	global_load_dwordx2 v[11:12], v[5:6], off
	v_add_u32_e32 v4, 0x100, v4
.LBB91_7:
	s_or_b64 exec, exec, s[4:5]
	v_mov_b32_e32 v5, 0
	v_mov_b32_e32 v15, 0
	;; [unrolled: 1-line block ×6, first 2 shown]
	v_cmp_gt_i32_e64 s[0:1], s6, v4
	s_and_saveexec_b64 s[4:5], s[0:1]
	s_cbranch_execz .LBB91_9
; %bb.8:
	v_add_u32_e32 v13, s2, v4
	v_mov_b32_e32 v14, 0
	v_lshlrev_b64 v[13:14], 3, v[13:14]
	v_mov_b32_e32 v15, s17
	v_add_co_u32_e64 v17, s[0:1], s16, v13
	v_addc_co_u32_e64 v18, s[0:1], v15, v14, s[0:1]
	v_mov_b32_e32 v15, s15
	v_add_co_u32_e64 v19, s[0:1], s14, v13
	v_addc_co_u32_e64 v20, s[0:1], v15, v14, s[0:1]
	global_load_dwordx2 v[15:16], v[19:20], off
	global_load_dwordx2 v[13:14], v[17:18], off
	v_add_u32_e32 v4, 0x100, v4
.LBB91_9:
	s_or_b64 exec, exec, s[4:5]
	v_mov_b32_e32 v17, 0
	v_mov_b32_e32 v18, 0
	v_cmp_gt_i32_e64 s[0:1], s6, v4
	s_and_saveexec_b64 s[4:5], s[0:1]
	s_cbranch_execnz .LBB91_16
; %bb.10:
	s_or_b64 exec, exec, s[4:5]
	s_and_saveexec_b64 s[0:1], vcc
	s_cbranch_execnz .LBB91_17
.LBB91_11:
	s_or_b64 exec, exec, s[0:1]
	v_cmp_gt_i32_e32 vcc, s6, v0
	s_and_saveexec_b64 s[0:1], vcc
	s_cbranch_execnz .LBB91_18
.LBB91_12:
	s_or_b64 exec, exec, s[0:1]
	v_cmp_gt_i32_e32 vcc, s6, v0
	s_and_saveexec_b64 s[0:1], vcc
	s_cbranch_execnz .LBB91_19
.LBB91_13:
	s_or_b64 exec, exec, s[0:1]
	v_cmp_gt_i32_e32 vcc, s6, v0
	s_and_saveexec_b64 s[0:1], vcc
	s_cbranch_execz .LBB91_15
.LBB91_14:
	s_waitcnt vmcnt(1)
	v_cmp_lt_i64_e32 vcc, s[8:9], v[5:6]
	v_add_u32_e32 v3, s2, v0
	v_mov_b32_e32 v4, 0
	v_mov_b32_e32 v1, s11
	v_lshlrev_b64 v[3:4], 3, v[3:4]
	s_waitcnt vmcnt(0)
	v_cndmask_b32_e32 v2, v1, v18, vcc
	v_mov_b32_e32 v1, s10
	v_cndmask_b32_e32 v1, v1, v17, vcc
	v_mov_b32_e32 v0, s13
	v_add_co_u32_e32 v3, vcc, s12, v3
	v_addc_co_u32_e32 v4, vcc, v0, v4, vcc
	global_store_dwordx2 v[3:4], v[1:2], off
.LBB91_15:
	s_endpgm
.LBB91_16:
	v_add_u32_e32 v4, s2, v4
	v_mov_b32_e32 v5, 0
	v_lshlrev_b64 v[4:5], 3, v[4:5]
	v_mov_b32_e32 v6, s17
	v_add_co_u32_e64 v19, s[0:1], s16, v4
	v_addc_co_u32_e64 v20, s[0:1], v6, v5, s[0:1]
	v_mov_b32_e32 v6, s15
	v_add_co_u32_e64 v21, s[0:1], s14, v4
	v_addc_co_u32_e64 v22, s[0:1], v6, v5, s[0:1]
	global_load_dwordx2 v[5:6], v[21:22], off
	global_load_dwordx2 v[17:18], v[19:20], off
	s_or_b64 exec, exec, s[4:5]
	s_and_saveexec_b64 s[0:1], vcc
	s_cbranch_execz .LBB91_11
.LBB91_17:
	s_waitcnt vmcnt(1)
	v_cmp_lt_i64_e32 vcc, s[8:9], v[9:10]
	v_mov_b32_e32 v4, s11
	s_waitcnt vmcnt(0)
	v_cndmask_b32_e32 v8, v4, v8, vcc
	v_mov_b32_e32 v4, s10
	v_cndmask_b32_e32 v7, v4, v7, vcc
	v_mov_b32_e32 v4, 0
	v_lshlrev_b64 v[3:4], 3, v[3:4]
	v_mov_b32_e32 v9, s13
	v_add_co_u32_e32 v3, vcc, s12, v3
	v_or_b32_e32 v0, 0x100, v0
	v_addc_co_u32_e32 v4, vcc, v9, v4, vcc
	global_store_dwordx2 v[3:4], v[7:8], off
	s_or_b64 exec, exec, s[0:1]
	v_cmp_gt_i32_e32 vcc, s6, v0
	s_and_saveexec_b64 s[0:1], vcc
	s_cbranch_execz .LBB91_12
.LBB91_18:
	s_waitcnt vmcnt(1)
	v_cmp_lt_i64_e32 vcc, s[8:9], v[1:2]
	v_mov_b32_e32 v3, s11
	s_waitcnt vmcnt(0)
	v_cndmask_b32_e32 v2, v3, v12, vcc
	v_add_u32_e32 v3, s2, v0
	v_mov_b32_e32 v4, 0
	v_lshlrev_b64 v[3:4], 3, v[3:4]
	v_mov_b32_e32 v1, s10
	v_cndmask_b32_e32 v1, v1, v11, vcc
	v_mov_b32_e32 v7, s13
	v_add_co_u32_e32 v3, vcc, s12, v3
	v_addc_co_u32_e32 v4, vcc, v7, v4, vcc
	v_add_u32_e32 v0, 0x100, v0
	global_store_dwordx2 v[3:4], v[1:2], off
	s_or_b64 exec, exec, s[0:1]
	v_cmp_gt_i32_e32 vcc, s6, v0
	s_and_saveexec_b64 s[0:1], vcc
	s_cbranch_execz .LBB91_13
.LBB91_19:
	s_waitcnt vmcnt(1)
	v_cmp_lt_i64_e32 vcc, s[8:9], v[15:16]
	v_add_u32_e32 v3, s2, v0
	v_mov_b32_e32 v4, 0
	v_mov_b32_e32 v1, s11
	v_lshlrev_b64 v[3:4], 3, v[3:4]
	s_waitcnt vmcnt(0)
	v_cndmask_b32_e32 v2, v1, v14, vcc
	v_mov_b32_e32 v1, s10
	v_cndmask_b32_e32 v1, v1, v13, vcc
	v_mov_b32_e32 v7, s13
	v_add_co_u32_e32 v3, vcc, s12, v3
	v_addc_co_u32_e32 v4, vcc, v7, v4, vcc
	v_add_u32_e32 v0, 0x100, v0
	global_store_dwordx2 v[3:4], v[1:2], off
	s_or_b64 exec, exec, s[0:1]
	v_cmp_gt_i32_e32 vcc, s6, v0
	s_and_saveexec_b64 s[0:1], vcc
	s_cbranch_execnz .LBB91_14
	s_branch .LBB91_15
	.section	.rodata,"a",@progbits
	.p2align	6, 0x0
	.amdhsa_kernel _ZN2at6native29vectorized_elementwise_kernelILi2ENS0_13BinaryFunctorIlllZNS0_12_GLOBAL__N_121threshold_kernel_implIlEEvRNS_18TensorIteratorBaseET_S7_EUlllE_EESt5arrayIPcLm3EEEEviT0_T1_
		.amdhsa_group_segment_fixed_size 0
		.amdhsa_private_segment_fixed_size 0
		.amdhsa_kernarg_size 48
		.amdhsa_user_sgpr_count 6
		.amdhsa_user_sgpr_private_segment_buffer 1
		.amdhsa_user_sgpr_dispatch_ptr 0
		.amdhsa_user_sgpr_queue_ptr 0
		.amdhsa_user_sgpr_kernarg_segment_ptr 1
		.amdhsa_user_sgpr_dispatch_id 0
		.amdhsa_user_sgpr_flat_scratch_init 0
		.amdhsa_user_sgpr_private_segment_size 0
		.amdhsa_uses_dynamic_stack 0
		.amdhsa_system_sgpr_private_segment_wavefront_offset 0
		.amdhsa_system_sgpr_workgroup_id_x 1
		.amdhsa_system_sgpr_workgroup_id_y 0
		.amdhsa_system_sgpr_workgroup_id_z 0
		.amdhsa_system_sgpr_workgroup_info 0
		.amdhsa_system_vgpr_workitem_id 0
		.amdhsa_next_free_vgpr 23
		.amdhsa_next_free_sgpr 20
		.amdhsa_reserve_vcc 1
		.amdhsa_reserve_flat_scratch 0
		.amdhsa_float_round_mode_32 0
		.amdhsa_float_round_mode_16_64 0
		.amdhsa_float_denorm_mode_32 3
		.amdhsa_float_denorm_mode_16_64 3
		.amdhsa_dx10_clamp 1
		.amdhsa_ieee_mode 1
		.amdhsa_fp16_overflow 0
		.amdhsa_exception_fp_ieee_invalid_op 0
		.amdhsa_exception_fp_denorm_src 0
		.amdhsa_exception_fp_ieee_div_zero 0
		.amdhsa_exception_fp_ieee_overflow 0
		.amdhsa_exception_fp_ieee_underflow 0
		.amdhsa_exception_fp_ieee_inexact 0
		.amdhsa_exception_int_div_zero 0
	.end_amdhsa_kernel
	.section	.text._ZN2at6native29vectorized_elementwise_kernelILi2ENS0_13BinaryFunctorIlllZNS0_12_GLOBAL__N_121threshold_kernel_implIlEEvRNS_18TensorIteratorBaseET_S7_EUlllE_EESt5arrayIPcLm3EEEEviT0_T1_,"axG",@progbits,_ZN2at6native29vectorized_elementwise_kernelILi2ENS0_13BinaryFunctorIlllZNS0_12_GLOBAL__N_121threshold_kernel_implIlEEvRNS_18TensorIteratorBaseET_S7_EUlllE_EESt5arrayIPcLm3EEEEviT0_T1_,comdat
.Lfunc_end91:
	.size	_ZN2at6native29vectorized_elementwise_kernelILi2ENS0_13BinaryFunctorIlllZNS0_12_GLOBAL__N_121threshold_kernel_implIlEEvRNS_18TensorIteratorBaseET_S7_EUlllE_EESt5arrayIPcLm3EEEEviT0_T1_, .Lfunc_end91-_ZN2at6native29vectorized_elementwise_kernelILi2ENS0_13BinaryFunctorIlllZNS0_12_GLOBAL__N_121threshold_kernel_implIlEEvRNS_18TensorIteratorBaseET_S7_EUlllE_EESt5arrayIPcLm3EEEEviT0_T1_
                                        ; -- End function
	.set _ZN2at6native29vectorized_elementwise_kernelILi2ENS0_13BinaryFunctorIlllZNS0_12_GLOBAL__N_121threshold_kernel_implIlEEvRNS_18TensorIteratorBaseET_S7_EUlllE_EESt5arrayIPcLm3EEEEviT0_T1_.num_vgpr, 23
	.set _ZN2at6native29vectorized_elementwise_kernelILi2ENS0_13BinaryFunctorIlllZNS0_12_GLOBAL__N_121threshold_kernel_implIlEEvRNS_18TensorIteratorBaseET_S7_EUlllE_EESt5arrayIPcLm3EEEEviT0_T1_.num_agpr, 0
	.set _ZN2at6native29vectorized_elementwise_kernelILi2ENS0_13BinaryFunctorIlllZNS0_12_GLOBAL__N_121threshold_kernel_implIlEEvRNS_18TensorIteratorBaseET_S7_EUlllE_EESt5arrayIPcLm3EEEEviT0_T1_.numbered_sgpr, 20
	.set _ZN2at6native29vectorized_elementwise_kernelILi2ENS0_13BinaryFunctorIlllZNS0_12_GLOBAL__N_121threshold_kernel_implIlEEvRNS_18TensorIteratorBaseET_S7_EUlllE_EESt5arrayIPcLm3EEEEviT0_T1_.num_named_barrier, 0
	.set _ZN2at6native29vectorized_elementwise_kernelILi2ENS0_13BinaryFunctorIlllZNS0_12_GLOBAL__N_121threshold_kernel_implIlEEvRNS_18TensorIteratorBaseET_S7_EUlllE_EESt5arrayIPcLm3EEEEviT0_T1_.private_seg_size, 0
	.set _ZN2at6native29vectorized_elementwise_kernelILi2ENS0_13BinaryFunctorIlllZNS0_12_GLOBAL__N_121threshold_kernel_implIlEEvRNS_18TensorIteratorBaseET_S7_EUlllE_EESt5arrayIPcLm3EEEEviT0_T1_.uses_vcc, 1
	.set _ZN2at6native29vectorized_elementwise_kernelILi2ENS0_13BinaryFunctorIlllZNS0_12_GLOBAL__N_121threshold_kernel_implIlEEvRNS_18TensorIteratorBaseET_S7_EUlllE_EESt5arrayIPcLm3EEEEviT0_T1_.uses_flat_scratch, 0
	.set _ZN2at6native29vectorized_elementwise_kernelILi2ENS0_13BinaryFunctorIlllZNS0_12_GLOBAL__N_121threshold_kernel_implIlEEvRNS_18TensorIteratorBaseET_S7_EUlllE_EESt5arrayIPcLm3EEEEviT0_T1_.has_dyn_sized_stack, 0
	.set _ZN2at6native29vectorized_elementwise_kernelILi2ENS0_13BinaryFunctorIlllZNS0_12_GLOBAL__N_121threshold_kernel_implIlEEvRNS_18TensorIteratorBaseET_S7_EUlllE_EESt5arrayIPcLm3EEEEviT0_T1_.has_recursion, 0
	.set _ZN2at6native29vectorized_elementwise_kernelILi2ENS0_13BinaryFunctorIlllZNS0_12_GLOBAL__N_121threshold_kernel_implIlEEvRNS_18TensorIteratorBaseET_S7_EUlllE_EESt5arrayIPcLm3EEEEviT0_T1_.has_indirect_call, 0
	.section	.AMDGPU.csdata,"",@progbits
; Kernel info:
; codeLenInByte = 1156
; TotalNumSgprs: 24
; NumVgprs: 23
; ScratchSize: 0
; MemoryBound: 0
; FloatMode: 240
; IeeeMode: 1
; LDSByteSize: 0 bytes/workgroup (compile time only)
; SGPRBlocks: 2
; VGPRBlocks: 5
; NumSGPRsForWavesPerEU: 24
; NumVGPRsForWavesPerEU: 23
; Occupancy: 10
; WaveLimiterHint : 1
; COMPUTE_PGM_RSRC2:SCRATCH_EN: 0
; COMPUTE_PGM_RSRC2:USER_SGPR: 6
; COMPUTE_PGM_RSRC2:TRAP_HANDLER: 0
; COMPUTE_PGM_RSRC2:TGID_X_EN: 1
; COMPUTE_PGM_RSRC2:TGID_Y_EN: 0
; COMPUTE_PGM_RSRC2:TGID_Z_EN: 0
; COMPUTE_PGM_RSRC2:TIDIG_COMP_CNT: 0
	.section	.text._ZN2at6native27unrolled_elementwise_kernelINS0_13BinaryFunctorIlllZNS0_12_GLOBAL__N_121threshold_kernel_implIlEEvRNS_18TensorIteratorBaseET_S7_EUlllE_EESt5arrayIPcLm3EELi4E23TrivialOffsetCalculatorILi2EjESD_ILi1EjENS0_6memory15LoadWithoutCastENSG_16StoreWithoutCastEEEviS7_T0_T2_T3_T4_T5_,"axG",@progbits,_ZN2at6native27unrolled_elementwise_kernelINS0_13BinaryFunctorIlllZNS0_12_GLOBAL__N_121threshold_kernel_implIlEEvRNS_18TensorIteratorBaseET_S7_EUlllE_EESt5arrayIPcLm3EELi4E23TrivialOffsetCalculatorILi2EjESD_ILi1EjENS0_6memory15LoadWithoutCastENSG_16StoreWithoutCastEEEviS7_T0_T2_T3_T4_T5_,comdat
	.globl	_ZN2at6native27unrolled_elementwise_kernelINS0_13BinaryFunctorIlllZNS0_12_GLOBAL__N_121threshold_kernel_implIlEEvRNS_18TensorIteratorBaseET_S7_EUlllE_EESt5arrayIPcLm3EELi4E23TrivialOffsetCalculatorILi2EjESD_ILi1EjENS0_6memory15LoadWithoutCastENSG_16StoreWithoutCastEEEviS7_T0_T2_T3_T4_T5_ ; -- Begin function _ZN2at6native27unrolled_elementwise_kernelINS0_13BinaryFunctorIlllZNS0_12_GLOBAL__N_121threshold_kernel_implIlEEvRNS_18TensorIteratorBaseET_S7_EUlllE_EESt5arrayIPcLm3EELi4E23TrivialOffsetCalculatorILi2EjESD_ILi1EjENS0_6memory15LoadWithoutCastENSG_16StoreWithoutCastEEEviS7_T0_T2_T3_T4_T5_
	.p2align	8
	.type	_ZN2at6native27unrolled_elementwise_kernelINS0_13BinaryFunctorIlllZNS0_12_GLOBAL__N_121threshold_kernel_implIlEEvRNS_18TensorIteratorBaseET_S7_EUlllE_EESt5arrayIPcLm3EELi4E23TrivialOffsetCalculatorILi2EjESD_ILi1EjENS0_6memory15LoadWithoutCastENSG_16StoreWithoutCastEEEviS7_T0_T2_T3_T4_T5_,@function
_ZN2at6native27unrolled_elementwise_kernelINS0_13BinaryFunctorIlllZNS0_12_GLOBAL__N_121threshold_kernel_implIlEEvRNS_18TensorIteratorBaseET_S7_EUlllE_EESt5arrayIPcLm3EELi4E23TrivialOffsetCalculatorILi2EjESD_ILi1EjENS0_6memory15LoadWithoutCastENSG_16StoreWithoutCastEEEviS7_T0_T2_T3_T4_T5_: ; @_ZN2at6native27unrolled_elementwise_kernelINS0_13BinaryFunctorIlllZNS0_12_GLOBAL__N_121threshold_kernel_implIlEEvRNS_18TensorIteratorBaseET_S7_EUlllE_EESt5arrayIPcLm3EELi4E23TrivialOffsetCalculatorILi2EjESD_ILi1EjENS0_6memory15LoadWithoutCastENSG_16StoreWithoutCastEEEviS7_T0_T2_T3_T4_T5_
; %bb.0:
	s_load_dword s0, s[4:5], 0x0
	s_load_dwordx8 s[8:15], s[4:5], 0x8
	s_load_dwordx2 s[2:3], s[4:5], 0x28
	s_lshl_b32 s6, s6, 10
	v_mov_b32_e32 v1, 0
	s_waitcnt lgkmcnt(0)
	s_sub_i32 s7, s0, s6
	v_mov_b32_e32 v9, 0
	v_mov_b32_e32 v7, 0
	v_cmp_gt_i32_e32 vcc, s7, v0
	v_mov_b32_e32 v2, 0
	v_or_b32_e32 v3, s6, v0
	v_mov_b32_e32 v10, 0
	v_mov_b32_e32 v8, 0
	;; [unrolled: 1-line block ×3, first 2 shown]
	s_and_saveexec_b64 s[4:5], vcc
	s_cbranch_execz .LBB92_2
; %bb.1:
	v_mov_b32_e32 v4, 0
	v_lshlrev_b64 v[4:5], 3, v[3:4]
	v_mov_b32_e32 v6, s15
	v_add_co_u32_e64 v11, s[0:1], s14, v4
	v_addc_co_u32_e64 v12, s[0:1], v6, v5, s[0:1]
	v_mov_b32_e32 v6, s3
	v_add_co_u32_e64 v4, s[0:1], s2, v4
	v_addc_co_u32_e64 v5, s[0:1], v6, v5, s[0:1]
	global_load_dwordx2 v[9:10], v[11:12], off
	global_load_dwordx2 v[7:8], v[4:5], off
	v_or_b32_e32 v4, 0x100, v0
.LBB92_2:
	s_or_b64 exec, exec, s[4:5]
	v_mov_b32_e32 v11, 0
	v_mov_b32_e32 v12, 0
	v_cmp_gt_i32_e64 s[0:1], s7, v4
	s_and_saveexec_b64 s[4:5], s[0:1]
	s_cbranch_execz .LBB92_4
; %bb.3:
	v_add_u32_e32 v1, s6, v4
	v_mov_b32_e32 v2, 0
	v_lshlrev_b64 v[1:2], 3, v[1:2]
	v_mov_b32_e32 v6, s15
	v_add_co_u32_e64 v5, s[0:1], s14, v1
	v_addc_co_u32_e64 v6, s[0:1], v6, v2, s[0:1]
	v_mov_b32_e32 v11, s3
	v_add_co_u32_e64 v13, s[0:1], s2, v1
	v_addc_co_u32_e64 v14, s[0:1], v11, v2, s[0:1]
	global_load_dwordx2 v[1:2], v[5:6], off
	global_load_dwordx2 v[11:12], v[13:14], off
	v_add_u32_e32 v4, 0x100, v4
.LBB92_4:
	s_or_b64 exec, exec, s[4:5]
	v_mov_b32_e32 v5, 0
	v_mov_b32_e32 v15, 0
	;; [unrolled: 1-line block ×6, first 2 shown]
	v_cmp_gt_i32_e64 s[0:1], s7, v4
	s_and_saveexec_b64 s[4:5], s[0:1]
	s_cbranch_execz .LBB92_6
; %bb.5:
	v_add_u32_e32 v13, s6, v4
	v_mov_b32_e32 v14, 0
	v_lshlrev_b64 v[13:14], 3, v[13:14]
	v_mov_b32_e32 v15, s15
	v_add_co_u32_e64 v17, s[0:1], s14, v13
	v_addc_co_u32_e64 v18, s[0:1], v15, v14, s[0:1]
	v_mov_b32_e32 v15, s3
	v_add_co_u32_e64 v19, s[0:1], s2, v13
	v_addc_co_u32_e64 v20, s[0:1], v15, v14, s[0:1]
	global_load_dwordx2 v[15:16], v[17:18], off
	global_load_dwordx2 v[13:14], v[19:20], off
	v_add_u32_e32 v4, 0x100, v4
.LBB92_6:
	s_or_b64 exec, exec, s[4:5]
	v_mov_b32_e32 v17, 0
	v_mov_b32_e32 v18, 0
	v_cmp_gt_i32_e64 s[0:1], s7, v4
	s_and_saveexec_b64 s[4:5], s[0:1]
	s_cbranch_execnz .LBB92_12
; %bb.7:
	s_or_b64 exec, exec, s[4:5]
	s_and_saveexec_b64 s[0:1], vcc
	s_cbranch_execnz .LBB92_13
.LBB92_8:
	s_or_b64 exec, exec, s[0:1]
	v_cmp_gt_i32_e32 vcc, s7, v0
	s_and_saveexec_b64 s[0:1], vcc
	s_cbranch_execnz .LBB92_14
.LBB92_9:
	s_or_b64 exec, exec, s[0:1]
	v_cmp_gt_i32_e32 vcc, s7, v0
	s_and_saveexec_b64 s[0:1], vcc
	s_cbranch_execnz .LBB92_15
.LBB92_10:
	s_or_b64 exec, exec, s[0:1]
	v_cmp_gt_i32_e32 vcc, s7, v0
	s_and_saveexec_b64 s[0:1], vcc
	s_cbranch_execnz .LBB92_16
.LBB92_11:
	s_endpgm
.LBB92_12:
	v_add_u32_e32 v4, s6, v4
	v_mov_b32_e32 v5, 0
	v_lshlrev_b64 v[4:5], 3, v[4:5]
	v_mov_b32_e32 v6, s15
	v_add_co_u32_e64 v19, s[0:1], s14, v4
	v_addc_co_u32_e64 v20, s[0:1], v6, v5, s[0:1]
	v_mov_b32_e32 v6, s3
	v_add_co_u32_e64 v21, s[0:1], s2, v4
	v_addc_co_u32_e64 v22, s[0:1], v6, v5, s[0:1]
	global_load_dwordx2 v[5:6], v[19:20], off
	global_load_dwordx2 v[17:18], v[21:22], off
	s_or_b64 exec, exec, s[4:5]
	s_and_saveexec_b64 s[0:1], vcc
	s_cbranch_execz .LBB92_8
.LBB92_13:
	v_mov_b32_e32 v4, 0
	v_lshlrev_b64 v[3:4], 3, v[3:4]
	v_mov_b32_e32 v19, s13
	v_add_co_u32_e32 v3, vcc, s12, v3
	v_addc_co_u32_e32 v4, vcc, v19, v4, vcc
	s_waitcnt vmcnt(1)
	v_cmp_lt_i64_e32 vcc, s[8:9], v[9:10]
	v_mov_b32_e32 v19, s11
	v_mov_b32_e32 v9, s10
	v_or_b32_e32 v0, 0x100, v0
	s_waitcnt vmcnt(0)
	v_cndmask_b32_e32 v8, v19, v8, vcc
	v_cndmask_b32_e32 v7, v9, v7, vcc
	global_store_dwordx2 v[3:4], v[7:8], off
	s_or_b64 exec, exec, s[0:1]
	v_cmp_gt_i32_e32 vcc, s7, v0
	s_and_saveexec_b64 s[0:1], vcc
	s_cbranch_execz .LBB92_9
.LBB92_14:
	s_waitcnt vmcnt(1)
	v_cmp_lt_i64_e32 vcc, s[8:9], v[1:2]
	v_mov_b32_e32 v3, s11
	s_waitcnt vmcnt(0)
	v_cndmask_b32_e32 v2, v3, v12, vcc
	v_add_u32_e32 v3, s6, v0
	v_mov_b32_e32 v4, 0
	v_lshlrev_b64 v[3:4], 3, v[3:4]
	v_mov_b32_e32 v1, s10
	v_cndmask_b32_e32 v1, v1, v11, vcc
	v_add_u32_e32 v7, 0x100, v0
	v_mov_b32_e32 v0, s13
	v_add_co_u32_e32 v3, vcc, s12, v3
	v_addc_co_u32_e32 v4, vcc, v0, v4, vcc
	v_mov_b32_e32 v0, v7
	global_store_dwordx2 v[3:4], v[1:2], off
	s_or_b64 exec, exec, s[0:1]
	v_cmp_gt_i32_e32 vcc, s7, v0
	s_and_saveexec_b64 s[0:1], vcc
	s_cbranch_execz .LBB92_10
.LBB92_15:
	s_waitcnt vmcnt(1)
	v_cmp_lt_i64_e32 vcc, s[8:9], v[15:16]
	v_add_u32_e32 v3, s6, v0
	v_mov_b32_e32 v4, 0
	v_mov_b32_e32 v1, s11
	v_lshlrev_b64 v[3:4], 3, v[3:4]
	s_waitcnt vmcnt(0)
	v_cndmask_b32_e32 v2, v1, v14, vcc
	v_mov_b32_e32 v1, s10
	v_cndmask_b32_e32 v1, v1, v13, vcc
	v_add_u32_e32 v7, 0x100, v0
	v_mov_b32_e32 v0, s13
	v_add_co_u32_e32 v3, vcc, s12, v3
	v_addc_co_u32_e32 v4, vcc, v0, v4, vcc
	v_mov_b32_e32 v0, v7
	global_store_dwordx2 v[3:4], v[1:2], off
	s_or_b64 exec, exec, s[0:1]
	v_cmp_gt_i32_e32 vcc, s7, v0
	s_and_saveexec_b64 s[0:1], vcc
	s_cbranch_execz .LBB92_11
.LBB92_16:
	s_waitcnt vmcnt(1)
	v_cmp_lt_i64_e32 vcc, s[8:9], v[5:6]
	v_add_u32_e32 v3, s6, v0
	v_mov_b32_e32 v4, 0
	v_mov_b32_e32 v1, s11
	v_lshlrev_b64 v[3:4], 3, v[3:4]
	s_waitcnt vmcnt(0)
	v_cndmask_b32_e32 v2, v1, v18, vcc
	v_mov_b32_e32 v1, s10
	v_cndmask_b32_e32 v1, v1, v17, vcc
	v_mov_b32_e32 v0, s13
	v_add_co_u32_e32 v3, vcc, s12, v3
	v_addc_co_u32_e32 v4, vcc, v0, v4, vcc
	global_store_dwordx2 v[3:4], v[1:2], off
	s_endpgm
	.section	.rodata,"a",@progbits
	.p2align	6, 0x0
	.amdhsa_kernel _ZN2at6native27unrolled_elementwise_kernelINS0_13BinaryFunctorIlllZNS0_12_GLOBAL__N_121threshold_kernel_implIlEEvRNS_18TensorIteratorBaseET_S7_EUlllE_EESt5arrayIPcLm3EELi4E23TrivialOffsetCalculatorILi2EjESD_ILi1EjENS0_6memory15LoadWithoutCastENSG_16StoreWithoutCastEEEviS7_T0_T2_T3_T4_T5_
		.amdhsa_group_segment_fixed_size 0
		.amdhsa_private_segment_fixed_size 0
		.amdhsa_kernarg_size 52
		.amdhsa_user_sgpr_count 6
		.amdhsa_user_sgpr_private_segment_buffer 1
		.amdhsa_user_sgpr_dispatch_ptr 0
		.amdhsa_user_sgpr_queue_ptr 0
		.amdhsa_user_sgpr_kernarg_segment_ptr 1
		.amdhsa_user_sgpr_dispatch_id 0
		.amdhsa_user_sgpr_flat_scratch_init 0
		.amdhsa_user_sgpr_private_segment_size 0
		.amdhsa_uses_dynamic_stack 0
		.amdhsa_system_sgpr_private_segment_wavefront_offset 0
		.amdhsa_system_sgpr_workgroup_id_x 1
		.amdhsa_system_sgpr_workgroup_id_y 0
		.amdhsa_system_sgpr_workgroup_id_z 0
		.amdhsa_system_sgpr_workgroup_info 0
		.amdhsa_system_vgpr_workitem_id 0
		.amdhsa_next_free_vgpr 23
		.amdhsa_next_free_sgpr 16
		.amdhsa_reserve_vcc 1
		.amdhsa_reserve_flat_scratch 0
		.amdhsa_float_round_mode_32 0
		.amdhsa_float_round_mode_16_64 0
		.amdhsa_float_denorm_mode_32 3
		.amdhsa_float_denorm_mode_16_64 3
		.amdhsa_dx10_clamp 1
		.amdhsa_ieee_mode 1
		.amdhsa_fp16_overflow 0
		.amdhsa_exception_fp_ieee_invalid_op 0
		.amdhsa_exception_fp_denorm_src 0
		.amdhsa_exception_fp_ieee_div_zero 0
		.amdhsa_exception_fp_ieee_overflow 0
		.amdhsa_exception_fp_ieee_underflow 0
		.amdhsa_exception_fp_ieee_inexact 0
		.amdhsa_exception_int_div_zero 0
	.end_amdhsa_kernel
	.section	.text._ZN2at6native27unrolled_elementwise_kernelINS0_13BinaryFunctorIlllZNS0_12_GLOBAL__N_121threshold_kernel_implIlEEvRNS_18TensorIteratorBaseET_S7_EUlllE_EESt5arrayIPcLm3EELi4E23TrivialOffsetCalculatorILi2EjESD_ILi1EjENS0_6memory15LoadWithoutCastENSG_16StoreWithoutCastEEEviS7_T0_T2_T3_T4_T5_,"axG",@progbits,_ZN2at6native27unrolled_elementwise_kernelINS0_13BinaryFunctorIlllZNS0_12_GLOBAL__N_121threshold_kernel_implIlEEvRNS_18TensorIteratorBaseET_S7_EUlllE_EESt5arrayIPcLm3EELi4E23TrivialOffsetCalculatorILi2EjESD_ILi1EjENS0_6memory15LoadWithoutCastENSG_16StoreWithoutCastEEEviS7_T0_T2_T3_T4_T5_,comdat
.Lfunc_end92:
	.size	_ZN2at6native27unrolled_elementwise_kernelINS0_13BinaryFunctorIlllZNS0_12_GLOBAL__N_121threshold_kernel_implIlEEvRNS_18TensorIteratorBaseET_S7_EUlllE_EESt5arrayIPcLm3EELi4E23TrivialOffsetCalculatorILi2EjESD_ILi1EjENS0_6memory15LoadWithoutCastENSG_16StoreWithoutCastEEEviS7_T0_T2_T3_T4_T5_, .Lfunc_end92-_ZN2at6native27unrolled_elementwise_kernelINS0_13BinaryFunctorIlllZNS0_12_GLOBAL__N_121threshold_kernel_implIlEEvRNS_18TensorIteratorBaseET_S7_EUlllE_EESt5arrayIPcLm3EELi4E23TrivialOffsetCalculatorILi2EjESD_ILi1EjENS0_6memory15LoadWithoutCastENSG_16StoreWithoutCastEEEviS7_T0_T2_T3_T4_T5_
                                        ; -- End function
	.set _ZN2at6native27unrolled_elementwise_kernelINS0_13BinaryFunctorIlllZNS0_12_GLOBAL__N_121threshold_kernel_implIlEEvRNS_18TensorIteratorBaseET_S7_EUlllE_EESt5arrayIPcLm3EELi4E23TrivialOffsetCalculatorILi2EjESD_ILi1EjENS0_6memory15LoadWithoutCastENSG_16StoreWithoutCastEEEviS7_T0_T2_T3_T4_T5_.num_vgpr, 23
	.set _ZN2at6native27unrolled_elementwise_kernelINS0_13BinaryFunctorIlllZNS0_12_GLOBAL__N_121threshold_kernel_implIlEEvRNS_18TensorIteratorBaseET_S7_EUlllE_EESt5arrayIPcLm3EELi4E23TrivialOffsetCalculatorILi2EjESD_ILi1EjENS0_6memory15LoadWithoutCastENSG_16StoreWithoutCastEEEviS7_T0_T2_T3_T4_T5_.num_agpr, 0
	.set _ZN2at6native27unrolled_elementwise_kernelINS0_13BinaryFunctorIlllZNS0_12_GLOBAL__N_121threshold_kernel_implIlEEvRNS_18TensorIteratorBaseET_S7_EUlllE_EESt5arrayIPcLm3EELi4E23TrivialOffsetCalculatorILi2EjESD_ILi1EjENS0_6memory15LoadWithoutCastENSG_16StoreWithoutCastEEEviS7_T0_T2_T3_T4_T5_.numbered_sgpr, 16
	.set _ZN2at6native27unrolled_elementwise_kernelINS0_13BinaryFunctorIlllZNS0_12_GLOBAL__N_121threshold_kernel_implIlEEvRNS_18TensorIteratorBaseET_S7_EUlllE_EESt5arrayIPcLm3EELi4E23TrivialOffsetCalculatorILi2EjESD_ILi1EjENS0_6memory15LoadWithoutCastENSG_16StoreWithoutCastEEEviS7_T0_T2_T3_T4_T5_.num_named_barrier, 0
	.set _ZN2at6native27unrolled_elementwise_kernelINS0_13BinaryFunctorIlllZNS0_12_GLOBAL__N_121threshold_kernel_implIlEEvRNS_18TensorIteratorBaseET_S7_EUlllE_EESt5arrayIPcLm3EELi4E23TrivialOffsetCalculatorILi2EjESD_ILi1EjENS0_6memory15LoadWithoutCastENSG_16StoreWithoutCastEEEviS7_T0_T2_T3_T4_T5_.private_seg_size, 0
	.set _ZN2at6native27unrolled_elementwise_kernelINS0_13BinaryFunctorIlllZNS0_12_GLOBAL__N_121threshold_kernel_implIlEEvRNS_18TensorIteratorBaseET_S7_EUlllE_EESt5arrayIPcLm3EELi4E23TrivialOffsetCalculatorILi2EjESD_ILi1EjENS0_6memory15LoadWithoutCastENSG_16StoreWithoutCastEEEviS7_T0_T2_T3_T4_T5_.uses_vcc, 1
	.set _ZN2at6native27unrolled_elementwise_kernelINS0_13BinaryFunctorIlllZNS0_12_GLOBAL__N_121threshold_kernel_implIlEEvRNS_18TensorIteratorBaseET_S7_EUlllE_EESt5arrayIPcLm3EELi4E23TrivialOffsetCalculatorILi2EjESD_ILi1EjENS0_6memory15LoadWithoutCastENSG_16StoreWithoutCastEEEviS7_T0_T2_T3_T4_T5_.uses_flat_scratch, 0
	.set _ZN2at6native27unrolled_elementwise_kernelINS0_13BinaryFunctorIlllZNS0_12_GLOBAL__N_121threshold_kernel_implIlEEvRNS_18TensorIteratorBaseET_S7_EUlllE_EESt5arrayIPcLm3EELi4E23TrivialOffsetCalculatorILi2EjESD_ILi1EjENS0_6memory15LoadWithoutCastENSG_16StoreWithoutCastEEEviS7_T0_T2_T3_T4_T5_.has_dyn_sized_stack, 0
	.set _ZN2at6native27unrolled_elementwise_kernelINS0_13BinaryFunctorIlllZNS0_12_GLOBAL__N_121threshold_kernel_implIlEEvRNS_18TensorIteratorBaseET_S7_EUlllE_EESt5arrayIPcLm3EELi4E23TrivialOffsetCalculatorILi2EjESD_ILi1EjENS0_6memory15LoadWithoutCastENSG_16StoreWithoutCastEEEviS7_T0_T2_T3_T4_T5_.has_recursion, 0
	.set _ZN2at6native27unrolled_elementwise_kernelINS0_13BinaryFunctorIlllZNS0_12_GLOBAL__N_121threshold_kernel_implIlEEvRNS_18TensorIteratorBaseET_S7_EUlllE_EESt5arrayIPcLm3EELi4E23TrivialOffsetCalculatorILi2EjESD_ILi1EjENS0_6memory15LoadWithoutCastENSG_16StoreWithoutCastEEEviS7_T0_T2_T3_T4_T5_.has_indirect_call, 0
	.section	.AMDGPU.csdata,"",@progbits
; Kernel info:
; codeLenInByte = 900
; TotalNumSgprs: 20
; NumVgprs: 23
; ScratchSize: 0
; MemoryBound: 0
; FloatMode: 240
; IeeeMode: 1
; LDSByteSize: 0 bytes/workgroup (compile time only)
; SGPRBlocks: 2
; VGPRBlocks: 5
; NumSGPRsForWavesPerEU: 20
; NumVGPRsForWavesPerEU: 23
; Occupancy: 10
; WaveLimiterHint : 0
; COMPUTE_PGM_RSRC2:SCRATCH_EN: 0
; COMPUTE_PGM_RSRC2:USER_SGPR: 6
; COMPUTE_PGM_RSRC2:TRAP_HANDLER: 0
; COMPUTE_PGM_RSRC2:TGID_X_EN: 1
; COMPUTE_PGM_RSRC2:TGID_Y_EN: 0
; COMPUTE_PGM_RSRC2:TGID_Z_EN: 0
; COMPUTE_PGM_RSRC2:TIDIG_COMP_CNT: 0
	.section	.text._ZN2at6native32elementwise_kernel_manual_unrollILi128ELi4EZNS0_22gpu_kernel_impl_nocastINS0_13BinaryFunctorIlllZNS0_12_GLOBAL__N_121threshold_kernel_implIlEEvRNS_18TensorIteratorBaseET_S8_EUlllE_EEEEvS7_RKS8_EUlibE_EEviT1_,"axG",@progbits,_ZN2at6native32elementwise_kernel_manual_unrollILi128ELi4EZNS0_22gpu_kernel_impl_nocastINS0_13BinaryFunctorIlllZNS0_12_GLOBAL__N_121threshold_kernel_implIlEEvRNS_18TensorIteratorBaseET_S8_EUlllE_EEEEvS7_RKS8_EUlibE_EEviT1_,comdat
	.globl	_ZN2at6native32elementwise_kernel_manual_unrollILi128ELi4EZNS0_22gpu_kernel_impl_nocastINS0_13BinaryFunctorIlllZNS0_12_GLOBAL__N_121threshold_kernel_implIlEEvRNS_18TensorIteratorBaseET_S8_EUlllE_EEEEvS7_RKS8_EUlibE_EEviT1_ ; -- Begin function _ZN2at6native32elementwise_kernel_manual_unrollILi128ELi4EZNS0_22gpu_kernel_impl_nocastINS0_13BinaryFunctorIlllZNS0_12_GLOBAL__N_121threshold_kernel_implIlEEvRNS_18TensorIteratorBaseET_S8_EUlllE_EEEEvS7_RKS8_EUlibE_EEviT1_
	.p2align	8
	.type	_ZN2at6native32elementwise_kernel_manual_unrollILi128ELi4EZNS0_22gpu_kernel_impl_nocastINS0_13BinaryFunctorIlllZNS0_12_GLOBAL__N_121threshold_kernel_implIlEEvRNS_18TensorIteratorBaseET_S8_EUlllE_EEEEvS7_RKS8_EUlibE_EEviT1_,@function
_ZN2at6native32elementwise_kernel_manual_unrollILi128ELi4EZNS0_22gpu_kernel_impl_nocastINS0_13BinaryFunctorIlllZNS0_12_GLOBAL__N_121threshold_kernel_implIlEEvRNS_18TensorIteratorBaseET_S8_EUlllE_EEEEvS7_RKS8_EUlibE_EEviT1_: ; @_ZN2at6native32elementwise_kernel_manual_unrollILi128ELi4EZNS0_22gpu_kernel_impl_nocastINS0_13BinaryFunctorIlllZNS0_12_GLOBAL__N_121threshold_kernel_implIlEEvRNS_18TensorIteratorBaseET_S8_EUlllE_EEEEvS7_RKS8_EUlibE_EEviT1_
; %bb.0:
	s_load_dword s40, s[4:5], 0x0
	s_load_dword s33, s[4:5], 0x8
	s_add_u32 s16, s4, 8
	s_addc_u32 s17, s5, 0
	v_lshl_or_b32 v11, s6, 9, v0
	v_or_b32_e32 v21, 0x180, v11
	s_waitcnt lgkmcnt(0)
	s_add_i32 s38, s33, -1
	s_cmp_gt_u32 s38, 1
	v_cmp_le_i32_e32 vcc, s40, v21
	s_cselect_b64 s[18:19], -1, 0
	s_and_saveexec_b64 s[0:1], vcc
	s_xor_b64 s[20:21], exec, s[0:1]
	s_cbranch_execz .LBB93_54
; %bb.1:
	s_load_dwordx4 s[12:15], s[16:17], 0x4
	s_load_dwordx2 s[26:27], s[16:17], 0x14
	s_load_dwordx4 s[8:11], s[16:17], 0xc4
	s_load_dwordx2 s[24:25], s[16:17], 0xd4
	s_load_dwordx2 s[22:23], s[16:17], 0x1a8
	s_load_dwordx8 s[0:7], s[16:17], 0x188
	s_cmp_lg_u32 s33, 0
	s_cselect_b64 s[30:31], -1, 0
	s_min_u32 s39, s38, 15
	s_cmp_gt_u32 s33, 1
	s_cselect_b64 s[28:29], -1, 0
	v_cmp_gt_i32_e32 vcc, s40, v11
	s_and_saveexec_b64 s[34:35], vcc
	s_cbranch_execnz .LBB93_5
; %bb.2:
	s_or_b64 exec, exec, s[34:35]
	v_cmp_gt_i32_e32 vcc, s40, v11
	s_and_saveexec_b64 s[34:35], vcc
	s_cbranch_execnz .LBB93_17
.LBB93_3:
	s_or_b64 exec, exec, s[34:35]
	v_cmp_gt_i32_e32 vcc, s40, v11
	s_and_saveexec_b64 s[34:35], vcc
	s_cbranch_execnz .LBB93_29
.LBB93_4:
	s_or_b64 exec, exec, s[34:35]
	v_cmp_gt_i32_e32 vcc, s40, v11
	s_and_saveexec_b64 s[34:35], vcc
	s_cbranch_execnz .LBB93_41
	s_branch .LBB93_53
.LBB93_5:
	s_andn2_b64 vcc, exec, s[18:19]
	s_cbranch_vccnz .LBB93_11
; %bb.6:
	s_andn2_b64 vcc, exec, s[30:31]
	s_cbranch_vccnz .LBB93_12
; %bb.7:
	s_add_i32 s36, s39, 1
	s_and_b32 s41, s36, 30
	s_add_u32 s36, s16, 0xffffffe8
	s_addc_u32 s37, s17, -1
	v_mov_b32_e32 v2, 0
	v_mov_b32_e32 v4, 0
	;; [unrolled: 1-line block ×4, first 2 shown]
.LBB93_8:                               ; =>This Inner Loop Header: Depth=1
	s_load_dwordx4 s[44:47], s[36:37], 0x1c
	s_load_dwordx2 s[42:43], s[36:37], 0x2c
	s_load_dwordx2 s[52:53], s[36:37], 0xec
	s_load_dwordx4 s[48:51], s[36:37], 0xdc
	s_add_u32 s36, s36, 24
	s_waitcnt lgkmcnt(0)
	v_mul_hi_u32 v3, s45, v1
	s_addc_u32 s37, s37, 0
	s_add_i32 s41, s41, -2
	s_cmp_lg_u32 s41, 0
	v_add_u32_e32 v3, v1, v3
	v_lshrrev_b32_e32 v3, s46, v3
	v_mul_lo_u32 v5, v3, s44
	v_mul_hi_u32 v6, s42, v3
	v_sub_u32_e32 v5, v1, v5
	v_add_u32_e32 v1, v3, v6
	v_lshrrev_b32_e32 v1, s43, v1
	v_mul_lo_u32 v8, v1, s47
	v_mul_lo_u32 v6, v5, s48
	;; [unrolled: 1-line block ×4, first 2 shown]
	v_sub_u32_e32 v3, v3, v8
	v_mul_lo_u32 v8, v3, s51
	v_mul_lo_u32 v9, v3, s52
	;; [unrolled: 1-line block ×3, first 2 shown]
	v_add3_u32 v0, v6, v0, v8
	v_add3_u32 v4, v7, v4, v9
	v_add3_u32 v2, v5, v2, v3
	s_cbranch_scc1 .LBB93_8
; %bb.9:
	s_bitcmp1_b32 s39, 0
	s_cselect_b64 s[42:43], -1, 0
	s_and_b64 vcc, exec, s[42:43]
	s_cbranch_vccnz .LBB93_13
; %bb.10:
	s_load_dwordx2 s[42:43], s[36:37], 0x1c
	s_load_dword s41, s[36:37], 0x24
	s_load_dwordx2 s[44:45], s[36:37], 0xdc
	s_waitcnt lgkmcnt(0)
	v_mul_hi_u32 v3, s43, v1
	v_add_u32_e32 v3, v1, v3
	v_lshrrev_b32_e32 v3, s41, v3
	v_mul_lo_u32 v3, v3, s42
	s_load_dword s41, s[36:37], 0xe4
	v_sub_u32_e32 v3, v1, v3
	v_mad_u64_u32 v[0:1], s[36:37], v3, s44, v[0:1]
	v_mad_u64_u32 v[4:5], s[36:37], v3, s45, v[4:5]
	s_waitcnt lgkmcnt(0)
	v_mad_u64_u32 v[2:3], s[36:37], v3, s41, v[2:3]
	s_cbranch_execz .LBB93_14
	s_branch .LBB93_16
.LBB93_11:
                                        ; implicit-def: $vgpr0
                                        ; implicit-def: $vgpr4
                                        ; implicit-def: $vgpr2
	s_branch .LBB93_14
.LBB93_12:
	v_mov_b32_e32 v0, 0
	v_mov_b32_e32 v4, 0
	;; [unrolled: 1-line block ×3, first 2 shown]
.LBB93_13:
	s_cbranch_execnz .LBB93_16
.LBB93_14:
	s_waitcnt lgkmcnt(0)
	v_mul_hi_u32 v0, s13, v11
	s_andn2_b64 vcc, exec, s[28:29]
	v_add_u32_e32 v0, v11, v0
	v_lshrrev_b32_e32 v1, s14, v0
	v_mul_lo_u32 v0, v1, s12
	v_sub_u32_e32 v2, v11, v0
	v_mul_lo_u32 v0, v2, s8
	v_mul_lo_u32 v4, v2, s9
	;; [unrolled: 1-line block ×3, first 2 shown]
	s_cbranch_vccnz .LBB93_16
; %bb.15:
	v_mul_hi_u32 v3, s26, v1
	v_add_u32_e32 v3, v1, v3
	v_lshrrev_b32_e32 v3, s27, v3
	v_mul_lo_u32 v3, v3, s15
	v_sub_u32_e32 v3, v1, v3
	v_mad_u64_u32 v[0:1], s[36:37], v3, s11, v[0:1]
	v_mad_u64_u32 v[4:5], s[36:37], v3, s24, v[4:5]
	;; [unrolled: 1-line block ×3, first 2 shown]
.LBB93_16:
	s_waitcnt lgkmcnt(0)
	global_load_dwordx2 v[5:6], v4, s[2:3]
	global_load_dwordx2 v[7:8], v2, s[4:5]
	v_mov_b32_e32 v1, s23
	v_mov_b32_e32 v3, s22
	v_add_u32_e32 v11, 0x80, v11
	s_waitcnt vmcnt(1)
	v_cmp_lt_i64_e32 vcc, s[6:7], v[5:6]
	s_waitcnt vmcnt(0)
	v_cndmask_b32_e32 v2, v1, v8, vcc
	v_cndmask_b32_e32 v1, v3, v7, vcc
	global_store_dwordx2 v0, v[1:2], s[0:1]
	s_or_b64 exec, exec, s[34:35]
	v_cmp_gt_i32_e32 vcc, s40, v11
	s_and_saveexec_b64 s[34:35], vcc
	s_cbranch_execz .LBB93_3
.LBB93_17:
	s_andn2_b64 vcc, exec, s[18:19]
	s_cbranch_vccnz .LBB93_23
; %bb.18:
	s_andn2_b64 vcc, exec, s[30:31]
	s_cbranch_vccnz .LBB93_24
; %bb.19:
	s_add_i32 s36, s39, 1
	s_and_b32 s41, s36, 30
	s_add_u32 s36, s16, 0xffffffe8
	s_addc_u32 s37, s17, -1
	v_mov_b32_e32 v2, 0
	v_mov_b32_e32 v4, 0
	;; [unrolled: 1-line block ×4, first 2 shown]
.LBB93_20:                              ; =>This Inner Loop Header: Depth=1
	s_load_dwordx4 s[44:47], s[36:37], 0x1c
	s_load_dwordx2 s[42:43], s[36:37], 0x2c
	s_load_dwordx2 s[52:53], s[36:37], 0xec
	s_load_dwordx4 s[48:51], s[36:37], 0xdc
	s_add_u32 s36, s36, 24
	s_waitcnt lgkmcnt(0)
	v_mul_hi_u32 v3, s45, v1
	s_addc_u32 s37, s37, 0
	s_add_i32 s41, s41, -2
	s_cmp_eq_u32 s41, 0
	v_add_u32_e32 v3, v1, v3
	v_lshrrev_b32_e32 v3, s46, v3
	v_mul_lo_u32 v5, v3, s44
	v_mul_hi_u32 v6, s42, v3
	v_sub_u32_e32 v5, v1, v5
	v_add_u32_e32 v1, v3, v6
	v_lshrrev_b32_e32 v1, s43, v1
	v_mul_lo_u32 v8, v1, s47
	v_mul_lo_u32 v6, v5, s48
	;; [unrolled: 1-line block ×4, first 2 shown]
	v_sub_u32_e32 v3, v3, v8
	v_mul_lo_u32 v8, v3, s51
	v_mul_lo_u32 v9, v3, s52
	;; [unrolled: 1-line block ×3, first 2 shown]
	v_add3_u32 v0, v6, v0, v8
	v_add3_u32 v4, v7, v4, v9
	v_add3_u32 v2, v5, v2, v3
	s_cbranch_scc0 .LBB93_20
; %bb.21:
	s_bitcmp1_b32 s39, 0
	s_cselect_b64 s[42:43], -1, 0
	s_and_b64 vcc, exec, s[42:43]
	s_cbranch_vccnz .LBB93_25
; %bb.22:
	s_load_dwordx2 s[42:43], s[36:37], 0x1c
	s_load_dword s41, s[36:37], 0x24
	s_load_dwordx2 s[44:45], s[36:37], 0xdc
	s_waitcnt lgkmcnt(0)
	v_mul_hi_u32 v3, s43, v1
	v_add_u32_e32 v3, v1, v3
	v_lshrrev_b32_e32 v3, s41, v3
	v_mul_lo_u32 v3, v3, s42
	s_load_dword s41, s[36:37], 0xe4
	v_sub_u32_e32 v3, v1, v3
	v_mad_u64_u32 v[0:1], s[36:37], v3, s44, v[0:1]
	v_mad_u64_u32 v[4:5], s[36:37], v3, s45, v[4:5]
	s_waitcnt lgkmcnt(0)
	v_mad_u64_u32 v[2:3], s[36:37], v3, s41, v[2:3]
	s_branch .LBB93_25
.LBB93_23:
                                        ; implicit-def: $vgpr0
                                        ; implicit-def: $vgpr4
                                        ; implicit-def: $vgpr2
	s_branch .LBB93_26
.LBB93_24:
	v_mov_b32_e32 v0, 0
	v_mov_b32_e32 v4, 0
	;; [unrolled: 1-line block ×3, first 2 shown]
.LBB93_25:
	s_cbranch_execnz .LBB93_28
.LBB93_26:
	s_waitcnt lgkmcnt(0)
	v_mul_hi_u32 v0, s13, v11
	s_andn2_b64 vcc, exec, s[28:29]
	v_add_u32_e32 v0, v11, v0
	v_lshrrev_b32_e32 v1, s14, v0
	v_mul_lo_u32 v0, v1, s12
	v_sub_u32_e32 v2, v11, v0
	v_mul_lo_u32 v0, v2, s8
	v_mul_lo_u32 v4, v2, s9
	v_mul_lo_u32 v2, v2, s10
	s_cbranch_vccnz .LBB93_28
; %bb.27:
	v_mul_hi_u32 v3, s26, v1
	v_add_u32_e32 v3, v1, v3
	v_lshrrev_b32_e32 v3, s27, v3
	v_mul_lo_u32 v3, v3, s15
	v_sub_u32_e32 v3, v1, v3
	v_mad_u64_u32 v[0:1], s[36:37], v3, s11, v[0:1]
	v_mad_u64_u32 v[4:5], s[36:37], v3, s24, v[4:5]
	;; [unrolled: 1-line block ×3, first 2 shown]
.LBB93_28:
	s_waitcnt lgkmcnt(0)
	global_load_dwordx2 v[5:6], v4, s[2:3]
	global_load_dwordx2 v[7:8], v2, s[4:5]
	v_mov_b32_e32 v1, s23
	v_mov_b32_e32 v3, s22
	v_add_u32_e32 v11, 0x80, v11
	s_waitcnt vmcnt(1)
	v_cmp_lt_i64_e32 vcc, s[6:7], v[5:6]
	s_waitcnt vmcnt(0)
	v_cndmask_b32_e32 v2, v1, v8, vcc
	v_cndmask_b32_e32 v1, v3, v7, vcc
	global_store_dwordx2 v0, v[1:2], s[0:1]
	s_or_b64 exec, exec, s[34:35]
	v_cmp_gt_i32_e32 vcc, s40, v11
	s_and_saveexec_b64 s[34:35], vcc
	s_cbranch_execz .LBB93_4
.LBB93_29:
	s_andn2_b64 vcc, exec, s[18:19]
	s_cbranch_vccnz .LBB93_35
; %bb.30:
	s_andn2_b64 vcc, exec, s[30:31]
	s_cbranch_vccnz .LBB93_36
; %bb.31:
	s_add_i32 s36, s39, 1
	s_and_b32 s41, s36, 30
	s_add_u32 s36, s16, 0xffffffe8
	s_addc_u32 s37, s17, -1
	v_mov_b32_e32 v2, 0
	v_mov_b32_e32 v4, 0
	;; [unrolled: 1-line block ×4, first 2 shown]
.LBB93_32:                              ; =>This Inner Loop Header: Depth=1
	s_load_dwordx4 s[44:47], s[36:37], 0x1c
	s_load_dwordx2 s[42:43], s[36:37], 0x2c
	s_load_dwordx2 s[52:53], s[36:37], 0xec
	s_load_dwordx4 s[48:51], s[36:37], 0xdc
	s_add_u32 s36, s36, 24
	s_waitcnt lgkmcnt(0)
	v_mul_hi_u32 v3, s45, v1
	s_addc_u32 s37, s37, 0
	s_add_i32 s41, s41, -2
	s_cmp_eq_u32 s41, 0
	v_add_u32_e32 v3, v1, v3
	v_lshrrev_b32_e32 v3, s46, v3
	v_mul_lo_u32 v5, v3, s44
	v_mul_hi_u32 v6, s42, v3
	v_sub_u32_e32 v5, v1, v5
	v_add_u32_e32 v1, v3, v6
	v_lshrrev_b32_e32 v1, s43, v1
	v_mul_lo_u32 v8, v1, s47
	v_mul_lo_u32 v6, v5, s48
	;; [unrolled: 1-line block ×4, first 2 shown]
	v_sub_u32_e32 v3, v3, v8
	v_mul_lo_u32 v8, v3, s51
	v_mul_lo_u32 v9, v3, s52
	;; [unrolled: 1-line block ×3, first 2 shown]
	v_add3_u32 v0, v6, v0, v8
	v_add3_u32 v4, v7, v4, v9
	;; [unrolled: 1-line block ×3, first 2 shown]
	s_cbranch_scc0 .LBB93_32
; %bb.33:
	s_bitcmp1_b32 s39, 0
	s_cselect_b64 s[42:43], -1, 0
	s_and_b64 vcc, exec, s[42:43]
	s_cbranch_vccnz .LBB93_37
; %bb.34:
	s_load_dwordx2 s[42:43], s[36:37], 0x1c
	s_load_dword s41, s[36:37], 0x24
	s_load_dwordx2 s[44:45], s[36:37], 0xdc
	s_waitcnt lgkmcnt(0)
	v_mul_hi_u32 v3, s43, v1
	v_add_u32_e32 v3, v1, v3
	v_lshrrev_b32_e32 v3, s41, v3
	v_mul_lo_u32 v3, v3, s42
	s_load_dword s41, s[36:37], 0xe4
	v_sub_u32_e32 v3, v1, v3
	v_mad_u64_u32 v[0:1], s[36:37], v3, s44, v[0:1]
	v_mad_u64_u32 v[4:5], s[36:37], v3, s45, v[4:5]
	s_waitcnt lgkmcnt(0)
	v_mad_u64_u32 v[2:3], s[36:37], v3, s41, v[2:3]
	s_branch .LBB93_37
.LBB93_35:
                                        ; implicit-def: $vgpr0
                                        ; implicit-def: $vgpr4
                                        ; implicit-def: $vgpr2
	s_branch .LBB93_38
.LBB93_36:
	v_mov_b32_e32 v0, 0
	v_mov_b32_e32 v4, 0
	;; [unrolled: 1-line block ×3, first 2 shown]
.LBB93_37:
	s_cbranch_execnz .LBB93_40
.LBB93_38:
	s_waitcnt lgkmcnt(0)
	v_mul_hi_u32 v0, s13, v11
	s_andn2_b64 vcc, exec, s[28:29]
	v_add_u32_e32 v0, v11, v0
	v_lshrrev_b32_e32 v1, s14, v0
	v_mul_lo_u32 v0, v1, s12
	v_sub_u32_e32 v2, v11, v0
	v_mul_lo_u32 v0, v2, s8
	v_mul_lo_u32 v4, v2, s9
	;; [unrolled: 1-line block ×3, first 2 shown]
	s_cbranch_vccnz .LBB93_40
; %bb.39:
	v_mul_hi_u32 v3, s26, v1
	v_add_u32_e32 v3, v1, v3
	v_lshrrev_b32_e32 v3, s27, v3
	v_mul_lo_u32 v3, v3, s15
	v_sub_u32_e32 v3, v1, v3
	v_mad_u64_u32 v[0:1], s[36:37], v3, s11, v[0:1]
	v_mad_u64_u32 v[4:5], s[36:37], v3, s24, v[4:5]
	;; [unrolled: 1-line block ×3, first 2 shown]
.LBB93_40:
	s_waitcnt lgkmcnt(0)
	global_load_dwordx2 v[5:6], v4, s[2:3]
	global_load_dwordx2 v[7:8], v2, s[4:5]
	v_mov_b32_e32 v1, s23
	v_mov_b32_e32 v3, s22
	v_add_u32_e32 v11, 0x80, v11
	s_waitcnt vmcnt(1)
	v_cmp_lt_i64_e32 vcc, s[6:7], v[5:6]
	s_waitcnt vmcnt(0)
	v_cndmask_b32_e32 v2, v1, v8, vcc
	v_cndmask_b32_e32 v1, v3, v7, vcc
	global_store_dwordx2 v0, v[1:2], s[0:1]
	s_or_b64 exec, exec, s[34:35]
	v_cmp_gt_i32_e32 vcc, s40, v11
	s_and_saveexec_b64 s[34:35], vcc
	s_cbranch_execz .LBB93_53
.LBB93_41:
	s_andn2_b64 vcc, exec, s[18:19]
	s_cbranch_vccnz .LBB93_47
; %bb.42:
	s_andn2_b64 vcc, exec, s[30:31]
	s_cbranch_vccnz .LBB93_48
; %bb.43:
	s_add_i32 s30, s39, 1
	s_and_b32 s36, s30, 30
	s_add_u32 s30, s16, 0xffffffe8
	s_addc_u32 s31, s17, -1
	v_mov_b32_e32 v2, 0
	v_mov_b32_e32 v4, 0
	;; [unrolled: 1-line block ×4, first 2 shown]
.LBB93_44:                              ; =>This Inner Loop Header: Depth=1
	s_load_dwordx4 s[40:43], s[30:31], 0x1c
	s_load_dwordx2 s[48:49], s[30:31], 0x2c
	s_load_dwordx2 s[50:51], s[30:31], 0xec
	s_load_dwordx4 s[44:47], s[30:31], 0xdc
	s_add_u32 s30, s30, 24
	s_waitcnt lgkmcnt(0)
	v_mul_hi_u32 v3, s41, v1
	s_addc_u32 s31, s31, 0
	s_add_i32 s36, s36, -2
	s_cmp_eq_u32 s36, 0
	v_add_u32_e32 v3, v1, v3
	v_lshrrev_b32_e32 v3, s42, v3
	v_mul_lo_u32 v5, v3, s40
	v_mul_hi_u32 v6, s48, v3
	v_sub_u32_e32 v5, v1, v5
	v_add_u32_e32 v1, v3, v6
	v_lshrrev_b32_e32 v1, s49, v1
	v_mul_lo_u32 v8, v1, s43
	v_mul_lo_u32 v6, v5, s44
	;; [unrolled: 1-line block ×4, first 2 shown]
	v_sub_u32_e32 v3, v3, v8
	v_mul_lo_u32 v8, v3, s47
	v_mul_lo_u32 v9, v3, s50
	;; [unrolled: 1-line block ×3, first 2 shown]
	v_add3_u32 v0, v6, v0, v8
	v_add3_u32 v4, v7, v4, v9
	;; [unrolled: 1-line block ×3, first 2 shown]
	s_cbranch_scc0 .LBB93_44
; %bb.45:
	s_bitcmp1_b32 s39, 0
	s_cselect_b64 s[36:37], -1, 0
	s_and_b64 vcc, exec, s[36:37]
	s_cbranch_vccnz .LBB93_49
; %bb.46:
	s_load_dwordx2 s[36:37], s[30:31], 0x1c
	s_load_dword s39, s[30:31], 0x24
	s_load_dwordx2 s[40:41], s[30:31], 0xdc
	s_waitcnt lgkmcnt(0)
	v_mul_hi_u32 v3, s37, v1
	v_add_u32_e32 v3, v1, v3
	v_lshrrev_b32_e32 v3, s39, v3
	v_mul_lo_u32 v3, v3, s36
	s_load_dword s36, s[30:31], 0xe4
	v_sub_u32_e32 v3, v1, v3
	v_mad_u64_u32 v[0:1], s[30:31], v3, s40, v[0:1]
	v_mad_u64_u32 v[4:5], s[30:31], v3, s41, v[4:5]
	s_waitcnt lgkmcnt(0)
	v_mad_u64_u32 v[2:3], s[30:31], v3, s36, v[2:3]
	s_branch .LBB93_49
.LBB93_47:
                                        ; implicit-def: $vgpr0
                                        ; implicit-def: $vgpr4
                                        ; implicit-def: $vgpr2
	s_branch .LBB93_50
.LBB93_48:
	v_mov_b32_e32 v0, 0
	v_mov_b32_e32 v4, 0
	;; [unrolled: 1-line block ×3, first 2 shown]
.LBB93_49:
	s_cbranch_execnz .LBB93_52
.LBB93_50:
	s_waitcnt lgkmcnt(0)
	v_mul_hi_u32 v0, s13, v11
	s_andn2_b64 vcc, exec, s[28:29]
	v_add_u32_e32 v0, v11, v0
	v_lshrrev_b32_e32 v1, s14, v0
	v_mul_lo_u32 v0, v1, s12
	v_sub_u32_e32 v2, v11, v0
	v_mul_lo_u32 v0, v2, s8
	v_mul_lo_u32 v4, v2, s9
	;; [unrolled: 1-line block ×3, first 2 shown]
	s_cbranch_vccnz .LBB93_52
; %bb.51:
	v_mul_hi_u32 v3, s26, v1
	v_add_u32_e32 v3, v1, v3
	v_lshrrev_b32_e32 v3, s27, v3
	v_mul_lo_u32 v3, v3, s15
	v_sub_u32_e32 v3, v1, v3
	v_mad_u64_u32 v[0:1], s[8:9], v3, s11, v[0:1]
	v_mad_u64_u32 v[4:5], s[8:9], v3, s24, v[4:5]
	;; [unrolled: 1-line block ×3, first 2 shown]
.LBB93_52:
	s_waitcnt lgkmcnt(0)
	global_load_dwordx2 v[5:6], v4, s[2:3]
	global_load_dwordx2 v[7:8], v2, s[4:5]
	v_mov_b32_e32 v1, s23
	s_waitcnt vmcnt(1)
	v_cmp_lt_i64_e32 vcc, s[6:7], v[5:6]
	s_waitcnt vmcnt(0)
	v_cndmask_b32_e32 v2, v1, v8, vcc
	v_mov_b32_e32 v1, s22
	v_cndmask_b32_e32 v1, v1, v7, vcc
	global_store_dwordx2 v0, v[1:2], s[0:1]
.LBB93_53:
	s_or_b64 exec, exec, s[34:35]
                                        ; implicit-def: $vgpr21
                                        ; implicit-def: $vgpr11
.LBB93_54:
	s_waitcnt lgkmcnt(0)
	s_andn2_saveexec_b64 s[0:1], s[20:21]
	s_cbranch_execz .LBB93_61
; %bb.55:
	v_cndmask_b32_e64 v0, 0, 1, s[18:19]
	v_cmp_ne_u32_e64 s[0:1], 1, v0
	s_andn2_b64 vcc, exec, s[18:19]
	s_cbranch_vccnz .LBB93_62
; %bb.56:
	s_cmp_lg_u32 s33, 0
	s_cbranch_scc0 .LBB93_63
; %bb.57:
	s_min_u32 s4, s38, 15
	s_add_i32 s2, s4, 1
	s_and_b32 s5, s2, 30
	s_add_u32 s2, s16, 0xffffffe8
	s_addc_u32 s3, s17, -1
	v_mov_b32_e32 v2, 0
	v_mov_b32_e32 v4, 0
	;; [unrolled: 1-line block ×4, first 2 shown]
.LBB93_58:                              ; =>This Inner Loop Header: Depth=1
	s_load_dwordx4 s[8:11], s[2:3], 0x1c
	s_load_dwordx2 s[6:7], s[2:3], 0x2c
	s_load_dwordx2 s[18:19], s[2:3], 0xec
	s_load_dwordx4 s[12:15], s[2:3], 0xdc
	s_add_u32 s2, s2, 24
	s_waitcnt lgkmcnt(0)
	v_mul_hi_u32 v3, s9, v1
	s_addc_u32 s3, s3, 0
	s_add_i32 s5, s5, -2
	s_cmp_lg_u32 s5, 0
	v_add_u32_e32 v3, v1, v3
	v_lshrrev_b32_e32 v3, s10, v3
	v_mul_lo_u32 v5, v3, s8
	v_mul_hi_u32 v6, s6, v3
	v_sub_u32_e32 v5, v1, v5
	v_add_u32_e32 v1, v3, v6
	v_lshrrev_b32_e32 v1, s7, v1
	v_mul_lo_u32 v8, v1, s11
	v_mul_lo_u32 v6, v5, s12
	;; [unrolled: 1-line block ×4, first 2 shown]
	v_sub_u32_e32 v3, v3, v8
	v_mul_lo_u32 v8, v3, s15
	v_mul_lo_u32 v9, v3, s18
	;; [unrolled: 1-line block ×3, first 2 shown]
	v_add3_u32 v0, v6, v0, v8
	v_add3_u32 v4, v7, v4, v9
	;; [unrolled: 1-line block ×3, first 2 shown]
	s_cbranch_scc1 .LBB93_58
; %bb.59:
	s_bitcmp1_b32 s4, 0
	s_cselect_b64 s[4:5], -1, 0
	s_and_b64 vcc, exec, s[4:5]
	s_cbranch_vccnz .LBB93_64
; %bb.60:
	s_load_dwordx2 s[4:5], s[2:3], 0x1c
	s_load_dword s8, s[2:3], 0x24
	s_load_dwordx2 s[6:7], s[2:3], 0xdc
	s_waitcnt lgkmcnt(0)
	v_mul_hi_u32 v3, s5, v1
	v_add_u32_e32 v3, v1, v3
	v_lshrrev_b32_e32 v3, s8, v3
	v_mul_lo_u32 v3, v3, s4
	s_load_dword s4, s[2:3], 0xe4
	v_sub_u32_e32 v3, v1, v3
	v_mad_u64_u32 v[0:1], s[2:3], v3, s6, v[0:1]
	v_mad_u64_u32 v[4:5], s[2:3], v3, s7, v[4:5]
	s_waitcnt lgkmcnt(0)
	v_mad_u64_u32 v[2:3], s[2:3], v3, s4, v[2:3]
	s_cbranch_execz .LBB93_65
	s_branch .LBB93_67
.LBB93_61:
	s_endpgm
.LBB93_62:
                                        ; implicit-def: $vgpr0
                                        ; implicit-def: $vgpr4
                                        ; implicit-def: $vgpr2
	s_branch .LBB93_65
.LBB93_63:
	v_mov_b32_e32 v0, 0
	v_mov_b32_e32 v4, 0
	;; [unrolled: 1-line block ×3, first 2 shown]
.LBB93_64:
	s_cbranch_execnz .LBB93_67
.LBB93_65:
	s_load_dwordx4 s[4:7], s[16:17], 0x4
	s_load_dwordx4 s[8:11], s[16:17], 0xc4
	s_cmp_lt_u32 s33, 2
	s_waitcnt lgkmcnt(0)
	v_mul_hi_u32 v0, s5, v11
	v_add_u32_e32 v0, v11, v0
	v_lshrrev_b32_e32 v1, s6, v0
	v_mul_lo_u32 v0, v1, s4
	v_sub_u32_e32 v2, v11, v0
	v_mul_lo_u32 v0, v2, s8
	v_mul_lo_u32 v4, v2, s9
	;; [unrolled: 1-line block ×3, first 2 shown]
	s_cbranch_scc1 .LBB93_67
; %bb.66:
	s_load_dwordx4 s[4:7], s[16:17], 0x10
	s_load_dwordx4 s[8:11], s[16:17], 0xd0
	s_waitcnt lgkmcnt(0)
	v_mul_hi_u32 v3, s5, v1
	v_add_u32_e32 v3, v1, v3
	v_lshrrev_b32_e32 v3, s6, v3
	v_mul_lo_u32 v3, v3, s4
	v_sub_u32_e32 v3, v1, v3
	v_mad_u64_u32 v[0:1], s[2:3], v3, s8, v[0:1]
	v_mad_u64_u32 v[4:5], s[2:3], v3, s9, v[4:5]
	;; [unrolled: 1-line block ×3, first 2 shown]
.LBB93_67:
	s_and_b64 vcc, exec, s[0:1]
	v_add_u32_e32 v1, 0x80, v11
	s_cbranch_vccnz .LBB93_73
; %bb.68:
	s_cmp_lg_u32 s33, 0
	s_cbranch_scc0 .LBB93_74
; %bb.69:
	s_min_u32 s4, s38, 15
	s_add_i32 s2, s4, 1
	s_and_b32 s5, s2, 30
	s_add_u32 s2, s16, 0xffffffe8
	s_addc_u32 s3, s17, -1
	v_mov_b32_e32 v7, 0
	v_mov_b32_e32 v9, 0
	;; [unrolled: 1-line block ×4, first 2 shown]
.LBB93_70:                              ; =>This Inner Loop Header: Depth=1
	s_load_dwordx4 s[8:11], s[2:3], 0x1c
	s_load_dwordx2 s[6:7], s[2:3], 0x2c
	s_load_dwordx2 s[18:19], s[2:3], 0xec
	s_load_dwordx4 s[12:15], s[2:3], 0xdc
	s_add_u32 s2, s2, 24
	s_waitcnt lgkmcnt(0)
	v_mul_hi_u32 v6, s9, v3
	s_addc_u32 s3, s3, 0
	s_add_i32 s5, s5, -2
	s_cmp_lg_u32 s5, 0
	v_add_u32_e32 v6, v3, v6
	v_lshrrev_b32_e32 v6, s10, v6
	v_mul_lo_u32 v8, v6, s8
	v_mul_hi_u32 v10, s6, v6
	v_sub_u32_e32 v8, v3, v8
	v_add_u32_e32 v3, v6, v10
	v_lshrrev_b32_e32 v3, s7, v3
	v_mul_lo_u32 v13, v3, s11
	v_mul_lo_u32 v10, v8, s12
	;; [unrolled: 1-line block ×4, first 2 shown]
	v_sub_u32_e32 v6, v6, v13
	v_mul_lo_u32 v13, v6, s15
	v_mul_lo_u32 v14, v6, s18
	;; [unrolled: 1-line block ×3, first 2 shown]
	v_add3_u32 v5, v10, v5, v13
	v_add3_u32 v9, v12, v9, v14
	;; [unrolled: 1-line block ×3, first 2 shown]
	s_cbranch_scc1 .LBB93_70
; %bb.71:
	s_bitcmp1_b32 s4, 0
	s_cselect_b64 s[4:5], -1, 0
	s_and_b64 vcc, exec, s[4:5]
	s_cbranch_vccnz .LBB93_75
; %bb.72:
	s_load_dwordx2 s[4:5], s[2:3], 0x1c
	s_load_dword s8, s[2:3], 0x24
	s_load_dwordx2 s[6:7], s[2:3], 0xdc
	s_waitcnt lgkmcnt(0)
	v_mul_hi_u32 v6, s5, v3
	v_add_u32_e32 v6, v3, v6
	v_lshrrev_b32_e32 v6, s8, v6
	v_mul_lo_u32 v6, v6, s4
	s_load_dword s4, s[2:3], 0xe4
	v_sub_u32_e32 v3, v3, v6
	v_mad_u64_u32 v[5:6], s[2:3], v3, s6, v[5:6]
	v_mad_u64_u32 v[9:10], s[2:3], v3, s7, v[9:10]
	s_waitcnt lgkmcnt(0)
	v_mad_u64_u32 v[7:8], s[2:3], v3, s4, v[7:8]
	s_cbranch_execz .LBB93_76
	s_branch .LBB93_78
.LBB93_73:
                                        ; implicit-def: $vgpr5
                                        ; implicit-def: $vgpr9
                                        ; implicit-def: $vgpr7
	s_branch .LBB93_76
.LBB93_74:
	v_mov_b32_e32 v5, 0
	v_mov_b32_e32 v9, 0
	;; [unrolled: 1-line block ×3, first 2 shown]
.LBB93_75:
	s_cbranch_execnz .LBB93_78
.LBB93_76:
	s_load_dwordx4 s[4:7], s[16:17], 0x4
	s_load_dwordx4 s[8:11], s[16:17], 0xc4
	s_cmp_lt_u32 s33, 2
	s_waitcnt lgkmcnt(0)
	v_mul_hi_u32 v3, s5, v1
	v_add_u32_e32 v3, v1, v3
	v_lshrrev_b32_e32 v3, s6, v3
	v_mul_lo_u32 v5, v3, s4
	v_sub_u32_e32 v1, v1, v5
	v_mul_lo_u32 v5, v1, s8
	v_mul_lo_u32 v9, v1, s9
	;; [unrolled: 1-line block ×3, first 2 shown]
	s_cbranch_scc1 .LBB93_78
; %bb.77:
	s_load_dwordx4 s[4:7], s[16:17], 0x10
	s_load_dwordx4 s[8:11], s[16:17], 0xd0
	s_waitcnt lgkmcnt(0)
	v_mul_hi_u32 v1, s5, v3
	v_add_u32_e32 v1, v3, v1
	v_lshrrev_b32_e32 v1, s6, v1
	v_mul_lo_u32 v1, v1, s4
	v_sub_u32_e32 v1, v3, v1
	v_mad_u64_u32 v[5:6], s[2:3], v1, s8, v[5:6]
	v_mad_u64_u32 v[9:10], s[2:3], v1, s9, v[9:10]
	;; [unrolled: 1-line block ×3, first 2 shown]
.LBB93_78:
	s_and_b64 vcc, exec, s[0:1]
	v_add_u32_e32 v1, 0x100, v11
	s_cbranch_vccnz .LBB93_84
; %bb.79:
	s_cmp_lg_u32 s33, 0
	s_cbranch_scc0 .LBB93_85
; %bb.80:
	s_min_u32 s4, s38, 15
	s_add_i32 s2, s4, 1
	s_and_b32 s5, s2, 30
	s_add_u32 s2, s16, 0xffffffe8
	s_addc_u32 s3, s17, -1
	v_mov_b32_e32 v12, 0
	v_mov_b32_e32 v14, 0
	;; [unrolled: 1-line block ×4, first 2 shown]
.LBB93_81:                              ; =>This Inner Loop Header: Depth=1
	s_load_dwordx4 s[8:11], s[2:3], 0x1c
	s_load_dwordx2 s[6:7], s[2:3], 0x2c
	s_load_dwordx2 s[18:19], s[2:3], 0xec
	s_load_dwordx4 s[12:15], s[2:3], 0xdc
	s_add_u32 s2, s2, 24
	s_waitcnt lgkmcnt(0)
	v_mul_hi_u32 v6, s9, v3
	s_addc_u32 s3, s3, 0
	s_add_i32 s5, s5, -2
	s_cmp_lg_u32 s5, 0
	v_add_u32_e32 v6, v3, v6
	v_lshrrev_b32_e32 v6, s10, v6
	v_mul_lo_u32 v8, v6, s8
	v_mul_hi_u32 v11, s6, v6
	v_sub_u32_e32 v8, v3, v8
	v_add_u32_e32 v3, v6, v11
	v_lshrrev_b32_e32 v3, s7, v3
	v_mul_lo_u32 v15, v3, s11
	v_mul_lo_u32 v11, v8, s12
	v_mul_lo_u32 v13, v8, s13
	v_mul_lo_u32 v8, v8, s14
	v_sub_u32_e32 v6, v6, v15
	v_mul_lo_u32 v15, v6, s15
	v_mul_lo_u32 v16, v6, s18
	;; [unrolled: 1-line block ×3, first 2 shown]
	v_add3_u32 v10, v11, v10, v15
	v_add3_u32 v14, v13, v14, v16
	;; [unrolled: 1-line block ×3, first 2 shown]
	s_cbranch_scc1 .LBB93_81
; %bb.82:
	s_bitcmp1_b32 s4, 0
	s_cselect_b64 s[4:5], -1, 0
	s_and_b64 vcc, exec, s[4:5]
	s_cbranch_vccnz .LBB93_86
; %bb.83:
	s_load_dwordx2 s[4:5], s[2:3], 0x1c
	s_load_dword s8, s[2:3], 0x24
	s_load_dwordx2 s[6:7], s[2:3], 0xdc
	s_waitcnt lgkmcnt(0)
	v_mul_hi_u32 v6, s5, v3
	v_add_u32_e32 v6, v3, v6
	v_lshrrev_b32_e32 v6, s8, v6
	v_mul_lo_u32 v6, v6, s4
	s_load_dword s4, s[2:3], 0xe4
	v_sub_u32_e32 v3, v3, v6
	v_mad_u64_u32 v[10:11], s[2:3], v3, s6, v[10:11]
	v_mad_u64_u32 v[14:15], s[2:3], v3, s7, v[14:15]
	s_waitcnt lgkmcnt(0)
	v_mad_u64_u32 v[12:13], s[2:3], v3, s4, v[12:13]
	s_cbranch_execz .LBB93_87
	s_branch .LBB93_89
.LBB93_84:
                                        ; implicit-def: $vgpr10
                                        ; implicit-def: $vgpr14
                                        ; implicit-def: $vgpr12
	s_branch .LBB93_87
.LBB93_85:
	v_mov_b32_e32 v10, 0
	v_mov_b32_e32 v14, 0
	;; [unrolled: 1-line block ×3, first 2 shown]
.LBB93_86:
	s_cbranch_execnz .LBB93_89
.LBB93_87:
	s_load_dwordx4 s[4:7], s[16:17], 0x4
	s_load_dwordx4 s[8:11], s[16:17], 0xc4
	s_cmp_lt_u32 s33, 2
	s_waitcnt lgkmcnt(0)
	v_mul_hi_u32 v3, s5, v1
	v_add_u32_e32 v3, v1, v3
	v_lshrrev_b32_e32 v3, s6, v3
	v_mul_lo_u32 v6, v3, s4
	v_sub_u32_e32 v1, v1, v6
	v_mul_lo_u32 v10, v1, s8
	v_mul_lo_u32 v14, v1, s9
	;; [unrolled: 1-line block ×3, first 2 shown]
	s_cbranch_scc1 .LBB93_89
; %bb.88:
	s_load_dwordx4 s[4:7], s[16:17], 0x10
	s_load_dwordx4 s[8:11], s[16:17], 0xd0
	s_waitcnt lgkmcnt(0)
	v_mul_hi_u32 v1, s5, v3
	v_add_u32_e32 v1, v3, v1
	v_lshrrev_b32_e32 v1, s6, v1
	v_mul_lo_u32 v1, v1, s4
	v_sub_u32_e32 v1, v3, v1
	v_mad_u64_u32 v[10:11], s[2:3], v1, s8, v[10:11]
	v_mad_u64_u32 v[14:15], s[2:3], v1, s9, v[14:15]
	;; [unrolled: 1-line block ×3, first 2 shown]
.LBB93_89:
	s_and_b64 vcc, exec, s[0:1]
	s_cbranch_vccnz .LBB93_95
; %bb.90:
	s_cmp_lg_u32 s33, 0
	s_cbranch_scc0 .LBB93_96
; %bb.91:
	s_min_u32 s2, s38, 15
	s_add_i32 s0, s2, 1
	s_and_b32 s3, s0, 30
	s_add_u32 s0, s16, 0xffffffe8
	s_addc_u32 s1, s17, -1
	v_mov_b32_e32 v17, 0
	v_mov_b32_e32 v19, 0
	;; [unrolled: 1-line block ×4, first 2 shown]
.LBB93_92:                              ; =>This Inner Loop Header: Depth=1
	s_load_dwordx4 s[4:7], s[0:1], 0x1c
	s_load_dwordx2 s[12:13], s[0:1], 0x2c
	s_load_dwordx2 s[14:15], s[0:1], 0xec
	s_load_dwordx4 s[8:11], s[0:1], 0xdc
	s_add_u32 s0, s0, 24
	s_waitcnt lgkmcnt(0)
	v_mul_hi_u32 v3, s5, v1
	s_addc_u32 s1, s1, 0
	s_add_i32 s3, s3, -2
	s_cmp_lg_u32 s3, 0
	v_add_u32_e32 v3, v1, v3
	v_lshrrev_b32_e32 v3, s6, v3
	v_mul_lo_u32 v6, v3, s4
	v_mul_hi_u32 v8, s12, v3
	v_sub_u32_e32 v6, v1, v6
	v_add_u32_e32 v1, v3, v8
	v_lshrrev_b32_e32 v1, s13, v1
	v_mul_lo_u32 v13, v1, s7
	v_mul_lo_u32 v8, v6, s8
	;; [unrolled: 1-line block ×4, first 2 shown]
	v_sub_u32_e32 v3, v3, v13
	v_mul_lo_u32 v13, v3, s11
	v_mul_lo_u32 v16, v3, s14
	;; [unrolled: 1-line block ×3, first 2 shown]
	v_add3_u32 v15, v8, v15, v13
	v_add3_u32 v19, v11, v19, v16
	;; [unrolled: 1-line block ×3, first 2 shown]
	s_cbranch_scc1 .LBB93_92
; %bb.93:
	s_bitcmp1_b32 s2, 0
	s_cselect_b64 s[2:3], -1, 0
	s_and_b64 vcc, exec, s[2:3]
	s_cbranch_vccnz .LBB93_97
; %bb.94:
	s_load_dwordx2 s[2:3], s[0:1], 0x1c
	s_load_dword s6, s[0:1], 0x24
	s_load_dwordx2 s[4:5], s[0:1], 0xdc
	s_waitcnt lgkmcnt(0)
	v_mul_hi_u32 v3, s3, v1
	v_add_u32_e32 v3, v1, v3
	v_lshrrev_b32_e32 v3, s6, v3
	v_mul_lo_u32 v3, v3, s2
	s_load_dword s2, s[0:1], 0xe4
	v_sub_u32_e32 v1, v1, v3
	v_mad_u64_u32 v[15:16], s[0:1], v1, s4, v[15:16]
	v_mad_u64_u32 v[19:20], s[0:1], v1, s5, v[19:20]
	s_waitcnt lgkmcnt(0)
	v_mad_u64_u32 v[17:18], s[0:1], v1, s2, v[17:18]
	s_cbranch_execz .LBB93_98
	s_branch .LBB93_100
.LBB93_95:
                                        ; implicit-def: $vgpr15
                                        ; implicit-def: $vgpr19
                                        ; implicit-def: $vgpr17
	s_branch .LBB93_98
.LBB93_96:
	v_mov_b32_e32 v15, 0
	v_mov_b32_e32 v19, 0
	v_mov_b32_e32 v17, 0
.LBB93_97:
	s_cbranch_execnz .LBB93_100
.LBB93_98:
	s_load_dwordx4 s[0:3], s[16:17], 0x4
	s_load_dwordx4 s[4:7], s[16:17], 0xc4
	s_cmp_lt_u32 s33, 2
	s_waitcnt lgkmcnt(0)
	v_mul_hi_u32 v1, s1, v21
	v_add_u32_e32 v1, v21, v1
	v_lshrrev_b32_e32 v1, s2, v1
	v_mul_lo_u32 v3, v1, s0
	v_sub_u32_e32 v3, v21, v3
	v_mul_lo_u32 v15, v3, s4
	v_mul_lo_u32 v19, v3, s5
	;; [unrolled: 1-line block ×3, first 2 shown]
	s_cbranch_scc1 .LBB93_100
; %bb.99:
	s_load_dwordx4 s[0:3], s[16:17], 0x10
	s_load_dwordx4 s[4:7], s[16:17], 0xd0
	s_waitcnt lgkmcnt(0)
	v_mul_hi_u32 v3, s1, v1
	v_add_u32_e32 v3, v1, v3
	v_lshrrev_b32_e32 v3, s2, v3
	v_mul_lo_u32 v3, v3, s0
	v_sub_u32_e32 v1, v1, v3
	v_mad_u64_u32 v[15:16], s[0:1], v1, s4, v[15:16]
	v_mad_u64_u32 v[19:20], s[0:1], v1, s5, v[19:20]
	;; [unrolled: 1-line block ×3, first 2 shown]
.LBB93_100:
	s_load_dwordx8 s[0:7], s[16:17], 0x188
	s_load_dwordx2 s[8:9], s[16:17], 0x1a8
	s_waitcnt lgkmcnt(0)
	global_load_dwordx2 v[20:21], v4, s[2:3]
	global_load_dwordx2 v[22:23], v2, s[4:5]
	v_mov_b32_e32 v13, s9
	v_mov_b32_e32 v16, s8
	s_waitcnt vmcnt(1)
	v_cmp_lt_i64_e32 vcc, s[6:7], v[20:21]
	global_load_dwordx2 v[3:4], v9, s[2:3]
	global_load_dwordx2 v[20:21], v7, s[4:5]
	s_nop 0
	global_load_dwordx2 v[6:7], v14, s[2:3]
	global_load_dwordx2 v[8:9], v12, s[4:5]
	s_waitcnt vmcnt(4)
	v_cndmask_b32_e32 v2, v13, v23, vcc
	v_cndmask_b32_e32 v1, v16, v22, vcc
	s_waitcnt vmcnt(3)
	v_cmp_lt_i64_e32 vcc, s[6:7], v[3:4]
	s_waitcnt vmcnt(2)
	v_cndmask_b32_e32 v4, v13, v21, vcc
	v_cndmask_b32_e32 v3, v16, v20, vcc
	s_waitcnt vmcnt(1)
	v_cmp_lt_i64_e32 vcc, s[6:7], v[6:7]
	s_waitcnt vmcnt(0)
	v_cndmask_b32_e32 v7, v13, v9, vcc
	v_cndmask_b32_e32 v6, v16, v8, vcc
	global_load_dwordx2 v[8:9], v19, s[2:3]
	global_load_dwordx2 v[11:12], v17, s[4:5]
	s_waitcnt vmcnt(1)
	v_cmp_lt_i64_e32 vcc, s[6:7], v[8:9]
	s_waitcnt vmcnt(0)
	v_cndmask_b32_e32 v9, v13, v12, vcc
	v_cndmask_b32_e32 v8, v16, v11, vcc
	global_store_dwordx2 v0, v[1:2], s[0:1]
	global_store_dwordx2 v5, v[3:4], s[0:1]
	;; [unrolled: 1-line block ×4, first 2 shown]
	s_endpgm
	.section	.rodata,"a",@progbits
	.p2align	6, 0x0
	.amdhsa_kernel _ZN2at6native32elementwise_kernel_manual_unrollILi128ELi4EZNS0_22gpu_kernel_impl_nocastINS0_13BinaryFunctorIlllZNS0_12_GLOBAL__N_121threshold_kernel_implIlEEvRNS_18TensorIteratorBaseET_S8_EUlllE_EEEEvS7_RKS8_EUlibE_EEviT1_
		.amdhsa_group_segment_fixed_size 0
		.amdhsa_private_segment_fixed_size 0
		.amdhsa_kernarg_size 440
		.amdhsa_user_sgpr_count 6
		.amdhsa_user_sgpr_private_segment_buffer 1
		.amdhsa_user_sgpr_dispatch_ptr 0
		.amdhsa_user_sgpr_queue_ptr 0
		.amdhsa_user_sgpr_kernarg_segment_ptr 1
		.amdhsa_user_sgpr_dispatch_id 0
		.amdhsa_user_sgpr_flat_scratch_init 0
		.amdhsa_user_sgpr_private_segment_size 0
		.amdhsa_uses_dynamic_stack 0
		.amdhsa_system_sgpr_private_segment_wavefront_offset 0
		.amdhsa_system_sgpr_workgroup_id_x 1
		.amdhsa_system_sgpr_workgroup_id_y 0
		.amdhsa_system_sgpr_workgroup_id_z 0
		.amdhsa_system_sgpr_workgroup_info 0
		.amdhsa_system_vgpr_workitem_id 0
		.amdhsa_next_free_vgpr 24
		.amdhsa_next_free_sgpr 54
		.amdhsa_reserve_vcc 1
		.amdhsa_reserve_flat_scratch 0
		.amdhsa_float_round_mode_32 0
		.amdhsa_float_round_mode_16_64 0
		.amdhsa_float_denorm_mode_32 3
		.amdhsa_float_denorm_mode_16_64 3
		.amdhsa_dx10_clamp 1
		.amdhsa_ieee_mode 1
		.amdhsa_fp16_overflow 0
		.amdhsa_exception_fp_ieee_invalid_op 0
		.amdhsa_exception_fp_denorm_src 0
		.amdhsa_exception_fp_ieee_div_zero 0
		.amdhsa_exception_fp_ieee_overflow 0
		.amdhsa_exception_fp_ieee_underflow 0
		.amdhsa_exception_fp_ieee_inexact 0
		.amdhsa_exception_int_div_zero 0
	.end_amdhsa_kernel
	.section	.text._ZN2at6native32elementwise_kernel_manual_unrollILi128ELi4EZNS0_22gpu_kernel_impl_nocastINS0_13BinaryFunctorIlllZNS0_12_GLOBAL__N_121threshold_kernel_implIlEEvRNS_18TensorIteratorBaseET_S8_EUlllE_EEEEvS7_RKS8_EUlibE_EEviT1_,"axG",@progbits,_ZN2at6native32elementwise_kernel_manual_unrollILi128ELi4EZNS0_22gpu_kernel_impl_nocastINS0_13BinaryFunctorIlllZNS0_12_GLOBAL__N_121threshold_kernel_implIlEEvRNS_18TensorIteratorBaseET_S8_EUlllE_EEEEvS7_RKS8_EUlibE_EEviT1_,comdat
.Lfunc_end93:
	.size	_ZN2at6native32elementwise_kernel_manual_unrollILi128ELi4EZNS0_22gpu_kernel_impl_nocastINS0_13BinaryFunctorIlllZNS0_12_GLOBAL__N_121threshold_kernel_implIlEEvRNS_18TensorIteratorBaseET_S8_EUlllE_EEEEvS7_RKS8_EUlibE_EEviT1_, .Lfunc_end93-_ZN2at6native32elementwise_kernel_manual_unrollILi128ELi4EZNS0_22gpu_kernel_impl_nocastINS0_13BinaryFunctorIlllZNS0_12_GLOBAL__N_121threshold_kernel_implIlEEvRNS_18TensorIteratorBaseET_S8_EUlllE_EEEEvS7_RKS8_EUlibE_EEviT1_
                                        ; -- End function
	.set _ZN2at6native32elementwise_kernel_manual_unrollILi128ELi4EZNS0_22gpu_kernel_impl_nocastINS0_13BinaryFunctorIlllZNS0_12_GLOBAL__N_121threshold_kernel_implIlEEvRNS_18TensorIteratorBaseET_S8_EUlllE_EEEEvS7_RKS8_EUlibE_EEviT1_.num_vgpr, 24
	.set _ZN2at6native32elementwise_kernel_manual_unrollILi128ELi4EZNS0_22gpu_kernel_impl_nocastINS0_13BinaryFunctorIlllZNS0_12_GLOBAL__N_121threshold_kernel_implIlEEvRNS_18TensorIteratorBaseET_S8_EUlllE_EEEEvS7_RKS8_EUlibE_EEviT1_.num_agpr, 0
	.set _ZN2at6native32elementwise_kernel_manual_unrollILi128ELi4EZNS0_22gpu_kernel_impl_nocastINS0_13BinaryFunctorIlllZNS0_12_GLOBAL__N_121threshold_kernel_implIlEEvRNS_18TensorIteratorBaseET_S8_EUlllE_EEEEvS7_RKS8_EUlibE_EEviT1_.numbered_sgpr, 54
	.set _ZN2at6native32elementwise_kernel_manual_unrollILi128ELi4EZNS0_22gpu_kernel_impl_nocastINS0_13BinaryFunctorIlllZNS0_12_GLOBAL__N_121threshold_kernel_implIlEEvRNS_18TensorIteratorBaseET_S8_EUlllE_EEEEvS7_RKS8_EUlibE_EEviT1_.num_named_barrier, 0
	.set _ZN2at6native32elementwise_kernel_manual_unrollILi128ELi4EZNS0_22gpu_kernel_impl_nocastINS0_13BinaryFunctorIlllZNS0_12_GLOBAL__N_121threshold_kernel_implIlEEvRNS_18TensorIteratorBaseET_S8_EUlllE_EEEEvS7_RKS8_EUlibE_EEviT1_.private_seg_size, 0
	.set _ZN2at6native32elementwise_kernel_manual_unrollILi128ELi4EZNS0_22gpu_kernel_impl_nocastINS0_13BinaryFunctorIlllZNS0_12_GLOBAL__N_121threshold_kernel_implIlEEvRNS_18TensorIteratorBaseET_S8_EUlllE_EEEEvS7_RKS8_EUlibE_EEviT1_.uses_vcc, 1
	.set _ZN2at6native32elementwise_kernel_manual_unrollILi128ELi4EZNS0_22gpu_kernel_impl_nocastINS0_13BinaryFunctorIlllZNS0_12_GLOBAL__N_121threshold_kernel_implIlEEvRNS_18TensorIteratorBaseET_S8_EUlllE_EEEEvS7_RKS8_EUlibE_EEviT1_.uses_flat_scratch, 0
	.set _ZN2at6native32elementwise_kernel_manual_unrollILi128ELi4EZNS0_22gpu_kernel_impl_nocastINS0_13BinaryFunctorIlllZNS0_12_GLOBAL__N_121threshold_kernel_implIlEEvRNS_18TensorIteratorBaseET_S8_EUlllE_EEEEvS7_RKS8_EUlibE_EEviT1_.has_dyn_sized_stack, 0
	.set _ZN2at6native32elementwise_kernel_manual_unrollILi128ELi4EZNS0_22gpu_kernel_impl_nocastINS0_13BinaryFunctorIlllZNS0_12_GLOBAL__N_121threshold_kernel_implIlEEvRNS_18TensorIteratorBaseET_S8_EUlllE_EEEEvS7_RKS8_EUlibE_EEviT1_.has_recursion, 0
	.set _ZN2at6native32elementwise_kernel_manual_unrollILi128ELi4EZNS0_22gpu_kernel_impl_nocastINS0_13BinaryFunctorIlllZNS0_12_GLOBAL__N_121threshold_kernel_implIlEEvRNS_18TensorIteratorBaseET_S8_EUlllE_EEEEvS7_RKS8_EUlibE_EEviT1_.has_indirect_call, 0
	.section	.AMDGPU.csdata,"",@progbits
; Kernel info:
; codeLenInByte = 4816
; TotalNumSgprs: 58
; NumVgprs: 24
; ScratchSize: 0
; MemoryBound: 0
; FloatMode: 240
; IeeeMode: 1
; LDSByteSize: 0 bytes/workgroup (compile time only)
; SGPRBlocks: 7
; VGPRBlocks: 5
; NumSGPRsForWavesPerEU: 58
; NumVGPRsForWavesPerEU: 24
; Occupancy: 10
; WaveLimiterHint : 1
; COMPUTE_PGM_RSRC2:SCRATCH_EN: 0
; COMPUTE_PGM_RSRC2:USER_SGPR: 6
; COMPUTE_PGM_RSRC2:TRAP_HANDLER: 0
; COMPUTE_PGM_RSRC2:TGID_X_EN: 1
; COMPUTE_PGM_RSRC2:TGID_Y_EN: 0
; COMPUTE_PGM_RSRC2:TGID_Z_EN: 0
; COMPUTE_PGM_RSRC2:TIDIG_COMP_CNT: 0
	.section	.text._ZN2at6native32elementwise_kernel_manual_unrollILi128ELi4EZNS0_15gpu_kernel_implINS0_13BinaryFunctorIlllZNS0_12_GLOBAL__N_121threshold_kernel_implIlEEvRNS_18TensorIteratorBaseET_S8_EUlllE_EEEEvS7_RKS8_EUlibE_EEviT1_,"axG",@progbits,_ZN2at6native32elementwise_kernel_manual_unrollILi128ELi4EZNS0_15gpu_kernel_implINS0_13BinaryFunctorIlllZNS0_12_GLOBAL__N_121threshold_kernel_implIlEEvRNS_18TensorIteratorBaseET_S8_EUlllE_EEEEvS7_RKS8_EUlibE_EEviT1_,comdat
	.globl	_ZN2at6native32elementwise_kernel_manual_unrollILi128ELi4EZNS0_15gpu_kernel_implINS0_13BinaryFunctorIlllZNS0_12_GLOBAL__N_121threshold_kernel_implIlEEvRNS_18TensorIteratorBaseET_S8_EUlllE_EEEEvS7_RKS8_EUlibE_EEviT1_ ; -- Begin function _ZN2at6native32elementwise_kernel_manual_unrollILi128ELi4EZNS0_15gpu_kernel_implINS0_13BinaryFunctorIlllZNS0_12_GLOBAL__N_121threshold_kernel_implIlEEvRNS_18TensorIteratorBaseET_S8_EUlllE_EEEEvS7_RKS8_EUlibE_EEviT1_
	.p2align	8
	.type	_ZN2at6native32elementwise_kernel_manual_unrollILi128ELi4EZNS0_15gpu_kernel_implINS0_13BinaryFunctorIlllZNS0_12_GLOBAL__N_121threshold_kernel_implIlEEvRNS_18TensorIteratorBaseET_S8_EUlllE_EEEEvS7_RKS8_EUlibE_EEviT1_,@function
_ZN2at6native32elementwise_kernel_manual_unrollILi128ELi4EZNS0_15gpu_kernel_implINS0_13BinaryFunctorIlllZNS0_12_GLOBAL__N_121threshold_kernel_implIlEEvRNS_18TensorIteratorBaseET_S8_EUlllE_EEEEvS7_RKS8_EUlibE_EEviT1_: ; @_ZN2at6native32elementwise_kernel_manual_unrollILi128ELi4EZNS0_15gpu_kernel_implINS0_13BinaryFunctorIlllZNS0_12_GLOBAL__N_121threshold_kernel_implIlEEvRNS_18TensorIteratorBaseET_S8_EUlllE_EEEEvS7_RKS8_EUlibE_EEviT1_
; %bb.0:
	s_load_dword s33, s[4:5], 0x40
	s_load_dword s52, s[4:5], 0x0
	s_load_dwordx4 s[16:19], s[4:5], 0x8
	s_load_dwordx2 s[2:3], s[4:5], 0x18
	s_load_dwordx8 s[8:15], s[4:5], 0x20
	v_lshl_or_b32 v18, s6, 9, v0
	v_or_b32_e32 v0, 0x180, v18
	s_waitcnt lgkmcnt(0)
	s_lshr_b32 s58, s33, 8
	s_lshr_b32 s11, s33, 16
	v_cmp_le_i32_e32 vcc, s52, v0
	s_mov_b64 s[4:5], 0
	s_mov_b64 s[20:21], 0
	s_and_saveexec_b64 s[0:1], vcc
	s_xor_b64 s[6:7], exec, s[0:1]
	s_cbranch_execz .LBB94_1512
; %bb.1:
	v_cmp_gt_i32_e32 vcc, s52, v18
	s_mov_b64 s[0:1], -1
	s_mov_b64 s[30:31], 0
	s_mov_b64 s[24:25], 0
	s_mov_b64 s[22:23], 0
	s_and_saveexec_b64 s[26:27], vcc
	s_cbranch_execz .LBB94_375
; %bb.2:
	v_mul_lo_u32 v0, v18, s9
	v_mov_b32_e32 v1, s19
	s_and_b32 s22, s58, 0xff
	s_cmp_lt_i32 s22, 11
	v_ashrrev_i32_e32 v3, 31, v0
	v_add_co_u32_e32 v2, vcc, s18, v0
	v_addc_co_u32_e32 v3, vcc, v1, v3, vcc
	s_cbranch_scc1 .LBB94_9
; %bb.3:
	s_and_b32 s23, 0xffff, s22
	s_cmp_gt_i32 s23, 25
	s_cbranch_scc0 .LBB94_18
; %bb.4:
	s_cmp_gt_i32 s23, 28
	s_cbranch_scc0 .LBB94_28
; %bb.5:
	;; [unrolled: 3-line block ×4, first 2 shown]
	s_cmp_eq_u32 s23, 46
	s_cbranch_scc0 .LBB94_37
; %bb.8:
	global_load_dword v0, v[2:3], off
	s_mov_b32 s0, 0x2f800000
	s_mov_b32 s1, 0xcf800000
	s_waitcnt vmcnt(0)
	v_lshlrev_b32_e32 v0, 16, v0
	v_trunc_f32_e32 v0, v0
	v_mul_f32_e64 v1, |v0|, s0
	v_floor_f32_e32 v1, v1
	v_fma_f32 v4, v1, s1, |v0|
	v_cvt_u32_f32_e32 v4, v4
	v_cvt_u32_f32_e32 v1, v1
	v_ashrrev_i32_e32 v5, 31, v0
	s_mov_b64 s[0:1], -1
	v_xor_b32_e32 v0, v4, v5
	v_xor_b32_e32 v1, v1, v5
	v_sub_co_u32_e32 v0, vcc, v0, v5
	v_subb_co_u32_e32 v1, vcc, v1, v5, vcc
	s_branch .LBB94_39
.LBB94_9:
                                        ; implicit-def: $vgpr0_vgpr1
	s_mov_b64 s[0:1], 0
	s_cbranch_execnz .LBB94_101
.LBB94_10:
	s_andn2_b64 vcc, exec, s[0:1]
	s_cbranch_vccnz .LBB94_148
.LBB94_11:
	v_mul_lo_u32 v2, v18, s10
	v_mov_b32_e32 v3, s3
	s_and_b32 s28, s11, 0xff
	s_cmp_lt_i32 s28, 11
	v_ashrrev_i32_e32 v4, 31, v2
	v_add_co_u32_e32 v2, vcc, s2, v2
	v_addc_co_u32_e32 v3, vcc, v3, v4, vcc
	s_cbranch_scc1 .LBB94_19
; %bb.12:
	s_and_b32 s29, 0xffff, s28
	s_cmp_gt_i32 s29, 25
	s_cbranch_scc0 .LBB94_29
; %bb.13:
	s_cmp_gt_i32 s29, 28
	s_cbranch_scc0 .LBB94_32
; %bb.14:
	;; [unrolled: 3-line block ×4, first 2 shown]
	s_cmp_eq_u32 s29, 46
	s_mov_b64 s[20:21], 0
	s_cbranch_scc0 .LBB94_149
; %bb.17:
	global_load_dword v4, v[2:3], off
	s_mov_b32 s0, 0x2f800000
	s_mov_b32 s1, 0xcf800000
	s_mov_b64 s[22:23], 0
	s_waitcnt vmcnt(0)
	v_lshlrev_b32_e32 v4, 16, v4
	v_trunc_f32_e32 v4, v4
	v_mul_f32_e64 v5, |v4|, s0
	v_floor_f32_e32 v5, v5
	v_fma_f32 v6, v5, s1, |v4|
	v_cvt_u32_f32_e32 v6, v6
	v_cvt_u32_f32_e32 v5, v5
	v_ashrrev_i32_e32 v7, 31, v4
	s_mov_b64 s[0:1], -1
	v_xor_b32_e32 v4, v6, v7
	v_xor_b32_e32 v5, v5, v7
	v_sub_co_u32_e32 v4, vcc, v4, v7
	v_subb_co_u32_e32 v5, vcc, v5, v7, vcc
	s_branch .LBB94_151
.LBB94_18:
	s_mov_b64 s[0:1], 0
                                        ; implicit-def: $vgpr0_vgpr1
	s_cbranch_execnz .LBB94_70
	s_branch .LBB94_100
.LBB94_19:
	s_mov_b64 s[22:23], 0
                                        ; implicit-def: $vgpr4_vgpr5
	s_mov_b64 s[0:1], 0
	s_cbranch_execnz .LBB94_324
.LBB94_20:
	s_andn2_b64 vcc, exec, s[0:1]
	s_cbranch_vccnz .LBB94_372
.LBB94_21:
	v_mul_lo_u32 v3, v18, s8
	s_waitcnt vmcnt(0)
	v_cmp_lt_i64_e32 vcc, s[12:13], v[0:1]
	v_mov_b32_e32 v2, s15
	v_mov_b32_e32 v0, s14
	v_cndmask_b32_e32 v1, v2, v5, vcc
	v_cndmask_b32_e32 v0, v0, v4, vcc
	v_ashrrev_i32_e32 v4, 31, v3
	v_mov_b32_e32 v5, s17
	s_and_b32 s36, s33, 0xff
	v_add_co_u32_e32 v2, vcc, s16, v3
	s_cmp_lt_i32 s36, 11
	v_addc_co_u32_e32 v3, vcc, v5, v4, vcc
	s_cbranch_scc1 .LBB94_30
; %bb.22:
	s_and_b32 s37, 0xffff, s36
	s_cmp_gt_i32 s37, 25
	s_cbranch_scc0 .LBB94_33
; %bb.23:
	s_cmp_gt_i32 s37, 28
	s_cbranch_scc0 .LBB94_36
; %bb.24:
	;; [unrolled: 3-line block ×4, first 2 shown]
	s_mov_b64 s[28:29], 0
	s_mov_b64 s[0:1], -1
	s_cmp_eq_u32 s37, 46
	s_mov_b64 s[20:21], 0
	s_cbranch_scc0 .LBB94_155
; %bb.27:
	v_xor_b32_e32 v5, v0, v1
	v_ffbh_i32_e32 v4, v1
	v_ashrrev_i32_e32 v5, 31, v5
	v_add_u32_e32 v4, -1, v4
	v_add_u32_e32 v5, 32, v5
	v_min_u32_e32 v6, v4, v5
	v_lshlrev_b64 v[4:5], v6, v[0:1]
	s_movk_i32 s0, 0x7fff
	v_min_u32_e32 v4, 1, v4
	v_or_b32_e32 v4, v5, v4
	v_cvt_f32_i32_e32 v4, v4
	v_sub_u32_e32 v5, 32, v6
	s_mov_b64 s[20:21], -1
	v_ldexp_f32 v4, v4, v5
	v_bfe_u32 v5, v4, 16, 1
	v_add3_u32 v4, v4, v5, s0
	v_lshrrev_b32_e32 v4, 16, v4
	global_store_dword v[2:3], v4, off
	s_mov_b64 s[0:1], 0
	s_branch .LBB94_155
.LBB94_28:
	s_mov_b64 s[20:21], -1
	s_mov_b64 s[0:1], 0
                                        ; implicit-def: $vgpr0_vgpr1
	s_branch .LBB94_51
.LBB94_29:
	s_mov_b64 s[20:21], -1
	s_mov_b64 s[22:23], 0
	s_mov_b64 s[0:1], 0
                                        ; implicit-def: $vgpr4_vgpr5
	s_branch .LBB94_292
.LBB94_30:
	s_mov_b64 s[28:29], -1
	s_mov_b64 s[0:1], 0
	s_mov_b64 s[20:21], 0
	s_branch .LBB94_224
.LBB94_31:
	s_mov_b64 s[20:21], -1
	s_mov_b64 s[0:1], 0
                                        ; implicit-def: $vgpr0_vgpr1
	s_branch .LBB94_46
.LBB94_32:
	s_mov_b64 s[20:21], -1
	s_mov_b64 s[22:23], 0
	s_mov_b64 s[0:1], 0
                                        ; implicit-def: $vgpr4_vgpr5
	s_branch .LBB94_273
.LBB94_33:
	s_mov_b64 s[28:29], -1
	s_mov_b64 s[0:1], 0
	s_mov_b64 s[20:21], 0
	s_branch .LBB94_182
.LBB94_34:
	s_mov_b64 s[20:21], -1
	s_branch .LBB94_38
.LBB94_35:
	s_mov_b64 s[20:21], -1
	s_mov_b64 s[22:23], 0
	s_mov_b64 s[0:1], 0
                                        ; implicit-def: $vgpr4_vgpr5
	s_branch .LBB94_268
.LBB94_36:
	s_mov_b64 s[28:29], -1
	s_mov_b64 s[0:1], 0
	s_mov_b64 s[20:21], 0
	s_branch .LBB94_165
.LBB94_37:
	s_mov_b64 s[24:25], -1
.LBB94_38:
	s_mov_b64 s[0:1], 0
                                        ; implicit-def: $vgpr0_vgpr1
.LBB94_39:
	s_and_b64 vcc, exec, s[20:21]
	s_cbranch_vccz .LBB94_45
; %bb.40:
	s_cmp_eq_u32 s23, 44
	s_cbranch_scc0 .LBB94_44
; %bb.41:
	global_load_ubyte v0, v[2:3], off
	s_mov_b32 s0, 0x2f800000
	s_mov_b32 s1, 0xcf800000
	s_mov_b64 s[24:25], 0
	s_waitcnt vmcnt(0)
	v_lshlrev_b32_e32 v1, 23, v0
	v_trunc_f32_e32 v1, v1
	v_mul_f32_e64 v4, |v1|, s0
	v_floor_f32_e32 v4, v4
	v_fma_f32 v5, v4, s1, |v1|
	v_cvt_u32_f32_e32 v5, v5
	v_cvt_u32_f32_e32 v4, v4
	v_ashrrev_i32_e32 v1, 31, v1
	s_mov_b64 s[0:1], -1
	v_xor_b32_e32 v5, v5, v1
	v_xor_b32_e32 v4, v4, v1
	v_sub_co_u32_e32 v5, vcc, v5, v1
	v_subb_co_u32_e32 v1, vcc, v4, v1, vcc
	v_cmp_ne_u32_e32 vcc, 0, v0
	v_cndmask_b32_e32 v1, 0, v1, vcc
	v_cndmask_b32_e32 v0, 0, v5, vcc
	s_branch .LBB94_45
.LBB94_42:
	s_mov_b64 s[20:21], -1
	s_mov_b64 s[22:23], 0
	s_branch .LBB94_150
.LBB94_43:
	s_mov_b64 s[28:29], -1
	s_mov_b64 s[0:1], 0
	s_mov_b64 s[20:21], 0
	s_branch .LBB94_161
.LBB94_44:
	s_mov_b64 s[24:25], -1
                                        ; implicit-def: $vgpr0_vgpr1
.LBB94_45:
	s_mov_b64 s[20:21], 0
.LBB94_46:
	s_and_b64 vcc, exec, s[20:21]
	s_cbranch_vccz .LBB94_50
; %bb.47:
	s_cmp_eq_u32 s23, 29
	s_cbranch_scc0 .LBB94_49
; %bb.48:
	global_load_dwordx2 v[0:1], v[2:3], off
	s_mov_b64 s[0:1], -1
	s_mov_b64 s[24:25], 0
	s_branch .LBB94_50
.LBB94_49:
	s_mov_b64 s[24:25], -1
                                        ; implicit-def: $vgpr0_vgpr1
.LBB94_50:
	s_mov_b64 s[20:21], 0
.LBB94_51:
	s_and_b64 vcc, exec, s[20:21]
	s_cbranch_vccz .LBB94_69
; %bb.52:
	s_cmp_lt_i32 s23, 27
	s_cbranch_scc1 .LBB94_55
; %bb.53:
	s_cmp_gt_i32 s23, 27
	s_cbranch_scc0 .LBB94_56
; %bb.54:
	global_load_dword v0, v[2:3], off
	s_waitcnt vmcnt(1)
	v_mov_b32_e32 v1, 0
	s_mov_b64 s[0:1], 0
	s_branch .LBB94_57
.LBB94_55:
	s_mov_b64 s[0:1], -1
                                        ; implicit-def: $vgpr0_vgpr1
	s_branch .LBB94_60
.LBB94_56:
	s_mov_b64 s[0:1], -1
                                        ; implicit-def: $vgpr0_vgpr1
.LBB94_57:
	s_andn2_b64 vcc, exec, s[0:1]
	s_cbranch_vccnz .LBB94_59
; %bb.58:
	global_load_ushort v0, v[2:3], off
	s_mov_b32 s0, 0
	s_waitcnt vmcnt(1)
	v_mov_b32_e32 v1, s0
	s_waitcnt vmcnt(0)
	v_and_b32_e32 v0, 0xffff, v0
.LBB94_59:
	s_mov_b64 s[0:1], 0
.LBB94_60:
	s_andn2_b64 vcc, exec, s[0:1]
	s_cbranch_vccnz .LBB94_68
; %bb.61:
	global_load_ubyte v4, v[2:3], off
	s_movk_i32 s0, 0x7f
	s_mov_b64 s[20:21], 0
	s_waitcnt vmcnt(0)
	v_cmp_lt_i16_e32 vcc, s0, v4
	s_and_saveexec_b64 s[0:1], vcc
	s_xor_b64 s[0:1], exec, s[0:1]
; %bb.62:
	s_movk_i32 s20, 0x80
	v_cmp_ne_u16_e32 vcc, s20, v4
	s_and_b64 s[20:21], vcc, exec
; %bb.63:
	s_andn2_saveexec_b64 s[0:1], s[0:1]
; %bb.64:
	v_cmp_ne_u16_e32 vcc, 0, v4
	s_andn2_b64 s[20:21], s[20:21], exec
	s_and_b64 s[28:29], vcc, exec
	s_or_b64 s[20:21], s[20:21], s[28:29]
; %bb.65:
	s_or_b64 exec, exec, s[0:1]
	v_mov_b32_e32 v0, 0
	v_mov_b32_e32 v1, 0
	s_and_saveexec_b64 s[0:1], s[20:21]
	s_cbranch_execz .LBB94_67
; %bb.66:
	v_and_b32_e32 v1, 0xffff, v4
	v_lshlrev_b32_e32 v0, 24, v4
	v_and_b32_e32 v4, 7, v1
	v_ffbh_u32_e32 v6, v4
	v_min_u32_e32 v6, 32, v6
	v_subrev_u32_e32 v7, 28, v6
	v_bfe_u32 v5, v1, 3, 4
	v_lshlrev_b32_e32 v1, v7, v1
	v_sub_u32_e32 v6, 29, v6
	v_and_b32_e32 v1, 7, v1
	v_cmp_eq_u32_e32 vcc, 0, v5
	v_cndmask_b32_e32 v5, v5, v6, vcc
	v_cndmask_b32_e32 v1, v4, v1, vcc
	v_mov_b32_e32 v4, 0x3b800000
	v_lshlrev_b32_e32 v1, 20, v1
	v_and_b32_e32 v0, 0x80000000, v0
	v_lshl_add_u32 v4, v5, 23, v4
	v_or3_b32 v0, v0, v4, v1
	v_trunc_f32_e32 v0, v0
	s_mov_b32 s20, 0x2f800000
	v_mul_f32_e64 v1, |v0|, s20
	v_floor_f32_e32 v1, v1
	s_mov_b32 s20, 0xcf800000
	v_fma_f32 v4, v1, s20, |v0|
	v_cvt_u32_f32_e32 v4, v4
	v_cvt_u32_f32_e32 v1, v1
	v_ashrrev_i32_e32 v5, 31, v0
	v_xor_b32_e32 v0, v4, v5
	v_xor_b32_e32 v1, v1, v5
	v_sub_co_u32_e32 v0, vcc, v0, v5
	v_subb_co_u32_e32 v1, vcc, v1, v5, vcc
.LBB94_67:
	s_or_b64 exec, exec, s[0:1]
.LBB94_68:
	s_mov_b64 s[0:1], -1
.LBB94_69:
	s_branch .LBB94_100
.LBB94_70:
	s_cmp_gt_i32 s23, 22
	s_cbranch_scc0 .LBB94_80
; %bb.71:
	s_cmp_lt_i32 s23, 24
	s_cbranch_scc1 .LBB94_81
; %bb.72:
	s_cmp_gt_i32 s23, 24
	s_cbranch_scc0 .LBB94_82
; %bb.73:
	global_load_ubyte v4, v[2:3], off
	s_movk_i32 s0, 0x7f
	s_mov_b64 s[20:21], 0
	s_waitcnt vmcnt(0)
	v_cmp_lt_i16_e32 vcc, s0, v4
	s_and_saveexec_b64 s[0:1], vcc
	s_xor_b64 s[0:1], exec, s[0:1]
; %bb.74:
	s_movk_i32 s20, 0x80
	v_cmp_ne_u16_e32 vcc, s20, v4
	s_and_b64 s[20:21], vcc, exec
; %bb.75:
	s_andn2_saveexec_b64 s[0:1], s[0:1]
; %bb.76:
	v_cmp_ne_u16_e32 vcc, 0, v4
	s_andn2_b64 s[20:21], s[20:21], exec
	s_and_b64 s[28:29], vcc, exec
	s_or_b64 s[20:21], s[20:21], s[28:29]
; %bb.77:
	s_or_b64 exec, exec, s[0:1]
	v_mov_b32_e32 v0, 0
	v_mov_b32_e32 v1, 0
	s_and_saveexec_b64 s[0:1], s[20:21]
	s_cbranch_execz .LBB94_79
; %bb.78:
	v_and_b32_e32 v1, 0xffff, v4
	v_lshlrev_b32_e32 v0, 24, v4
	v_and_b32_e32 v4, 3, v1
	v_ffbh_u32_e32 v6, v4
	v_min_u32_e32 v6, 32, v6
	v_subrev_u32_e32 v7, 29, v6
	v_bfe_u32 v5, v1, 2, 5
	v_lshlrev_b32_e32 v1, v7, v1
	v_sub_u32_e32 v6, 30, v6
	v_and_b32_e32 v1, 3, v1
	v_cmp_eq_u32_e32 vcc, 0, v5
	v_cndmask_b32_e32 v5, v5, v6, vcc
	v_cndmask_b32_e32 v1, v4, v1, vcc
	v_mov_b32_e32 v4, 0x37800000
	v_lshlrev_b32_e32 v1, 21, v1
	v_and_b32_e32 v0, 0x80000000, v0
	v_lshl_add_u32 v4, v5, 23, v4
	v_or3_b32 v0, v0, v4, v1
	v_trunc_f32_e32 v0, v0
	s_mov_b32 s20, 0x2f800000
	v_mul_f32_e64 v1, |v0|, s20
	v_floor_f32_e32 v1, v1
	s_mov_b32 s20, 0xcf800000
	v_fma_f32 v4, v1, s20, |v0|
	v_cvt_u32_f32_e32 v4, v4
	v_cvt_u32_f32_e32 v1, v1
	v_ashrrev_i32_e32 v5, 31, v0
	v_xor_b32_e32 v0, v4, v5
	v_xor_b32_e32 v1, v1, v5
	v_sub_co_u32_e32 v0, vcc, v0, v5
	v_subb_co_u32_e32 v1, vcc, v1, v5, vcc
.LBB94_79:
	s_or_b64 exec, exec, s[0:1]
	s_mov_b64 s[0:1], 0
	s_branch .LBB94_83
.LBB94_80:
	s_mov_b64 s[20:21], -1
                                        ; implicit-def: $vgpr0_vgpr1
	s_branch .LBB94_89
.LBB94_81:
	s_mov_b64 s[0:1], -1
                                        ; implicit-def: $vgpr0_vgpr1
	s_branch .LBB94_86
.LBB94_82:
	s_mov_b64 s[0:1], -1
                                        ; implicit-def: $vgpr0_vgpr1
.LBB94_83:
	s_and_b64 vcc, exec, s[0:1]
	s_cbranch_vccz .LBB94_85
; %bb.84:
	global_load_ubyte v0, v[2:3], off
	s_mov_b32 s0, 0x7f800000
	s_brev_b32 s1, 1
	s_mov_b32 s20, 0x2f800000
	s_mov_b32 s21, 0xcf800000
	s_waitcnt vmcnt(0)
	v_lshlrev_b32_e32 v0, 24, v0
	v_and_b32_e32 v1, 0x7f000000, v0
	v_ffbh_u32_e32 v4, v1
	v_min_u32_e32 v4, 32, v4
	v_sub_u32_e64 v4, v4, 4 clamp
	v_lshlrev_b32_e32 v6, v4, v1
	v_lshlrev_b32_e32 v4, 23, v4
	v_lshrrev_b32_e32 v6, 4, v6
	v_add_u32_e32 v5, 0x1000000, v1
	v_sub_u32_e32 v4, v6, v4
	v_ashrrev_i32_e32 v5, 8, v5
	v_add_u32_e32 v4, 0x3c000000, v4
	v_and_or_b32 v4, v5, s0, v4
	v_cmp_ne_u32_e32 vcc, 0, v1
	v_cndmask_b32_e32 v1, 0, v4, vcc
	v_and_or_b32 v0, v0, s1, v1
	v_trunc_f32_e32 v0, v0
	v_mul_f32_e64 v1, |v0|, s20
	v_floor_f32_e32 v1, v1
	v_fma_f32 v4, v1, s21, |v0|
	v_cvt_u32_f32_e32 v4, v4
	v_cvt_u32_f32_e32 v1, v1
	v_ashrrev_i32_e32 v5, 31, v0
	v_xor_b32_e32 v0, v4, v5
	v_xor_b32_e32 v1, v1, v5
	v_sub_co_u32_e32 v0, vcc, v0, v5
	v_subb_co_u32_e32 v1, vcc, v1, v5, vcc
.LBB94_85:
	s_mov_b64 s[0:1], 0
.LBB94_86:
	s_andn2_b64 vcc, exec, s[0:1]
	s_cbranch_vccnz .LBB94_88
; %bb.87:
	global_load_ubyte v0, v[2:3], off
	s_movk_i32 s0, 0x7f00
	s_brev_b32 s1, 16
	s_brev_b32 s20, 1
	s_mov_b32 s21, 0x2f800000
	s_mov_b32 s28, 0xcf800000
	s_waitcnt vmcnt(0)
	v_lshlrev_b16_e32 v1, 8, v0
	v_lshlrev_b32_e32 v0, 25, v0
	v_lshrrev_b32_e32 v4, 4, v0
	v_and_or_b32 v5, v1, s0, 0.5
	v_or_b32_e32 v4, 0x70000000, v4
	v_add_f32_e32 v5, -0.5, v5
	v_mul_f32_e32 v4, 0x7800000, v4
	v_cmp_gt_u32_e32 vcc, s1, v0
	v_bfe_i32 v1, v1, 0, 16
	v_cndmask_b32_e32 v0, v4, v5, vcc
	v_and_or_b32 v0, v1, s20, v0
	v_trunc_f32_e32 v0, v0
	v_mul_f32_e64 v1, |v0|, s21
	v_floor_f32_e32 v1, v1
	v_fma_f32 v4, v1, s28, |v0|
	v_cvt_u32_f32_e32 v4, v4
	v_cvt_u32_f32_e32 v1, v1
	v_ashrrev_i32_e32 v5, 31, v0
	v_xor_b32_e32 v0, v4, v5
	v_xor_b32_e32 v1, v1, v5
	v_sub_co_u32_e32 v0, vcc, v0, v5
	v_subb_co_u32_e32 v1, vcc, v1, v5, vcc
.LBB94_88:
	s_mov_b64 s[20:21], 0
	s_mov_b64 s[0:1], -1
.LBB94_89:
	s_andn2_b64 vcc, exec, s[20:21]
	s_cbranch_vccnz .LBB94_100
; %bb.90:
	s_cmp_gt_i32 s23, 14
	s_cbranch_scc0 .LBB94_93
; %bb.91:
	s_cmp_eq_u32 s23, 15
	s_cbranch_scc0 .LBB94_94
; %bb.92:
	global_load_ushort v0, v[2:3], off
	s_mov_b32 s0, 0x2f800000
	s_mov_b32 s1, 0xcf800000
	s_mov_b64 s[24:25], 0
	s_waitcnt vmcnt(0)
	v_lshlrev_b32_e32 v0, 16, v0
	v_trunc_f32_e32 v0, v0
	v_mul_f32_e64 v1, |v0|, s0
	v_floor_f32_e32 v1, v1
	v_fma_f32 v4, v1, s1, |v0|
	v_cvt_u32_f32_e32 v4, v4
	v_cvt_u32_f32_e32 v1, v1
	v_ashrrev_i32_e32 v5, 31, v0
	s_mov_b64 s[0:1], -1
	v_xor_b32_e32 v0, v4, v5
	v_xor_b32_e32 v1, v1, v5
	v_sub_co_u32_e32 v0, vcc, v0, v5
	v_subb_co_u32_e32 v1, vcc, v1, v5, vcc
	s_branch .LBB94_95
.LBB94_93:
	s_mov_b64 s[20:21], -1
                                        ; implicit-def: $vgpr0_vgpr1
	s_branch .LBB94_96
.LBB94_94:
	s_mov_b64 s[24:25], -1
                                        ; implicit-def: $vgpr0_vgpr1
.LBB94_95:
	s_mov_b64 s[20:21], 0
.LBB94_96:
	s_and_b64 vcc, exec, s[20:21]
	s_cbranch_vccz .LBB94_100
; %bb.97:
	s_cmp_eq_u32 s23, 11
	s_cbranch_scc0 .LBB94_99
; %bb.98:
	global_load_ubyte v0, v[2:3], off
	s_mov_b32 s20, 0
	s_mov_b64 s[0:1], -1
	s_waitcnt vmcnt(1)
	v_mov_b32_e32 v1, s20
	s_mov_b64 s[24:25], 0
	s_waitcnt vmcnt(0)
	v_cmp_ne_u16_e32 vcc, 0, v0
	v_cndmask_b32_e64 v0, 0, 1, vcc
	s_branch .LBB94_100
.LBB94_99:
	s_mov_b64 s[24:25], -1
                                        ; implicit-def: $vgpr0_vgpr1
.LBB94_100:
	s_branch .LBB94_10
.LBB94_101:
	s_and_b32 s20, 0xffff, s22
	s_cmp_lt_i32 s20, 5
	s_cbranch_scc1 .LBB94_106
; %bb.102:
	s_cmp_lt_i32 s20, 8
	s_cbranch_scc1 .LBB94_107
; %bb.103:
	;; [unrolled: 3-line block ×3, first 2 shown]
	s_cmp_gt_i32 s20, 9
	s_cbranch_scc0 .LBB94_109
; %bb.105:
	global_load_dwordx2 v[0:1], v[2:3], off
	s_movk_i32 s0, 0xffe0
	s_waitcnt vmcnt(0)
	v_trunc_f64_e32 v[0:1], v[0:1]
	v_ldexp_f64 v[4:5], v[0:1], s0
	s_mov_b32 s0, 0
	s_mov_b32 s1, 0xc1f00000
	v_floor_f64_e32 v[4:5], v[4:5]
	v_fma_f64 v[6:7], v[4:5], s[0:1], v[0:1]
	v_cvt_i32_f64_e32 v1, v[4:5]
	s_mov_b64 s[0:1], 0
	v_cvt_u32_f64_e32 v0, v[6:7]
	s_branch .LBB94_110
.LBB94_106:
                                        ; implicit-def: $vgpr0_vgpr1
	s_branch .LBB94_128
.LBB94_107:
	s_mov_b64 s[0:1], -1
                                        ; implicit-def: $vgpr0_vgpr1
	s_branch .LBB94_116
.LBB94_108:
	s_mov_b64 s[0:1], -1
                                        ; implicit-def: $vgpr0_vgpr1
	s_branch .LBB94_113
.LBB94_109:
	s_mov_b64 s[0:1], -1
                                        ; implicit-def: $vgpr0_vgpr1
.LBB94_110:
	s_andn2_b64 vcc, exec, s[0:1]
	s_cbranch_vccnz .LBB94_112
; %bb.111:
	global_load_dword v0, v[2:3], off
	s_mov_b32 s0, 0x2f800000
	s_mov_b32 s1, 0xcf800000
	s_waitcnt vmcnt(0)
	v_trunc_f32_e32 v0, v0
	v_mul_f32_e64 v1, |v0|, s0
	v_floor_f32_e32 v1, v1
	v_cvt_u32_f32_e32 v4, v1
	v_fma_f32 v1, v1, s1, |v0|
	v_cvt_u32_f32_e32 v1, v1
	v_ashrrev_i32_e32 v5, 31, v0
	v_xor_b32_e32 v4, v4, v5
	v_xor_b32_e32 v0, v1, v5
	v_sub_co_u32_e32 v0, vcc, v0, v5
	v_subb_co_u32_e32 v1, vcc, v4, v5, vcc
.LBB94_112:
	s_mov_b64 s[0:1], 0
.LBB94_113:
	s_andn2_b64 vcc, exec, s[0:1]
	s_cbranch_vccnz .LBB94_115
; %bb.114:
	global_load_dword v0, v[2:3], off
	s_waitcnt vmcnt(0)
	v_cvt_f32_f16_e32 v0, v0
	v_cvt_i32_f32_e32 v0, v0
	v_ashrrev_i32_e32 v1, 31, v0
.LBB94_115:
	s_mov_b64 s[0:1], 0
.LBB94_116:
	s_andn2_b64 vcc, exec, s[0:1]
	s_cbranch_vccnz .LBB94_127
; %bb.117:
	s_cmp_lt_i32 s20, 6
	s_cbranch_scc1 .LBB94_120
; %bb.118:
	s_cmp_gt_i32 s20, 6
	s_cbranch_scc0 .LBB94_121
; %bb.119:
	global_load_dwordx2 v[0:1], v[2:3], off
	s_movk_i32 s0, 0xffe0
	s_waitcnt vmcnt(0)
	v_trunc_f64_e32 v[0:1], v[0:1]
	v_ldexp_f64 v[4:5], v[0:1], s0
	s_mov_b32 s0, 0
	s_mov_b32 s1, 0xc1f00000
	v_floor_f64_e32 v[4:5], v[4:5]
	v_fma_f64 v[6:7], v[4:5], s[0:1], v[0:1]
	v_cvt_i32_f64_e32 v1, v[4:5]
	s_mov_b64 s[0:1], 0
	v_cvt_u32_f64_e32 v0, v[6:7]
	s_branch .LBB94_122
.LBB94_120:
	s_mov_b64 s[0:1], -1
                                        ; implicit-def: $vgpr0_vgpr1
	s_branch .LBB94_125
.LBB94_121:
	s_mov_b64 s[0:1], -1
                                        ; implicit-def: $vgpr0_vgpr1
.LBB94_122:
	s_andn2_b64 vcc, exec, s[0:1]
	s_cbranch_vccnz .LBB94_124
; %bb.123:
	global_load_dword v0, v[2:3], off
	s_mov_b32 s0, 0x2f800000
	s_mov_b32 s1, 0xcf800000
	s_waitcnt vmcnt(0)
	v_trunc_f32_e32 v0, v0
	v_mul_f32_e64 v1, |v0|, s0
	v_floor_f32_e32 v1, v1
	v_cvt_u32_f32_e32 v4, v1
	v_fma_f32 v1, v1, s1, |v0|
	v_cvt_u32_f32_e32 v1, v1
	v_ashrrev_i32_e32 v5, 31, v0
	v_xor_b32_e32 v4, v4, v5
	v_xor_b32_e32 v0, v1, v5
	v_sub_co_u32_e32 v0, vcc, v0, v5
	v_subb_co_u32_e32 v1, vcc, v4, v5, vcc
.LBB94_124:
	s_mov_b64 s[0:1], 0
.LBB94_125:
	s_andn2_b64 vcc, exec, s[0:1]
	s_cbranch_vccnz .LBB94_127
; %bb.126:
	global_load_ushort v0, v[2:3], off
	s_waitcnt vmcnt(0)
	v_cvt_f32_f16_e32 v0, v0
	v_cvt_i32_f32_e32 v0, v0
	v_ashrrev_i32_e32 v1, 31, v0
.LBB94_127:
	s_cbranch_execnz .LBB94_147
.LBB94_128:
	s_cmp_lt_i32 s20, 2
	s_cbranch_scc1 .LBB94_132
; %bb.129:
	s_cmp_lt_i32 s20, 3
	s_cbranch_scc1 .LBB94_133
; %bb.130:
	s_cmp_gt_i32 s20, 3
	s_cbranch_scc0 .LBB94_134
; %bb.131:
	global_load_dwordx2 v[0:1], v[2:3], off
	s_mov_b64 s[0:1], 0
	s_branch .LBB94_135
.LBB94_132:
	s_mov_b64 s[0:1], -1
                                        ; implicit-def: $vgpr0_vgpr1
	s_branch .LBB94_141
.LBB94_133:
	s_mov_b64 s[0:1], -1
                                        ; implicit-def: $vgpr0_vgpr1
	s_branch .LBB94_138
.LBB94_134:
	s_mov_b64 s[0:1], -1
                                        ; implicit-def: $vgpr0_vgpr1
.LBB94_135:
	s_andn2_b64 vcc, exec, s[0:1]
	s_cbranch_vccnz .LBB94_137
; %bb.136:
	global_load_dword v0, v[2:3], off
	s_waitcnt vmcnt(0)
	v_ashrrev_i32_e32 v1, 31, v0
.LBB94_137:
	s_mov_b64 s[0:1], 0
.LBB94_138:
	s_andn2_b64 vcc, exec, s[0:1]
	s_cbranch_vccnz .LBB94_140
; %bb.139:
	global_load_ushort v0, v[2:3], off
	s_waitcnt vmcnt(0)
	v_bfe_i32 v0, v0, 0, 16
	v_ashrrev_i32_e32 v1, 31, v0
.LBB94_140:
	s_mov_b64 s[0:1], 0
.LBB94_141:
	s_andn2_b64 vcc, exec, s[0:1]
	s_cbranch_vccnz .LBB94_147
; %bb.142:
	s_cmp_gt_i32 s20, 0
	s_cbranch_scc0 .LBB94_144
; %bb.143:
	global_load_sbyte v0, v[2:3], off
	s_mov_b64 s[0:1], 0
	s_waitcnt vmcnt(0)
	v_bfe_i32 v0, v0, 0, 16
	v_ashrrev_i32_e32 v1, 31, v0
	s_branch .LBB94_145
.LBB94_144:
	s_mov_b64 s[0:1], -1
                                        ; implicit-def: $vgpr0_vgpr1
.LBB94_145:
	s_andn2_b64 vcc, exec, s[0:1]
	s_cbranch_vccnz .LBB94_147
; %bb.146:
	global_load_ubyte v0, v[2:3], off
	s_mov_b32 s0, 0
	s_waitcnt vmcnt(1)
	v_mov_b32_e32 v1, s0
	s_waitcnt vmcnt(0)
	v_and_b32_e32 v0, 0xffff, v0
.LBB94_147:
	s_branch .LBB94_11
.LBB94_148:
	s_mov_b64 s[0:1], 0
	s_mov_b64 s[22:23], 0
	s_branch .LBB94_373
.LBB94_149:
	s_mov_b64 s[22:23], -1
.LBB94_150:
	s_mov_b64 s[0:1], 0
                                        ; implicit-def: $vgpr4_vgpr5
.LBB94_151:
	s_and_b64 vcc, exec, s[20:21]
	s_cbranch_vccz .LBB94_267
; %bb.152:
	s_cmp_eq_u32 s29, 44
	s_cbranch_scc0 .LBB94_266
; %bb.153:
	global_load_ubyte v4, v[2:3], off
	s_mov_b32 s0, 0x2f800000
	s_mov_b32 s1, 0xcf800000
	s_mov_b64 s[22:23], 0
	s_waitcnt vmcnt(0)
	v_lshlrev_b32_e32 v5, 23, v4
	v_trunc_f32_e32 v5, v5
	v_mul_f32_e64 v6, |v5|, s0
	v_floor_f32_e32 v6, v6
	v_fma_f32 v7, v6, s1, |v5|
	v_cvt_u32_f32_e32 v7, v7
	v_cvt_u32_f32_e32 v6, v6
	v_ashrrev_i32_e32 v5, 31, v5
	s_mov_b64 s[0:1], -1
	v_xor_b32_e32 v7, v7, v5
	v_xor_b32_e32 v6, v6, v5
	v_sub_co_u32_e32 v7, vcc, v7, v5
	v_subb_co_u32_e32 v5, vcc, v6, v5, vcc
	v_cmp_ne_u32_e32 vcc, 0, v4
	v_cndmask_b32_e32 v5, 0, v5, vcc
	v_cndmask_b32_e32 v4, 0, v7, vcc
	s_branch .LBB94_267
.LBB94_154:
	s_mov_b64 s[28:29], -1
	s_mov_b64 s[0:1], 0
	s_mov_b64 s[20:21], 0
.LBB94_155:
	s_and_b64 vcc, exec, s[28:29]
	s_cbranch_vccz .LBB94_160
; %bb.156:
	s_cmp_eq_u32 s37, 44
	s_mov_b64 s[0:1], -1
	s_cbranch_scc0 .LBB94_160
; %bb.157:
	v_xor_b32_e32 v5, v0, v1
	v_ffbh_i32_e32 v4, v1
	v_ashrrev_i32_e32 v5, 31, v5
	v_add_u32_e32 v4, -1, v4
	v_add_u32_e32 v5, 32, v5
	v_min_u32_e32 v6, v4, v5
	v_lshlrev_b64 v[4:5], v6, v[0:1]
	s_movk_i32 s0, 0xff
	v_min_u32_e32 v4, 1, v4
	v_or_b32_e32 v4, v5, v4
	v_cvt_f32_i32_e32 v4, v4
	v_sub_u32_e32 v5, 32, v6
	v_mov_b32_e32 v6, 0xff
	v_ldexp_f32 v4, v4, v5
	v_bfe_u32 v5, v4, 23, 8
	v_cmp_ne_u32_e32 vcc, s0, v5
	s_and_saveexec_b64 s[20:21], vcc
; %bb.158:
	s_mov_b32 s0, 0x3fffff
	v_lshrrev_b32_e32 v6, 23, v4
	v_and_b32_e32 v7, 0x400000, v4
	v_and_or_b32 v4, v4, s0, v5
	v_cmp_ne_u32_e32 vcc, 0, v7
	v_cmp_ne_u32_e64 s[0:1], 0, v4
	s_and_b64 s[0:1], vcc, s[0:1]
	v_cndmask_b32_e64 v4, 0, 1, s[0:1]
	v_add_u32_e32 v6, v6, v4
; %bb.159:
	s_or_b64 exec, exec, s[20:21]
	s_mov_b64 s[20:21], -1
	s_mov_b64 s[0:1], 0
	global_store_byte v[2:3], v6, off
.LBB94_160:
	s_mov_b64 s[28:29], 0
.LBB94_161:
	s_and_b64 vcc, exec, s[28:29]
	s_cbranch_vccz .LBB94_164
; %bb.162:
	s_cmp_eq_u32 s37, 29
	s_mov_b64 s[0:1], -1
	s_cbranch_scc0 .LBB94_164
; %bb.163:
	global_store_dwordx2 v[2:3], v[0:1], off
	s_mov_b64 s[20:21], -1
	s_mov_b64 s[0:1], 0
.LBB94_164:
	s_mov_b64 s[28:29], 0
.LBB94_165:
	s_and_b64 vcc, exec, s[28:29]
	s_cbranch_vccz .LBB94_181
; %bb.166:
	s_cmp_lt_i32 s37, 27
	s_mov_b64 s[20:21], -1
	s_cbranch_scc1 .LBB94_172
; %bb.167:
	s_cmp_gt_i32 s37, 27
	s_cbranch_scc0 .LBB94_169
; %bb.168:
	s_mov_b64 s[20:21], 0
	global_store_dword v[2:3], v0, off
.LBB94_169:
	s_andn2_b64 vcc, exec, s[20:21]
	s_cbranch_vccnz .LBB94_171
; %bb.170:
	global_store_short v[2:3], v0, off
.LBB94_171:
	s_mov_b64 s[20:21], 0
.LBB94_172:
	s_andn2_b64 vcc, exec, s[20:21]
	s_cbranch_vccnz .LBB94_180
; %bb.173:
	v_xor_b32_e32 v5, v0, v1
	v_ffbh_i32_e32 v4, v1
	v_ashrrev_i32_e32 v5, 31, v5
	v_add_u32_e32 v4, -1, v4
	v_add_u32_e32 v5, 32, v5
	v_min_u32_e32 v6, v4, v5
	v_lshlrev_b64 v[4:5], v6, v[0:1]
	s_mov_b32 s20, 0x43800000
	v_min_u32_e32 v4, 1, v4
	v_or_b32_e32 v4, v5, v4
	v_cvt_f32_i32_e32 v4, v4
	v_sub_u32_e32 v5, 32, v6
	v_mov_b32_e32 v6, 0x80
	v_ldexp_f32 v4, v4, v5
	v_and_b32_e32 v5, 0x7fffffff, v4
	v_cmp_gt_u32_e32 vcc, s20, v5
	s_and_saveexec_b64 s[20:21], vcc
	s_cbranch_execz .LBB94_179
; %bb.174:
	s_mov_b32 s28, 0x3bffffff
	v_cmp_lt_u32_e32 vcc, s28, v5
	s_mov_b64 s[28:29], 0
                                        ; implicit-def: $vgpr5
	s_and_saveexec_b64 s[34:35], vcc
	s_xor_b64 s[34:35], exec, s[34:35]
	s_cbranch_execz .LBB94_404
; %bb.175:
	v_bfe_u32 v5, v4, 20, 1
	s_mov_b32 s38, 0x487ffff
	v_add3_u32 v5, v4, v5, s38
	s_mov_b64 s[28:29], exec
	v_lshrrev_b32_e32 v5, 20, v5
	s_andn2_saveexec_b64 s[34:35], s[34:35]
	s_cbranch_execnz .LBB94_405
.LBB94_176:
	s_or_b64 exec, exec, s[34:35]
	v_mov_b32_e32 v6, 0
	s_and_saveexec_b64 s[34:35], s[28:29]
.LBB94_177:
	v_lshrrev_b32_e32 v4, 24, v4
	s_movk_i32 s28, 0x80
	v_and_or_b32 v6, v4, s28, v5
.LBB94_178:
	s_or_b64 exec, exec, s[34:35]
.LBB94_179:
	s_or_b64 exec, exec, s[20:21]
	global_store_byte v[2:3], v6, off
.LBB94_180:
	s_mov_b64 s[20:21], -1
.LBB94_181:
	s_mov_b64 s[28:29], 0
.LBB94_182:
	s_and_b64 vcc, exec, s[28:29]
	s_cbranch_vccz .LBB94_223
; %bb.183:
	s_cmp_gt_i32 s37, 22
	s_mov_b64 s[28:29], -1
	s_cbranch_scc0 .LBB94_215
; %bb.184:
	s_cmp_lt_i32 s37, 24
	s_mov_b64 s[20:21], -1
	s_cbranch_scc1 .LBB94_204
; %bb.185:
	s_cmp_gt_i32 s37, 24
	s_cbranch_scc0 .LBB94_193
; %bb.186:
	v_xor_b32_e32 v5, v0, v1
	v_ffbh_i32_e32 v4, v1
	v_ashrrev_i32_e32 v5, 31, v5
	v_add_u32_e32 v4, -1, v4
	v_add_u32_e32 v5, 32, v5
	v_min_u32_e32 v6, v4, v5
	v_lshlrev_b64 v[4:5], v6, v[0:1]
	s_mov_b32 s20, 0x47800000
	v_min_u32_e32 v4, 1, v4
	v_or_b32_e32 v4, v5, v4
	v_cvt_f32_i32_e32 v4, v4
	v_sub_u32_e32 v5, 32, v6
	v_mov_b32_e32 v6, 0x80
	v_ldexp_f32 v4, v4, v5
	v_and_b32_e32 v5, 0x7fffffff, v4
	v_cmp_gt_u32_e32 vcc, s20, v5
	s_and_saveexec_b64 s[20:21], vcc
	s_cbranch_execz .LBB94_192
; %bb.187:
	s_mov_b32 s28, 0x37ffffff
	v_cmp_lt_u32_e32 vcc, s28, v5
	s_mov_b64 s[28:29], 0
                                        ; implicit-def: $vgpr5
	s_and_saveexec_b64 s[34:35], vcc
	s_xor_b64 s[34:35], exec, s[34:35]
	s_cbranch_execz .LBB94_519
; %bb.188:
	v_bfe_u32 v5, v4, 21, 1
	s_mov_b32 s38, 0x88fffff
	v_add3_u32 v5, v4, v5, s38
	s_mov_b64 s[28:29], exec
	v_lshrrev_b32_e32 v5, 21, v5
	s_andn2_saveexec_b64 s[34:35], s[34:35]
	s_cbranch_execnz .LBB94_520
.LBB94_189:
	s_or_b64 exec, exec, s[34:35]
	v_mov_b32_e32 v6, 0
	s_and_saveexec_b64 s[34:35], s[28:29]
.LBB94_190:
	v_lshrrev_b32_e32 v4, 24, v4
	s_movk_i32 s28, 0x80
	v_and_or_b32 v6, v4, s28, v5
.LBB94_191:
	s_or_b64 exec, exec, s[34:35]
.LBB94_192:
	s_or_b64 exec, exec, s[20:21]
	s_mov_b64 s[20:21], 0
	global_store_byte v[2:3], v6, off
.LBB94_193:
	s_and_b64 vcc, exec, s[20:21]
	s_cbranch_vccz .LBB94_203
; %bb.194:
	v_xor_b32_e32 v5, v0, v1
	v_ffbh_i32_e32 v4, v1
	v_ashrrev_i32_e32 v5, 31, v5
	v_add_u32_e32 v4, -1, v4
	v_add_u32_e32 v5, 32, v5
	v_min_u32_e32 v6, v4, v5
	v_lshlrev_b64 v[4:5], v6, v[0:1]
	s_mov_b32 s20, 0x43f00000
	v_min_u32_e32 v4, 1, v4
	v_or_b32_e32 v4, v5, v4
	v_cvt_f32_i32_e32 v4, v4
	v_sub_u32_e32 v5, 32, v6
	v_ldexp_f32 v4, v4, v5
	v_and_b32_e32 v6, 0x7fffffff, v4
	v_cmp_gt_u32_e32 vcc, s20, v6
                                        ; implicit-def: $vgpr5
	s_and_saveexec_b64 s[20:21], vcc
	s_xor_b64 s[20:21], exec, s[20:21]
	s_cbranch_execz .LBB94_200
; %bb.195:
	s_mov_b32 s28, 0x3c7fffff
	v_cmp_lt_u32_e32 vcc, s28, v6
                                        ; implicit-def: $vgpr5
	s_and_saveexec_b64 s[28:29], vcc
	s_xor_b64 s[28:29], exec, s[28:29]
; %bb.196:
	v_bfe_u32 v5, v4, 20, 1
	s_mov_b32 s34, 0x407ffff
	v_add3_u32 v5, v4, v5, s34
	v_lshrrev_b32_e32 v6, 20, v5
	v_and_b32_e32 v5, 0xff00000, v5
	s_mov_b32 s34, 0x7f00000
	v_mov_b32_e32 v7, 0x7e
	v_cmp_ne_u32_e32 vcc, s34, v5
	v_cndmask_b32_e32 v5, v7, v6, vcc
; %bb.197:
	s_andn2_saveexec_b64 s[28:29], s[28:29]
; %bb.198:
	s_mov_b32 s34, 0x46800000
	v_add_f32_e64 v5, |v4|, s34
; %bb.199:
	s_or_b64 exec, exec, s[28:29]
                                        ; implicit-def: $vgpr6
.LBB94_200:
	s_andn2_saveexec_b64 s[20:21], s[20:21]
; %bb.201:
	s_mov_b32 s28, 0x7f800000
	v_mov_b32_e32 v5, 0x7e
	v_mov_b32_e32 v7, 0x7f
	v_cmp_lt_u32_e32 vcc, s28, v6
	v_cndmask_b32_e32 v5, v5, v7, vcc
; %bb.202:
	s_or_b64 exec, exec, s[20:21]
	v_lshrrev_b32_e32 v4, 24, v4
	s_movk_i32 s20, 0x80
	v_and_or_b32 v4, v4, s20, v5
	global_store_byte v[2:3], v4, off
.LBB94_203:
	s_mov_b64 s[20:21], 0
.LBB94_204:
	s_andn2_b64 vcc, exec, s[20:21]
	s_cbranch_vccnz .LBB94_214
; %bb.205:
	v_xor_b32_e32 v5, v0, v1
	v_ffbh_i32_e32 v4, v1
	v_ashrrev_i32_e32 v5, 31, v5
	v_add_u32_e32 v4, -1, v4
	v_add_u32_e32 v5, 32, v5
	v_min_u32_e32 v6, v4, v5
	v_lshlrev_b64 v[4:5], v6, v[0:1]
	s_mov_b32 s20, 0x47800000
	v_min_u32_e32 v4, 1, v4
	v_or_b32_e32 v4, v5, v4
	v_cvt_f32_i32_e32 v4, v4
	v_sub_u32_e32 v5, 32, v6
	v_ldexp_f32 v4, v4, v5
	v_and_b32_e32 v6, 0x7fffffff, v4
	v_cmp_gt_u32_e32 vcc, s20, v6
                                        ; implicit-def: $vgpr5
	s_and_saveexec_b64 s[20:21], vcc
	s_xor_b64 s[20:21], exec, s[20:21]
	s_cbranch_execz .LBB94_211
; %bb.206:
	s_mov_b32 s28, 0x387fffff
	v_cmp_lt_u32_e32 vcc, s28, v6
                                        ; implicit-def: $vgpr5
	s_and_saveexec_b64 s[28:29], vcc
	s_xor_b64 s[28:29], exec, s[28:29]
; %bb.207:
	v_bfe_u32 v5, v4, 21, 1
	s_mov_b32 s34, 0x80fffff
	v_add3_u32 v5, v4, v5, s34
	v_lshrrev_b32_e32 v5, 21, v5
; %bb.208:
	s_andn2_saveexec_b64 s[28:29], s[28:29]
; %bb.209:
	s_mov_b32 s34, 0x43000000
	v_add_f32_e64 v5, |v4|, s34
; %bb.210:
	s_or_b64 exec, exec, s[28:29]
                                        ; implicit-def: $vgpr6
.LBB94_211:
	s_andn2_saveexec_b64 s[20:21], s[20:21]
; %bb.212:
	s_mov_b32 s28, 0x7f800000
	v_mov_b32_e32 v5, 0x7c
	v_mov_b32_e32 v7, 0x7f
	v_cmp_lt_u32_e32 vcc, s28, v6
	v_cndmask_b32_e32 v5, v5, v7, vcc
; %bb.213:
	s_or_b64 exec, exec, s[20:21]
	v_lshrrev_b32_e32 v4, 24, v4
	s_movk_i32 s20, 0x80
	v_and_or_b32 v4, v4, s20, v5
	global_store_byte v[2:3], v4, off
.LBB94_214:
	s_mov_b64 s[28:29], 0
	s_mov_b64 s[20:21], -1
.LBB94_215:
	s_andn2_b64 vcc, exec, s[28:29]
	s_cbranch_vccnz .LBB94_223
; %bb.216:
	s_cmp_gt_i32 s37, 14
	s_mov_b64 s[28:29], -1
	s_cbranch_scc0 .LBB94_220
; %bb.217:
	s_cmp_eq_u32 s37, 15
	s_mov_b64 s[0:1], -1
	s_cbranch_scc0 .LBB94_219
; %bb.218:
	v_xor_b32_e32 v5, v0, v1
	v_ffbh_i32_e32 v4, v1
	v_ashrrev_i32_e32 v5, 31, v5
	v_add_u32_e32 v4, -1, v4
	v_add_u32_e32 v5, 32, v5
	v_min_u32_e32 v6, v4, v5
	v_lshlrev_b64 v[4:5], v6, v[0:1]
	s_movk_i32 s0, 0x7fff
	v_min_u32_e32 v4, 1, v4
	v_or_b32_e32 v4, v5, v4
	v_cvt_f32_i32_e32 v4, v4
	v_sub_u32_e32 v5, 32, v6
	s_mov_b64 s[20:21], -1
	v_ldexp_f32 v4, v4, v5
	v_bfe_u32 v5, v4, 16, 1
	v_add3_u32 v4, v4, v5, s0
	global_store_short_d16_hi v[2:3], v4, off
	s_mov_b64 s[0:1], 0
.LBB94_219:
	s_mov_b64 s[28:29], 0
.LBB94_220:
	s_and_b64 vcc, exec, s[28:29]
	s_cbranch_vccz .LBB94_223
; %bb.221:
	s_cmp_eq_u32 s37, 11
	s_mov_b64 s[0:1], -1
	s_cbranch_scc0 .LBB94_223
; %bb.222:
	v_cmp_ne_u64_e32 vcc, 0, v[0:1]
	s_mov_b64 s[0:1], 0
	v_cndmask_b32_e64 v4, 0, 1, vcc
	s_mov_b64 s[20:21], -1
	global_store_byte v[2:3], v4, off
.LBB94_223:
	s_mov_b64 s[28:29], 0
.LBB94_224:
	s_and_b64 vcc, exec, s[28:29]
	s_cbranch_vccz .LBB94_263
; %bb.225:
	s_and_b32 s28, 0xffff, s36
	s_cmp_lt_i32 s28, 5
	s_mov_b64 s[20:21], -1
	s_cbranch_scc1 .LBB94_246
; %bb.226:
	s_cmp_lt_i32 s28, 8
	s_cbranch_scc1 .LBB94_236
; %bb.227:
	s_cmp_lt_i32 s28, 9
	s_cbranch_scc1 .LBB94_233
; %bb.228:
	s_cmp_gt_i32 s28, 9
	s_cbranch_scc0 .LBB94_230
; %bb.229:
	v_cvt_f64_i32_e32 v[4:5], v1
	v_cvt_f64_u32_e32 v[6:7], v0
	s_mov_b64 s[20:21], 0
	v_ldexp_f64 v[4:5], v[4:5], 32
	v_add_f64 v[4:5], v[4:5], v[6:7]
	v_mov_b32_e32 v6, 0
	v_mov_b32_e32 v7, v6
	global_store_dwordx4 v[2:3], v[4:7], off
.LBB94_230:
	s_andn2_b64 vcc, exec, s[20:21]
	s_cbranch_vccnz .LBB94_232
; %bb.231:
	v_xor_b32_e32 v5, v0, v1
	v_ffbh_i32_e32 v4, v1
	v_ashrrev_i32_e32 v5, 31, v5
	v_add_u32_e32 v4, -1, v4
	v_add_u32_e32 v5, 32, v5
	v_min_u32_e32 v6, v4, v5
	v_lshlrev_b64 v[4:5], v6, v[0:1]
	v_min_u32_e32 v4, 1, v4
	v_or_b32_e32 v4, v5, v4
	v_cvt_f32_i32_e32 v4, v4
	v_sub_u32_e32 v5, 32, v6
	v_ldexp_f32 v4, v4, v5
	v_mov_b32_e32 v5, 0
	global_store_dwordx2 v[2:3], v[4:5], off
.LBB94_232:
	s_mov_b64 s[20:21], 0
.LBB94_233:
	s_andn2_b64 vcc, exec, s[20:21]
	s_cbranch_vccnz .LBB94_235
; %bb.234:
	v_xor_b32_e32 v5, v0, v1
	v_ffbh_i32_e32 v4, v1
	v_ashrrev_i32_e32 v5, 31, v5
	v_add_u32_e32 v4, -1, v4
	v_add_u32_e32 v5, 32, v5
	v_min_u32_e32 v6, v4, v5
	v_lshlrev_b64 v[4:5], v6, v[0:1]
	v_min_u32_e32 v4, 1, v4
	v_or_b32_e32 v4, v5, v4
	v_cvt_f32_i32_e32 v4, v4
	v_sub_u32_e32 v5, 32, v6
	v_ldexp_f32 v4, v4, v5
	v_cvt_f16_f32_e32 v4, v4
	global_store_dword v[2:3], v4, off
.LBB94_235:
	s_mov_b64 s[20:21], 0
.LBB94_236:
	s_andn2_b64 vcc, exec, s[20:21]
	s_cbranch_vccnz .LBB94_245
; %bb.237:
	s_cmp_lt_i32 s28, 6
	s_mov_b64 s[20:21], -1
	s_cbranch_scc1 .LBB94_243
; %bb.238:
	s_cmp_gt_i32 s28, 6
	s_cbranch_scc0 .LBB94_240
; %bb.239:
	v_cvt_f64_i32_e32 v[4:5], v1
	v_cvt_f64_u32_e32 v[6:7], v0
	s_mov_b64 s[20:21], 0
	v_ldexp_f64 v[4:5], v[4:5], 32
	v_add_f64 v[4:5], v[4:5], v[6:7]
	global_store_dwordx2 v[2:3], v[4:5], off
.LBB94_240:
	s_andn2_b64 vcc, exec, s[20:21]
	s_cbranch_vccnz .LBB94_242
; %bb.241:
	v_xor_b32_e32 v5, v0, v1
	v_ffbh_i32_e32 v4, v1
	v_ashrrev_i32_e32 v5, 31, v5
	v_add_u32_e32 v4, -1, v4
	v_add_u32_e32 v5, 32, v5
	v_min_u32_e32 v6, v4, v5
	v_lshlrev_b64 v[4:5], v6, v[0:1]
	v_min_u32_e32 v4, 1, v4
	v_or_b32_e32 v4, v5, v4
	v_cvt_f32_i32_e32 v4, v4
	v_sub_u32_e32 v5, 32, v6
	v_ldexp_f32 v4, v4, v5
	global_store_dword v[2:3], v4, off
.LBB94_242:
	s_mov_b64 s[20:21], 0
.LBB94_243:
	s_andn2_b64 vcc, exec, s[20:21]
	s_cbranch_vccnz .LBB94_245
; %bb.244:
	v_xor_b32_e32 v5, v0, v1
	v_ffbh_i32_e32 v4, v1
	v_ashrrev_i32_e32 v5, 31, v5
	v_add_u32_e32 v4, -1, v4
	v_add_u32_e32 v5, 32, v5
	v_min_u32_e32 v6, v4, v5
	v_lshlrev_b64 v[4:5], v6, v[0:1]
	v_min_u32_e32 v4, 1, v4
	v_or_b32_e32 v4, v5, v4
	v_cvt_f32_i32_e32 v4, v4
	v_sub_u32_e32 v5, 32, v6
	v_ldexp_f32 v4, v4, v5
	v_cvt_f16_f32_e32 v4, v4
	global_store_short v[2:3], v4, off
.LBB94_245:
	s_mov_b64 s[20:21], 0
.LBB94_246:
	s_andn2_b64 vcc, exec, s[20:21]
	s_cbranch_vccnz .LBB94_262
; %bb.247:
	s_cmp_lt_i32 s28, 2
	s_mov_b64 s[20:21], -1
	s_cbranch_scc1 .LBB94_257
; %bb.248:
	s_cmp_lt_i32 s28, 3
	s_cbranch_scc1 .LBB94_254
; %bb.249:
	s_cmp_gt_i32 s28, 3
	s_cbranch_scc0 .LBB94_251
; %bb.250:
	global_store_dwordx2 v[2:3], v[0:1], off
	s_mov_b64 s[20:21], 0
.LBB94_251:
	s_andn2_b64 vcc, exec, s[20:21]
	s_cbranch_vccnz .LBB94_253
; %bb.252:
	global_store_dword v[2:3], v0, off
.LBB94_253:
	s_mov_b64 s[20:21], 0
.LBB94_254:
	s_andn2_b64 vcc, exec, s[20:21]
	s_cbranch_vccnz .LBB94_256
; %bb.255:
	global_store_short v[2:3], v0, off
.LBB94_256:
	s_mov_b64 s[20:21], 0
.LBB94_257:
	s_andn2_b64 vcc, exec, s[20:21]
	s_cbranch_vccnz .LBB94_262
; %bb.258:
	s_cmp_gt_i32 s28, 0
	s_mov_b64 s[20:21], -1
	s_cbranch_scc0 .LBB94_260
; %bb.259:
	global_store_byte v[2:3], v0, off
	s_mov_b64 s[20:21], 0
.LBB94_260:
	s_andn2_b64 vcc, exec, s[20:21]
	s_cbranch_vccnz .LBB94_262
; %bb.261:
	global_store_byte v[2:3], v0, off
.LBB94_262:
	s_mov_b64 s[20:21], -1
.LBB94_263:
	s_andn2_b64 vcc, exec, s[20:21]
	s_cbranch_vccnz .LBB94_265
; %bb.264:
	v_add_u32_e32 v18, 0x80, v18
	s_mov_b64 s[28:29], -1
	s_branch .LBB94_374
.LBB94_265:
	s_mov_b64 s[28:29], 0
                                        ; implicit-def: $vgpr18
	s_branch .LBB94_374
.LBB94_266:
	s_mov_b64 s[22:23], -1
                                        ; implicit-def: $vgpr4_vgpr5
.LBB94_267:
	s_mov_b64 s[20:21], 0
.LBB94_268:
	s_and_b64 vcc, exec, s[20:21]
	s_cbranch_vccz .LBB94_272
; %bb.269:
	s_cmp_eq_u32 s29, 29
	s_cbranch_scc0 .LBB94_271
; %bb.270:
	global_load_dwordx2 v[4:5], v[2:3], off
	s_mov_b64 s[0:1], -1
	s_mov_b64 s[22:23], 0
	s_branch .LBB94_272
.LBB94_271:
	s_mov_b64 s[22:23], -1
                                        ; implicit-def: $vgpr4_vgpr5
.LBB94_272:
	s_mov_b64 s[20:21], 0
.LBB94_273:
	s_and_b64 vcc, exec, s[20:21]
	s_cbranch_vccz .LBB94_291
; %bb.274:
	s_cmp_lt_i32 s29, 27
	s_cbranch_scc1 .LBB94_277
; %bb.275:
	s_cmp_gt_i32 s29, 27
	s_cbranch_scc0 .LBB94_278
; %bb.276:
	global_load_dword v4, v[2:3], off
	s_waitcnt vmcnt(1)
	v_mov_b32_e32 v5, 0
	s_mov_b64 s[0:1], 0
	s_branch .LBB94_279
.LBB94_277:
	s_mov_b64 s[0:1], -1
                                        ; implicit-def: $vgpr4_vgpr5
	s_branch .LBB94_282
.LBB94_278:
	s_mov_b64 s[0:1], -1
                                        ; implicit-def: $vgpr4_vgpr5
.LBB94_279:
	s_andn2_b64 vcc, exec, s[0:1]
	s_cbranch_vccnz .LBB94_281
; %bb.280:
	global_load_ushort v4, v[2:3], off
	s_mov_b32 s0, 0
	s_waitcnt vmcnt(1)
	v_mov_b32_e32 v5, s0
	s_waitcnt vmcnt(0)
	v_and_b32_e32 v4, 0xffff, v4
.LBB94_281:
	s_mov_b64 s[0:1], 0
.LBB94_282:
	s_andn2_b64 vcc, exec, s[0:1]
	s_cbranch_vccnz .LBB94_290
; %bb.283:
	global_load_ubyte v6, v[2:3], off
	s_movk_i32 s0, 0x7f
	s_mov_b64 s[20:21], 0
	s_waitcnt vmcnt(0)
	v_cmp_lt_i16_e32 vcc, s0, v6
	s_and_saveexec_b64 s[0:1], vcc
	s_xor_b64 s[0:1], exec, s[0:1]
; %bb.284:
	s_movk_i32 s20, 0x80
	v_cmp_ne_u16_e32 vcc, s20, v6
	s_and_b64 s[20:21], vcc, exec
; %bb.285:
	s_andn2_saveexec_b64 s[0:1], s[0:1]
; %bb.286:
	v_cmp_ne_u16_e32 vcc, 0, v6
	s_andn2_b64 s[20:21], s[20:21], exec
	s_and_b64 s[34:35], vcc, exec
	s_or_b64 s[20:21], s[20:21], s[34:35]
; %bb.287:
	s_or_b64 exec, exec, s[0:1]
	v_mov_b32_e32 v4, 0
	v_mov_b32_e32 v5, 0
	s_and_saveexec_b64 s[0:1], s[20:21]
	s_cbranch_execz .LBB94_289
; %bb.288:
	v_and_b32_e32 v5, 0xffff, v6
	v_lshlrev_b32_e32 v4, 24, v6
	v_and_b32_e32 v6, 7, v5
	v_ffbh_u32_e32 v8, v6
	v_min_u32_e32 v8, 32, v8
	v_subrev_u32_e32 v9, 28, v8
	v_bfe_u32 v7, v5, 3, 4
	v_lshlrev_b32_e32 v5, v9, v5
	v_sub_u32_e32 v8, 29, v8
	v_and_b32_e32 v5, 7, v5
	v_cmp_eq_u32_e32 vcc, 0, v7
	v_cndmask_b32_e32 v7, v7, v8, vcc
	v_cndmask_b32_e32 v5, v6, v5, vcc
	v_mov_b32_e32 v6, 0x3b800000
	v_lshlrev_b32_e32 v5, 20, v5
	v_and_b32_e32 v4, 0x80000000, v4
	v_lshl_add_u32 v6, v7, 23, v6
	v_or3_b32 v4, v4, v6, v5
	v_trunc_f32_e32 v4, v4
	s_mov_b32 s20, 0x2f800000
	v_mul_f32_e64 v5, |v4|, s20
	v_floor_f32_e32 v5, v5
	s_mov_b32 s20, 0xcf800000
	v_fma_f32 v6, v5, s20, |v4|
	v_cvt_u32_f32_e32 v6, v6
	v_cvt_u32_f32_e32 v5, v5
	v_ashrrev_i32_e32 v7, 31, v4
	v_xor_b32_e32 v4, v6, v7
	v_xor_b32_e32 v5, v5, v7
	v_sub_co_u32_e32 v4, vcc, v4, v7
	v_subb_co_u32_e32 v5, vcc, v5, v7, vcc
.LBB94_289:
	s_or_b64 exec, exec, s[0:1]
.LBB94_290:
	s_mov_b64 s[0:1], -1
.LBB94_291:
	s_mov_b64 s[20:21], 0
.LBB94_292:
	s_and_b64 vcc, exec, s[20:21]
	s_cbranch_vccz .LBB94_323
; %bb.293:
	s_cmp_gt_i32 s29, 22
	s_cbranch_scc0 .LBB94_303
; %bb.294:
	s_cmp_lt_i32 s29, 24
	s_cbranch_scc1 .LBB94_304
; %bb.295:
	s_cmp_gt_i32 s29, 24
	s_cbranch_scc0 .LBB94_305
; %bb.296:
	global_load_ubyte v6, v[2:3], off
	s_movk_i32 s0, 0x7f
	s_mov_b64 s[20:21], 0
	s_waitcnt vmcnt(0)
	v_cmp_lt_i16_e32 vcc, s0, v6
	s_and_saveexec_b64 s[0:1], vcc
	s_xor_b64 s[0:1], exec, s[0:1]
; %bb.297:
	s_movk_i32 s20, 0x80
	v_cmp_ne_u16_e32 vcc, s20, v6
	s_and_b64 s[20:21], vcc, exec
; %bb.298:
	s_andn2_saveexec_b64 s[0:1], s[0:1]
; %bb.299:
	v_cmp_ne_u16_e32 vcc, 0, v6
	s_andn2_b64 s[20:21], s[20:21], exec
	s_and_b64 s[34:35], vcc, exec
	s_or_b64 s[20:21], s[20:21], s[34:35]
; %bb.300:
	s_or_b64 exec, exec, s[0:1]
	v_mov_b32_e32 v4, 0
	v_mov_b32_e32 v5, 0
	s_and_saveexec_b64 s[0:1], s[20:21]
	s_cbranch_execz .LBB94_302
; %bb.301:
	v_and_b32_e32 v5, 0xffff, v6
	v_lshlrev_b32_e32 v4, 24, v6
	v_and_b32_e32 v6, 3, v5
	v_ffbh_u32_e32 v8, v6
	v_min_u32_e32 v8, 32, v8
	v_subrev_u32_e32 v9, 29, v8
	v_bfe_u32 v7, v5, 2, 5
	v_lshlrev_b32_e32 v5, v9, v5
	v_sub_u32_e32 v8, 30, v8
	v_and_b32_e32 v5, 3, v5
	v_cmp_eq_u32_e32 vcc, 0, v7
	v_cndmask_b32_e32 v7, v7, v8, vcc
	v_cndmask_b32_e32 v5, v6, v5, vcc
	v_mov_b32_e32 v6, 0x37800000
	v_lshlrev_b32_e32 v5, 21, v5
	v_and_b32_e32 v4, 0x80000000, v4
	v_lshl_add_u32 v6, v7, 23, v6
	v_or3_b32 v4, v4, v6, v5
	v_trunc_f32_e32 v4, v4
	s_mov_b32 s20, 0x2f800000
	v_mul_f32_e64 v5, |v4|, s20
	v_floor_f32_e32 v5, v5
	s_mov_b32 s20, 0xcf800000
	v_fma_f32 v6, v5, s20, |v4|
	v_cvt_u32_f32_e32 v6, v6
	v_cvt_u32_f32_e32 v5, v5
	v_ashrrev_i32_e32 v7, 31, v4
	v_xor_b32_e32 v4, v6, v7
	v_xor_b32_e32 v5, v5, v7
	v_sub_co_u32_e32 v4, vcc, v4, v7
	v_subb_co_u32_e32 v5, vcc, v5, v7, vcc
.LBB94_302:
	s_or_b64 exec, exec, s[0:1]
	s_mov_b64 s[0:1], 0
	s_branch .LBB94_306
.LBB94_303:
	s_mov_b64 s[20:21], -1
                                        ; implicit-def: $vgpr4_vgpr5
	s_branch .LBB94_312
.LBB94_304:
	s_mov_b64 s[0:1], -1
                                        ; implicit-def: $vgpr4_vgpr5
	s_branch .LBB94_309
.LBB94_305:
	s_mov_b64 s[0:1], -1
                                        ; implicit-def: $vgpr4_vgpr5
.LBB94_306:
	s_and_b64 vcc, exec, s[0:1]
	s_cbranch_vccz .LBB94_308
; %bb.307:
	global_load_ubyte v4, v[2:3], off
	s_mov_b32 s0, 0x7f800000
	s_brev_b32 s1, 1
	s_mov_b32 s20, 0x2f800000
	s_mov_b32 s21, 0xcf800000
	s_waitcnt vmcnt(0)
	v_lshlrev_b32_e32 v4, 24, v4
	v_and_b32_e32 v5, 0x7f000000, v4
	v_ffbh_u32_e32 v6, v5
	v_min_u32_e32 v6, 32, v6
	v_sub_u32_e64 v6, v6, 4 clamp
	v_lshlrev_b32_e32 v8, v6, v5
	v_lshlrev_b32_e32 v6, 23, v6
	v_lshrrev_b32_e32 v8, 4, v8
	v_add_u32_e32 v7, 0x1000000, v5
	v_sub_u32_e32 v6, v8, v6
	v_ashrrev_i32_e32 v7, 8, v7
	v_add_u32_e32 v6, 0x3c000000, v6
	v_and_or_b32 v6, v7, s0, v6
	v_cmp_ne_u32_e32 vcc, 0, v5
	v_cndmask_b32_e32 v5, 0, v6, vcc
	v_and_or_b32 v4, v4, s1, v5
	v_trunc_f32_e32 v4, v4
	v_mul_f32_e64 v5, |v4|, s20
	v_floor_f32_e32 v5, v5
	v_fma_f32 v6, v5, s21, |v4|
	v_cvt_u32_f32_e32 v6, v6
	v_cvt_u32_f32_e32 v5, v5
	v_ashrrev_i32_e32 v7, 31, v4
	v_xor_b32_e32 v4, v6, v7
	v_xor_b32_e32 v5, v5, v7
	v_sub_co_u32_e32 v4, vcc, v4, v7
	v_subb_co_u32_e32 v5, vcc, v5, v7, vcc
.LBB94_308:
	s_mov_b64 s[0:1], 0
.LBB94_309:
	s_andn2_b64 vcc, exec, s[0:1]
	s_cbranch_vccnz .LBB94_311
; %bb.310:
	global_load_ubyte v4, v[2:3], off
	s_movk_i32 s0, 0x7f00
	s_brev_b32 s1, 16
	s_brev_b32 s20, 1
	s_mov_b32 s21, 0x2f800000
	s_mov_b32 s34, 0xcf800000
	s_waitcnt vmcnt(0)
	v_lshlrev_b16_e32 v5, 8, v4
	v_lshlrev_b32_e32 v4, 25, v4
	v_lshrrev_b32_e32 v6, 4, v4
	v_and_or_b32 v7, v5, s0, 0.5
	v_or_b32_e32 v6, 0x70000000, v6
	v_add_f32_e32 v7, -0.5, v7
	v_mul_f32_e32 v6, 0x7800000, v6
	v_cmp_gt_u32_e32 vcc, s1, v4
	v_bfe_i32 v5, v5, 0, 16
	v_cndmask_b32_e32 v4, v6, v7, vcc
	v_and_or_b32 v4, v5, s20, v4
	v_trunc_f32_e32 v4, v4
	v_mul_f32_e64 v5, |v4|, s21
	v_floor_f32_e32 v5, v5
	v_fma_f32 v6, v5, s34, |v4|
	v_cvt_u32_f32_e32 v6, v6
	v_cvt_u32_f32_e32 v5, v5
	v_ashrrev_i32_e32 v7, 31, v4
	v_xor_b32_e32 v4, v6, v7
	v_xor_b32_e32 v5, v5, v7
	v_sub_co_u32_e32 v4, vcc, v4, v7
	v_subb_co_u32_e32 v5, vcc, v5, v7, vcc
.LBB94_311:
	s_mov_b64 s[20:21], 0
	s_mov_b64 s[0:1], -1
.LBB94_312:
	s_andn2_b64 vcc, exec, s[20:21]
	s_cbranch_vccnz .LBB94_323
; %bb.313:
	s_cmp_gt_i32 s29, 14
	s_cbranch_scc0 .LBB94_316
; %bb.314:
	s_cmp_eq_u32 s29, 15
	s_cbranch_scc0 .LBB94_317
; %bb.315:
	global_load_ushort v4, v[2:3], off
	s_mov_b32 s0, 0x2f800000
	s_mov_b32 s1, 0xcf800000
	s_mov_b64 s[22:23], 0
	s_waitcnt vmcnt(0)
	v_lshlrev_b32_e32 v4, 16, v4
	v_trunc_f32_e32 v4, v4
	v_mul_f32_e64 v5, |v4|, s0
	v_floor_f32_e32 v5, v5
	v_fma_f32 v6, v5, s1, |v4|
	v_cvt_u32_f32_e32 v6, v6
	v_cvt_u32_f32_e32 v5, v5
	v_ashrrev_i32_e32 v7, 31, v4
	s_mov_b64 s[0:1], -1
	v_xor_b32_e32 v4, v6, v7
	v_xor_b32_e32 v5, v5, v7
	v_sub_co_u32_e32 v4, vcc, v4, v7
	v_subb_co_u32_e32 v5, vcc, v5, v7, vcc
	s_branch .LBB94_318
.LBB94_316:
	s_mov_b64 s[20:21], -1
                                        ; implicit-def: $vgpr4_vgpr5
	s_branch .LBB94_319
.LBB94_317:
	s_mov_b64 s[22:23], -1
                                        ; implicit-def: $vgpr4_vgpr5
.LBB94_318:
	s_mov_b64 s[20:21], 0
.LBB94_319:
	s_and_b64 vcc, exec, s[20:21]
	s_cbranch_vccz .LBB94_323
; %bb.320:
	s_cmp_eq_u32 s29, 11
	s_cbranch_scc0 .LBB94_322
; %bb.321:
	global_load_ubyte v4, v[2:3], off
	s_mov_b32 s20, 0
	s_mov_b64 s[0:1], -1
	s_waitcnt vmcnt(1)
	v_mov_b32_e32 v5, s20
	s_mov_b64 s[22:23], 0
	s_waitcnt vmcnt(0)
	v_cmp_ne_u16_e32 vcc, 0, v4
	v_cndmask_b32_e64 v4, 0, 1, vcc
	s_branch .LBB94_323
.LBB94_322:
	s_mov_b64 s[22:23], -1
                                        ; implicit-def: $vgpr4_vgpr5
.LBB94_323:
	s_branch .LBB94_20
.LBB94_324:
	s_and_b32 s20, 0xffff, s28
	s_cmp_lt_i32 s20, 5
	s_cbranch_scc1 .LBB94_329
; %bb.325:
	s_cmp_lt_i32 s20, 8
	s_cbranch_scc1 .LBB94_330
; %bb.326:
	s_cmp_lt_i32 s20, 9
	s_cbranch_scc1 .LBB94_331
; %bb.327:
	s_cmp_gt_i32 s20, 9
	s_cbranch_scc0 .LBB94_332
; %bb.328:
	global_load_dwordx2 v[4:5], v[2:3], off
	s_movk_i32 s0, 0xffe0
	s_waitcnt vmcnt(0)
	v_trunc_f64_e32 v[4:5], v[4:5]
	v_ldexp_f64 v[6:7], v[4:5], s0
	s_mov_b32 s0, 0
	s_mov_b32 s1, 0xc1f00000
	v_floor_f64_e32 v[6:7], v[6:7]
	v_fma_f64 v[8:9], v[6:7], s[0:1], v[4:5]
	v_cvt_i32_f64_e32 v5, v[6:7]
	s_mov_b64 s[0:1], 0
	v_cvt_u32_f64_e32 v4, v[8:9]
	s_branch .LBB94_333
.LBB94_329:
	s_mov_b64 s[0:1], -1
                                        ; implicit-def: $vgpr4_vgpr5
	s_branch .LBB94_351
.LBB94_330:
	s_mov_b64 s[0:1], -1
                                        ; implicit-def: $vgpr4_vgpr5
	s_branch .LBB94_339
.LBB94_331:
	s_mov_b64 s[0:1], -1
                                        ; implicit-def: $vgpr4_vgpr5
	s_branch .LBB94_336
.LBB94_332:
	s_mov_b64 s[0:1], -1
                                        ; implicit-def: $vgpr4_vgpr5
.LBB94_333:
	s_andn2_b64 vcc, exec, s[0:1]
	s_cbranch_vccnz .LBB94_335
; %bb.334:
	global_load_dword v4, v[2:3], off
	s_mov_b32 s0, 0x2f800000
	s_mov_b32 s1, 0xcf800000
	s_waitcnt vmcnt(0)
	v_trunc_f32_e32 v4, v4
	v_mul_f32_e64 v5, |v4|, s0
	v_floor_f32_e32 v5, v5
	v_cvt_u32_f32_e32 v6, v5
	v_fma_f32 v5, v5, s1, |v4|
	v_cvt_u32_f32_e32 v5, v5
	v_ashrrev_i32_e32 v7, 31, v4
	v_xor_b32_e32 v6, v6, v7
	v_xor_b32_e32 v4, v5, v7
	v_sub_co_u32_e32 v4, vcc, v4, v7
	v_subb_co_u32_e32 v5, vcc, v6, v7, vcc
.LBB94_335:
	s_mov_b64 s[0:1], 0
.LBB94_336:
	s_andn2_b64 vcc, exec, s[0:1]
	s_cbranch_vccnz .LBB94_338
; %bb.337:
	global_load_dword v4, v[2:3], off
	s_waitcnt vmcnt(0)
	v_cvt_f32_f16_e32 v4, v4
	v_cvt_i32_f32_e32 v4, v4
	v_ashrrev_i32_e32 v5, 31, v4
.LBB94_338:
	s_mov_b64 s[0:1], 0
.LBB94_339:
	s_andn2_b64 vcc, exec, s[0:1]
	s_cbranch_vccnz .LBB94_350
; %bb.340:
	s_cmp_lt_i32 s20, 6
	s_cbranch_scc1 .LBB94_343
; %bb.341:
	s_cmp_gt_i32 s20, 6
	s_cbranch_scc0 .LBB94_344
; %bb.342:
	global_load_dwordx2 v[4:5], v[2:3], off
	s_movk_i32 s0, 0xffe0
	s_waitcnt vmcnt(0)
	v_trunc_f64_e32 v[4:5], v[4:5]
	v_ldexp_f64 v[6:7], v[4:5], s0
	s_mov_b32 s0, 0
	s_mov_b32 s1, 0xc1f00000
	v_floor_f64_e32 v[6:7], v[6:7]
	v_fma_f64 v[8:9], v[6:7], s[0:1], v[4:5]
	v_cvt_i32_f64_e32 v5, v[6:7]
	s_mov_b64 s[0:1], 0
	v_cvt_u32_f64_e32 v4, v[8:9]
	s_branch .LBB94_345
.LBB94_343:
	s_mov_b64 s[0:1], -1
                                        ; implicit-def: $vgpr4_vgpr5
	s_branch .LBB94_348
.LBB94_344:
	s_mov_b64 s[0:1], -1
                                        ; implicit-def: $vgpr4_vgpr5
.LBB94_345:
	s_andn2_b64 vcc, exec, s[0:1]
	s_cbranch_vccnz .LBB94_347
; %bb.346:
	global_load_dword v4, v[2:3], off
	s_mov_b32 s0, 0x2f800000
	s_mov_b32 s1, 0xcf800000
	s_waitcnt vmcnt(0)
	v_trunc_f32_e32 v4, v4
	v_mul_f32_e64 v5, |v4|, s0
	v_floor_f32_e32 v5, v5
	v_cvt_u32_f32_e32 v6, v5
	v_fma_f32 v5, v5, s1, |v4|
	v_cvt_u32_f32_e32 v5, v5
	v_ashrrev_i32_e32 v7, 31, v4
	v_xor_b32_e32 v6, v6, v7
	v_xor_b32_e32 v4, v5, v7
	v_sub_co_u32_e32 v4, vcc, v4, v7
	v_subb_co_u32_e32 v5, vcc, v6, v7, vcc
.LBB94_347:
	s_mov_b64 s[0:1], 0
.LBB94_348:
	s_andn2_b64 vcc, exec, s[0:1]
	s_cbranch_vccnz .LBB94_350
; %bb.349:
	global_load_ushort v4, v[2:3], off
	s_waitcnt vmcnt(0)
	v_cvt_f32_f16_e32 v4, v4
	v_cvt_i32_f32_e32 v4, v4
	v_ashrrev_i32_e32 v5, 31, v4
.LBB94_350:
	s_mov_b64 s[0:1], 0
.LBB94_351:
	s_andn2_b64 vcc, exec, s[0:1]
	s_cbranch_vccnz .LBB94_371
; %bb.352:
	s_cmp_lt_i32 s20, 2
	s_cbranch_scc1 .LBB94_356
; %bb.353:
	s_cmp_lt_i32 s20, 3
	s_cbranch_scc1 .LBB94_357
; %bb.354:
	s_cmp_gt_i32 s20, 3
	s_cbranch_scc0 .LBB94_358
; %bb.355:
	global_load_dwordx2 v[4:5], v[2:3], off
	s_mov_b64 s[0:1], 0
	s_branch .LBB94_359
.LBB94_356:
	s_mov_b64 s[0:1], -1
                                        ; implicit-def: $vgpr4_vgpr5
	s_branch .LBB94_365
.LBB94_357:
	s_mov_b64 s[0:1], -1
                                        ; implicit-def: $vgpr4_vgpr5
	s_branch .LBB94_362
.LBB94_358:
	s_mov_b64 s[0:1], -1
                                        ; implicit-def: $vgpr4_vgpr5
.LBB94_359:
	s_andn2_b64 vcc, exec, s[0:1]
	s_cbranch_vccnz .LBB94_361
; %bb.360:
	global_load_dword v4, v[2:3], off
	s_waitcnt vmcnt(0)
	v_ashrrev_i32_e32 v5, 31, v4
.LBB94_361:
	s_mov_b64 s[0:1], 0
.LBB94_362:
	s_andn2_b64 vcc, exec, s[0:1]
	s_cbranch_vccnz .LBB94_364
; %bb.363:
	global_load_ushort v4, v[2:3], off
	s_waitcnt vmcnt(0)
	v_bfe_i32 v4, v4, 0, 16
	v_ashrrev_i32_e32 v5, 31, v4
.LBB94_364:
	s_mov_b64 s[0:1], 0
.LBB94_365:
	s_andn2_b64 vcc, exec, s[0:1]
	s_cbranch_vccnz .LBB94_371
; %bb.366:
	s_cmp_gt_i32 s20, 0
	s_cbranch_scc0 .LBB94_368
; %bb.367:
	global_load_sbyte v4, v[2:3], off
	s_mov_b64 s[0:1], 0
	s_waitcnt vmcnt(0)
	v_bfe_i32 v4, v4, 0, 16
	v_ashrrev_i32_e32 v5, 31, v4
	s_branch .LBB94_369
.LBB94_368:
	s_mov_b64 s[0:1], -1
                                        ; implicit-def: $vgpr4_vgpr5
.LBB94_369:
	s_andn2_b64 vcc, exec, s[0:1]
	s_cbranch_vccnz .LBB94_371
; %bb.370:
	global_load_ubyte v2, v[2:3], off
	s_mov_b32 s0, 0
	s_waitcnt vmcnt(1)
	v_mov_b32_e32 v5, s0
	s_waitcnt vmcnt(0)
	v_and_b32_e32 v4, 0xffff, v2
.LBB94_371:
	s_branch .LBB94_21
.LBB94_372:
	s_mov_b64 s[0:1], 0
.LBB94_373:
                                        ; implicit-def: $vgpr18
	s_mov_b64 s[28:29], 0
.LBB94_374:
	s_and_b64 s[20:21], s[0:1], exec
	s_and_b64 s[22:23], s[22:23], exec
	;; [unrolled: 1-line block ×3, first 2 shown]
	s_orn2_b64 s[0:1], s[28:29], exec
.LBB94_375:
	s_or_b64 exec, exec, s[26:27]
	s_mov_b64 s[36:37], 0
	s_mov_b64 s[34:35], 0
                                        ; implicit-def: $sgpr59
                                        ; implicit-def: $vgpr2_vgpr3
                                        ; implicit-def: $vgpr0_vgpr1
	s_and_saveexec_b64 s[26:27], s[0:1]
	s_cbranch_execz .LBB94_384
; %bb.376:
	v_cmp_gt_i32_e32 vcc, s52, v18
	s_mov_b64 s[0:1], -1
	s_mov_b64 s[28:29], s[24:25]
	s_mov_b64 s[30:31], s[22:23]
	;; [unrolled: 1-line block ×3, first 2 shown]
	s_and_saveexec_b64 s[36:37], vcc
	s_cbranch_execz .LBB94_757
; %bb.377:
	s_waitcnt vmcnt(0)
	v_mul_lo_u32 v0, v18, s9
	v_mov_b32_e32 v1, s19
	s_and_b32 s34, s58, 0xff
	s_cmp_lt_i32 s34, 11
	v_ashrrev_i32_e32 v3, 31, v0
	v_add_co_u32_e32 v2, vcc, s18, v0
	v_addc_co_u32_e32 v3, vcc, v1, v3, vcc
	s_cbranch_scc1 .LBB94_387
; %bb.378:
	s_and_b32 s35, 0xffff, s34
	s_cmp_gt_i32 s35, 25
	s_cbranch_scc0 .LBB94_396
; %bb.379:
	s_cmp_gt_i32 s35, 28
	s_cbranch_scc0 .LBB94_398
; %bb.380:
	;; [unrolled: 3-line block ×4, first 2 shown]
	s_cmp_eq_u32 s35, 46
	s_mov_b64 s[30:31], 0
	s_cbranch_scc0 .LBB94_406
; %bb.383:
	global_load_dword v0, v[2:3], off
	s_mov_b32 s0, 0x2f800000
	s_mov_b32 s1, 0xcf800000
	s_mov_b64 s[28:29], 0
	s_waitcnt vmcnt(0)
	v_lshlrev_b32_e32 v0, 16, v0
	v_trunc_f32_e32 v0, v0
	v_mul_f32_e64 v1, |v0|, s0
	v_floor_f32_e32 v1, v1
	v_fma_f32 v4, v1, s1, |v0|
	v_cvt_u32_f32_e32 v4, v4
	v_cvt_u32_f32_e32 v1, v1
	v_ashrrev_i32_e32 v5, 31, v0
	s_mov_b64 s[0:1], -1
	v_xor_b32_e32 v0, v4, v5
	v_xor_b32_e32 v1, v1, v5
	v_sub_co_u32_e32 v0, vcc, v0, v5
	v_subb_co_u32_e32 v1, vcc, v1, v5, vcc
	s_branch .LBB94_407
.LBB94_384:
	s_or_b64 exec, exec, s[26:27]
	s_mov_b64 s[26:27], 0
	s_and_saveexec_b64 s[0:1], s[24:25]
	s_cbranch_execnz .LBB94_1220
.LBB94_385:
	s_or_b64 exec, exec, s[0:1]
	s_and_saveexec_b64 s[0:1], s[30:31]
	s_xor_b64 s[0:1], exec, s[0:1]
	s_cbranch_execz .LBB94_1221
.LBB94_386:
	global_load_ubyte v0, v[2:3], off
	s_mov_b32 s24, 0
	s_waitcnt vmcnt(1)
	v_mov_b32_e32 v1, s24
	s_or_b64 s[34:35], s[34:35], exec
	s_waitcnt vmcnt(0)
	v_cmp_ne_u16_e32 vcc, 0, v0
	v_cndmask_b32_e64 v0, 0, 1, vcc
	s_or_b64 exec, exec, s[0:1]
	s_and_saveexec_b64 s[0:1], s[36:37]
	s_cbranch_execz .LBB94_1267
	s_branch .LBB94_1222
.LBB94_387:
	s_mov_b64 s[0:1], 0
                                        ; implicit-def: $vgpr0_vgpr1
	s_mov_b64 s[28:29], s[24:25]
	s_cbranch_execnz .LBB94_469
.LBB94_388:
	s_andn2_b64 vcc, exec, s[0:1]
	s_cbranch_vccnz .LBB94_517
.LBB94_389:
	v_mul_lo_u32 v2, v18, s10
	v_mov_b32_e32 v3, s3
	s_and_b32 s38, s11, 0xff
	s_cmp_lt_i32 s38, 11
	v_ashrrev_i32_e32 v4, 31, v2
	v_add_co_u32_e32 v2, vcc, s2, v2
	v_addc_co_u32_e32 v3, vcc, v3, v4, vcc
	s_cbranch_scc1 .LBB94_397
; %bb.390:
	s_and_b32 s39, 0xffff, s38
	s_cmp_gt_i32 s39, 25
	s_cbranch_scc0 .LBB94_399
; %bb.391:
	s_cmp_gt_i32 s39, 28
	s_cbranch_scc0 .LBB94_401
; %bb.392:
	;; [unrolled: 3-line block ×4, first 2 shown]
	s_cmp_eq_u32 s39, 46
	s_mov_b64 s[34:35], 0
	s_cbranch_scc0 .LBB94_521
; %bb.395:
	global_load_dword v4, v[2:3], off
	s_mov_b32 s0, 0x2f800000
	s_mov_b32 s1, 0xcf800000
	s_mov_b64 s[30:31], 0
	s_waitcnt vmcnt(0)
	v_lshlrev_b32_e32 v4, 16, v4
	v_trunc_f32_e32 v4, v4
	v_mul_f32_e64 v5, |v4|, s0
	v_floor_f32_e32 v5, v5
	v_fma_f32 v6, v5, s1, |v4|
	v_cvt_u32_f32_e32 v6, v6
	v_cvt_u32_f32_e32 v5, v5
	v_ashrrev_i32_e32 v7, 31, v4
	s_mov_b64 s[0:1], -1
	v_xor_b32_e32 v4, v6, v7
	v_xor_b32_e32 v5, v5, v7
	v_sub_co_u32_e32 v4, vcc, v4, v7
	v_subb_co_u32_e32 v5, vcc, v5, v7, vcc
	s_branch .LBB94_522
.LBB94_396:
	s_mov_b64 s[30:31], -1
	s_mov_b64 s[0:1], 0
	s_mov_b64 s[28:29], s[24:25]
                                        ; implicit-def: $vgpr0_vgpr1
	s_branch .LBB94_437
.LBB94_397:
	s_mov_b64 s[34:35], -1
	s_mov_b64 s[0:1], 0
                                        ; implicit-def: $vgpr4_vgpr5
	s_mov_b64 s[30:31], s[22:23]
	s_branch .LBB94_583
.LBB94_398:
	s_mov_b64 s[30:31], -1
	s_mov_b64 s[0:1], 0
	s_mov_b64 s[28:29], s[24:25]
                                        ; implicit-def: $vgpr0_vgpr1
	s_branch .LBB94_418
.LBB94_399:
	s_mov_b64 s[34:35], -1
	s_mov_b64 s[0:1], 0
	s_mov_b64 s[30:31], s[22:23]
                                        ; implicit-def: $vgpr4_vgpr5
	s_branch .LBB94_551
.LBB94_400:
	s_mov_b64 s[30:31], -1
	s_mov_b64 s[0:1], 0
	s_mov_b64 s[28:29], s[24:25]
                                        ; implicit-def: $vgpr0_vgpr1
	s_branch .LBB94_413
.LBB94_401:
	s_mov_b64 s[34:35], -1
	s_mov_b64 s[0:1], 0
	s_mov_b64 s[30:31], s[22:23]
                                        ; implicit-def: $vgpr4_vgpr5
	s_branch .LBB94_532
.LBB94_402:
	s_mov_b64 s[30:31], -1
	s_mov_b64 s[0:1], 0
	s_mov_b64 s[28:29], s[24:25]
                                        ; implicit-def: $vgpr0_vgpr1
	s_branch .LBB94_407
.LBB94_403:
	s_mov_b64 s[34:35], -1
	s_mov_b64 s[0:1], 0
	s_mov_b64 s[30:31], s[22:23]
                                        ; implicit-def: $vgpr4_vgpr5
	s_branch .LBB94_527
.LBB94_404:
	s_andn2_saveexec_b64 s[34:35], s[34:35]
	s_cbranch_execz .LBB94_176
.LBB94_405:
	s_mov_b32 s38, 0x46000000
	v_add_f32_e64 v5, |v4|, s38
	v_and_b32_e32 v5, 0xff, v5
	v_cmp_ne_u32_e32 vcc, 0, v5
	s_andn2_b64 s[28:29], s[28:29], exec
	s_and_b64 s[38:39], vcc, exec
	s_or_b64 s[28:29], s[28:29], s[38:39]
	s_or_b64 exec, exec, s[34:35]
	v_mov_b32_e32 v6, 0
	s_and_saveexec_b64 s[34:35], s[28:29]
	s_cbranch_execnz .LBB94_177
	s_branch .LBB94_178
.LBB94_406:
	s_mov_b64 s[28:29], -1
                                        ; implicit-def: $vgpr0_vgpr1
	s_mov_b64 s[0:1], 0
.LBB94_407:
	s_and_b64 vcc, exec, s[30:31]
	s_cbranch_vccz .LBB94_412
; %bb.408:
	s_cmp_eq_u32 s35, 44
	s_cbranch_scc0 .LBB94_411
; %bb.409:
	global_load_ubyte v0, v[2:3], off
	s_mov_b32 s0, 0x2f800000
	s_mov_b32 s1, 0xcf800000
	s_mov_b64 s[28:29], 0
	s_waitcnt vmcnt(0)
	v_lshlrev_b32_e32 v1, 23, v0
	v_trunc_f32_e32 v1, v1
	v_mul_f32_e64 v4, |v1|, s0
	v_floor_f32_e32 v4, v4
	v_fma_f32 v5, v4, s1, |v1|
	v_cvt_u32_f32_e32 v5, v5
	v_cvt_u32_f32_e32 v4, v4
	v_ashrrev_i32_e32 v1, 31, v1
	s_mov_b64 s[0:1], -1
	v_xor_b32_e32 v5, v5, v1
	v_xor_b32_e32 v4, v4, v1
	v_sub_co_u32_e32 v5, vcc, v5, v1
	v_subb_co_u32_e32 v1, vcc, v4, v1, vcc
	v_cmp_ne_u32_e32 vcc, 0, v0
	v_cndmask_b32_e32 v1, 0, v1, vcc
	v_cndmask_b32_e32 v0, 0, v5, vcc
	s_branch .LBB94_412
.LBB94_410:
	s_mov_b64 s[34:35], -1
	s_mov_b64 s[0:1], 0
	s_mov_b64 s[30:31], s[22:23]
                                        ; implicit-def: $vgpr4_vgpr5
	s_branch .LBB94_522
.LBB94_411:
	s_mov_b64 s[28:29], -1
                                        ; implicit-def: $vgpr0_vgpr1
.LBB94_412:
	s_mov_b64 s[30:31], 0
.LBB94_413:
	s_and_b64 vcc, exec, s[30:31]
	s_cbranch_vccz .LBB94_417
; %bb.414:
	s_cmp_eq_u32 s35, 29
	s_cbranch_scc0 .LBB94_416
; %bb.415:
	global_load_dwordx2 v[0:1], v[2:3], off
	s_mov_b64 s[0:1], -1
	s_mov_b64 s[28:29], 0
	s_branch .LBB94_417
.LBB94_416:
	s_mov_b64 s[28:29], -1
                                        ; implicit-def: $vgpr0_vgpr1
.LBB94_417:
	s_mov_b64 s[30:31], 0
.LBB94_418:
	s_and_b64 vcc, exec, s[30:31]
	s_cbranch_vccz .LBB94_436
; %bb.419:
	s_cmp_lt_i32 s35, 27
	s_cbranch_scc1 .LBB94_422
; %bb.420:
	s_cmp_gt_i32 s35, 27
	s_cbranch_scc0 .LBB94_423
; %bb.421:
	global_load_dword v0, v[2:3], off
	s_waitcnt vmcnt(1)
	v_mov_b32_e32 v1, 0
	s_mov_b64 s[0:1], 0
	s_branch .LBB94_424
.LBB94_422:
	s_mov_b64 s[0:1], -1
                                        ; implicit-def: $vgpr0_vgpr1
	s_branch .LBB94_427
.LBB94_423:
	s_mov_b64 s[0:1], -1
                                        ; implicit-def: $vgpr0_vgpr1
.LBB94_424:
	s_andn2_b64 vcc, exec, s[0:1]
	s_cbranch_vccnz .LBB94_426
; %bb.425:
	global_load_ushort v0, v[2:3], off
	s_mov_b32 s0, 0
	s_waitcnt vmcnt(1)
	v_mov_b32_e32 v1, s0
	s_waitcnt vmcnt(0)
	v_and_b32_e32 v0, 0xffff, v0
.LBB94_426:
	s_mov_b64 s[0:1], 0
.LBB94_427:
	s_andn2_b64 vcc, exec, s[0:1]
	s_cbranch_vccnz .LBB94_435
; %bb.428:
	global_load_ubyte v4, v[2:3], off
	s_movk_i32 s0, 0x7f
	s_mov_b64 s[30:31], 0
	s_waitcnt vmcnt(0)
	v_cmp_lt_i16_e32 vcc, s0, v4
	s_and_saveexec_b64 s[0:1], vcc
	s_xor_b64 s[0:1], exec, s[0:1]
; %bb.429:
	s_movk_i32 s30, 0x80
	v_cmp_ne_u16_e32 vcc, s30, v4
	s_and_b64 s[30:31], vcc, exec
; %bb.430:
	s_andn2_saveexec_b64 s[0:1], s[0:1]
; %bb.431:
	v_cmp_ne_u16_e32 vcc, 0, v4
	s_andn2_b64 s[30:31], s[30:31], exec
	s_and_b64 s[38:39], vcc, exec
	s_or_b64 s[30:31], s[30:31], s[38:39]
; %bb.432:
	s_or_b64 exec, exec, s[0:1]
	v_mov_b32_e32 v0, 0
	v_mov_b32_e32 v1, 0
	s_and_saveexec_b64 s[0:1], s[30:31]
	s_cbranch_execz .LBB94_434
; %bb.433:
	v_and_b32_e32 v1, 0xffff, v4
	v_lshlrev_b32_e32 v0, 24, v4
	v_and_b32_e32 v4, 7, v1
	v_ffbh_u32_e32 v6, v4
	v_min_u32_e32 v6, 32, v6
	v_subrev_u32_e32 v7, 28, v6
	v_bfe_u32 v5, v1, 3, 4
	v_lshlrev_b32_e32 v1, v7, v1
	v_sub_u32_e32 v6, 29, v6
	v_and_b32_e32 v1, 7, v1
	v_cmp_eq_u32_e32 vcc, 0, v5
	v_cndmask_b32_e32 v5, v5, v6, vcc
	v_cndmask_b32_e32 v1, v4, v1, vcc
	v_mov_b32_e32 v4, 0x3b800000
	v_lshlrev_b32_e32 v1, 20, v1
	v_and_b32_e32 v0, 0x80000000, v0
	v_lshl_add_u32 v4, v5, 23, v4
	v_or3_b32 v0, v0, v4, v1
	v_trunc_f32_e32 v0, v0
	s_mov_b32 s30, 0x2f800000
	v_mul_f32_e64 v1, |v0|, s30
	v_floor_f32_e32 v1, v1
	s_mov_b32 s30, 0xcf800000
	v_fma_f32 v4, v1, s30, |v0|
	v_cvt_u32_f32_e32 v4, v4
	v_cvt_u32_f32_e32 v1, v1
	v_ashrrev_i32_e32 v5, 31, v0
	v_xor_b32_e32 v0, v4, v5
	v_xor_b32_e32 v1, v1, v5
	v_sub_co_u32_e32 v0, vcc, v0, v5
	v_subb_co_u32_e32 v1, vcc, v1, v5, vcc
.LBB94_434:
	s_or_b64 exec, exec, s[0:1]
.LBB94_435:
	s_mov_b64 s[0:1], -1
.LBB94_436:
	s_mov_b64 s[30:31], 0
.LBB94_437:
	s_and_b64 vcc, exec, s[30:31]
	s_cbranch_vccz .LBB94_468
; %bb.438:
	s_cmp_gt_i32 s35, 22
	s_cbranch_scc0 .LBB94_448
; %bb.439:
	s_cmp_lt_i32 s35, 24
	s_cbranch_scc1 .LBB94_449
; %bb.440:
	s_cmp_gt_i32 s35, 24
	s_cbranch_scc0 .LBB94_450
; %bb.441:
	global_load_ubyte v4, v[2:3], off
	s_movk_i32 s0, 0x7f
	s_mov_b64 s[30:31], 0
	s_waitcnt vmcnt(0)
	v_cmp_lt_i16_e32 vcc, s0, v4
	s_and_saveexec_b64 s[0:1], vcc
	s_xor_b64 s[0:1], exec, s[0:1]
; %bb.442:
	s_movk_i32 s30, 0x80
	v_cmp_ne_u16_e32 vcc, s30, v4
	s_and_b64 s[30:31], vcc, exec
; %bb.443:
	s_andn2_saveexec_b64 s[0:1], s[0:1]
; %bb.444:
	v_cmp_ne_u16_e32 vcc, 0, v4
	s_andn2_b64 s[30:31], s[30:31], exec
	s_and_b64 s[38:39], vcc, exec
	s_or_b64 s[30:31], s[30:31], s[38:39]
; %bb.445:
	s_or_b64 exec, exec, s[0:1]
	v_mov_b32_e32 v0, 0
	v_mov_b32_e32 v1, 0
	s_and_saveexec_b64 s[0:1], s[30:31]
	s_cbranch_execz .LBB94_447
; %bb.446:
	v_and_b32_e32 v1, 0xffff, v4
	v_lshlrev_b32_e32 v0, 24, v4
	v_and_b32_e32 v4, 3, v1
	v_ffbh_u32_e32 v6, v4
	v_min_u32_e32 v6, 32, v6
	v_subrev_u32_e32 v7, 29, v6
	v_bfe_u32 v5, v1, 2, 5
	v_lshlrev_b32_e32 v1, v7, v1
	v_sub_u32_e32 v6, 30, v6
	v_and_b32_e32 v1, 3, v1
	v_cmp_eq_u32_e32 vcc, 0, v5
	v_cndmask_b32_e32 v5, v5, v6, vcc
	v_cndmask_b32_e32 v1, v4, v1, vcc
	v_mov_b32_e32 v4, 0x37800000
	v_lshlrev_b32_e32 v1, 21, v1
	v_and_b32_e32 v0, 0x80000000, v0
	v_lshl_add_u32 v4, v5, 23, v4
	v_or3_b32 v0, v0, v4, v1
	v_trunc_f32_e32 v0, v0
	s_mov_b32 s30, 0x2f800000
	v_mul_f32_e64 v1, |v0|, s30
	v_floor_f32_e32 v1, v1
	s_mov_b32 s30, 0xcf800000
	v_fma_f32 v4, v1, s30, |v0|
	v_cvt_u32_f32_e32 v4, v4
	v_cvt_u32_f32_e32 v1, v1
	v_ashrrev_i32_e32 v5, 31, v0
	v_xor_b32_e32 v0, v4, v5
	v_xor_b32_e32 v1, v1, v5
	v_sub_co_u32_e32 v0, vcc, v0, v5
	v_subb_co_u32_e32 v1, vcc, v1, v5, vcc
.LBB94_447:
	s_or_b64 exec, exec, s[0:1]
	s_mov_b64 s[0:1], 0
	s_branch .LBB94_451
.LBB94_448:
	s_mov_b64 s[30:31], -1
                                        ; implicit-def: $vgpr0_vgpr1
	s_branch .LBB94_457
.LBB94_449:
	s_mov_b64 s[0:1], -1
                                        ; implicit-def: $vgpr0_vgpr1
	s_branch .LBB94_454
.LBB94_450:
	s_mov_b64 s[0:1], -1
                                        ; implicit-def: $vgpr0_vgpr1
.LBB94_451:
	s_and_b64 vcc, exec, s[0:1]
	s_cbranch_vccz .LBB94_453
; %bb.452:
	global_load_ubyte v0, v[2:3], off
	s_mov_b32 s0, 0x7f800000
	s_brev_b32 s1, 1
	s_mov_b32 s30, 0x2f800000
	s_mov_b32 s31, 0xcf800000
	s_waitcnt vmcnt(0)
	v_lshlrev_b32_e32 v0, 24, v0
	v_and_b32_e32 v1, 0x7f000000, v0
	v_ffbh_u32_e32 v4, v1
	v_min_u32_e32 v4, 32, v4
	v_sub_u32_e64 v4, v4, 4 clamp
	v_lshlrev_b32_e32 v6, v4, v1
	v_lshlrev_b32_e32 v4, 23, v4
	v_lshrrev_b32_e32 v6, 4, v6
	v_add_u32_e32 v5, 0x1000000, v1
	v_sub_u32_e32 v4, v6, v4
	v_ashrrev_i32_e32 v5, 8, v5
	v_add_u32_e32 v4, 0x3c000000, v4
	v_and_or_b32 v4, v5, s0, v4
	v_cmp_ne_u32_e32 vcc, 0, v1
	v_cndmask_b32_e32 v1, 0, v4, vcc
	v_and_or_b32 v0, v0, s1, v1
	v_trunc_f32_e32 v0, v0
	v_mul_f32_e64 v1, |v0|, s30
	v_floor_f32_e32 v1, v1
	v_fma_f32 v4, v1, s31, |v0|
	v_cvt_u32_f32_e32 v4, v4
	v_cvt_u32_f32_e32 v1, v1
	v_ashrrev_i32_e32 v5, 31, v0
	v_xor_b32_e32 v0, v4, v5
	v_xor_b32_e32 v1, v1, v5
	v_sub_co_u32_e32 v0, vcc, v0, v5
	v_subb_co_u32_e32 v1, vcc, v1, v5, vcc
.LBB94_453:
	s_mov_b64 s[0:1], 0
.LBB94_454:
	s_andn2_b64 vcc, exec, s[0:1]
	s_cbranch_vccnz .LBB94_456
; %bb.455:
	global_load_ubyte v0, v[2:3], off
	s_movk_i32 s0, 0x7f00
	s_brev_b32 s1, 16
	s_brev_b32 s30, 1
	s_mov_b32 s31, 0x2f800000
	s_mov_b32 s38, 0xcf800000
	s_waitcnt vmcnt(0)
	v_lshlrev_b16_e32 v1, 8, v0
	v_lshlrev_b32_e32 v0, 25, v0
	v_lshrrev_b32_e32 v4, 4, v0
	v_and_or_b32 v5, v1, s0, 0.5
	v_or_b32_e32 v4, 0x70000000, v4
	v_add_f32_e32 v5, -0.5, v5
	v_mul_f32_e32 v4, 0x7800000, v4
	v_cmp_gt_u32_e32 vcc, s1, v0
	v_bfe_i32 v1, v1, 0, 16
	v_cndmask_b32_e32 v0, v4, v5, vcc
	v_and_or_b32 v0, v1, s30, v0
	v_trunc_f32_e32 v0, v0
	v_mul_f32_e64 v1, |v0|, s31
	v_floor_f32_e32 v1, v1
	v_fma_f32 v4, v1, s38, |v0|
	v_cvt_u32_f32_e32 v4, v4
	v_cvt_u32_f32_e32 v1, v1
	v_ashrrev_i32_e32 v5, 31, v0
	v_xor_b32_e32 v0, v4, v5
	v_xor_b32_e32 v1, v1, v5
	v_sub_co_u32_e32 v0, vcc, v0, v5
	v_subb_co_u32_e32 v1, vcc, v1, v5, vcc
.LBB94_456:
	s_mov_b64 s[30:31], 0
	s_mov_b64 s[0:1], -1
.LBB94_457:
	s_andn2_b64 vcc, exec, s[30:31]
	s_cbranch_vccnz .LBB94_468
; %bb.458:
	s_cmp_gt_i32 s35, 14
	s_cbranch_scc0 .LBB94_461
; %bb.459:
	s_cmp_eq_u32 s35, 15
	s_cbranch_scc0 .LBB94_462
; %bb.460:
	global_load_ushort v0, v[2:3], off
	s_mov_b32 s0, 0x2f800000
	s_mov_b32 s1, 0xcf800000
	s_mov_b64 s[28:29], 0
	s_waitcnt vmcnt(0)
	v_lshlrev_b32_e32 v0, 16, v0
	v_trunc_f32_e32 v0, v0
	v_mul_f32_e64 v1, |v0|, s0
	v_floor_f32_e32 v1, v1
	v_fma_f32 v4, v1, s1, |v0|
	v_cvt_u32_f32_e32 v4, v4
	v_cvt_u32_f32_e32 v1, v1
	v_ashrrev_i32_e32 v5, 31, v0
	s_mov_b64 s[0:1], -1
	v_xor_b32_e32 v0, v4, v5
	v_xor_b32_e32 v1, v1, v5
	v_sub_co_u32_e32 v0, vcc, v0, v5
	v_subb_co_u32_e32 v1, vcc, v1, v5, vcc
	s_branch .LBB94_463
.LBB94_461:
	s_mov_b64 s[30:31], -1
                                        ; implicit-def: $vgpr0_vgpr1
	s_branch .LBB94_464
.LBB94_462:
	s_mov_b64 s[28:29], -1
                                        ; implicit-def: $vgpr0_vgpr1
.LBB94_463:
	s_mov_b64 s[30:31], 0
.LBB94_464:
	s_and_b64 vcc, exec, s[30:31]
	s_cbranch_vccz .LBB94_468
; %bb.465:
	s_cmp_eq_u32 s35, 11
	s_cbranch_scc0 .LBB94_467
; %bb.466:
	global_load_ubyte v0, v[2:3], off
	s_mov_b32 s28, 0
	s_mov_b64 s[0:1], -1
	s_waitcnt vmcnt(1)
	v_mov_b32_e32 v1, s28
	s_mov_b64 s[28:29], 0
	s_waitcnt vmcnt(0)
	v_cmp_ne_u16_e32 vcc, 0, v0
	v_cndmask_b32_e64 v0, 0, 1, vcc
	s_branch .LBB94_468
.LBB94_467:
	s_mov_b64 s[28:29], -1
                                        ; implicit-def: $vgpr0_vgpr1
.LBB94_468:
	s_branch .LBB94_388
.LBB94_469:
	s_and_b32 s30, 0xffff, s34
	s_cmp_lt_i32 s30, 5
	s_cbranch_scc1 .LBB94_474
; %bb.470:
	s_cmp_lt_i32 s30, 8
	s_cbranch_scc1 .LBB94_475
; %bb.471:
	s_cmp_lt_i32 s30, 9
	s_cbranch_scc1 .LBB94_476
; %bb.472:
	s_cmp_gt_i32 s30, 9
	s_cbranch_scc0 .LBB94_477
; %bb.473:
	global_load_dwordx2 v[0:1], v[2:3], off
	s_movk_i32 s0, 0xffe0
	s_waitcnt vmcnt(0)
	v_trunc_f64_e32 v[0:1], v[0:1]
	v_ldexp_f64 v[4:5], v[0:1], s0
	s_mov_b32 s0, 0
	s_mov_b32 s1, 0xc1f00000
	v_floor_f64_e32 v[4:5], v[4:5]
	v_fma_f64 v[6:7], v[4:5], s[0:1], v[0:1]
	v_cvt_i32_f64_e32 v1, v[4:5]
	s_mov_b64 s[0:1], 0
	v_cvt_u32_f64_e32 v0, v[6:7]
	s_branch .LBB94_478
.LBB94_474:
	s_mov_b64 s[0:1], -1
                                        ; implicit-def: $vgpr0_vgpr1
	s_branch .LBB94_496
.LBB94_475:
	s_mov_b64 s[0:1], -1
                                        ; implicit-def: $vgpr0_vgpr1
	s_branch .LBB94_484
.LBB94_476:
	s_mov_b64 s[0:1], -1
                                        ; implicit-def: $vgpr0_vgpr1
	s_branch .LBB94_481
.LBB94_477:
	s_mov_b64 s[0:1], -1
                                        ; implicit-def: $vgpr0_vgpr1
.LBB94_478:
	s_andn2_b64 vcc, exec, s[0:1]
	s_cbranch_vccnz .LBB94_480
; %bb.479:
	global_load_dword v0, v[2:3], off
	s_mov_b32 s0, 0x2f800000
	s_mov_b32 s1, 0xcf800000
	s_waitcnt vmcnt(0)
	v_trunc_f32_e32 v0, v0
	v_mul_f32_e64 v1, |v0|, s0
	v_floor_f32_e32 v1, v1
	v_cvt_u32_f32_e32 v4, v1
	v_fma_f32 v1, v1, s1, |v0|
	v_cvt_u32_f32_e32 v1, v1
	v_ashrrev_i32_e32 v5, 31, v0
	v_xor_b32_e32 v4, v4, v5
	v_xor_b32_e32 v0, v1, v5
	v_sub_co_u32_e32 v0, vcc, v0, v5
	v_subb_co_u32_e32 v1, vcc, v4, v5, vcc
.LBB94_480:
	s_mov_b64 s[0:1], 0
.LBB94_481:
	s_andn2_b64 vcc, exec, s[0:1]
	s_cbranch_vccnz .LBB94_483
; %bb.482:
	global_load_dword v0, v[2:3], off
	s_waitcnt vmcnt(0)
	v_cvt_f32_f16_e32 v0, v0
	v_cvt_i32_f32_e32 v0, v0
	v_ashrrev_i32_e32 v1, 31, v0
.LBB94_483:
	s_mov_b64 s[0:1], 0
.LBB94_484:
	s_andn2_b64 vcc, exec, s[0:1]
	s_cbranch_vccnz .LBB94_495
; %bb.485:
	s_cmp_lt_i32 s30, 6
	s_cbranch_scc1 .LBB94_488
; %bb.486:
	s_cmp_gt_i32 s30, 6
	s_cbranch_scc0 .LBB94_489
; %bb.487:
	global_load_dwordx2 v[0:1], v[2:3], off
	s_movk_i32 s0, 0xffe0
	s_waitcnt vmcnt(0)
	v_trunc_f64_e32 v[0:1], v[0:1]
	v_ldexp_f64 v[4:5], v[0:1], s0
	s_mov_b32 s0, 0
	s_mov_b32 s1, 0xc1f00000
	v_floor_f64_e32 v[4:5], v[4:5]
	v_fma_f64 v[6:7], v[4:5], s[0:1], v[0:1]
	v_cvt_i32_f64_e32 v1, v[4:5]
	s_mov_b64 s[0:1], 0
	v_cvt_u32_f64_e32 v0, v[6:7]
	s_branch .LBB94_490
.LBB94_488:
	s_mov_b64 s[0:1], -1
                                        ; implicit-def: $vgpr0_vgpr1
	s_branch .LBB94_493
.LBB94_489:
	s_mov_b64 s[0:1], -1
                                        ; implicit-def: $vgpr0_vgpr1
.LBB94_490:
	s_andn2_b64 vcc, exec, s[0:1]
	s_cbranch_vccnz .LBB94_492
; %bb.491:
	global_load_dword v0, v[2:3], off
	s_mov_b32 s0, 0x2f800000
	s_mov_b32 s1, 0xcf800000
	s_waitcnt vmcnt(0)
	v_trunc_f32_e32 v0, v0
	v_mul_f32_e64 v1, |v0|, s0
	v_floor_f32_e32 v1, v1
	v_cvt_u32_f32_e32 v4, v1
	v_fma_f32 v1, v1, s1, |v0|
	v_cvt_u32_f32_e32 v1, v1
	v_ashrrev_i32_e32 v5, 31, v0
	v_xor_b32_e32 v4, v4, v5
	v_xor_b32_e32 v0, v1, v5
	v_sub_co_u32_e32 v0, vcc, v0, v5
	v_subb_co_u32_e32 v1, vcc, v4, v5, vcc
.LBB94_492:
	s_mov_b64 s[0:1], 0
.LBB94_493:
	s_andn2_b64 vcc, exec, s[0:1]
	s_cbranch_vccnz .LBB94_495
; %bb.494:
	global_load_ushort v0, v[2:3], off
	s_waitcnt vmcnt(0)
	v_cvt_f32_f16_e32 v0, v0
	v_cvt_i32_f32_e32 v0, v0
	v_ashrrev_i32_e32 v1, 31, v0
.LBB94_495:
	s_mov_b64 s[0:1], 0
.LBB94_496:
	s_andn2_b64 vcc, exec, s[0:1]
	s_cbranch_vccnz .LBB94_516
; %bb.497:
	s_cmp_lt_i32 s30, 2
	s_cbranch_scc1 .LBB94_501
; %bb.498:
	s_cmp_lt_i32 s30, 3
	s_cbranch_scc1 .LBB94_502
; %bb.499:
	s_cmp_gt_i32 s30, 3
	s_cbranch_scc0 .LBB94_503
; %bb.500:
	global_load_dwordx2 v[0:1], v[2:3], off
	s_mov_b64 s[0:1], 0
	s_branch .LBB94_504
.LBB94_501:
	s_mov_b64 s[0:1], -1
                                        ; implicit-def: $vgpr0_vgpr1
	s_branch .LBB94_510
.LBB94_502:
	s_mov_b64 s[0:1], -1
                                        ; implicit-def: $vgpr0_vgpr1
	s_branch .LBB94_507
.LBB94_503:
	s_mov_b64 s[0:1], -1
                                        ; implicit-def: $vgpr0_vgpr1
.LBB94_504:
	s_andn2_b64 vcc, exec, s[0:1]
	s_cbranch_vccnz .LBB94_506
; %bb.505:
	global_load_dword v0, v[2:3], off
	s_waitcnt vmcnt(0)
	v_ashrrev_i32_e32 v1, 31, v0
.LBB94_506:
	s_mov_b64 s[0:1], 0
.LBB94_507:
	s_andn2_b64 vcc, exec, s[0:1]
	s_cbranch_vccnz .LBB94_509
; %bb.508:
	global_load_ushort v0, v[2:3], off
	s_waitcnt vmcnt(0)
	v_bfe_i32 v0, v0, 0, 16
	v_ashrrev_i32_e32 v1, 31, v0
.LBB94_509:
	s_mov_b64 s[0:1], 0
.LBB94_510:
	s_andn2_b64 vcc, exec, s[0:1]
	s_cbranch_vccnz .LBB94_516
; %bb.511:
	s_cmp_gt_i32 s30, 0
	s_cbranch_scc0 .LBB94_513
; %bb.512:
	global_load_sbyte v0, v[2:3], off
	s_mov_b64 s[0:1], 0
	s_waitcnt vmcnt(0)
	v_bfe_i32 v0, v0, 0, 16
	v_ashrrev_i32_e32 v1, 31, v0
	s_branch .LBB94_514
.LBB94_513:
	s_mov_b64 s[0:1], -1
                                        ; implicit-def: $vgpr0_vgpr1
.LBB94_514:
	s_andn2_b64 vcc, exec, s[0:1]
	s_cbranch_vccnz .LBB94_516
; %bb.515:
	global_load_ubyte v0, v[2:3], off
	s_mov_b32 s0, 0
	s_waitcnt vmcnt(1)
	v_mov_b32_e32 v1, s0
	s_waitcnt vmcnt(0)
	v_and_b32_e32 v0, 0xffff, v0
.LBB94_516:
	s_branch .LBB94_389
.LBB94_517:
	s_mov_b64 s[38:39], 0
	s_mov_b64 s[0:1], s[20:21]
	;; [unrolled: 1-line block ×3, first 2 shown]
.LBB94_518:
                                        ; implicit-def: $vgpr18
	s_branch .LBB94_756
.LBB94_519:
	s_andn2_saveexec_b64 s[34:35], s[34:35]
	s_cbranch_execz .LBB94_189
.LBB94_520:
	s_mov_b32 s38, 0x42800000
	v_add_f32_e64 v5, |v4|, s38
	v_and_b32_e32 v5, 0xff, v5
	v_cmp_ne_u32_e32 vcc, 0, v5
	s_andn2_b64 s[28:29], s[28:29], exec
	s_and_b64 s[38:39], vcc, exec
	s_or_b64 s[28:29], s[28:29], s[38:39]
	s_or_b64 exec, exec, s[34:35]
	v_mov_b32_e32 v6, 0
	s_and_saveexec_b64 s[34:35], s[28:29]
	s_cbranch_execnz .LBB94_190
	s_branch .LBB94_191
.LBB94_521:
	s_mov_b64 s[30:31], -1
                                        ; implicit-def: $vgpr4_vgpr5
	s_mov_b64 s[0:1], 0
.LBB94_522:
	s_and_b64 vcc, exec, s[34:35]
	s_cbranch_vccz .LBB94_526
; %bb.523:
	s_cmp_eq_u32 s39, 44
	s_cbranch_scc0 .LBB94_525
; %bb.524:
	global_load_ubyte v4, v[2:3], off
	s_mov_b32 s0, 0x2f800000
	s_mov_b32 s1, 0xcf800000
	s_mov_b64 s[30:31], 0
	s_waitcnt vmcnt(0)
	v_lshlrev_b32_e32 v5, 23, v4
	v_trunc_f32_e32 v5, v5
	v_mul_f32_e64 v6, |v5|, s0
	v_floor_f32_e32 v6, v6
	v_fma_f32 v7, v6, s1, |v5|
	v_cvt_u32_f32_e32 v7, v7
	v_cvt_u32_f32_e32 v6, v6
	v_ashrrev_i32_e32 v5, 31, v5
	s_mov_b64 s[0:1], -1
	v_xor_b32_e32 v7, v7, v5
	v_xor_b32_e32 v6, v6, v5
	v_sub_co_u32_e32 v7, vcc, v7, v5
	v_subb_co_u32_e32 v5, vcc, v6, v5, vcc
	v_cmp_ne_u32_e32 vcc, 0, v4
	v_cndmask_b32_e32 v5, 0, v5, vcc
	v_cndmask_b32_e32 v4, 0, v7, vcc
	s_branch .LBB94_526
.LBB94_525:
	s_mov_b64 s[30:31], -1
                                        ; implicit-def: $vgpr4_vgpr5
.LBB94_526:
	s_mov_b64 s[34:35], 0
.LBB94_527:
	s_and_b64 vcc, exec, s[34:35]
	s_cbranch_vccz .LBB94_531
; %bb.528:
	s_cmp_eq_u32 s39, 29
	s_cbranch_scc0 .LBB94_530
; %bb.529:
	global_load_dwordx2 v[4:5], v[2:3], off
	s_mov_b64 s[0:1], -1
	s_mov_b64 s[30:31], 0
	s_branch .LBB94_531
.LBB94_530:
	s_mov_b64 s[30:31], -1
                                        ; implicit-def: $vgpr4_vgpr5
.LBB94_531:
	s_mov_b64 s[34:35], 0
.LBB94_532:
	s_and_b64 vcc, exec, s[34:35]
	s_cbranch_vccz .LBB94_550
; %bb.533:
	s_cmp_lt_i32 s39, 27
	s_cbranch_scc1 .LBB94_536
; %bb.534:
	s_cmp_gt_i32 s39, 27
	s_cbranch_scc0 .LBB94_537
; %bb.535:
	global_load_dword v4, v[2:3], off
	s_waitcnt vmcnt(1)
	v_mov_b32_e32 v5, 0
	s_mov_b64 s[0:1], 0
	s_branch .LBB94_538
.LBB94_536:
	s_mov_b64 s[0:1], -1
                                        ; implicit-def: $vgpr4_vgpr5
	s_branch .LBB94_541
.LBB94_537:
	s_mov_b64 s[0:1], -1
                                        ; implicit-def: $vgpr4_vgpr5
.LBB94_538:
	s_andn2_b64 vcc, exec, s[0:1]
	s_cbranch_vccnz .LBB94_540
; %bb.539:
	global_load_ushort v4, v[2:3], off
	s_mov_b32 s0, 0
	s_waitcnt vmcnt(1)
	v_mov_b32_e32 v5, s0
	s_waitcnt vmcnt(0)
	v_and_b32_e32 v4, 0xffff, v4
.LBB94_540:
	s_mov_b64 s[0:1], 0
.LBB94_541:
	s_andn2_b64 vcc, exec, s[0:1]
	s_cbranch_vccnz .LBB94_549
; %bb.542:
	global_load_ubyte v6, v[2:3], off
	s_movk_i32 s0, 0x7f
	s_mov_b64 s[34:35], 0
	s_waitcnt vmcnt(0)
	v_cmp_lt_i16_e32 vcc, s0, v6
	s_and_saveexec_b64 s[0:1], vcc
	s_xor_b64 s[0:1], exec, s[0:1]
; %bb.543:
	s_movk_i32 s34, 0x80
	v_cmp_ne_u16_e32 vcc, s34, v6
	s_and_b64 s[34:35], vcc, exec
; %bb.544:
	s_andn2_saveexec_b64 s[0:1], s[0:1]
; %bb.545:
	v_cmp_ne_u16_e32 vcc, 0, v6
	s_andn2_b64 s[34:35], s[34:35], exec
	s_and_b64 s[40:41], vcc, exec
	s_or_b64 s[34:35], s[34:35], s[40:41]
; %bb.546:
	s_or_b64 exec, exec, s[0:1]
	v_mov_b32_e32 v4, 0
	v_mov_b32_e32 v5, 0
	s_and_saveexec_b64 s[0:1], s[34:35]
	s_cbranch_execz .LBB94_548
; %bb.547:
	v_and_b32_e32 v5, 0xffff, v6
	v_lshlrev_b32_e32 v4, 24, v6
	v_and_b32_e32 v6, 7, v5
	v_ffbh_u32_e32 v8, v6
	v_min_u32_e32 v8, 32, v8
	v_subrev_u32_e32 v9, 28, v8
	v_bfe_u32 v7, v5, 3, 4
	v_lshlrev_b32_e32 v5, v9, v5
	v_sub_u32_e32 v8, 29, v8
	v_and_b32_e32 v5, 7, v5
	v_cmp_eq_u32_e32 vcc, 0, v7
	v_cndmask_b32_e32 v7, v7, v8, vcc
	v_cndmask_b32_e32 v5, v6, v5, vcc
	v_mov_b32_e32 v6, 0x3b800000
	v_lshlrev_b32_e32 v5, 20, v5
	v_and_b32_e32 v4, 0x80000000, v4
	v_lshl_add_u32 v6, v7, 23, v6
	v_or3_b32 v4, v4, v6, v5
	v_trunc_f32_e32 v4, v4
	s_mov_b32 s34, 0x2f800000
	v_mul_f32_e64 v5, |v4|, s34
	v_floor_f32_e32 v5, v5
	s_mov_b32 s34, 0xcf800000
	v_fma_f32 v6, v5, s34, |v4|
	v_cvt_u32_f32_e32 v6, v6
	v_cvt_u32_f32_e32 v5, v5
	v_ashrrev_i32_e32 v7, 31, v4
	v_xor_b32_e32 v4, v6, v7
	v_xor_b32_e32 v5, v5, v7
	v_sub_co_u32_e32 v4, vcc, v4, v7
	v_subb_co_u32_e32 v5, vcc, v5, v7, vcc
.LBB94_548:
	s_or_b64 exec, exec, s[0:1]
.LBB94_549:
	s_mov_b64 s[0:1], -1
.LBB94_550:
	s_mov_b64 s[34:35], 0
.LBB94_551:
	s_and_b64 vcc, exec, s[34:35]
	s_cbranch_vccz .LBB94_582
; %bb.552:
	s_cmp_gt_i32 s39, 22
	s_cbranch_scc0 .LBB94_562
; %bb.553:
	s_cmp_lt_i32 s39, 24
	s_cbranch_scc1 .LBB94_563
; %bb.554:
	s_cmp_gt_i32 s39, 24
	s_cbranch_scc0 .LBB94_564
; %bb.555:
	global_load_ubyte v6, v[2:3], off
	s_movk_i32 s0, 0x7f
	s_mov_b64 s[34:35], 0
	s_waitcnt vmcnt(0)
	v_cmp_lt_i16_e32 vcc, s0, v6
	s_and_saveexec_b64 s[0:1], vcc
	s_xor_b64 s[0:1], exec, s[0:1]
; %bb.556:
	s_movk_i32 s34, 0x80
	v_cmp_ne_u16_e32 vcc, s34, v6
	s_and_b64 s[34:35], vcc, exec
; %bb.557:
	s_andn2_saveexec_b64 s[0:1], s[0:1]
; %bb.558:
	v_cmp_ne_u16_e32 vcc, 0, v6
	s_andn2_b64 s[34:35], s[34:35], exec
	s_and_b64 s[40:41], vcc, exec
	s_or_b64 s[34:35], s[34:35], s[40:41]
; %bb.559:
	s_or_b64 exec, exec, s[0:1]
	v_mov_b32_e32 v4, 0
	v_mov_b32_e32 v5, 0
	s_and_saveexec_b64 s[0:1], s[34:35]
	s_cbranch_execz .LBB94_561
; %bb.560:
	v_and_b32_e32 v5, 0xffff, v6
	v_lshlrev_b32_e32 v4, 24, v6
	v_and_b32_e32 v6, 3, v5
	v_ffbh_u32_e32 v8, v6
	v_min_u32_e32 v8, 32, v8
	v_subrev_u32_e32 v9, 29, v8
	v_bfe_u32 v7, v5, 2, 5
	v_lshlrev_b32_e32 v5, v9, v5
	v_sub_u32_e32 v8, 30, v8
	v_and_b32_e32 v5, 3, v5
	v_cmp_eq_u32_e32 vcc, 0, v7
	v_cndmask_b32_e32 v7, v7, v8, vcc
	v_cndmask_b32_e32 v5, v6, v5, vcc
	v_mov_b32_e32 v6, 0x37800000
	v_lshlrev_b32_e32 v5, 21, v5
	v_and_b32_e32 v4, 0x80000000, v4
	v_lshl_add_u32 v6, v7, 23, v6
	v_or3_b32 v4, v4, v6, v5
	v_trunc_f32_e32 v4, v4
	s_mov_b32 s34, 0x2f800000
	v_mul_f32_e64 v5, |v4|, s34
	v_floor_f32_e32 v5, v5
	s_mov_b32 s34, 0xcf800000
	v_fma_f32 v6, v5, s34, |v4|
	v_cvt_u32_f32_e32 v6, v6
	v_cvt_u32_f32_e32 v5, v5
	v_ashrrev_i32_e32 v7, 31, v4
	v_xor_b32_e32 v4, v6, v7
	v_xor_b32_e32 v5, v5, v7
	v_sub_co_u32_e32 v4, vcc, v4, v7
	v_subb_co_u32_e32 v5, vcc, v5, v7, vcc
.LBB94_561:
	s_or_b64 exec, exec, s[0:1]
	s_mov_b64 s[0:1], 0
	s_branch .LBB94_565
.LBB94_562:
	s_mov_b64 s[34:35], -1
                                        ; implicit-def: $vgpr4_vgpr5
	s_branch .LBB94_571
.LBB94_563:
	s_mov_b64 s[0:1], -1
                                        ; implicit-def: $vgpr4_vgpr5
	s_branch .LBB94_568
.LBB94_564:
	s_mov_b64 s[0:1], -1
                                        ; implicit-def: $vgpr4_vgpr5
.LBB94_565:
	s_and_b64 vcc, exec, s[0:1]
	s_cbranch_vccz .LBB94_567
; %bb.566:
	global_load_ubyte v4, v[2:3], off
	s_mov_b32 s0, 0x7f800000
	s_brev_b32 s1, 1
	s_mov_b32 s34, 0x2f800000
	s_mov_b32 s35, 0xcf800000
	s_waitcnt vmcnt(0)
	v_lshlrev_b32_e32 v4, 24, v4
	v_and_b32_e32 v5, 0x7f000000, v4
	v_ffbh_u32_e32 v6, v5
	v_min_u32_e32 v6, 32, v6
	v_sub_u32_e64 v6, v6, 4 clamp
	v_lshlrev_b32_e32 v8, v6, v5
	v_lshlrev_b32_e32 v6, 23, v6
	v_lshrrev_b32_e32 v8, 4, v8
	v_add_u32_e32 v7, 0x1000000, v5
	v_sub_u32_e32 v6, v8, v6
	v_ashrrev_i32_e32 v7, 8, v7
	v_add_u32_e32 v6, 0x3c000000, v6
	v_and_or_b32 v6, v7, s0, v6
	v_cmp_ne_u32_e32 vcc, 0, v5
	v_cndmask_b32_e32 v5, 0, v6, vcc
	v_and_or_b32 v4, v4, s1, v5
	v_trunc_f32_e32 v4, v4
	v_mul_f32_e64 v5, |v4|, s34
	v_floor_f32_e32 v5, v5
	v_fma_f32 v6, v5, s35, |v4|
	v_cvt_u32_f32_e32 v6, v6
	v_cvt_u32_f32_e32 v5, v5
	v_ashrrev_i32_e32 v7, 31, v4
	v_xor_b32_e32 v4, v6, v7
	v_xor_b32_e32 v5, v5, v7
	v_sub_co_u32_e32 v4, vcc, v4, v7
	v_subb_co_u32_e32 v5, vcc, v5, v7, vcc
.LBB94_567:
	s_mov_b64 s[0:1], 0
.LBB94_568:
	s_andn2_b64 vcc, exec, s[0:1]
	s_cbranch_vccnz .LBB94_570
; %bb.569:
	global_load_ubyte v4, v[2:3], off
	s_movk_i32 s0, 0x7f00
	s_brev_b32 s1, 16
	s_brev_b32 s34, 1
	s_mov_b32 s35, 0x2f800000
	s_mov_b32 s40, 0xcf800000
	s_waitcnt vmcnt(0)
	v_lshlrev_b16_e32 v5, 8, v4
	v_lshlrev_b32_e32 v4, 25, v4
	v_lshrrev_b32_e32 v6, 4, v4
	v_and_or_b32 v7, v5, s0, 0.5
	v_or_b32_e32 v6, 0x70000000, v6
	v_add_f32_e32 v7, -0.5, v7
	v_mul_f32_e32 v6, 0x7800000, v6
	v_cmp_gt_u32_e32 vcc, s1, v4
	v_bfe_i32 v5, v5, 0, 16
	v_cndmask_b32_e32 v4, v6, v7, vcc
	v_and_or_b32 v4, v5, s34, v4
	v_trunc_f32_e32 v4, v4
	v_mul_f32_e64 v5, |v4|, s35
	v_floor_f32_e32 v5, v5
	v_fma_f32 v6, v5, s40, |v4|
	v_cvt_u32_f32_e32 v6, v6
	v_cvt_u32_f32_e32 v5, v5
	v_ashrrev_i32_e32 v7, 31, v4
	v_xor_b32_e32 v4, v6, v7
	v_xor_b32_e32 v5, v5, v7
	v_sub_co_u32_e32 v4, vcc, v4, v7
	v_subb_co_u32_e32 v5, vcc, v5, v7, vcc
.LBB94_570:
	s_mov_b64 s[34:35], 0
	s_mov_b64 s[0:1], -1
.LBB94_571:
	s_andn2_b64 vcc, exec, s[34:35]
	s_cbranch_vccnz .LBB94_582
; %bb.572:
	s_cmp_gt_i32 s39, 14
	s_cbranch_scc0 .LBB94_575
; %bb.573:
	s_cmp_eq_u32 s39, 15
	s_cbranch_scc0 .LBB94_576
; %bb.574:
	global_load_ushort v4, v[2:3], off
	s_mov_b32 s0, 0x2f800000
	s_mov_b32 s1, 0xcf800000
	s_mov_b64 s[30:31], 0
	s_waitcnt vmcnt(0)
	v_lshlrev_b32_e32 v4, 16, v4
	v_trunc_f32_e32 v4, v4
	v_mul_f32_e64 v5, |v4|, s0
	v_floor_f32_e32 v5, v5
	v_fma_f32 v6, v5, s1, |v4|
	v_cvt_u32_f32_e32 v6, v6
	v_cvt_u32_f32_e32 v5, v5
	v_ashrrev_i32_e32 v7, 31, v4
	s_mov_b64 s[0:1], -1
	v_xor_b32_e32 v4, v6, v7
	v_xor_b32_e32 v5, v5, v7
	v_sub_co_u32_e32 v4, vcc, v4, v7
	v_subb_co_u32_e32 v5, vcc, v5, v7, vcc
	s_branch .LBB94_577
.LBB94_575:
	s_mov_b64 s[34:35], -1
                                        ; implicit-def: $vgpr4_vgpr5
	s_branch .LBB94_578
.LBB94_576:
	s_mov_b64 s[30:31], -1
                                        ; implicit-def: $vgpr4_vgpr5
.LBB94_577:
	s_mov_b64 s[34:35], 0
.LBB94_578:
	s_and_b64 vcc, exec, s[34:35]
	s_cbranch_vccz .LBB94_582
; %bb.579:
	s_cmp_eq_u32 s39, 11
	s_cbranch_scc0 .LBB94_581
; %bb.580:
	global_load_ubyte v4, v[2:3], off
	s_mov_b32 s30, 0
	s_mov_b64 s[0:1], -1
	s_waitcnt vmcnt(1)
	v_mov_b32_e32 v5, s30
	s_mov_b64 s[30:31], 0
	s_waitcnt vmcnt(0)
	v_cmp_ne_u16_e32 vcc, 0, v4
	v_cndmask_b32_e64 v4, 0, 1, vcc
	s_branch .LBB94_582
.LBB94_581:
	s_mov_b64 s[30:31], -1
                                        ; implicit-def: $vgpr4_vgpr5
.LBB94_582:
	s_mov_b64 s[34:35], 0
.LBB94_583:
	s_and_b64 vcc, exec, s[34:35]
	s_cbranch_vccz .LBB94_632
; %bb.584:
	s_and_b32 s34, 0xffff, s38
	s_cmp_lt_i32 s34, 5
	s_cbranch_scc1 .LBB94_589
; %bb.585:
	s_cmp_lt_i32 s34, 8
	s_cbranch_scc1 .LBB94_590
; %bb.586:
	;; [unrolled: 3-line block ×3, first 2 shown]
	s_cmp_gt_i32 s34, 9
	s_cbranch_scc0 .LBB94_592
; %bb.588:
	global_load_dwordx2 v[4:5], v[2:3], off
	s_movk_i32 s0, 0xffe0
	s_waitcnt vmcnt(0)
	v_trunc_f64_e32 v[4:5], v[4:5]
	v_ldexp_f64 v[6:7], v[4:5], s0
	s_mov_b32 s0, 0
	s_mov_b32 s1, 0xc1f00000
	v_floor_f64_e32 v[6:7], v[6:7]
	v_fma_f64 v[8:9], v[6:7], s[0:1], v[4:5]
	v_cvt_i32_f64_e32 v5, v[6:7]
	s_mov_b64 s[0:1], 0
	v_cvt_u32_f64_e32 v4, v[8:9]
	s_branch .LBB94_593
.LBB94_589:
	s_mov_b64 s[0:1], -1
                                        ; implicit-def: $vgpr4_vgpr5
	s_branch .LBB94_611
.LBB94_590:
	s_mov_b64 s[0:1], -1
                                        ; implicit-def: $vgpr4_vgpr5
	s_branch .LBB94_599
.LBB94_591:
	s_mov_b64 s[0:1], -1
                                        ; implicit-def: $vgpr4_vgpr5
	s_branch .LBB94_596
.LBB94_592:
	s_mov_b64 s[0:1], -1
                                        ; implicit-def: $vgpr4_vgpr5
.LBB94_593:
	s_andn2_b64 vcc, exec, s[0:1]
	s_cbranch_vccnz .LBB94_595
; %bb.594:
	global_load_dword v4, v[2:3], off
	s_mov_b32 s0, 0x2f800000
	s_mov_b32 s1, 0xcf800000
	s_waitcnt vmcnt(0)
	v_trunc_f32_e32 v4, v4
	v_mul_f32_e64 v5, |v4|, s0
	v_floor_f32_e32 v5, v5
	v_cvt_u32_f32_e32 v6, v5
	v_fma_f32 v5, v5, s1, |v4|
	v_cvt_u32_f32_e32 v5, v5
	v_ashrrev_i32_e32 v7, 31, v4
	v_xor_b32_e32 v6, v6, v7
	v_xor_b32_e32 v4, v5, v7
	v_sub_co_u32_e32 v4, vcc, v4, v7
	v_subb_co_u32_e32 v5, vcc, v6, v7, vcc
.LBB94_595:
	s_mov_b64 s[0:1], 0
.LBB94_596:
	s_andn2_b64 vcc, exec, s[0:1]
	s_cbranch_vccnz .LBB94_598
; %bb.597:
	global_load_dword v4, v[2:3], off
	s_waitcnt vmcnt(0)
	v_cvt_f32_f16_e32 v4, v4
	v_cvt_i32_f32_e32 v4, v4
	v_ashrrev_i32_e32 v5, 31, v4
.LBB94_598:
	s_mov_b64 s[0:1], 0
.LBB94_599:
	s_andn2_b64 vcc, exec, s[0:1]
	s_cbranch_vccnz .LBB94_610
; %bb.600:
	s_cmp_lt_i32 s34, 6
	s_cbranch_scc1 .LBB94_603
; %bb.601:
	s_cmp_gt_i32 s34, 6
	s_cbranch_scc0 .LBB94_604
; %bb.602:
	global_load_dwordx2 v[4:5], v[2:3], off
	s_movk_i32 s0, 0xffe0
	s_waitcnt vmcnt(0)
	v_trunc_f64_e32 v[4:5], v[4:5]
	v_ldexp_f64 v[6:7], v[4:5], s0
	s_mov_b32 s0, 0
	s_mov_b32 s1, 0xc1f00000
	v_floor_f64_e32 v[6:7], v[6:7]
	v_fma_f64 v[8:9], v[6:7], s[0:1], v[4:5]
	v_cvt_i32_f64_e32 v5, v[6:7]
	s_mov_b64 s[0:1], 0
	v_cvt_u32_f64_e32 v4, v[8:9]
	s_branch .LBB94_605
.LBB94_603:
	s_mov_b64 s[0:1], -1
                                        ; implicit-def: $vgpr4_vgpr5
	s_branch .LBB94_608
.LBB94_604:
	s_mov_b64 s[0:1], -1
                                        ; implicit-def: $vgpr4_vgpr5
.LBB94_605:
	s_andn2_b64 vcc, exec, s[0:1]
	s_cbranch_vccnz .LBB94_607
; %bb.606:
	global_load_dword v4, v[2:3], off
	s_mov_b32 s0, 0x2f800000
	s_mov_b32 s1, 0xcf800000
	s_waitcnt vmcnt(0)
	v_trunc_f32_e32 v4, v4
	v_mul_f32_e64 v5, |v4|, s0
	v_floor_f32_e32 v5, v5
	v_cvt_u32_f32_e32 v6, v5
	v_fma_f32 v5, v5, s1, |v4|
	v_cvt_u32_f32_e32 v5, v5
	v_ashrrev_i32_e32 v7, 31, v4
	v_xor_b32_e32 v6, v6, v7
	v_xor_b32_e32 v4, v5, v7
	v_sub_co_u32_e32 v4, vcc, v4, v7
	v_subb_co_u32_e32 v5, vcc, v6, v7, vcc
.LBB94_607:
	s_mov_b64 s[0:1], 0
.LBB94_608:
	s_andn2_b64 vcc, exec, s[0:1]
	s_cbranch_vccnz .LBB94_610
; %bb.609:
	global_load_ushort v4, v[2:3], off
	s_waitcnt vmcnt(0)
	v_cvt_f32_f16_e32 v4, v4
	v_cvt_i32_f32_e32 v4, v4
	v_ashrrev_i32_e32 v5, 31, v4
.LBB94_610:
	s_mov_b64 s[0:1], 0
.LBB94_611:
	s_andn2_b64 vcc, exec, s[0:1]
	s_cbranch_vccnz .LBB94_631
; %bb.612:
	s_cmp_lt_i32 s34, 2
	s_cbranch_scc1 .LBB94_616
; %bb.613:
	s_cmp_lt_i32 s34, 3
	s_cbranch_scc1 .LBB94_617
; %bb.614:
	s_cmp_gt_i32 s34, 3
	s_cbranch_scc0 .LBB94_618
; %bb.615:
	global_load_dwordx2 v[4:5], v[2:3], off
	s_mov_b64 s[0:1], 0
	s_branch .LBB94_619
.LBB94_616:
	s_mov_b64 s[0:1], -1
                                        ; implicit-def: $vgpr4_vgpr5
	s_branch .LBB94_625
.LBB94_617:
	s_mov_b64 s[0:1], -1
                                        ; implicit-def: $vgpr4_vgpr5
	s_branch .LBB94_622
.LBB94_618:
	s_mov_b64 s[0:1], -1
                                        ; implicit-def: $vgpr4_vgpr5
.LBB94_619:
	s_andn2_b64 vcc, exec, s[0:1]
	s_cbranch_vccnz .LBB94_621
; %bb.620:
	global_load_dword v4, v[2:3], off
	s_waitcnt vmcnt(0)
	v_ashrrev_i32_e32 v5, 31, v4
.LBB94_621:
	s_mov_b64 s[0:1], 0
.LBB94_622:
	s_andn2_b64 vcc, exec, s[0:1]
	s_cbranch_vccnz .LBB94_624
; %bb.623:
	global_load_ushort v4, v[2:3], off
	s_waitcnt vmcnt(0)
	v_bfe_i32 v4, v4, 0, 16
	v_ashrrev_i32_e32 v5, 31, v4
.LBB94_624:
	s_mov_b64 s[0:1], 0
.LBB94_625:
	s_andn2_b64 vcc, exec, s[0:1]
	s_cbranch_vccnz .LBB94_631
; %bb.626:
	s_cmp_gt_i32 s34, 0
	s_cbranch_scc0 .LBB94_628
; %bb.627:
	global_load_sbyte v4, v[2:3], off
	s_mov_b64 s[0:1], 0
	s_waitcnt vmcnt(0)
	v_bfe_i32 v4, v4, 0, 16
	v_ashrrev_i32_e32 v5, 31, v4
	s_branch .LBB94_629
.LBB94_628:
	s_mov_b64 s[0:1], -1
                                        ; implicit-def: $vgpr4_vgpr5
.LBB94_629:
	s_andn2_b64 vcc, exec, s[0:1]
	s_cbranch_vccnz .LBB94_631
; %bb.630:
	global_load_ubyte v2, v[2:3], off
	s_mov_b32 s0, 0
	s_waitcnt vmcnt(1)
	v_mov_b32_e32 v5, s0
	s_waitcnt vmcnt(0)
	v_and_b32_e32 v4, 0xffff, v2
.LBB94_631:
	s_mov_b64 s[0:1], -1
.LBB94_632:
	s_andn2_b64 vcc, exec, s[0:1]
	s_cbranch_vccnz .LBB94_640
; %bb.633:
	v_mul_lo_u32 v3, v18, s8
	s_waitcnt vmcnt(0)
	v_cmp_lt_i64_e32 vcc, s[12:13], v[0:1]
	v_mov_b32_e32 v2, s15
	v_mov_b32_e32 v0, s14
	v_cndmask_b32_e32 v1, v2, v5, vcc
	v_cndmask_b32_e32 v0, v0, v4, vcc
	v_ashrrev_i32_e32 v4, 31, v3
	v_mov_b32_e32 v5, s17
	s_and_b32 s42, s33, 0xff
	v_add_co_u32_e32 v2, vcc, s16, v3
	s_cmp_lt_i32 s42, 11
	v_addc_co_u32_e32 v3, vcc, v5, v4, vcc
	s_cbranch_scc1 .LBB94_641
; %bb.634:
	s_and_b32 s43, 0xffff, s42
	s_cmp_gt_i32 s43, 25
	s_cbranch_scc0 .LBB94_642
; %bb.635:
	s_cmp_gt_i32 s43, 28
	s_cbranch_scc0 .LBB94_643
; %bb.636:
	;; [unrolled: 3-line block ×4, first 2 shown]
	s_mov_b64 s[38:39], 0
	s_mov_b64 s[0:1], -1
	s_cmp_eq_u32 s43, 46
	s_mov_b64 s[34:35], 0
	s_cbranch_scc0 .LBB94_646
; %bb.639:
	v_xor_b32_e32 v5, v0, v1
	v_ffbh_i32_e32 v4, v1
	v_ashrrev_i32_e32 v5, 31, v5
	v_add_u32_e32 v4, -1, v4
	v_add_u32_e32 v5, 32, v5
	v_min_u32_e32 v6, v4, v5
	v_lshlrev_b64 v[4:5], v6, v[0:1]
	s_movk_i32 s0, 0x7fff
	v_min_u32_e32 v4, 1, v4
	v_or_b32_e32 v4, v5, v4
	v_cvt_f32_i32_e32 v4, v4
	v_sub_u32_e32 v5, 32, v6
	s_mov_b64 s[34:35], -1
	v_ldexp_f32 v4, v4, v5
	v_bfe_u32 v5, v4, 16, 1
	v_add3_u32 v4, v4, v5, s0
	v_lshrrev_b32_e32 v4, 16, v4
	global_store_dword v[2:3], v4, off
	s_mov_b64 s[0:1], 0
	s_branch .LBB94_646
.LBB94_640:
	s_mov_b64 s[38:39], 0
                                        ; implicit-def: $vgpr18
	s_mov_b64 s[0:1], s[20:21]
	s_branch .LBB94_756
.LBB94_641:
	s_mov_b64 s[38:39], -1
	s_mov_b64 s[34:35], 0
	s_mov_b64 s[0:1], s[20:21]
	s_branch .LBB94_715
.LBB94_642:
	s_mov_b64 s[38:39], -1
	s_mov_b64 s[34:35], 0
	s_mov_b64 s[0:1], s[20:21]
	s_branch .LBB94_673
.LBB94_643:
	s_mov_b64 s[38:39], -1
	s_mov_b64 s[34:35], 0
	s_mov_b64 s[0:1], s[20:21]
	s_branch .LBB94_656
.LBB94_644:
	s_mov_b64 s[38:39], -1
	s_mov_b64 s[34:35], 0
	s_mov_b64 s[0:1], s[20:21]
	s_branch .LBB94_652
.LBB94_645:
	s_mov_b64 s[38:39], -1
	s_mov_b64 s[34:35], 0
	s_mov_b64 s[0:1], s[20:21]
.LBB94_646:
	s_and_b64 vcc, exec, s[38:39]
	s_cbranch_vccz .LBB94_651
; %bb.647:
	s_cmp_eq_u32 s43, 44
	s_mov_b64 s[0:1], -1
	s_cbranch_scc0 .LBB94_651
; %bb.648:
	v_xor_b32_e32 v5, v0, v1
	v_ffbh_i32_e32 v4, v1
	v_ashrrev_i32_e32 v5, 31, v5
	v_add_u32_e32 v4, -1, v4
	v_add_u32_e32 v5, 32, v5
	v_min_u32_e32 v6, v4, v5
	v_lshlrev_b64 v[4:5], v6, v[0:1]
	s_movk_i32 s0, 0xff
	v_min_u32_e32 v4, 1, v4
	v_or_b32_e32 v4, v5, v4
	v_cvt_f32_i32_e32 v4, v4
	v_sub_u32_e32 v5, 32, v6
	v_mov_b32_e32 v6, 0xff
	v_ldexp_f32 v4, v4, v5
	v_bfe_u32 v5, v4, 23, 8
	v_cmp_ne_u32_e32 vcc, s0, v5
	s_and_saveexec_b64 s[34:35], vcc
; %bb.649:
	s_mov_b32 s0, 0x3fffff
	v_lshrrev_b32_e32 v6, 23, v4
	v_and_b32_e32 v7, 0x400000, v4
	v_and_or_b32 v4, v4, s0, v5
	v_cmp_ne_u32_e32 vcc, 0, v7
	v_cmp_ne_u32_e64 s[0:1], 0, v4
	s_and_b64 s[0:1], vcc, s[0:1]
	v_cndmask_b32_e64 v4, 0, 1, s[0:1]
	v_add_u32_e32 v6, v6, v4
; %bb.650:
	s_or_b64 exec, exec, s[34:35]
	s_mov_b64 s[34:35], -1
	s_mov_b64 s[0:1], 0
	global_store_byte v[2:3], v6, off
.LBB94_651:
	s_mov_b64 s[38:39], 0
.LBB94_652:
	s_and_b64 vcc, exec, s[38:39]
	s_cbranch_vccz .LBB94_655
; %bb.653:
	s_cmp_eq_u32 s43, 29
	s_mov_b64 s[0:1], -1
	s_cbranch_scc0 .LBB94_655
; %bb.654:
	global_store_dwordx2 v[2:3], v[0:1], off
	s_mov_b64 s[34:35], -1
	s_mov_b64 s[0:1], 0
.LBB94_655:
	s_mov_b64 s[38:39], 0
.LBB94_656:
	s_and_b64 vcc, exec, s[38:39]
	s_cbranch_vccz .LBB94_672
; %bb.657:
	s_cmp_lt_i32 s43, 27
	s_mov_b64 s[34:35], -1
	s_cbranch_scc1 .LBB94_663
; %bb.658:
	s_cmp_gt_i32 s43, 27
	s_cbranch_scc0 .LBB94_660
; %bb.659:
	s_mov_b64 s[34:35], 0
	global_store_dword v[2:3], v0, off
.LBB94_660:
	s_andn2_b64 vcc, exec, s[34:35]
	s_cbranch_vccnz .LBB94_662
; %bb.661:
	global_store_short v[2:3], v0, off
.LBB94_662:
	s_mov_b64 s[34:35], 0
.LBB94_663:
	s_andn2_b64 vcc, exec, s[34:35]
	s_cbranch_vccnz .LBB94_671
; %bb.664:
	v_xor_b32_e32 v5, v0, v1
	v_ffbh_i32_e32 v4, v1
	v_ashrrev_i32_e32 v5, 31, v5
	v_add_u32_e32 v4, -1, v4
	v_add_u32_e32 v5, 32, v5
	v_min_u32_e32 v6, v4, v5
	v_lshlrev_b64 v[4:5], v6, v[0:1]
	s_mov_b32 s34, 0x43800000
	v_min_u32_e32 v4, 1, v4
	v_or_b32_e32 v4, v5, v4
	v_cvt_f32_i32_e32 v4, v4
	v_sub_u32_e32 v5, 32, v6
	v_mov_b32_e32 v6, 0x80
	v_ldexp_f32 v4, v4, v5
	v_and_b32_e32 v5, 0x7fffffff, v4
	v_cmp_gt_u32_e32 vcc, s34, v5
	s_and_saveexec_b64 s[34:35], vcc
	s_cbranch_execz .LBB94_670
; %bb.665:
	s_mov_b32 s38, 0x3bffffff
	v_cmp_lt_u32_e32 vcc, s38, v5
	s_mov_b64 s[38:39], 0
                                        ; implicit-def: $vgpr5
	s_and_saveexec_b64 s[40:41], vcc
	s_xor_b64 s[40:41], exec, s[40:41]
	s_cbranch_execz .LBB94_772
; %bb.666:
	v_bfe_u32 v5, v4, 20, 1
	s_mov_b32 s44, 0x487ffff
	v_add3_u32 v5, v4, v5, s44
	s_mov_b64 s[38:39], exec
	v_lshrrev_b32_e32 v5, 20, v5
	s_andn2_saveexec_b64 s[40:41], s[40:41]
	s_cbranch_execnz .LBB94_773
.LBB94_667:
	s_or_b64 exec, exec, s[40:41]
	v_mov_b32_e32 v6, 0
	s_and_saveexec_b64 s[40:41], s[38:39]
.LBB94_668:
	v_lshrrev_b32_e32 v4, 24, v4
	s_movk_i32 s38, 0x80
	v_and_or_b32 v6, v4, s38, v5
.LBB94_669:
	s_or_b64 exec, exec, s[40:41]
.LBB94_670:
	s_or_b64 exec, exec, s[34:35]
	global_store_byte v[2:3], v6, off
.LBB94_671:
	s_mov_b64 s[34:35], -1
.LBB94_672:
	s_mov_b64 s[38:39], 0
.LBB94_673:
	s_and_b64 vcc, exec, s[38:39]
	s_cbranch_vccz .LBB94_714
; %bb.674:
	s_cmp_gt_i32 s43, 22
	s_mov_b64 s[38:39], -1
	s_cbranch_scc0 .LBB94_706
; %bb.675:
	s_cmp_lt_i32 s43, 24
	s_mov_b64 s[34:35], -1
	s_cbranch_scc1 .LBB94_695
; %bb.676:
	s_cmp_gt_i32 s43, 24
	s_cbranch_scc0 .LBB94_684
; %bb.677:
	v_xor_b32_e32 v5, v0, v1
	v_ffbh_i32_e32 v4, v1
	v_ashrrev_i32_e32 v5, 31, v5
	v_add_u32_e32 v4, -1, v4
	v_add_u32_e32 v5, 32, v5
	v_min_u32_e32 v6, v4, v5
	v_lshlrev_b64 v[4:5], v6, v[0:1]
	s_mov_b32 s34, 0x47800000
	v_min_u32_e32 v4, 1, v4
	v_or_b32_e32 v4, v5, v4
	v_cvt_f32_i32_e32 v4, v4
	v_sub_u32_e32 v5, 32, v6
	v_mov_b32_e32 v6, 0x80
	v_ldexp_f32 v4, v4, v5
	v_and_b32_e32 v5, 0x7fffffff, v4
	v_cmp_gt_u32_e32 vcc, s34, v5
	s_and_saveexec_b64 s[34:35], vcc
	s_cbranch_execz .LBB94_683
; %bb.678:
	s_mov_b32 s38, 0x37ffffff
	v_cmp_lt_u32_e32 vcc, s38, v5
	s_mov_b64 s[38:39], 0
                                        ; implicit-def: $vgpr5
	s_and_saveexec_b64 s[40:41], vcc
	s_xor_b64 s[40:41], exec, s[40:41]
	s_cbranch_execz .LBB94_900
; %bb.679:
	v_bfe_u32 v5, v4, 21, 1
	s_mov_b32 s44, 0x88fffff
	v_add3_u32 v5, v4, v5, s44
	s_mov_b64 s[38:39], exec
	v_lshrrev_b32_e32 v5, 21, v5
	s_andn2_saveexec_b64 s[40:41], s[40:41]
	s_cbranch_execnz .LBB94_901
.LBB94_680:
	s_or_b64 exec, exec, s[40:41]
	v_mov_b32_e32 v6, 0
	s_and_saveexec_b64 s[40:41], s[38:39]
.LBB94_681:
	v_lshrrev_b32_e32 v4, 24, v4
	s_movk_i32 s38, 0x80
	v_and_or_b32 v6, v4, s38, v5
.LBB94_682:
	s_or_b64 exec, exec, s[40:41]
.LBB94_683:
	s_or_b64 exec, exec, s[34:35]
	s_mov_b64 s[34:35], 0
	global_store_byte v[2:3], v6, off
.LBB94_684:
	s_and_b64 vcc, exec, s[34:35]
	s_cbranch_vccz .LBB94_694
; %bb.685:
	v_xor_b32_e32 v5, v0, v1
	v_ffbh_i32_e32 v4, v1
	v_ashrrev_i32_e32 v5, 31, v5
	v_add_u32_e32 v4, -1, v4
	v_add_u32_e32 v5, 32, v5
	v_min_u32_e32 v6, v4, v5
	v_lshlrev_b64 v[4:5], v6, v[0:1]
	s_mov_b32 s34, 0x43f00000
	v_min_u32_e32 v4, 1, v4
	v_or_b32_e32 v4, v5, v4
	v_cvt_f32_i32_e32 v4, v4
	v_sub_u32_e32 v5, 32, v6
	v_ldexp_f32 v4, v4, v5
	v_and_b32_e32 v6, 0x7fffffff, v4
	v_cmp_gt_u32_e32 vcc, s34, v6
                                        ; implicit-def: $vgpr5
	s_and_saveexec_b64 s[34:35], vcc
	s_xor_b64 s[34:35], exec, s[34:35]
	s_cbranch_execz .LBB94_691
; %bb.686:
	s_mov_b32 s38, 0x3c7fffff
	v_cmp_lt_u32_e32 vcc, s38, v6
                                        ; implicit-def: $vgpr5
	s_and_saveexec_b64 s[38:39], vcc
	s_xor_b64 s[38:39], exec, s[38:39]
; %bb.687:
	v_bfe_u32 v5, v4, 20, 1
	s_mov_b32 s40, 0x407ffff
	v_add3_u32 v5, v4, v5, s40
	v_lshrrev_b32_e32 v6, 20, v5
	v_and_b32_e32 v5, 0xff00000, v5
	s_mov_b32 s40, 0x7f00000
	v_mov_b32_e32 v7, 0x7e
	v_cmp_ne_u32_e32 vcc, s40, v5
	v_cndmask_b32_e32 v5, v7, v6, vcc
; %bb.688:
	s_andn2_saveexec_b64 s[38:39], s[38:39]
; %bb.689:
	s_mov_b32 s40, 0x46800000
	v_add_f32_e64 v5, |v4|, s40
; %bb.690:
	s_or_b64 exec, exec, s[38:39]
                                        ; implicit-def: $vgpr6
.LBB94_691:
	s_andn2_saveexec_b64 s[34:35], s[34:35]
; %bb.692:
	s_mov_b32 s38, 0x7f800000
	v_mov_b32_e32 v5, 0x7e
	v_mov_b32_e32 v7, 0x7f
	v_cmp_lt_u32_e32 vcc, s38, v6
	v_cndmask_b32_e32 v5, v5, v7, vcc
; %bb.693:
	s_or_b64 exec, exec, s[34:35]
	v_lshrrev_b32_e32 v4, 24, v4
	s_movk_i32 s34, 0x80
	v_and_or_b32 v4, v4, s34, v5
	global_store_byte v[2:3], v4, off
.LBB94_694:
	s_mov_b64 s[34:35], 0
.LBB94_695:
	s_andn2_b64 vcc, exec, s[34:35]
	s_cbranch_vccnz .LBB94_705
; %bb.696:
	v_xor_b32_e32 v5, v0, v1
	v_ffbh_i32_e32 v4, v1
	v_ashrrev_i32_e32 v5, 31, v5
	v_add_u32_e32 v4, -1, v4
	v_add_u32_e32 v5, 32, v5
	v_min_u32_e32 v6, v4, v5
	v_lshlrev_b64 v[4:5], v6, v[0:1]
	s_mov_b32 s34, 0x47800000
	v_min_u32_e32 v4, 1, v4
	v_or_b32_e32 v4, v5, v4
	v_cvt_f32_i32_e32 v4, v4
	v_sub_u32_e32 v5, 32, v6
	v_ldexp_f32 v4, v4, v5
	v_and_b32_e32 v6, 0x7fffffff, v4
	v_cmp_gt_u32_e32 vcc, s34, v6
                                        ; implicit-def: $vgpr5
	s_and_saveexec_b64 s[34:35], vcc
	s_xor_b64 s[34:35], exec, s[34:35]
	s_cbranch_execz .LBB94_702
; %bb.697:
	s_mov_b32 s38, 0x387fffff
	v_cmp_lt_u32_e32 vcc, s38, v6
                                        ; implicit-def: $vgpr5
	s_and_saveexec_b64 s[38:39], vcc
	s_xor_b64 s[38:39], exec, s[38:39]
; %bb.698:
	v_bfe_u32 v5, v4, 21, 1
	s_mov_b32 s40, 0x80fffff
	v_add3_u32 v5, v4, v5, s40
	v_lshrrev_b32_e32 v5, 21, v5
; %bb.699:
	s_andn2_saveexec_b64 s[38:39], s[38:39]
; %bb.700:
	s_mov_b32 s40, 0x43000000
	v_add_f32_e64 v5, |v4|, s40
; %bb.701:
	s_or_b64 exec, exec, s[38:39]
                                        ; implicit-def: $vgpr6
.LBB94_702:
	s_andn2_saveexec_b64 s[34:35], s[34:35]
; %bb.703:
	s_mov_b32 s38, 0x7f800000
	v_mov_b32_e32 v5, 0x7c
	v_mov_b32_e32 v7, 0x7f
	v_cmp_lt_u32_e32 vcc, s38, v6
	v_cndmask_b32_e32 v5, v5, v7, vcc
; %bb.704:
	s_or_b64 exec, exec, s[34:35]
	v_lshrrev_b32_e32 v4, 24, v4
	s_movk_i32 s34, 0x80
	v_and_or_b32 v4, v4, s34, v5
	global_store_byte v[2:3], v4, off
.LBB94_705:
	s_mov_b64 s[38:39], 0
	s_mov_b64 s[34:35], -1
.LBB94_706:
	s_andn2_b64 vcc, exec, s[38:39]
	s_cbranch_vccnz .LBB94_714
; %bb.707:
	s_cmp_gt_i32 s43, 14
	s_mov_b64 s[38:39], -1
	s_cbranch_scc0 .LBB94_711
; %bb.708:
	s_cmp_eq_u32 s43, 15
	s_mov_b64 s[0:1], -1
	s_cbranch_scc0 .LBB94_710
; %bb.709:
	v_xor_b32_e32 v5, v0, v1
	v_ffbh_i32_e32 v4, v1
	v_ashrrev_i32_e32 v5, 31, v5
	v_add_u32_e32 v4, -1, v4
	v_add_u32_e32 v5, 32, v5
	v_min_u32_e32 v6, v4, v5
	v_lshlrev_b64 v[4:5], v6, v[0:1]
	s_movk_i32 s0, 0x7fff
	v_min_u32_e32 v4, 1, v4
	v_or_b32_e32 v4, v5, v4
	v_cvt_f32_i32_e32 v4, v4
	v_sub_u32_e32 v5, 32, v6
	s_mov_b64 s[34:35], -1
	v_ldexp_f32 v4, v4, v5
	v_bfe_u32 v5, v4, 16, 1
	v_add3_u32 v4, v4, v5, s0
	global_store_short_d16_hi v[2:3], v4, off
	s_mov_b64 s[0:1], 0
.LBB94_710:
	s_mov_b64 s[38:39], 0
.LBB94_711:
	s_and_b64 vcc, exec, s[38:39]
	s_cbranch_vccz .LBB94_714
; %bb.712:
	s_cmp_eq_u32 s43, 11
	s_mov_b64 s[0:1], -1
	s_cbranch_scc0 .LBB94_714
; %bb.713:
	v_cmp_ne_u64_e32 vcc, 0, v[0:1]
	s_mov_b64 s[0:1], 0
	v_cndmask_b32_e64 v4, 0, 1, vcc
	s_mov_b64 s[34:35], -1
	global_store_byte v[2:3], v4, off
.LBB94_714:
	s_mov_b64 s[38:39], 0
.LBB94_715:
	s_and_b64 vcc, exec, s[38:39]
	s_cbranch_vccz .LBB94_754
; %bb.716:
	s_and_b32 s38, 0xffff, s42
	s_cmp_lt_i32 s38, 5
	s_mov_b64 s[34:35], -1
	s_cbranch_scc1 .LBB94_737
; %bb.717:
	s_cmp_lt_i32 s38, 8
	s_cbranch_scc1 .LBB94_727
; %bb.718:
	s_cmp_lt_i32 s38, 9
	s_cbranch_scc1 .LBB94_724
; %bb.719:
	s_cmp_gt_i32 s38, 9
	s_cbranch_scc0 .LBB94_721
; %bb.720:
	v_cvt_f64_i32_e32 v[4:5], v1
	v_cvt_f64_u32_e32 v[6:7], v0
	s_mov_b64 s[34:35], 0
	v_ldexp_f64 v[4:5], v[4:5], 32
	v_add_f64 v[4:5], v[4:5], v[6:7]
	v_mov_b32_e32 v6, 0
	v_mov_b32_e32 v7, v6
	global_store_dwordx4 v[2:3], v[4:7], off
.LBB94_721:
	s_andn2_b64 vcc, exec, s[34:35]
	s_cbranch_vccnz .LBB94_723
; %bb.722:
	v_xor_b32_e32 v5, v0, v1
	v_ffbh_i32_e32 v4, v1
	v_ashrrev_i32_e32 v5, 31, v5
	v_add_u32_e32 v4, -1, v4
	v_add_u32_e32 v5, 32, v5
	v_min_u32_e32 v6, v4, v5
	v_lshlrev_b64 v[4:5], v6, v[0:1]
	v_min_u32_e32 v4, 1, v4
	v_or_b32_e32 v4, v5, v4
	v_cvt_f32_i32_e32 v4, v4
	v_sub_u32_e32 v5, 32, v6
	v_ldexp_f32 v4, v4, v5
	v_mov_b32_e32 v5, 0
	global_store_dwordx2 v[2:3], v[4:5], off
.LBB94_723:
	s_mov_b64 s[34:35], 0
.LBB94_724:
	s_andn2_b64 vcc, exec, s[34:35]
	s_cbranch_vccnz .LBB94_726
; %bb.725:
	v_xor_b32_e32 v5, v0, v1
	v_ffbh_i32_e32 v4, v1
	v_ashrrev_i32_e32 v5, 31, v5
	v_add_u32_e32 v4, -1, v4
	v_add_u32_e32 v5, 32, v5
	v_min_u32_e32 v6, v4, v5
	v_lshlrev_b64 v[4:5], v6, v[0:1]
	v_min_u32_e32 v4, 1, v4
	v_or_b32_e32 v4, v5, v4
	v_cvt_f32_i32_e32 v4, v4
	v_sub_u32_e32 v5, 32, v6
	v_ldexp_f32 v4, v4, v5
	v_cvt_f16_f32_e32 v4, v4
	global_store_dword v[2:3], v4, off
.LBB94_726:
	s_mov_b64 s[34:35], 0
.LBB94_727:
	s_andn2_b64 vcc, exec, s[34:35]
	s_cbranch_vccnz .LBB94_736
; %bb.728:
	s_cmp_lt_i32 s38, 6
	s_mov_b64 s[34:35], -1
	s_cbranch_scc1 .LBB94_734
; %bb.729:
	s_cmp_gt_i32 s38, 6
	s_cbranch_scc0 .LBB94_731
; %bb.730:
	v_cvt_f64_i32_e32 v[4:5], v1
	v_cvt_f64_u32_e32 v[6:7], v0
	s_mov_b64 s[34:35], 0
	v_ldexp_f64 v[4:5], v[4:5], 32
	v_add_f64 v[4:5], v[4:5], v[6:7]
	global_store_dwordx2 v[2:3], v[4:5], off
.LBB94_731:
	s_andn2_b64 vcc, exec, s[34:35]
	s_cbranch_vccnz .LBB94_733
; %bb.732:
	v_xor_b32_e32 v5, v0, v1
	v_ffbh_i32_e32 v4, v1
	v_ashrrev_i32_e32 v5, 31, v5
	v_add_u32_e32 v4, -1, v4
	v_add_u32_e32 v5, 32, v5
	v_min_u32_e32 v6, v4, v5
	v_lshlrev_b64 v[4:5], v6, v[0:1]
	v_min_u32_e32 v4, 1, v4
	v_or_b32_e32 v4, v5, v4
	v_cvt_f32_i32_e32 v4, v4
	v_sub_u32_e32 v5, 32, v6
	v_ldexp_f32 v4, v4, v5
	global_store_dword v[2:3], v4, off
.LBB94_733:
	s_mov_b64 s[34:35], 0
.LBB94_734:
	s_andn2_b64 vcc, exec, s[34:35]
	s_cbranch_vccnz .LBB94_736
; %bb.735:
	v_xor_b32_e32 v5, v0, v1
	v_ffbh_i32_e32 v4, v1
	v_ashrrev_i32_e32 v5, 31, v5
	v_add_u32_e32 v4, -1, v4
	v_add_u32_e32 v5, 32, v5
	v_min_u32_e32 v6, v4, v5
	v_lshlrev_b64 v[4:5], v6, v[0:1]
	v_min_u32_e32 v4, 1, v4
	v_or_b32_e32 v4, v5, v4
	v_cvt_f32_i32_e32 v4, v4
	v_sub_u32_e32 v5, 32, v6
	v_ldexp_f32 v4, v4, v5
	v_cvt_f16_f32_e32 v4, v4
	global_store_short v[2:3], v4, off
.LBB94_736:
	s_mov_b64 s[34:35], 0
.LBB94_737:
	s_andn2_b64 vcc, exec, s[34:35]
	s_cbranch_vccnz .LBB94_753
; %bb.738:
	s_cmp_lt_i32 s38, 2
	s_mov_b64 s[34:35], -1
	s_cbranch_scc1 .LBB94_748
; %bb.739:
	s_cmp_lt_i32 s38, 3
	s_cbranch_scc1 .LBB94_745
; %bb.740:
	s_cmp_gt_i32 s38, 3
	s_cbranch_scc0 .LBB94_742
; %bb.741:
	s_mov_b64 s[34:35], 0
	global_store_dwordx2 v[2:3], v[0:1], off
.LBB94_742:
	s_andn2_b64 vcc, exec, s[34:35]
	s_cbranch_vccnz .LBB94_744
; %bb.743:
	global_store_dword v[2:3], v0, off
.LBB94_744:
	s_mov_b64 s[34:35], 0
.LBB94_745:
	s_andn2_b64 vcc, exec, s[34:35]
	s_cbranch_vccnz .LBB94_747
; %bb.746:
	global_store_short v[2:3], v0, off
.LBB94_747:
	s_mov_b64 s[34:35], 0
.LBB94_748:
	s_andn2_b64 vcc, exec, s[34:35]
	s_cbranch_vccnz .LBB94_753
; %bb.749:
	s_cmp_gt_i32 s38, 0
	s_mov_b64 s[34:35], -1
	s_cbranch_scc0 .LBB94_751
; %bb.750:
	s_mov_b64 s[34:35], 0
	global_store_byte v[2:3], v0, off
.LBB94_751:
	s_andn2_b64 vcc, exec, s[34:35]
	s_cbranch_vccnz .LBB94_753
; %bb.752:
	global_store_byte v[2:3], v0, off
.LBB94_753:
	s_mov_b64 s[34:35], -1
.LBB94_754:
	s_andn2_b64 vcc, exec, s[34:35]
	s_cbranch_vccnz .LBB94_767
; %bb.755:
	v_add_u32_e32 v18, 0x80, v18
	s_mov_b64 s[38:39], -1
.LBB94_756:
	s_andn2_b64 s[34:35], s[20:21], exec
	s_and_b64 s[0:1], s[0:1], exec
	s_or_b64 s[34:35], s[34:35], s[0:1]
	s_andn2_b64 s[0:1], s[22:23], exec
	s_and_b64 s[30:31], s[30:31], exec
	s_or_b64 s[30:31], s[0:1], s[30:31]
	;; [unrolled: 3-line block ×3, first 2 shown]
	s_orn2_b64 s[0:1], s[38:39], exec
.LBB94_757:
	s_or_b64 exec, exec, s[36:37]
	s_mov_b64 s[38:39], 0
	s_mov_b64 s[40:41], 0
	;; [unrolled: 1-line block ×3, first 2 shown]
                                        ; implicit-def: $sgpr59
                                        ; implicit-def: $vgpr2_vgpr3
                                        ; implicit-def: $vgpr0_vgpr1
	s_and_saveexec_b64 s[36:37], s[0:1]
	s_cbranch_execz .LBB94_1219
; %bb.758:
	v_cmp_gt_i32_e32 vcc, s52, v18
	s_mov_b64 s[50:51], -1
	s_mov_b64 s[0:1], s[28:29]
	s_mov_b64 s[42:43], s[30:31]
	;; [unrolled: 1-line block ×3, first 2 shown]
	s_and_saveexec_b64 s[38:39], vcc
	s_cbranch_execz .LBB94_1138
; %bb.759:
	s_waitcnt vmcnt(0)
	v_mul_lo_u32 v0, v18, s9
	v_mov_b32_e32 v1, s19
	s_and_b32 s44, s58, 0xff
	s_cmp_lt_i32 s44, 11
	v_ashrrev_i32_e32 v3, 31, v0
	v_add_co_u32_e32 v2, vcc, s18, v0
	v_addc_co_u32_e32 v3, vcc, v1, v3, vcc
	s_cbranch_scc1 .LBB94_766
; %bb.760:
	s_and_b32 s45, 0xffff, s44
	s_cmp_gt_i32 s45, 25
	s_cbranch_scc0 .LBB94_768
; %bb.761:
	s_cmp_gt_i32 s45, 28
	s_cbranch_scc0 .LBB94_769
; %bb.762:
	;; [unrolled: 3-line block ×4, first 2 shown]
	s_cmp_eq_u32 s45, 46
	s_mov_b64 s[42:43], 0
	s_cbranch_scc0 .LBB94_774
; %bb.765:
	global_load_dword v0, v[2:3], off
	s_mov_b32 s0, 0x2f800000
	s_mov_b32 s1, 0xcf800000
	s_waitcnt vmcnt(0)
	v_lshlrev_b32_e32 v0, 16, v0
	v_trunc_f32_e32 v0, v0
	v_mul_f32_e64 v1, |v0|, s0
	v_floor_f32_e32 v1, v1
	v_fma_f32 v4, v1, s1, |v0|
	v_cvt_u32_f32_e32 v4, v4
	v_cvt_u32_f32_e32 v1, v1
	v_ashrrev_i32_e32 v5, 31, v0
	s_mov_b64 s[0:1], -1
	v_xor_b32_e32 v0, v4, v5
	v_xor_b32_e32 v1, v1, v5
	v_sub_co_u32_e32 v0, vcc, v0, v5
	v_subb_co_u32_e32 v1, vcc, v1, v5, vcc
	s_branch .LBB94_775
.LBB94_766:
	s_mov_b64 s[42:43], -1
	s_mov_b64 s[0:1], 0
                                        ; implicit-def: $vgpr0_vgpr1
	s_mov_b64 s[40:41], s[28:29]
	s_branch .LBB94_836
.LBB94_767:
	s_mov_b64 s[38:39], 0
	s_branch .LBB94_518
.LBB94_768:
	s_mov_b64 s[42:43], -1
	s_mov_b64 s[0:1], 0
	s_mov_b64 s[40:41], s[28:29]
                                        ; implicit-def: $vgpr0_vgpr1
	s_branch .LBB94_804
.LBB94_769:
	s_mov_b64 s[42:43], -1
	s_mov_b64 s[0:1], 0
	s_mov_b64 s[40:41], s[28:29]
                                        ; implicit-def: $vgpr0_vgpr1
	s_branch .LBB94_785
.LBB94_770:
	s_mov_b64 s[42:43], -1
	s_mov_b64 s[0:1], 0
	s_mov_b64 s[40:41], s[28:29]
                                        ; implicit-def: $vgpr0_vgpr1
	s_branch .LBB94_780
.LBB94_771:
	s_mov_b64 s[42:43], -1
	s_mov_b64 s[0:1], 0
	s_mov_b64 s[40:41], s[28:29]
                                        ; implicit-def: $vgpr0_vgpr1
	s_branch .LBB94_775
.LBB94_772:
	s_andn2_saveexec_b64 s[40:41], s[40:41]
	s_cbranch_execz .LBB94_667
.LBB94_773:
	s_mov_b32 s44, 0x46000000
	v_add_f32_e64 v5, |v4|, s44
	v_and_b32_e32 v5, 0xff, v5
	v_cmp_ne_u32_e32 vcc, 0, v5
	s_andn2_b64 s[38:39], s[38:39], exec
	s_and_b64 s[44:45], vcc, exec
	s_or_b64 s[38:39], s[38:39], s[44:45]
	s_or_b64 exec, exec, s[40:41]
	v_mov_b32_e32 v6, 0
	s_and_saveexec_b64 s[40:41], s[38:39]
	s_cbranch_execnz .LBB94_668
	s_branch .LBB94_669
.LBB94_774:
	s_mov_b64 s[40:41], -1
                                        ; implicit-def: $vgpr0_vgpr1
	s_mov_b64 s[0:1], 0
.LBB94_775:
	s_and_b64 vcc, exec, s[42:43]
	s_cbranch_vccz .LBB94_779
; %bb.776:
	s_cmp_eq_u32 s45, 44
	s_cbranch_scc0 .LBB94_778
; %bb.777:
	global_load_ubyte v0, v[2:3], off
	s_mov_b32 s0, 0x2f800000
	s_mov_b32 s1, 0xcf800000
	s_mov_b64 s[40:41], 0
	s_waitcnt vmcnt(0)
	v_lshlrev_b32_e32 v1, 23, v0
	v_trunc_f32_e32 v1, v1
	v_mul_f32_e64 v4, |v1|, s0
	v_floor_f32_e32 v4, v4
	v_fma_f32 v5, v4, s1, |v1|
	v_cvt_u32_f32_e32 v5, v5
	v_cvt_u32_f32_e32 v4, v4
	v_ashrrev_i32_e32 v1, 31, v1
	s_mov_b64 s[0:1], -1
	v_xor_b32_e32 v5, v5, v1
	v_xor_b32_e32 v4, v4, v1
	v_sub_co_u32_e32 v5, vcc, v5, v1
	v_subb_co_u32_e32 v1, vcc, v4, v1, vcc
	v_cmp_ne_u32_e32 vcc, 0, v0
	v_cndmask_b32_e32 v1, 0, v1, vcc
	v_cndmask_b32_e32 v0, 0, v5, vcc
	s_branch .LBB94_779
.LBB94_778:
	s_mov_b64 s[40:41], -1
                                        ; implicit-def: $vgpr0_vgpr1
.LBB94_779:
	s_mov_b64 s[42:43], 0
.LBB94_780:
	s_and_b64 vcc, exec, s[42:43]
	s_cbranch_vccz .LBB94_784
; %bb.781:
	s_cmp_eq_u32 s45, 29
	s_cbranch_scc0 .LBB94_783
; %bb.782:
	global_load_dwordx2 v[0:1], v[2:3], off
	s_mov_b64 s[0:1], -1
	s_mov_b64 s[40:41], 0
	s_branch .LBB94_784
.LBB94_783:
	s_mov_b64 s[40:41], -1
                                        ; implicit-def: $vgpr0_vgpr1
.LBB94_784:
	s_mov_b64 s[42:43], 0
.LBB94_785:
	s_and_b64 vcc, exec, s[42:43]
	s_cbranch_vccz .LBB94_803
; %bb.786:
	s_cmp_lt_i32 s45, 27
	s_cbranch_scc1 .LBB94_789
; %bb.787:
	s_cmp_gt_i32 s45, 27
	s_cbranch_scc0 .LBB94_790
; %bb.788:
	global_load_dword v0, v[2:3], off
	s_waitcnt vmcnt(1)
	v_mov_b32_e32 v1, 0
	s_mov_b64 s[0:1], 0
	s_branch .LBB94_791
.LBB94_789:
	s_mov_b64 s[0:1], -1
                                        ; implicit-def: $vgpr0_vgpr1
	s_branch .LBB94_794
.LBB94_790:
	s_mov_b64 s[0:1], -1
                                        ; implicit-def: $vgpr0_vgpr1
.LBB94_791:
	s_andn2_b64 vcc, exec, s[0:1]
	s_cbranch_vccnz .LBB94_793
; %bb.792:
	global_load_ushort v0, v[2:3], off
	s_mov_b32 s0, 0
	s_waitcnt vmcnt(1)
	v_mov_b32_e32 v1, s0
	s_waitcnt vmcnt(0)
	v_and_b32_e32 v0, 0xffff, v0
.LBB94_793:
	s_mov_b64 s[0:1], 0
.LBB94_794:
	s_andn2_b64 vcc, exec, s[0:1]
	s_cbranch_vccnz .LBB94_802
; %bb.795:
	global_load_ubyte v4, v[2:3], off
	s_movk_i32 s0, 0x7f
	s_mov_b64 s[42:43], 0
	s_waitcnt vmcnt(0)
	v_cmp_lt_i16_e32 vcc, s0, v4
	s_and_saveexec_b64 s[0:1], vcc
	s_xor_b64 s[0:1], exec, s[0:1]
; %bb.796:
	s_movk_i32 s42, 0x80
	v_cmp_ne_u16_e32 vcc, s42, v4
	s_and_b64 s[42:43], vcc, exec
; %bb.797:
	s_andn2_saveexec_b64 s[0:1], s[0:1]
; %bb.798:
	v_cmp_ne_u16_e32 vcc, 0, v4
	s_andn2_b64 s[42:43], s[42:43], exec
	s_and_b64 s[46:47], vcc, exec
	s_or_b64 s[42:43], s[42:43], s[46:47]
; %bb.799:
	s_or_b64 exec, exec, s[0:1]
	v_mov_b32_e32 v0, 0
	v_mov_b32_e32 v1, 0
	s_and_saveexec_b64 s[0:1], s[42:43]
	s_cbranch_execz .LBB94_801
; %bb.800:
	v_and_b32_e32 v1, 0xffff, v4
	v_lshlrev_b32_e32 v0, 24, v4
	v_and_b32_e32 v4, 7, v1
	v_ffbh_u32_e32 v6, v4
	v_min_u32_e32 v6, 32, v6
	v_subrev_u32_e32 v7, 28, v6
	v_bfe_u32 v5, v1, 3, 4
	v_lshlrev_b32_e32 v1, v7, v1
	v_sub_u32_e32 v6, 29, v6
	v_and_b32_e32 v1, 7, v1
	v_cmp_eq_u32_e32 vcc, 0, v5
	v_cndmask_b32_e32 v5, v5, v6, vcc
	v_cndmask_b32_e32 v1, v4, v1, vcc
	v_mov_b32_e32 v4, 0x3b800000
	v_lshlrev_b32_e32 v1, 20, v1
	v_and_b32_e32 v0, 0x80000000, v0
	v_lshl_add_u32 v4, v5, 23, v4
	v_or3_b32 v0, v0, v4, v1
	v_trunc_f32_e32 v0, v0
	s_mov_b32 s42, 0x2f800000
	v_mul_f32_e64 v1, |v0|, s42
	v_floor_f32_e32 v1, v1
	s_mov_b32 s42, 0xcf800000
	v_fma_f32 v4, v1, s42, |v0|
	v_cvt_u32_f32_e32 v4, v4
	v_cvt_u32_f32_e32 v1, v1
	v_ashrrev_i32_e32 v5, 31, v0
	v_xor_b32_e32 v0, v4, v5
	v_xor_b32_e32 v1, v1, v5
	v_sub_co_u32_e32 v0, vcc, v0, v5
	v_subb_co_u32_e32 v1, vcc, v1, v5, vcc
.LBB94_801:
	s_or_b64 exec, exec, s[0:1]
.LBB94_802:
	s_mov_b64 s[0:1], -1
.LBB94_803:
	s_mov_b64 s[42:43], 0
.LBB94_804:
	s_and_b64 vcc, exec, s[42:43]
	s_cbranch_vccz .LBB94_835
; %bb.805:
	s_cmp_gt_i32 s45, 22
	s_cbranch_scc0 .LBB94_815
; %bb.806:
	s_cmp_lt_i32 s45, 24
	s_cbranch_scc1 .LBB94_816
; %bb.807:
	s_cmp_gt_i32 s45, 24
	s_cbranch_scc0 .LBB94_817
; %bb.808:
	global_load_ubyte v4, v[2:3], off
	s_movk_i32 s0, 0x7f
	s_mov_b64 s[42:43], 0
	s_waitcnt vmcnt(0)
	v_cmp_lt_i16_e32 vcc, s0, v4
	s_and_saveexec_b64 s[0:1], vcc
	s_xor_b64 s[0:1], exec, s[0:1]
; %bb.809:
	s_movk_i32 s42, 0x80
	v_cmp_ne_u16_e32 vcc, s42, v4
	s_and_b64 s[42:43], vcc, exec
; %bb.810:
	s_andn2_saveexec_b64 s[0:1], s[0:1]
; %bb.811:
	v_cmp_ne_u16_e32 vcc, 0, v4
	s_andn2_b64 s[42:43], s[42:43], exec
	s_and_b64 s[46:47], vcc, exec
	s_or_b64 s[42:43], s[42:43], s[46:47]
; %bb.812:
	s_or_b64 exec, exec, s[0:1]
	v_mov_b32_e32 v0, 0
	v_mov_b32_e32 v1, 0
	s_and_saveexec_b64 s[0:1], s[42:43]
	s_cbranch_execz .LBB94_814
; %bb.813:
	v_and_b32_e32 v1, 0xffff, v4
	v_lshlrev_b32_e32 v0, 24, v4
	v_and_b32_e32 v4, 3, v1
	v_ffbh_u32_e32 v6, v4
	v_min_u32_e32 v6, 32, v6
	v_subrev_u32_e32 v7, 29, v6
	v_bfe_u32 v5, v1, 2, 5
	v_lshlrev_b32_e32 v1, v7, v1
	v_sub_u32_e32 v6, 30, v6
	v_and_b32_e32 v1, 3, v1
	v_cmp_eq_u32_e32 vcc, 0, v5
	v_cndmask_b32_e32 v5, v5, v6, vcc
	v_cndmask_b32_e32 v1, v4, v1, vcc
	v_mov_b32_e32 v4, 0x37800000
	v_lshlrev_b32_e32 v1, 21, v1
	v_and_b32_e32 v0, 0x80000000, v0
	v_lshl_add_u32 v4, v5, 23, v4
	v_or3_b32 v0, v0, v4, v1
	v_trunc_f32_e32 v0, v0
	s_mov_b32 s42, 0x2f800000
	v_mul_f32_e64 v1, |v0|, s42
	v_floor_f32_e32 v1, v1
	s_mov_b32 s42, 0xcf800000
	v_fma_f32 v4, v1, s42, |v0|
	v_cvt_u32_f32_e32 v4, v4
	v_cvt_u32_f32_e32 v1, v1
	v_ashrrev_i32_e32 v5, 31, v0
	v_xor_b32_e32 v0, v4, v5
	v_xor_b32_e32 v1, v1, v5
	v_sub_co_u32_e32 v0, vcc, v0, v5
	v_subb_co_u32_e32 v1, vcc, v1, v5, vcc
.LBB94_814:
	s_or_b64 exec, exec, s[0:1]
	s_mov_b64 s[0:1], 0
	s_branch .LBB94_818
.LBB94_815:
	s_mov_b64 s[42:43], -1
                                        ; implicit-def: $vgpr0_vgpr1
	s_branch .LBB94_824
.LBB94_816:
	s_mov_b64 s[0:1], -1
                                        ; implicit-def: $vgpr0_vgpr1
	s_branch .LBB94_821
.LBB94_817:
	s_mov_b64 s[0:1], -1
                                        ; implicit-def: $vgpr0_vgpr1
.LBB94_818:
	s_and_b64 vcc, exec, s[0:1]
	s_cbranch_vccz .LBB94_820
; %bb.819:
	global_load_ubyte v0, v[2:3], off
	s_mov_b32 s0, 0x7f800000
	s_brev_b32 s1, 1
	s_mov_b32 s42, 0x2f800000
	s_mov_b32 s43, 0xcf800000
	s_waitcnt vmcnt(0)
	v_lshlrev_b32_e32 v0, 24, v0
	v_and_b32_e32 v1, 0x7f000000, v0
	v_ffbh_u32_e32 v4, v1
	v_min_u32_e32 v4, 32, v4
	v_sub_u32_e64 v4, v4, 4 clamp
	v_lshlrev_b32_e32 v6, v4, v1
	v_lshlrev_b32_e32 v4, 23, v4
	v_lshrrev_b32_e32 v6, 4, v6
	v_add_u32_e32 v5, 0x1000000, v1
	v_sub_u32_e32 v4, v6, v4
	v_ashrrev_i32_e32 v5, 8, v5
	v_add_u32_e32 v4, 0x3c000000, v4
	v_and_or_b32 v4, v5, s0, v4
	v_cmp_ne_u32_e32 vcc, 0, v1
	v_cndmask_b32_e32 v1, 0, v4, vcc
	v_and_or_b32 v0, v0, s1, v1
	v_trunc_f32_e32 v0, v0
	v_mul_f32_e64 v1, |v0|, s42
	v_floor_f32_e32 v1, v1
	v_fma_f32 v4, v1, s43, |v0|
	v_cvt_u32_f32_e32 v4, v4
	v_cvt_u32_f32_e32 v1, v1
	v_ashrrev_i32_e32 v5, 31, v0
	v_xor_b32_e32 v0, v4, v5
	v_xor_b32_e32 v1, v1, v5
	v_sub_co_u32_e32 v0, vcc, v0, v5
	v_subb_co_u32_e32 v1, vcc, v1, v5, vcc
.LBB94_820:
	s_mov_b64 s[0:1], 0
.LBB94_821:
	s_andn2_b64 vcc, exec, s[0:1]
	s_cbranch_vccnz .LBB94_823
; %bb.822:
	global_load_ubyte v0, v[2:3], off
	s_movk_i32 s0, 0x7f00
	s_brev_b32 s1, 16
	s_brev_b32 s42, 1
	s_mov_b32 s43, 0x2f800000
	s_mov_b32 s46, 0xcf800000
	s_waitcnt vmcnt(0)
	v_lshlrev_b16_e32 v1, 8, v0
	v_lshlrev_b32_e32 v0, 25, v0
	v_lshrrev_b32_e32 v4, 4, v0
	v_and_or_b32 v5, v1, s0, 0.5
	v_or_b32_e32 v4, 0x70000000, v4
	v_add_f32_e32 v5, -0.5, v5
	v_mul_f32_e32 v4, 0x7800000, v4
	v_cmp_gt_u32_e32 vcc, s1, v0
	v_bfe_i32 v1, v1, 0, 16
	v_cndmask_b32_e32 v0, v4, v5, vcc
	v_and_or_b32 v0, v1, s42, v0
	v_trunc_f32_e32 v0, v0
	v_mul_f32_e64 v1, |v0|, s43
	v_floor_f32_e32 v1, v1
	v_fma_f32 v4, v1, s46, |v0|
	v_cvt_u32_f32_e32 v4, v4
	v_cvt_u32_f32_e32 v1, v1
	v_ashrrev_i32_e32 v5, 31, v0
	v_xor_b32_e32 v0, v4, v5
	v_xor_b32_e32 v1, v1, v5
	v_sub_co_u32_e32 v0, vcc, v0, v5
	v_subb_co_u32_e32 v1, vcc, v1, v5, vcc
.LBB94_823:
	s_mov_b64 s[42:43], 0
	s_mov_b64 s[0:1], -1
.LBB94_824:
	s_andn2_b64 vcc, exec, s[42:43]
	s_cbranch_vccnz .LBB94_835
; %bb.825:
	s_cmp_gt_i32 s45, 14
	s_cbranch_scc0 .LBB94_828
; %bb.826:
	s_cmp_eq_u32 s45, 15
	s_cbranch_scc0 .LBB94_829
; %bb.827:
	global_load_ushort v0, v[2:3], off
	s_mov_b32 s0, 0x2f800000
	s_mov_b32 s1, 0xcf800000
	s_mov_b64 s[40:41], 0
	s_waitcnt vmcnt(0)
	v_lshlrev_b32_e32 v0, 16, v0
	v_trunc_f32_e32 v0, v0
	v_mul_f32_e64 v1, |v0|, s0
	v_floor_f32_e32 v1, v1
	v_fma_f32 v4, v1, s1, |v0|
	v_cvt_u32_f32_e32 v4, v4
	v_cvt_u32_f32_e32 v1, v1
	v_ashrrev_i32_e32 v5, 31, v0
	s_mov_b64 s[0:1], -1
	v_xor_b32_e32 v0, v4, v5
	v_xor_b32_e32 v1, v1, v5
	v_sub_co_u32_e32 v0, vcc, v0, v5
	v_subb_co_u32_e32 v1, vcc, v1, v5, vcc
	s_branch .LBB94_830
.LBB94_828:
	s_mov_b64 s[42:43], -1
                                        ; implicit-def: $vgpr0_vgpr1
	s_branch .LBB94_831
.LBB94_829:
	s_mov_b64 s[40:41], -1
                                        ; implicit-def: $vgpr0_vgpr1
.LBB94_830:
	s_mov_b64 s[42:43], 0
.LBB94_831:
	s_and_b64 vcc, exec, s[42:43]
	s_cbranch_vccz .LBB94_835
; %bb.832:
	s_cmp_eq_u32 s45, 11
	s_cbranch_scc0 .LBB94_834
; %bb.833:
	global_load_ubyte v0, v[2:3], off
	s_mov_b32 s40, 0
	s_mov_b64 s[0:1], -1
	s_waitcnt vmcnt(1)
	v_mov_b32_e32 v1, s40
	s_mov_b64 s[40:41], 0
	s_waitcnt vmcnt(0)
	v_cmp_ne_u16_e32 vcc, 0, v0
	v_cndmask_b32_e64 v0, 0, 1, vcc
	s_branch .LBB94_835
.LBB94_834:
	s_mov_b64 s[40:41], -1
                                        ; implicit-def: $vgpr0_vgpr1
.LBB94_835:
	s_mov_b64 s[42:43], 0
.LBB94_836:
	s_and_b64 vcc, exec, s[42:43]
	s_cbranch_vccz .LBB94_885
; %bb.837:
	s_and_b32 s42, 0xffff, s44
	s_cmp_lt_i32 s42, 5
	s_cbranch_scc1 .LBB94_842
; %bb.838:
	s_cmp_lt_i32 s42, 8
	s_cbranch_scc1 .LBB94_843
; %bb.839:
	;; [unrolled: 3-line block ×3, first 2 shown]
	s_cmp_gt_i32 s42, 9
	s_cbranch_scc0 .LBB94_845
; %bb.841:
	global_load_dwordx2 v[0:1], v[2:3], off
	s_movk_i32 s0, 0xffe0
	s_waitcnt vmcnt(0)
	v_trunc_f64_e32 v[0:1], v[0:1]
	v_ldexp_f64 v[4:5], v[0:1], s0
	s_mov_b32 s0, 0
	s_mov_b32 s1, 0xc1f00000
	v_floor_f64_e32 v[4:5], v[4:5]
	v_fma_f64 v[6:7], v[4:5], s[0:1], v[0:1]
	v_cvt_i32_f64_e32 v1, v[4:5]
	s_mov_b64 s[0:1], 0
	v_cvt_u32_f64_e32 v0, v[6:7]
	s_branch .LBB94_846
.LBB94_842:
	s_mov_b64 s[0:1], -1
                                        ; implicit-def: $vgpr0_vgpr1
	s_branch .LBB94_864
.LBB94_843:
	s_mov_b64 s[0:1], -1
                                        ; implicit-def: $vgpr0_vgpr1
	s_branch .LBB94_852
.LBB94_844:
	s_mov_b64 s[0:1], -1
                                        ; implicit-def: $vgpr0_vgpr1
	s_branch .LBB94_849
.LBB94_845:
	s_mov_b64 s[0:1], -1
                                        ; implicit-def: $vgpr0_vgpr1
.LBB94_846:
	s_andn2_b64 vcc, exec, s[0:1]
	s_cbranch_vccnz .LBB94_848
; %bb.847:
	global_load_dword v0, v[2:3], off
	s_mov_b32 s0, 0x2f800000
	s_mov_b32 s1, 0xcf800000
	s_waitcnt vmcnt(0)
	v_trunc_f32_e32 v0, v0
	v_mul_f32_e64 v1, |v0|, s0
	v_floor_f32_e32 v1, v1
	v_cvt_u32_f32_e32 v4, v1
	v_fma_f32 v1, v1, s1, |v0|
	v_cvt_u32_f32_e32 v1, v1
	v_ashrrev_i32_e32 v5, 31, v0
	v_xor_b32_e32 v4, v4, v5
	v_xor_b32_e32 v0, v1, v5
	v_sub_co_u32_e32 v0, vcc, v0, v5
	v_subb_co_u32_e32 v1, vcc, v4, v5, vcc
.LBB94_848:
	s_mov_b64 s[0:1], 0
.LBB94_849:
	s_andn2_b64 vcc, exec, s[0:1]
	s_cbranch_vccnz .LBB94_851
; %bb.850:
	global_load_dword v0, v[2:3], off
	s_waitcnt vmcnt(0)
	v_cvt_f32_f16_e32 v0, v0
	v_cvt_i32_f32_e32 v0, v0
	v_ashrrev_i32_e32 v1, 31, v0
.LBB94_851:
	s_mov_b64 s[0:1], 0
.LBB94_852:
	s_andn2_b64 vcc, exec, s[0:1]
	s_cbranch_vccnz .LBB94_863
; %bb.853:
	s_cmp_lt_i32 s42, 6
	s_cbranch_scc1 .LBB94_856
; %bb.854:
	s_cmp_gt_i32 s42, 6
	s_cbranch_scc0 .LBB94_857
; %bb.855:
	global_load_dwordx2 v[0:1], v[2:3], off
	s_movk_i32 s0, 0xffe0
	s_waitcnt vmcnt(0)
	v_trunc_f64_e32 v[0:1], v[0:1]
	v_ldexp_f64 v[4:5], v[0:1], s0
	s_mov_b32 s0, 0
	s_mov_b32 s1, 0xc1f00000
	v_floor_f64_e32 v[4:5], v[4:5]
	v_fma_f64 v[6:7], v[4:5], s[0:1], v[0:1]
	v_cvt_i32_f64_e32 v1, v[4:5]
	s_mov_b64 s[0:1], 0
	v_cvt_u32_f64_e32 v0, v[6:7]
	s_branch .LBB94_858
.LBB94_856:
	s_mov_b64 s[0:1], -1
                                        ; implicit-def: $vgpr0_vgpr1
	s_branch .LBB94_861
.LBB94_857:
	s_mov_b64 s[0:1], -1
                                        ; implicit-def: $vgpr0_vgpr1
.LBB94_858:
	s_andn2_b64 vcc, exec, s[0:1]
	s_cbranch_vccnz .LBB94_860
; %bb.859:
	global_load_dword v0, v[2:3], off
	s_mov_b32 s0, 0x2f800000
	s_mov_b32 s1, 0xcf800000
	s_waitcnt vmcnt(0)
	v_trunc_f32_e32 v0, v0
	v_mul_f32_e64 v1, |v0|, s0
	v_floor_f32_e32 v1, v1
	v_cvt_u32_f32_e32 v4, v1
	v_fma_f32 v1, v1, s1, |v0|
	v_cvt_u32_f32_e32 v1, v1
	v_ashrrev_i32_e32 v5, 31, v0
	v_xor_b32_e32 v4, v4, v5
	v_xor_b32_e32 v0, v1, v5
	v_sub_co_u32_e32 v0, vcc, v0, v5
	v_subb_co_u32_e32 v1, vcc, v4, v5, vcc
.LBB94_860:
	s_mov_b64 s[0:1], 0
.LBB94_861:
	s_andn2_b64 vcc, exec, s[0:1]
	s_cbranch_vccnz .LBB94_863
; %bb.862:
	global_load_ushort v0, v[2:3], off
	s_waitcnt vmcnt(0)
	v_cvt_f32_f16_e32 v0, v0
	v_cvt_i32_f32_e32 v0, v0
	v_ashrrev_i32_e32 v1, 31, v0
.LBB94_863:
	s_mov_b64 s[0:1], 0
.LBB94_864:
	s_andn2_b64 vcc, exec, s[0:1]
	s_cbranch_vccnz .LBB94_884
; %bb.865:
	s_cmp_lt_i32 s42, 2
	s_cbranch_scc1 .LBB94_869
; %bb.866:
	s_cmp_lt_i32 s42, 3
	s_cbranch_scc1 .LBB94_870
; %bb.867:
	s_cmp_gt_i32 s42, 3
	s_cbranch_scc0 .LBB94_871
; %bb.868:
	global_load_dwordx2 v[0:1], v[2:3], off
	s_mov_b64 s[0:1], 0
	s_branch .LBB94_872
.LBB94_869:
	s_mov_b64 s[0:1], -1
                                        ; implicit-def: $vgpr0_vgpr1
	s_branch .LBB94_878
.LBB94_870:
	s_mov_b64 s[0:1], -1
                                        ; implicit-def: $vgpr0_vgpr1
	s_branch .LBB94_875
.LBB94_871:
	s_mov_b64 s[0:1], -1
                                        ; implicit-def: $vgpr0_vgpr1
.LBB94_872:
	s_andn2_b64 vcc, exec, s[0:1]
	s_cbranch_vccnz .LBB94_874
; %bb.873:
	global_load_dword v0, v[2:3], off
	s_waitcnt vmcnt(0)
	v_ashrrev_i32_e32 v1, 31, v0
.LBB94_874:
	s_mov_b64 s[0:1], 0
.LBB94_875:
	s_andn2_b64 vcc, exec, s[0:1]
	s_cbranch_vccnz .LBB94_877
; %bb.876:
	global_load_ushort v0, v[2:3], off
	s_waitcnt vmcnt(0)
	v_bfe_i32 v0, v0, 0, 16
	v_ashrrev_i32_e32 v1, 31, v0
.LBB94_877:
	s_mov_b64 s[0:1], 0
.LBB94_878:
	s_andn2_b64 vcc, exec, s[0:1]
	s_cbranch_vccnz .LBB94_884
; %bb.879:
	s_cmp_gt_i32 s42, 0
	s_cbranch_scc0 .LBB94_881
; %bb.880:
	global_load_sbyte v0, v[2:3], off
	s_mov_b64 s[0:1], 0
	s_waitcnt vmcnt(0)
	v_bfe_i32 v0, v0, 0, 16
	v_ashrrev_i32_e32 v1, 31, v0
	s_branch .LBB94_882
.LBB94_881:
	s_mov_b64 s[0:1], -1
                                        ; implicit-def: $vgpr0_vgpr1
.LBB94_882:
	s_andn2_b64 vcc, exec, s[0:1]
	s_cbranch_vccnz .LBB94_884
; %bb.883:
	global_load_ubyte v0, v[2:3], off
	s_mov_b32 s0, 0
	s_waitcnt vmcnt(1)
	v_mov_b32_e32 v1, s0
	s_waitcnt vmcnt(0)
	v_and_b32_e32 v0, 0xffff, v0
.LBB94_884:
	s_mov_b64 s[0:1], -1
.LBB94_885:
	s_andn2_b64 vcc, exec, s[0:1]
	s_cbranch_vccnz .LBB94_893
; %bb.886:
	v_mul_lo_u32 v2, v18, s10
	v_mov_b32_e32 v3, s3
	s_and_b32 s46, s11, 0xff
	s_cmp_lt_i32 s46, 11
	v_ashrrev_i32_e32 v4, 31, v2
	v_add_co_u32_e32 v2, vcc, s2, v2
	v_addc_co_u32_e32 v3, vcc, v3, v4, vcc
	s_cbranch_scc1 .LBB94_895
; %bb.887:
	s_and_b32 s47, 0xffff, s46
	s_cmp_gt_i32 s47, 25
	s_cbranch_scc0 .LBB94_896
; %bb.888:
	s_cmp_gt_i32 s47, 28
	s_cbranch_scc0 .LBB94_897
; %bb.889:
	;; [unrolled: 3-line block ×4, first 2 shown]
	s_cmp_eq_u32 s47, 46
	s_mov_b64 s[44:45], 0
	s_cbranch_scc0 .LBB94_902
; %bb.892:
	global_load_dword v4, v[2:3], off
	s_mov_b32 s0, 0x2f800000
	s_mov_b32 s1, 0xcf800000
	s_mov_b64 s[42:43], 0
	s_waitcnt vmcnt(0)
	v_lshlrev_b32_e32 v4, 16, v4
	v_trunc_f32_e32 v4, v4
	v_mul_f32_e64 v5, |v4|, s0
	v_floor_f32_e32 v5, v5
	v_fma_f32 v6, v5, s1, |v4|
	v_cvt_u32_f32_e32 v6, v6
	v_cvt_u32_f32_e32 v5, v5
	v_ashrrev_i32_e32 v7, 31, v4
	s_mov_b64 s[0:1], -1
	v_xor_b32_e32 v4, v6, v7
	v_xor_b32_e32 v5, v5, v7
	v_sub_co_u32_e32 v4, vcc, v4, v7
	v_subb_co_u32_e32 v5, vcc, v5, v7, vcc
	s_branch .LBB94_903
.LBB94_893:
	s_mov_b64 s[46:47], 0
	s_mov_b64 s[0:1], s[34:35]
	;; [unrolled: 1-line block ×3, first 2 shown]
.LBB94_894:
                                        ; implicit-def: $vgpr18
	s_branch .LBB94_1137
.LBB94_895:
	s_mov_b64 s[44:45], -1
	s_mov_b64 s[0:1], 0
                                        ; implicit-def: $vgpr4_vgpr5
	s_mov_b64 s[42:43], s[30:31]
	s_branch .LBB94_964
.LBB94_896:
	s_mov_b64 s[44:45], -1
	s_mov_b64 s[0:1], 0
	s_mov_b64 s[42:43], s[30:31]
                                        ; implicit-def: $vgpr4_vgpr5
	s_branch .LBB94_932
.LBB94_897:
	s_mov_b64 s[44:45], -1
	s_mov_b64 s[0:1], 0
	s_mov_b64 s[42:43], s[30:31]
                                        ; implicit-def: $vgpr4_vgpr5
	s_branch .LBB94_913
.LBB94_898:
	s_mov_b64 s[44:45], -1
	s_mov_b64 s[0:1], 0
	s_mov_b64 s[42:43], s[30:31]
                                        ; implicit-def: $vgpr4_vgpr5
	s_branch .LBB94_908
.LBB94_899:
	s_mov_b64 s[44:45], -1
	s_mov_b64 s[0:1], 0
	s_mov_b64 s[42:43], s[30:31]
                                        ; implicit-def: $vgpr4_vgpr5
	s_branch .LBB94_903
.LBB94_900:
	s_andn2_saveexec_b64 s[40:41], s[40:41]
	s_cbranch_execz .LBB94_680
.LBB94_901:
	s_mov_b32 s44, 0x42800000
	v_add_f32_e64 v5, |v4|, s44
	v_and_b32_e32 v5, 0xff, v5
	v_cmp_ne_u32_e32 vcc, 0, v5
	s_andn2_b64 s[38:39], s[38:39], exec
	s_and_b64 s[44:45], vcc, exec
	s_or_b64 s[38:39], s[38:39], s[44:45]
	s_or_b64 exec, exec, s[40:41]
	v_mov_b32_e32 v6, 0
	s_and_saveexec_b64 s[40:41], s[38:39]
	s_cbranch_execnz .LBB94_681
	s_branch .LBB94_682
.LBB94_902:
	s_mov_b64 s[42:43], -1
                                        ; implicit-def: $vgpr4_vgpr5
	s_mov_b64 s[0:1], 0
.LBB94_903:
	s_and_b64 vcc, exec, s[44:45]
	s_cbranch_vccz .LBB94_907
; %bb.904:
	s_cmp_eq_u32 s47, 44
	s_cbranch_scc0 .LBB94_906
; %bb.905:
	global_load_ubyte v4, v[2:3], off
	s_mov_b32 s0, 0x2f800000
	s_mov_b32 s1, 0xcf800000
	s_mov_b64 s[42:43], 0
	s_waitcnt vmcnt(0)
	v_lshlrev_b32_e32 v5, 23, v4
	v_trunc_f32_e32 v5, v5
	v_mul_f32_e64 v6, |v5|, s0
	v_floor_f32_e32 v6, v6
	v_fma_f32 v7, v6, s1, |v5|
	v_cvt_u32_f32_e32 v7, v7
	v_cvt_u32_f32_e32 v6, v6
	v_ashrrev_i32_e32 v5, 31, v5
	s_mov_b64 s[0:1], -1
	v_xor_b32_e32 v7, v7, v5
	v_xor_b32_e32 v6, v6, v5
	v_sub_co_u32_e32 v7, vcc, v7, v5
	v_subb_co_u32_e32 v5, vcc, v6, v5, vcc
	v_cmp_ne_u32_e32 vcc, 0, v4
	v_cndmask_b32_e32 v5, 0, v5, vcc
	v_cndmask_b32_e32 v4, 0, v7, vcc
	s_branch .LBB94_907
.LBB94_906:
	s_mov_b64 s[42:43], -1
                                        ; implicit-def: $vgpr4_vgpr5
.LBB94_907:
	s_mov_b64 s[44:45], 0
.LBB94_908:
	s_and_b64 vcc, exec, s[44:45]
	s_cbranch_vccz .LBB94_912
; %bb.909:
	s_cmp_eq_u32 s47, 29
	s_cbranch_scc0 .LBB94_911
; %bb.910:
	global_load_dwordx2 v[4:5], v[2:3], off
	s_mov_b64 s[0:1], -1
	s_mov_b64 s[42:43], 0
	s_branch .LBB94_912
.LBB94_911:
	s_mov_b64 s[42:43], -1
                                        ; implicit-def: $vgpr4_vgpr5
.LBB94_912:
	s_mov_b64 s[44:45], 0
.LBB94_913:
	s_and_b64 vcc, exec, s[44:45]
	s_cbranch_vccz .LBB94_931
; %bb.914:
	s_cmp_lt_i32 s47, 27
	s_cbranch_scc1 .LBB94_917
; %bb.915:
	s_cmp_gt_i32 s47, 27
	s_cbranch_scc0 .LBB94_918
; %bb.916:
	global_load_dword v4, v[2:3], off
	s_waitcnt vmcnt(1)
	v_mov_b32_e32 v5, 0
	s_mov_b64 s[0:1], 0
	s_branch .LBB94_919
.LBB94_917:
	s_mov_b64 s[0:1], -1
                                        ; implicit-def: $vgpr4_vgpr5
	s_branch .LBB94_922
.LBB94_918:
	s_mov_b64 s[0:1], -1
                                        ; implicit-def: $vgpr4_vgpr5
.LBB94_919:
	s_andn2_b64 vcc, exec, s[0:1]
	s_cbranch_vccnz .LBB94_921
; %bb.920:
	global_load_ushort v4, v[2:3], off
	s_mov_b32 s0, 0
	s_waitcnt vmcnt(1)
	v_mov_b32_e32 v5, s0
	s_waitcnt vmcnt(0)
	v_and_b32_e32 v4, 0xffff, v4
.LBB94_921:
	s_mov_b64 s[0:1], 0
.LBB94_922:
	s_andn2_b64 vcc, exec, s[0:1]
	s_cbranch_vccnz .LBB94_930
; %bb.923:
	global_load_ubyte v6, v[2:3], off
	s_movk_i32 s0, 0x7f
	s_mov_b64 s[44:45], 0
	s_waitcnt vmcnt(0)
	v_cmp_lt_i16_e32 vcc, s0, v6
	s_and_saveexec_b64 s[0:1], vcc
	s_xor_b64 s[0:1], exec, s[0:1]
; %bb.924:
	s_movk_i32 s44, 0x80
	v_cmp_ne_u16_e32 vcc, s44, v6
	s_and_b64 s[44:45], vcc, exec
; %bb.925:
	s_andn2_saveexec_b64 s[0:1], s[0:1]
; %bb.926:
	v_cmp_ne_u16_e32 vcc, 0, v6
	s_andn2_b64 s[44:45], s[44:45], exec
	s_and_b64 s[48:49], vcc, exec
	s_or_b64 s[44:45], s[44:45], s[48:49]
; %bb.927:
	s_or_b64 exec, exec, s[0:1]
	v_mov_b32_e32 v4, 0
	v_mov_b32_e32 v5, 0
	s_and_saveexec_b64 s[0:1], s[44:45]
	s_cbranch_execz .LBB94_929
; %bb.928:
	v_and_b32_e32 v5, 0xffff, v6
	v_lshlrev_b32_e32 v4, 24, v6
	v_and_b32_e32 v6, 7, v5
	v_ffbh_u32_e32 v8, v6
	v_min_u32_e32 v8, 32, v8
	v_subrev_u32_e32 v9, 28, v8
	v_bfe_u32 v7, v5, 3, 4
	v_lshlrev_b32_e32 v5, v9, v5
	v_sub_u32_e32 v8, 29, v8
	v_and_b32_e32 v5, 7, v5
	v_cmp_eq_u32_e32 vcc, 0, v7
	v_cndmask_b32_e32 v7, v7, v8, vcc
	v_cndmask_b32_e32 v5, v6, v5, vcc
	v_mov_b32_e32 v6, 0x3b800000
	v_lshlrev_b32_e32 v5, 20, v5
	v_and_b32_e32 v4, 0x80000000, v4
	v_lshl_add_u32 v6, v7, 23, v6
	v_or3_b32 v4, v4, v6, v5
	v_trunc_f32_e32 v4, v4
	s_mov_b32 s44, 0x2f800000
	v_mul_f32_e64 v5, |v4|, s44
	v_floor_f32_e32 v5, v5
	s_mov_b32 s44, 0xcf800000
	v_fma_f32 v6, v5, s44, |v4|
	v_cvt_u32_f32_e32 v6, v6
	v_cvt_u32_f32_e32 v5, v5
	v_ashrrev_i32_e32 v7, 31, v4
	v_xor_b32_e32 v4, v6, v7
	v_xor_b32_e32 v5, v5, v7
	v_sub_co_u32_e32 v4, vcc, v4, v7
	v_subb_co_u32_e32 v5, vcc, v5, v7, vcc
.LBB94_929:
	s_or_b64 exec, exec, s[0:1]
.LBB94_930:
	s_mov_b64 s[0:1], -1
.LBB94_931:
	s_mov_b64 s[44:45], 0
.LBB94_932:
	s_and_b64 vcc, exec, s[44:45]
	s_cbranch_vccz .LBB94_963
; %bb.933:
	s_cmp_gt_i32 s47, 22
	s_cbranch_scc0 .LBB94_943
; %bb.934:
	s_cmp_lt_i32 s47, 24
	s_cbranch_scc1 .LBB94_944
; %bb.935:
	s_cmp_gt_i32 s47, 24
	s_cbranch_scc0 .LBB94_945
; %bb.936:
	global_load_ubyte v6, v[2:3], off
	s_movk_i32 s0, 0x7f
	s_mov_b64 s[44:45], 0
	s_waitcnt vmcnt(0)
	v_cmp_lt_i16_e32 vcc, s0, v6
	s_and_saveexec_b64 s[0:1], vcc
	s_xor_b64 s[0:1], exec, s[0:1]
; %bb.937:
	s_movk_i32 s44, 0x80
	v_cmp_ne_u16_e32 vcc, s44, v6
	s_and_b64 s[44:45], vcc, exec
; %bb.938:
	s_andn2_saveexec_b64 s[0:1], s[0:1]
; %bb.939:
	v_cmp_ne_u16_e32 vcc, 0, v6
	s_andn2_b64 s[44:45], s[44:45], exec
	s_and_b64 s[48:49], vcc, exec
	s_or_b64 s[44:45], s[44:45], s[48:49]
; %bb.940:
	s_or_b64 exec, exec, s[0:1]
	v_mov_b32_e32 v4, 0
	v_mov_b32_e32 v5, 0
	s_and_saveexec_b64 s[0:1], s[44:45]
	s_cbranch_execz .LBB94_942
; %bb.941:
	v_and_b32_e32 v5, 0xffff, v6
	v_lshlrev_b32_e32 v4, 24, v6
	v_and_b32_e32 v6, 3, v5
	v_ffbh_u32_e32 v8, v6
	v_min_u32_e32 v8, 32, v8
	v_subrev_u32_e32 v9, 29, v8
	v_bfe_u32 v7, v5, 2, 5
	v_lshlrev_b32_e32 v5, v9, v5
	v_sub_u32_e32 v8, 30, v8
	v_and_b32_e32 v5, 3, v5
	v_cmp_eq_u32_e32 vcc, 0, v7
	v_cndmask_b32_e32 v7, v7, v8, vcc
	v_cndmask_b32_e32 v5, v6, v5, vcc
	v_mov_b32_e32 v6, 0x37800000
	v_lshlrev_b32_e32 v5, 21, v5
	v_and_b32_e32 v4, 0x80000000, v4
	v_lshl_add_u32 v6, v7, 23, v6
	v_or3_b32 v4, v4, v6, v5
	v_trunc_f32_e32 v4, v4
	s_mov_b32 s44, 0x2f800000
	v_mul_f32_e64 v5, |v4|, s44
	v_floor_f32_e32 v5, v5
	s_mov_b32 s44, 0xcf800000
	v_fma_f32 v6, v5, s44, |v4|
	v_cvt_u32_f32_e32 v6, v6
	v_cvt_u32_f32_e32 v5, v5
	v_ashrrev_i32_e32 v7, 31, v4
	v_xor_b32_e32 v4, v6, v7
	v_xor_b32_e32 v5, v5, v7
	v_sub_co_u32_e32 v4, vcc, v4, v7
	v_subb_co_u32_e32 v5, vcc, v5, v7, vcc
.LBB94_942:
	s_or_b64 exec, exec, s[0:1]
	s_mov_b64 s[0:1], 0
	s_branch .LBB94_946
.LBB94_943:
	s_mov_b64 s[44:45], -1
                                        ; implicit-def: $vgpr4_vgpr5
	s_branch .LBB94_952
.LBB94_944:
	s_mov_b64 s[0:1], -1
                                        ; implicit-def: $vgpr4_vgpr5
	s_branch .LBB94_949
.LBB94_945:
	s_mov_b64 s[0:1], -1
                                        ; implicit-def: $vgpr4_vgpr5
.LBB94_946:
	s_and_b64 vcc, exec, s[0:1]
	s_cbranch_vccz .LBB94_948
; %bb.947:
	global_load_ubyte v4, v[2:3], off
	s_mov_b32 s0, 0x7f800000
	s_brev_b32 s1, 1
	s_mov_b32 s44, 0x2f800000
	s_mov_b32 s45, 0xcf800000
	s_waitcnt vmcnt(0)
	v_lshlrev_b32_e32 v4, 24, v4
	v_and_b32_e32 v5, 0x7f000000, v4
	v_ffbh_u32_e32 v6, v5
	v_min_u32_e32 v6, 32, v6
	v_sub_u32_e64 v6, v6, 4 clamp
	v_lshlrev_b32_e32 v8, v6, v5
	v_lshlrev_b32_e32 v6, 23, v6
	v_lshrrev_b32_e32 v8, 4, v8
	v_add_u32_e32 v7, 0x1000000, v5
	v_sub_u32_e32 v6, v8, v6
	v_ashrrev_i32_e32 v7, 8, v7
	v_add_u32_e32 v6, 0x3c000000, v6
	v_and_or_b32 v6, v7, s0, v6
	v_cmp_ne_u32_e32 vcc, 0, v5
	v_cndmask_b32_e32 v5, 0, v6, vcc
	v_and_or_b32 v4, v4, s1, v5
	v_trunc_f32_e32 v4, v4
	v_mul_f32_e64 v5, |v4|, s44
	v_floor_f32_e32 v5, v5
	v_fma_f32 v6, v5, s45, |v4|
	v_cvt_u32_f32_e32 v6, v6
	v_cvt_u32_f32_e32 v5, v5
	v_ashrrev_i32_e32 v7, 31, v4
	v_xor_b32_e32 v4, v6, v7
	v_xor_b32_e32 v5, v5, v7
	v_sub_co_u32_e32 v4, vcc, v4, v7
	v_subb_co_u32_e32 v5, vcc, v5, v7, vcc
.LBB94_948:
	s_mov_b64 s[0:1], 0
.LBB94_949:
	s_andn2_b64 vcc, exec, s[0:1]
	s_cbranch_vccnz .LBB94_951
; %bb.950:
	global_load_ubyte v4, v[2:3], off
	s_movk_i32 s0, 0x7f00
	s_brev_b32 s1, 16
	s_brev_b32 s44, 1
	s_mov_b32 s45, 0x2f800000
	s_mov_b32 s48, 0xcf800000
	s_waitcnt vmcnt(0)
	v_lshlrev_b16_e32 v5, 8, v4
	v_lshlrev_b32_e32 v4, 25, v4
	v_lshrrev_b32_e32 v6, 4, v4
	v_and_or_b32 v7, v5, s0, 0.5
	v_or_b32_e32 v6, 0x70000000, v6
	v_add_f32_e32 v7, -0.5, v7
	v_mul_f32_e32 v6, 0x7800000, v6
	v_cmp_gt_u32_e32 vcc, s1, v4
	v_bfe_i32 v5, v5, 0, 16
	v_cndmask_b32_e32 v4, v6, v7, vcc
	v_and_or_b32 v4, v5, s44, v4
	v_trunc_f32_e32 v4, v4
	v_mul_f32_e64 v5, |v4|, s45
	v_floor_f32_e32 v5, v5
	v_fma_f32 v6, v5, s48, |v4|
	v_cvt_u32_f32_e32 v6, v6
	v_cvt_u32_f32_e32 v5, v5
	v_ashrrev_i32_e32 v7, 31, v4
	v_xor_b32_e32 v4, v6, v7
	v_xor_b32_e32 v5, v5, v7
	v_sub_co_u32_e32 v4, vcc, v4, v7
	v_subb_co_u32_e32 v5, vcc, v5, v7, vcc
.LBB94_951:
	s_mov_b64 s[44:45], 0
	s_mov_b64 s[0:1], -1
.LBB94_952:
	s_andn2_b64 vcc, exec, s[44:45]
	s_cbranch_vccnz .LBB94_963
; %bb.953:
	s_cmp_gt_i32 s47, 14
	s_cbranch_scc0 .LBB94_956
; %bb.954:
	s_cmp_eq_u32 s47, 15
	s_cbranch_scc0 .LBB94_957
; %bb.955:
	global_load_ushort v4, v[2:3], off
	s_mov_b32 s0, 0x2f800000
	s_mov_b32 s1, 0xcf800000
	s_mov_b64 s[42:43], 0
	s_waitcnt vmcnt(0)
	v_lshlrev_b32_e32 v4, 16, v4
	v_trunc_f32_e32 v4, v4
	v_mul_f32_e64 v5, |v4|, s0
	v_floor_f32_e32 v5, v5
	v_fma_f32 v6, v5, s1, |v4|
	v_cvt_u32_f32_e32 v6, v6
	v_cvt_u32_f32_e32 v5, v5
	v_ashrrev_i32_e32 v7, 31, v4
	s_mov_b64 s[0:1], -1
	v_xor_b32_e32 v4, v6, v7
	v_xor_b32_e32 v5, v5, v7
	v_sub_co_u32_e32 v4, vcc, v4, v7
	v_subb_co_u32_e32 v5, vcc, v5, v7, vcc
	s_branch .LBB94_958
.LBB94_956:
	s_mov_b64 s[44:45], -1
                                        ; implicit-def: $vgpr4_vgpr5
	s_branch .LBB94_959
.LBB94_957:
	s_mov_b64 s[42:43], -1
                                        ; implicit-def: $vgpr4_vgpr5
.LBB94_958:
	s_mov_b64 s[44:45], 0
.LBB94_959:
	s_and_b64 vcc, exec, s[44:45]
	s_cbranch_vccz .LBB94_963
; %bb.960:
	s_cmp_eq_u32 s47, 11
	s_cbranch_scc0 .LBB94_962
; %bb.961:
	global_load_ubyte v4, v[2:3], off
	s_mov_b32 s42, 0
	s_mov_b64 s[0:1], -1
	s_waitcnt vmcnt(1)
	v_mov_b32_e32 v5, s42
	s_mov_b64 s[42:43], 0
	s_waitcnt vmcnt(0)
	v_cmp_ne_u16_e32 vcc, 0, v4
	v_cndmask_b32_e64 v4, 0, 1, vcc
	s_branch .LBB94_963
.LBB94_962:
	s_mov_b64 s[42:43], -1
                                        ; implicit-def: $vgpr4_vgpr5
.LBB94_963:
	s_mov_b64 s[44:45], 0
.LBB94_964:
	s_and_b64 vcc, exec, s[44:45]
	s_cbranch_vccz .LBB94_1013
; %bb.965:
	s_and_b32 s44, 0xffff, s46
	s_cmp_lt_i32 s44, 5
	s_cbranch_scc1 .LBB94_970
; %bb.966:
	s_cmp_lt_i32 s44, 8
	s_cbranch_scc1 .LBB94_971
; %bb.967:
	;; [unrolled: 3-line block ×3, first 2 shown]
	s_cmp_gt_i32 s44, 9
	s_cbranch_scc0 .LBB94_973
; %bb.969:
	global_load_dwordx2 v[4:5], v[2:3], off
	s_movk_i32 s0, 0xffe0
	s_waitcnt vmcnt(0)
	v_trunc_f64_e32 v[4:5], v[4:5]
	v_ldexp_f64 v[6:7], v[4:5], s0
	s_mov_b32 s0, 0
	s_mov_b32 s1, 0xc1f00000
	v_floor_f64_e32 v[6:7], v[6:7]
	v_fma_f64 v[8:9], v[6:7], s[0:1], v[4:5]
	v_cvt_i32_f64_e32 v5, v[6:7]
	s_mov_b64 s[0:1], 0
	v_cvt_u32_f64_e32 v4, v[8:9]
	s_branch .LBB94_974
.LBB94_970:
	s_mov_b64 s[0:1], -1
                                        ; implicit-def: $vgpr4_vgpr5
	s_branch .LBB94_992
.LBB94_971:
	s_mov_b64 s[0:1], -1
                                        ; implicit-def: $vgpr4_vgpr5
	s_branch .LBB94_980
.LBB94_972:
	s_mov_b64 s[0:1], -1
                                        ; implicit-def: $vgpr4_vgpr5
	s_branch .LBB94_977
.LBB94_973:
	s_mov_b64 s[0:1], -1
                                        ; implicit-def: $vgpr4_vgpr5
.LBB94_974:
	s_andn2_b64 vcc, exec, s[0:1]
	s_cbranch_vccnz .LBB94_976
; %bb.975:
	global_load_dword v4, v[2:3], off
	s_mov_b32 s0, 0x2f800000
	s_mov_b32 s1, 0xcf800000
	s_waitcnt vmcnt(0)
	v_trunc_f32_e32 v4, v4
	v_mul_f32_e64 v5, |v4|, s0
	v_floor_f32_e32 v5, v5
	v_cvt_u32_f32_e32 v6, v5
	v_fma_f32 v5, v5, s1, |v4|
	v_cvt_u32_f32_e32 v5, v5
	v_ashrrev_i32_e32 v7, 31, v4
	v_xor_b32_e32 v6, v6, v7
	v_xor_b32_e32 v4, v5, v7
	v_sub_co_u32_e32 v4, vcc, v4, v7
	v_subb_co_u32_e32 v5, vcc, v6, v7, vcc
.LBB94_976:
	s_mov_b64 s[0:1], 0
.LBB94_977:
	s_andn2_b64 vcc, exec, s[0:1]
	s_cbranch_vccnz .LBB94_979
; %bb.978:
	global_load_dword v4, v[2:3], off
	s_waitcnt vmcnt(0)
	v_cvt_f32_f16_e32 v4, v4
	v_cvt_i32_f32_e32 v4, v4
	v_ashrrev_i32_e32 v5, 31, v4
.LBB94_979:
	s_mov_b64 s[0:1], 0
.LBB94_980:
	s_andn2_b64 vcc, exec, s[0:1]
	s_cbranch_vccnz .LBB94_991
; %bb.981:
	s_cmp_lt_i32 s44, 6
	s_cbranch_scc1 .LBB94_984
; %bb.982:
	s_cmp_gt_i32 s44, 6
	s_cbranch_scc0 .LBB94_985
; %bb.983:
	global_load_dwordx2 v[4:5], v[2:3], off
	s_movk_i32 s0, 0xffe0
	s_waitcnt vmcnt(0)
	v_trunc_f64_e32 v[4:5], v[4:5]
	v_ldexp_f64 v[6:7], v[4:5], s0
	s_mov_b32 s0, 0
	s_mov_b32 s1, 0xc1f00000
	v_floor_f64_e32 v[6:7], v[6:7]
	v_fma_f64 v[8:9], v[6:7], s[0:1], v[4:5]
	v_cvt_i32_f64_e32 v5, v[6:7]
	s_mov_b64 s[0:1], 0
	v_cvt_u32_f64_e32 v4, v[8:9]
	s_branch .LBB94_986
.LBB94_984:
	s_mov_b64 s[0:1], -1
                                        ; implicit-def: $vgpr4_vgpr5
	s_branch .LBB94_989
.LBB94_985:
	s_mov_b64 s[0:1], -1
                                        ; implicit-def: $vgpr4_vgpr5
.LBB94_986:
	s_andn2_b64 vcc, exec, s[0:1]
	s_cbranch_vccnz .LBB94_988
; %bb.987:
	global_load_dword v4, v[2:3], off
	s_mov_b32 s0, 0x2f800000
	s_mov_b32 s1, 0xcf800000
	s_waitcnt vmcnt(0)
	v_trunc_f32_e32 v4, v4
	v_mul_f32_e64 v5, |v4|, s0
	v_floor_f32_e32 v5, v5
	v_cvt_u32_f32_e32 v6, v5
	v_fma_f32 v5, v5, s1, |v4|
	v_cvt_u32_f32_e32 v5, v5
	v_ashrrev_i32_e32 v7, 31, v4
	v_xor_b32_e32 v6, v6, v7
	v_xor_b32_e32 v4, v5, v7
	v_sub_co_u32_e32 v4, vcc, v4, v7
	v_subb_co_u32_e32 v5, vcc, v6, v7, vcc
.LBB94_988:
	s_mov_b64 s[0:1], 0
.LBB94_989:
	s_andn2_b64 vcc, exec, s[0:1]
	s_cbranch_vccnz .LBB94_991
; %bb.990:
	global_load_ushort v4, v[2:3], off
	s_waitcnt vmcnt(0)
	v_cvt_f32_f16_e32 v4, v4
	v_cvt_i32_f32_e32 v4, v4
	v_ashrrev_i32_e32 v5, 31, v4
.LBB94_991:
	s_mov_b64 s[0:1], 0
.LBB94_992:
	s_andn2_b64 vcc, exec, s[0:1]
	s_cbranch_vccnz .LBB94_1012
; %bb.993:
	s_cmp_lt_i32 s44, 2
	s_cbranch_scc1 .LBB94_997
; %bb.994:
	s_cmp_lt_i32 s44, 3
	s_cbranch_scc1 .LBB94_998
; %bb.995:
	s_cmp_gt_i32 s44, 3
	s_cbranch_scc0 .LBB94_999
; %bb.996:
	global_load_dwordx2 v[4:5], v[2:3], off
	s_mov_b64 s[0:1], 0
	s_branch .LBB94_1000
.LBB94_997:
	s_mov_b64 s[0:1], -1
                                        ; implicit-def: $vgpr4_vgpr5
	s_branch .LBB94_1006
.LBB94_998:
	s_mov_b64 s[0:1], -1
                                        ; implicit-def: $vgpr4_vgpr5
	s_branch .LBB94_1003
.LBB94_999:
	s_mov_b64 s[0:1], -1
                                        ; implicit-def: $vgpr4_vgpr5
.LBB94_1000:
	s_andn2_b64 vcc, exec, s[0:1]
	s_cbranch_vccnz .LBB94_1002
; %bb.1001:
	global_load_dword v4, v[2:3], off
	s_waitcnt vmcnt(0)
	v_ashrrev_i32_e32 v5, 31, v4
.LBB94_1002:
	s_mov_b64 s[0:1], 0
.LBB94_1003:
	s_andn2_b64 vcc, exec, s[0:1]
	s_cbranch_vccnz .LBB94_1005
; %bb.1004:
	global_load_ushort v4, v[2:3], off
	s_waitcnt vmcnt(0)
	v_bfe_i32 v4, v4, 0, 16
	v_ashrrev_i32_e32 v5, 31, v4
.LBB94_1005:
	s_mov_b64 s[0:1], 0
.LBB94_1006:
	s_andn2_b64 vcc, exec, s[0:1]
	s_cbranch_vccnz .LBB94_1012
; %bb.1007:
	s_cmp_gt_i32 s44, 0
	s_cbranch_scc0 .LBB94_1009
; %bb.1008:
	global_load_sbyte v4, v[2:3], off
	s_mov_b64 s[0:1], 0
	s_waitcnt vmcnt(0)
	v_bfe_i32 v4, v4, 0, 16
	v_ashrrev_i32_e32 v5, 31, v4
	s_branch .LBB94_1010
.LBB94_1009:
	s_mov_b64 s[0:1], -1
                                        ; implicit-def: $vgpr4_vgpr5
.LBB94_1010:
	s_andn2_b64 vcc, exec, s[0:1]
	s_cbranch_vccnz .LBB94_1012
; %bb.1011:
	global_load_ubyte v2, v[2:3], off
	s_mov_b32 s0, 0
	s_waitcnt vmcnt(1)
	v_mov_b32_e32 v5, s0
	s_waitcnt vmcnt(0)
	v_and_b32_e32 v4, 0xffff, v2
.LBB94_1012:
	s_mov_b64 s[0:1], -1
.LBB94_1013:
	s_andn2_b64 vcc, exec, s[0:1]
	s_cbranch_vccnz .LBB94_1021
; %bb.1014:
	v_mul_lo_u32 v3, v18, s8
	s_waitcnt vmcnt(0)
	v_cmp_lt_i64_e32 vcc, s[12:13], v[0:1]
	v_mov_b32_e32 v2, s15
	v_mov_b32_e32 v0, s14
	v_cndmask_b32_e32 v1, v2, v5, vcc
	v_cndmask_b32_e32 v0, v0, v4, vcc
	v_ashrrev_i32_e32 v4, 31, v3
	v_mov_b32_e32 v5, s17
	s_and_b32 s50, s33, 0xff
	v_add_co_u32_e32 v2, vcc, s16, v3
	s_cmp_lt_i32 s50, 11
	v_addc_co_u32_e32 v3, vcc, v5, v4, vcc
	s_cbranch_scc1 .LBB94_1022
; %bb.1015:
	s_and_b32 s51, 0xffff, s50
	s_cmp_gt_i32 s51, 25
	s_cbranch_scc0 .LBB94_1023
; %bb.1016:
	s_cmp_gt_i32 s51, 28
	s_cbranch_scc0 .LBB94_1024
; %bb.1017:
	;; [unrolled: 3-line block ×4, first 2 shown]
	s_mov_b64 s[46:47], 0
	s_mov_b64 s[0:1], -1
	s_cmp_eq_u32 s51, 46
	s_mov_b64 s[44:45], 0
	s_cbranch_scc0 .LBB94_1027
; %bb.1020:
	v_xor_b32_e32 v5, v0, v1
	v_ffbh_i32_e32 v4, v1
	v_ashrrev_i32_e32 v5, 31, v5
	v_add_u32_e32 v4, -1, v4
	v_add_u32_e32 v5, 32, v5
	v_min_u32_e32 v6, v4, v5
	v_lshlrev_b64 v[4:5], v6, v[0:1]
	s_movk_i32 s0, 0x7fff
	v_min_u32_e32 v4, 1, v4
	v_or_b32_e32 v4, v5, v4
	v_cvt_f32_i32_e32 v4, v4
	v_sub_u32_e32 v5, 32, v6
	s_mov_b64 s[44:45], -1
	v_ldexp_f32 v4, v4, v5
	v_bfe_u32 v5, v4, 16, 1
	v_add3_u32 v4, v4, v5, s0
	v_lshrrev_b32_e32 v4, 16, v4
	global_store_dword v[2:3], v4, off
	s_mov_b64 s[0:1], 0
	s_branch .LBB94_1027
.LBB94_1021:
	s_mov_b64 s[46:47], 0
                                        ; implicit-def: $vgpr18
	s_mov_b64 s[0:1], s[34:35]
	s_branch .LBB94_1137
.LBB94_1022:
	s_mov_b64 s[46:47], -1
	s_mov_b64 s[44:45], 0
	s_mov_b64 s[0:1], s[34:35]
	s_branch .LBB94_1096
.LBB94_1023:
	s_mov_b64 s[46:47], -1
	s_mov_b64 s[44:45], 0
	s_mov_b64 s[0:1], s[34:35]
	s_branch .LBB94_1054
.LBB94_1024:
	s_mov_b64 s[46:47], -1
	s_mov_b64 s[44:45], 0
	s_mov_b64 s[0:1], s[34:35]
	s_branch .LBB94_1037
.LBB94_1025:
	s_mov_b64 s[46:47], -1
	s_mov_b64 s[44:45], 0
	s_mov_b64 s[0:1], s[34:35]
	s_branch .LBB94_1033
.LBB94_1026:
	s_mov_b64 s[46:47], -1
	s_mov_b64 s[44:45], 0
	s_mov_b64 s[0:1], s[34:35]
.LBB94_1027:
	s_and_b64 vcc, exec, s[46:47]
	s_cbranch_vccz .LBB94_1032
; %bb.1028:
	s_cmp_eq_u32 s51, 44
	s_mov_b64 s[0:1], -1
	s_cbranch_scc0 .LBB94_1032
; %bb.1029:
	v_xor_b32_e32 v5, v0, v1
	v_ffbh_i32_e32 v4, v1
	v_ashrrev_i32_e32 v5, 31, v5
	v_add_u32_e32 v4, -1, v4
	v_add_u32_e32 v5, 32, v5
	v_min_u32_e32 v6, v4, v5
	v_lshlrev_b64 v[4:5], v6, v[0:1]
	s_movk_i32 s0, 0xff
	v_min_u32_e32 v4, 1, v4
	v_or_b32_e32 v4, v5, v4
	v_cvt_f32_i32_e32 v4, v4
	v_sub_u32_e32 v5, 32, v6
	v_mov_b32_e32 v6, 0xff
	v_ldexp_f32 v4, v4, v5
	v_bfe_u32 v5, v4, 23, 8
	v_cmp_ne_u32_e32 vcc, s0, v5
	s_and_saveexec_b64 s[44:45], vcc
; %bb.1030:
	s_mov_b32 s0, 0x3fffff
	v_lshrrev_b32_e32 v6, 23, v4
	v_and_b32_e32 v7, 0x400000, v4
	v_and_or_b32 v4, v4, s0, v5
	v_cmp_ne_u32_e32 vcc, 0, v7
	v_cmp_ne_u32_e64 s[0:1], 0, v4
	s_and_b64 s[0:1], vcc, s[0:1]
	v_cndmask_b32_e64 v4, 0, 1, s[0:1]
	v_add_u32_e32 v6, v6, v4
; %bb.1031:
	s_or_b64 exec, exec, s[44:45]
	s_mov_b64 s[44:45], -1
	s_mov_b64 s[0:1], 0
	global_store_byte v[2:3], v6, off
.LBB94_1032:
	s_mov_b64 s[46:47], 0
.LBB94_1033:
	s_and_b64 vcc, exec, s[46:47]
	s_cbranch_vccz .LBB94_1036
; %bb.1034:
	s_cmp_eq_u32 s51, 29
	s_mov_b64 s[0:1], -1
	s_cbranch_scc0 .LBB94_1036
; %bb.1035:
	global_store_dwordx2 v[2:3], v[0:1], off
	s_mov_b64 s[44:45], -1
	s_mov_b64 s[0:1], 0
.LBB94_1036:
	s_mov_b64 s[46:47], 0
.LBB94_1037:
	s_and_b64 vcc, exec, s[46:47]
	s_cbranch_vccz .LBB94_1053
; %bb.1038:
	s_cmp_lt_i32 s51, 27
	s_mov_b64 s[44:45], -1
	s_cbranch_scc1 .LBB94_1044
; %bb.1039:
	s_cmp_gt_i32 s51, 27
	s_cbranch_scc0 .LBB94_1041
; %bb.1040:
	s_mov_b64 s[44:45], 0
	global_store_dword v[2:3], v0, off
.LBB94_1041:
	s_andn2_b64 vcc, exec, s[44:45]
	s_cbranch_vccnz .LBB94_1043
; %bb.1042:
	global_store_short v[2:3], v0, off
.LBB94_1043:
	s_mov_b64 s[44:45], 0
.LBB94_1044:
	s_andn2_b64 vcc, exec, s[44:45]
	s_cbranch_vccnz .LBB94_1052
; %bb.1045:
	v_xor_b32_e32 v5, v0, v1
	v_ffbh_i32_e32 v4, v1
	v_ashrrev_i32_e32 v5, 31, v5
	v_add_u32_e32 v4, -1, v4
	v_add_u32_e32 v5, 32, v5
	v_min_u32_e32 v6, v4, v5
	v_lshlrev_b64 v[4:5], v6, v[0:1]
	s_mov_b32 s44, 0x43800000
	v_min_u32_e32 v4, 1, v4
	v_or_b32_e32 v4, v5, v4
	v_cvt_f32_i32_e32 v4, v4
	v_sub_u32_e32 v5, 32, v6
	v_mov_b32_e32 v6, 0x80
	v_ldexp_f32 v4, v4, v5
	v_and_b32_e32 v5, 0x7fffffff, v4
	v_cmp_gt_u32_e32 vcc, s44, v5
	s_and_saveexec_b64 s[44:45], vcc
	s_cbranch_execz .LBB94_1051
; %bb.1046:
	s_mov_b32 s46, 0x3bffffff
	v_cmp_lt_u32_e32 vcc, s46, v5
	s_mov_b64 s[46:47], 0
                                        ; implicit-def: $vgpr5
	s_and_saveexec_b64 s[48:49], vcc
	s_xor_b64 s[48:49], exec, s[48:49]
	s_cbranch_execz .LBB94_1153
; %bb.1047:
	v_bfe_u32 v5, v4, 20, 1
	s_mov_b32 s53, 0x487ffff
	v_add3_u32 v5, v4, v5, s53
	s_mov_b64 s[46:47], exec
	v_lshrrev_b32_e32 v5, 20, v5
	s_andn2_saveexec_b64 s[48:49], s[48:49]
	s_cbranch_execnz .LBB94_1154
.LBB94_1048:
	s_or_b64 exec, exec, s[48:49]
	v_mov_b32_e32 v6, 0
	s_and_saveexec_b64 s[48:49], s[46:47]
.LBB94_1049:
	v_lshrrev_b32_e32 v4, 24, v4
	s_movk_i32 s46, 0x80
	v_and_or_b32 v6, v4, s46, v5
.LBB94_1050:
	s_or_b64 exec, exec, s[48:49]
.LBB94_1051:
	s_or_b64 exec, exec, s[44:45]
	global_store_byte v[2:3], v6, off
.LBB94_1052:
	s_mov_b64 s[44:45], -1
.LBB94_1053:
	s_mov_b64 s[46:47], 0
.LBB94_1054:
	s_and_b64 vcc, exec, s[46:47]
	s_cbranch_vccz .LBB94_1095
; %bb.1055:
	s_cmp_gt_i32 s51, 22
	s_mov_b64 s[46:47], -1
	s_cbranch_scc0 .LBB94_1087
; %bb.1056:
	s_cmp_lt_i32 s51, 24
	s_mov_b64 s[44:45], -1
	s_cbranch_scc1 .LBB94_1076
; %bb.1057:
	s_cmp_gt_i32 s51, 24
	s_cbranch_scc0 .LBB94_1065
; %bb.1058:
	v_xor_b32_e32 v5, v0, v1
	v_ffbh_i32_e32 v4, v1
	v_ashrrev_i32_e32 v5, 31, v5
	v_add_u32_e32 v4, -1, v4
	v_add_u32_e32 v5, 32, v5
	v_min_u32_e32 v6, v4, v5
	v_lshlrev_b64 v[4:5], v6, v[0:1]
	s_mov_b32 s44, 0x47800000
	v_min_u32_e32 v4, 1, v4
	v_or_b32_e32 v4, v5, v4
	v_cvt_f32_i32_e32 v4, v4
	v_sub_u32_e32 v5, 32, v6
	v_mov_b32_e32 v6, 0x80
	v_ldexp_f32 v4, v4, v5
	v_and_b32_e32 v5, 0x7fffffff, v4
	v_cmp_gt_u32_e32 vcc, s44, v5
	s_and_saveexec_b64 s[44:45], vcc
	s_cbranch_execz .LBB94_1064
; %bb.1059:
	s_mov_b32 s46, 0x37ffffff
	v_cmp_lt_u32_e32 vcc, s46, v5
	s_mov_b64 s[46:47], 0
                                        ; implicit-def: $vgpr5
	s_and_saveexec_b64 s[48:49], vcc
	s_xor_b64 s[48:49], exec, s[48:49]
	s_cbranch_execz .LBB94_2147
; %bb.1060:
	v_bfe_u32 v5, v4, 21, 1
	s_mov_b32 s53, 0x88fffff
	v_add3_u32 v5, v4, v5, s53
	s_mov_b64 s[46:47], exec
	v_lshrrev_b32_e32 v5, 21, v5
	s_andn2_saveexec_b64 s[48:49], s[48:49]
	s_cbranch_execnz .LBB94_2148
.LBB94_1061:
	s_or_b64 exec, exec, s[48:49]
	v_mov_b32_e32 v6, 0
	s_and_saveexec_b64 s[48:49], s[46:47]
.LBB94_1062:
	v_lshrrev_b32_e32 v4, 24, v4
	s_movk_i32 s46, 0x80
	v_and_or_b32 v6, v4, s46, v5
.LBB94_1063:
	s_or_b64 exec, exec, s[48:49]
.LBB94_1064:
	s_or_b64 exec, exec, s[44:45]
	s_mov_b64 s[44:45], 0
	global_store_byte v[2:3], v6, off
.LBB94_1065:
	s_and_b64 vcc, exec, s[44:45]
	s_cbranch_vccz .LBB94_1075
; %bb.1066:
	v_xor_b32_e32 v5, v0, v1
	v_ffbh_i32_e32 v4, v1
	v_ashrrev_i32_e32 v5, 31, v5
	v_add_u32_e32 v4, -1, v4
	v_add_u32_e32 v5, 32, v5
	v_min_u32_e32 v6, v4, v5
	v_lshlrev_b64 v[4:5], v6, v[0:1]
	s_mov_b32 s44, 0x43f00000
	v_min_u32_e32 v4, 1, v4
	v_or_b32_e32 v4, v5, v4
	v_cvt_f32_i32_e32 v4, v4
	v_sub_u32_e32 v5, 32, v6
	v_ldexp_f32 v4, v4, v5
	v_and_b32_e32 v6, 0x7fffffff, v4
	v_cmp_gt_u32_e32 vcc, s44, v6
                                        ; implicit-def: $vgpr5
	s_and_saveexec_b64 s[44:45], vcc
	s_xor_b64 s[44:45], exec, s[44:45]
	s_cbranch_execz .LBB94_1072
; %bb.1067:
	s_mov_b32 s46, 0x3c7fffff
	v_cmp_lt_u32_e32 vcc, s46, v6
                                        ; implicit-def: $vgpr5
	s_and_saveexec_b64 s[46:47], vcc
	s_xor_b64 s[46:47], exec, s[46:47]
; %bb.1068:
	v_bfe_u32 v5, v4, 20, 1
	s_mov_b32 s48, 0x407ffff
	v_add3_u32 v5, v4, v5, s48
	v_lshrrev_b32_e32 v6, 20, v5
	v_and_b32_e32 v5, 0xff00000, v5
	s_mov_b32 s48, 0x7f00000
	v_mov_b32_e32 v7, 0x7e
	v_cmp_ne_u32_e32 vcc, s48, v5
	v_cndmask_b32_e32 v5, v7, v6, vcc
; %bb.1069:
	s_andn2_saveexec_b64 s[46:47], s[46:47]
; %bb.1070:
	s_mov_b32 s48, 0x46800000
	v_add_f32_e64 v5, |v4|, s48
; %bb.1071:
	s_or_b64 exec, exec, s[46:47]
                                        ; implicit-def: $vgpr6
.LBB94_1072:
	s_andn2_saveexec_b64 s[44:45], s[44:45]
; %bb.1073:
	s_mov_b32 s46, 0x7f800000
	v_mov_b32_e32 v5, 0x7e
	v_mov_b32_e32 v7, 0x7f
	v_cmp_lt_u32_e32 vcc, s46, v6
	v_cndmask_b32_e32 v5, v5, v7, vcc
; %bb.1074:
	s_or_b64 exec, exec, s[44:45]
	v_lshrrev_b32_e32 v4, 24, v4
	s_movk_i32 s44, 0x80
	v_and_or_b32 v4, v4, s44, v5
	global_store_byte v[2:3], v4, off
.LBB94_1075:
	s_mov_b64 s[44:45], 0
.LBB94_1076:
	s_andn2_b64 vcc, exec, s[44:45]
	s_cbranch_vccnz .LBB94_1086
; %bb.1077:
	v_xor_b32_e32 v5, v0, v1
	v_ffbh_i32_e32 v4, v1
	v_ashrrev_i32_e32 v5, 31, v5
	v_add_u32_e32 v4, -1, v4
	v_add_u32_e32 v5, 32, v5
	v_min_u32_e32 v6, v4, v5
	v_lshlrev_b64 v[4:5], v6, v[0:1]
	s_mov_b32 s44, 0x47800000
	v_min_u32_e32 v4, 1, v4
	v_or_b32_e32 v4, v5, v4
	v_cvt_f32_i32_e32 v4, v4
	v_sub_u32_e32 v5, 32, v6
	v_ldexp_f32 v4, v4, v5
	v_and_b32_e32 v6, 0x7fffffff, v4
	v_cmp_gt_u32_e32 vcc, s44, v6
                                        ; implicit-def: $vgpr5
	s_and_saveexec_b64 s[44:45], vcc
	s_xor_b64 s[44:45], exec, s[44:45]
	s_cbranch_execz .LBB94_1083
; %bb.1078:
	s_mov_b32 s46, 0x387fffff
	v_cmp_lt_u32_e32 vcc, s46, v6
                                        ; implicit-def: $vgpr5
	s_and_saveexec_b64 s[46:47], vcc
	s_xor_b64 s[46:47], exec, s[46:47]
; %bb.1079:
	v_bfe_u32 v5, v4, 21, 1
	s_mov_b32 s48, 0x80fffff
	v_add3_u32 v5, v4, v5, s48
	v_lshrrev_b32_e32 v5, 21, v5
; %bb.1080:
	s_andn2_saveexec_b64 s[46:47], s[46:47]
; %bb.1081:
	s_mov_b32 s48, 0x43000000
	v_add_f32_e64 v5, |v4|, s48
; %bb.1082:
	s_or_b64 exec, exec, s[46:47]
                                        ; implicit-def: $vgpr6
.LBB94_1083:
	s_andn2_saveexec_b64 s[44:45], s[44:45]
; %bb.1084:
	s_mov_b32 s46, 0x7f800000
	v_mov_b32_e32 v5, 0x7c
	v_mov_b32_e32 v7, 0x7f
	v_cmp_lt_u32_e32 vcc, s46, v6
	v_cndmask_b32_e32 v5, v5, v7, vcc
; %bb.1085:
	s_or_b64 exec, exec, s[44:45]
	v_lshrrev_b32_e32 v4, 24, v4
	s_movk_i32 s44, 0x80
	v_and_or_b32 v4, v4, s44, v5
	global_store_byte v[2:3], v4, off
.LBB94_1086:
	s_mov_b64 s[46:47], 0
	s_mov_b64 s[44:45], -1
.LBB94_1087:
	s_andn2_b64 vcc, exec, s[46:47]
	s_cbranch_vccnz .LBB94_1095
; %bb.1088:
	s_cmp_gt_i32 s51, 14
	s_mov_b64 s[46:47], -1
	s_cbranch_scc0 .LBB94_1092
; %bb.1089:
	s_cmp_eq_u32 s51, 15
	s_mov_b64 s[0:1], -1
	s_cbranch_scc0 .LBB94_1091
; %bb.1090:
	v_xor_b32_e32 v5, v0, v1
	v_ffbh_i32_e32 v4, v1
	v_ashrrev_i32_e32 v5, 31, v5
	v_add_u32_e32 v4, -1, v4
	v_add_u32_e32 v5, 32, v5
	v_min_u32_e32 v6, v4, v5
	v_lshlrev_b64 v[4:5], v6, v[0:1]
	s_movk_i32 s0, 0x7fff
	v_min_u32_e32 v4, 1, v4
	v_or_b32_e32 v4, v5, v4
	v_cvt_f32_i32_e32 v4, v4
	v_sub_u32_e32 v5, 32, v6
	s_mov_b64 s[44:45], -1
	v_ldexp_f32 v4, v4, v5
	v_bfe_u32 v5, v4, 16, 1
	v_add3_u32 v4, v4, v5, s0
	global_store_short_d16_hi v[2:3], v4, off
	s_mov_b64 s[0:1], 0
.LBB94_1091:
	s_mov_b64 s[46:47], 0
.LBB94_1092:
	s_and_b64 vcc, exec, s[46:47]
	s_cbranch_vccz .LBB94_1095
; %bb.1093:
	s_cmp_eq_u32 s51, 11
	s_mov_b64 s[0:1], -1
	s_cbranch_scc0 .LBB94_1095
; %bb.1094:
	v_cmp_ne_u64_e32 vcc, 0, v[0:1]
	s_mov_b64 s[0:1], 0
	v_cndmask_b32_e64 v4, 0, 1, vcc
	s_mov_b64 s[44:45], -1
	global_store_byte v[2:3], v4, off
.LBB94_1095:
	s_mov_b64 s[46:47], 0
.LBB94_1096:
	s_and_b64 vcc, exec, s[46:47]
	s_cbranch_vccz .LBB94_1135
; %bb.1097:
	s_and_b32 s46, 0xffff, s50
	s_cmp_lt_i32 s46, 5
	s_mov_b64 s[44:45], -1
	s_cbranch_scc1 .LBB94_1118
; %bb.1098:
	s_cmp_lt_i32 s46, 8
	s_cbranch_scc1 .LBB94_1108
; %bb.1099:
	s_cmp_lt_i32 s46, 9
	s_cbranch_scc1 .LBB94_1105
; %bb.1100:
	s_cmp_gt_i32 s46, 9
	s_cbranch_scc0 .LBB94_1102
; %bb.1101:
	v_cvt_f64_i32_e32 v[4:5], v1
	v_cvt_f64_u32_e32 v[6:7], v0
	s_mov_b64 s[44:45], 0
	v_ldexp_f64 v[4:5], v[4:5], 32
	v_add_f64 v[4:5], v[4:5], v[6:7]
	v_mov_b32_e32 v6, 0
	v_mov_b32_e32 v7, v6
	global_store_dwordx4 v[2:3], v[4:7], off
.LBB94_1102:
	s_andn2_b64 vcc, exec, s[44:45]
	s_cbranch_vccnz .LBB94_1104
; %bb.1103:
	v_xor_b32_e32 v5, v0, v1
	v_ffbh_i32_e32 v4, v1
	v_ashrrev_i32_e32 v5, 31, v5
	v_add_u32_e32 v4, -1, v4
	v_add_u32_e32 v5, 32, v5
	v_min_u32_e32 v6, v4, v5
	v_lshlrev_b64 v[4:5], v6, v[0:1]
	v_min_u32_e32 v4, 1, v4
	v_or_b32_e32 v4, v5, v4
	v_cvt_f32_i32_e32 v4, v4
	v_sub_u32_e32 v5, 32, v6
	v_ldexp_f32 v4, v4, v5
	v_mov_b32_e32 v5, 0
	global_store_dwordx2 v[2:3], v[4:5], off
.LBB94_1104:
	s_mov_b64 s[44:45], 0
.LBB94_1105:
	s_andn2_b64 vcc, exec, s[44:45]
	s_cbranch_vccnz .LBB94_1107
; %bb.1106:
	v_xor_b32_e32 v5, v0, v1
	v_ffbh_i32_e32 v4, v1
	v_ashrrev_i32_e32 v5, 31, v5
	v_add_u32_e32 v4, -1, v4
	v_add_u32_e32 v5, 32, v5
	v_min_u32_e32 v6, v4, v5
	v_lshlrev_b64 v[4:5], v6, v[0:1]
	v_min_u32_e32 v4, 1, v4
	v_or_b32_e32 v4, v5, v4
	v_cvt_f32_i32_e32 v4, v4
	v_sub_u32_e32 v5, 32, v6
	v_ldexp_f32 v4, v4, v5
	v_cvt_f16_f32_e32 v4, v4
	global_store_dword v[2:3], v4, off
.LBB94_1107:
	s_mov_b64 s[44:45], 0
.LBB94_1108:
	s_andn2_b64 vcc, exec, s[44:45]
	s_cbranch_vccnz .LBB94_1117
; %bb.1109:
	s_cmp_lt_i32 s46, 6
	s_mov_b64 s[44:45], -1
	s_cbranch_scc1 .LBB94_1115
; %bb.1110:
	s_cmp_gt_i32 s46, 6
	s_cbranch_scc0 .LBB94_1112
; %bb.1111:
	v_cvt_f64_i32_e32 v[4:5], v1
	v_cvt_f64_u32_e32 v[6:7], v0
	s_mov_b64 s[44:45], 0
	v_ldexp_f64 v[4:5], v[4:5], 32
	v_add_f64 v[4:5], v[4:5], v[6:7]
	global_store_dwordx2 v[2:3], v[4:5], off
.LBB94_1112:
	s_andn2_b64 vcc, exec, s[44:45]
	s_cbranch_vccnz .LBB94_1114
; %bb.1113:
	v_xor_b32_e32 v5, v0, v1
	v_ffbh_i32_e32 v4, v1
	v_ashrrev_i32_e32 v5, 31, v5
	v_add_u32_e32 v4, -1, v4
	v_add_u32_e32 v5, 32, v5
	v_min_u32_e32 v6, v4, v5
	v_lshlrev_b64 v[4:5], v6, v[0:1]
	v_min_u32_e32 v4, 1, v4
	v_or_b32_e32 v4, v5, v4
	v_cvt_f32_i32_e32 v4, v4
	v_sub_u32_e32 v5, 32, v6
	v_ldexp_f32 v4, v4, v5
	global_store_dword v[2:3], v4, off
.LBB94_1114:
	s_mov_b64 s[44:45], 0
.LBB94_1115:
	s_andn2_b64 vcc, exec, s[44:45]
	s_cbranch_vccnz .LBB94_1117
; %bb.1116:
	v_xor_b32_e32 v5, v0, v1
	v_ffbh_i32_e32 v4, v1
	v_ashrrev_i32_e32 v5, 31, v5
	v_add_u32_e32 v4, -1, v4
	v_add_u32_e32 v5, 32, v5
	v_min_u32_e32 v6, v4, v5
	v_lshlrev_b64 v[4:5], v6, v[0:1]
	v_min_u32_e32 v4, 1, v4
	v_or_b32_e32 v4, v5, v4
	v_cvt_f32_i32_e32 v4, v4
	v_sub_u32_e32 v5, 32, v6
	v_ldexp_f32 v4, v4, v5
	v_cvt_f16_f32_e32 v4, v4
	global_store_short v[2:3], v4, off
.LBB94_1117:
	s_mov_b64 s[44:45], 0
.LBB94_1118:
	s_andn2_b64 vcc, exec, s[44:45]
	s_cbranch_vccnz .LBB94_1134
; %bb.1119:
	s_cmp_lt_i32 s46, 2
	s_mov_b64 s[44:45], -1
	s_cbranch_scc1 .LBB94_1129
; %bb.1120:
	s_cmp_lt_i32 s46, 3
	s_cbranch_scc1 .LBB94_1126
; %bb.1121:
	s_cmp_gt_i32 s46, 3
	s_cbranch_scc0 .LBB94_1123
; %bb.1122:
	s_mov_b64 s[44:45], 0
	global_store_dwordx2 v[2:3], v[0:1], off
.LBB94_1123:
	s_andn2_b64 vcc, exec, s[44:45]
	s_cbranch_vccnz .LBB94_1125
; %bb.1124:
	global_store_dword v[2:3], v0, off
.LBB94_1125:
	s_mov_b64 s[44:45], 0
.LBB94_1126:
	s_andn2_b64 vcc, exec, s[44:45]
	s_cbranch_vccnz .LBB94_1128
; %bb.1127:
	global_store_short v[2:3], v0, off
.LBB94_1128:
	s_mov_b64 s[44:45], 0
.LBB94_1129:
	s_andn2_b64 vcc, exec, s[44:45]
	s_cbranch_vccnz .LBB94_1134
; %bb.1130:
	s_cmp_gt_i32 s46, 0
	s_mov_b64 s[44:45], -1
	s_cbranch_scc0 .LBB94_1132
; %bb.1131:
	s_mov_b64 s[44:45], 0
	global_store_byte v[2:3], v0, off
.LBB94_1132:
	s_andn2_b64 vcc, exec, s[44:45]
	s_cbranch_vccnz .LBB94_1134
; %bb.1133:
	global_store_byte v[2:3], v0, off
.LBB94_1134:
	s_mov_b64 s[44:45], -1
.LBB94_1135:
	s_andn2_b64 vcc, exec, s[44:45]
	s_cbranch_vccnz .LBB94_1148
; %bb.1136:
	v_add_u32_e32 v18, 0x80, v18
	s_mov_b64 s[46:47], -1
.LBB94_1137:
	s_andn2_b64 s[44:45], s[34:35], exec
	s_and_b64 s[0:1], s[0:1], exec
	s_or_b64 s[44:45], s[44:45], s[0:1]
	s_andn2_b64 s[0:1], s[30:31], exec
	s_and_b64 s[42:43], s[42:43], exec
	s_or_b64 s[42:43], s[0:1], s[42:43]
	;; [unrolled: 3-line block ×3, first 2 shown]
	s_orn2_b64 s[50:51], s[46:47], exec
.LBB94_1138:
	s_or_b64 exec, exec, s[38:39]
	s_mov_b64 s[46:47], 0
	s_mov_b64 s[40:41], 0
	;; [unrolled: 1-line block ×3, first 2 shown]
                                        ; implicit-def: $sgpr59
                                        ; implicit-def: $vgpr2_vgpr3
                                        ; implicit-def: $vgpr0_vgpr1
	s_and_saveexec_b64 s[38:39], s[50:51]
	s_cbranch_execz .LBB94_1218
; %bb.1139:
	v_cmp_gt_i32_e32 vcc, s52, v18
	s_mov_b64 s[50:51], 0
	s_mov_b64 s[52:53], s[0:1]
	s_mov_b64 s[54:55], 0
	s_mov_b64 s[56:57], 0
                                        ; implicit-def: $sgpr59
                                        ; implicit-def: $vgpr2_vgpr3
                                        ; implicit-def: $vgpr0_vgpr1
	s_and_saveexec_b64 s[40:41], vcc
	s_cbranch_execz .LBB94_1217
; %bb.1140:
	s_waitcnt vmcnt(0)
	v_mul_lo_u32 v0, v18, s9
	v_mov_b32_e32 v1, s19
	s_and_b32 s59, s58, 0xff
	s_cmp_lt_i32 s59, 11
	v_ashrrev_i32_e32 v3, 31, v0
	v_add_co_u32_e32 v2, vcc, s18, v0
	v_addc_co_u32_e32 v3, vcc, v1, v3, vcc
	s_cbranch_scc1 .LBB94_1147
; %bb.1141:
	s_and_b32 s54, 0xffff, s59
	s_cmp_gt_i32 s54, 25
	s_cbranch_scc0 .LBB94_1149
; %bb.1142:
	s_cmp_gt_i32 s54, 28
	s_cbranch_scc0 .LBB94_1150
; %bb.1143:
	;; [unrolled: 3-line block ×4, first 2 shown]
	s_cmp_eq_u32 s54, 46
	s_mov_b64 s[52:53], 0
	s_cbranch_scc0 .LBB94_1155
; %bb.1146:
	global_load_dword v0, v[2:3], off
	s_mov_b32 s46, 0x2f800000
	s_mov_b32 s47, 0xcf800000
	s_mov_b64 s[50:51], -1
	s_waitcnt vmcnt(0)
	v_lshlrev_b32_e32 v0, 16, v0
	v_trunc_f32_e32 v0, v0
	v_mul_f32_e64 v1, |v0|, s46
	v_floor_f32_e32 v1, v1
	v_fma_f32 v4, v1, s47, |v0|
	v_cvt_u32_f32_e32 v4, v4
	v_cvt_u32_f32_e32 v1, v1
	v_ashrrev_i32_e32 v5, 31, v0
	s_mov_b64 s[46:47], 0
	v_xor_b32_e32 v0, v4, v5
	v_xor_b32_e32 v1, v1, v5
	v_sub_co_u32_e32 v0, vcc, v0, v5
	v_subb_co_u32_e32 v1, vcc, v1, v5, vcc
	s_branch .LBB94_1157
.LBB94_1147:
	s_mov_b64 s[52:53], -1
                                        ; implicit-def: $vgpr0_vgpr1
	s_mov_b64 s[46:47], s[0:1]
	s_branch .LBB94_1216
.LBB94_1148:
	s_mov_b64 s[46:47], 0
	s_branch .LBB94_894
.LBB94_1149:
	s_mov_b64 s[52:53], -1
	s_mov_b64 s[46:47], s[0:1]
                                        ; implicit-def: $vgpr0_vgpr1
	s_branch .LBB94_1186
.LBB94_1150:
	s_mov_b64 s[52:53], -1
	s_mov_b64 s[46:47], s[0:1]
                                        ; implicit-def: $vgpr0_vgpr1
	s_branch .LBB94_1167
.LBB94_1151:
	s_mov_b64 s[52:53], -1
	s_mov_b64 s[46:47], s[0:1]
                                        ; implicit-def: $vgpr0_vgpr1
	s_branch .LBB94_1162
.LBB94_1152:
	s_mov_b64 s[52:53], -1
	s_mov_b64 s[46:47], s[0:1]
	s_branch .LBB94_1156
.LBB94_1153:
	s_andn2_saveexec_b64 s[48:49], s[48:49]
	s_cbranch_execz .LBB94_1048
.LBB94_1154:
	s_mov_b32 s53, 0x46000000
	v_add_f32_e64 v5, |v4|, s53
	v_and_b32_e32 v5, 0xff, v5
	v_cmp_ne_u32_e32 vcc, 0, v5
	s_andn2_b64 s[46:47], s[46:47], exec
	s_and_b64 s[54:55], vcc, exec
	s_or_b64 s[46:47], s[46:47], s[54:55]
	s_or_b64 exec, exec, s[48:49]
	v_mov_b32_e32 v6, 0
	s_and_saveexec_b64 s[48:49], s[46:47]
	s_cbranch_execnz .LBB94_1049
	s_branch .LBB94_1050
.LBB94_1155:
	s_mov_b64 s[46:47], -1
.LBB94_1156:
                                        ; implicit-def: $vgpr0_vgpr1
.LBB94_1157:
	s_and_b64 vcc, exec, s[52:53]
	s_cbranch_vccz .LBB94_1161
; %bb.1158:
	s_cmp_eq_u32 s54, 44
	s_cbranch_scc0 .LBB94_1160
; %bb.1159:
	global_load_ubyte v0, v[2:3], off
	s_mov_b32 s46, 0x2f800000
	s_mov_b32 s47, 0xcf800000
	s_mov_b64 s[50:51], -1
	s_waitcnt vmcnt(0)
	v_lshlrev_b32_e32 v1, 23, v0
	v_trunc_f32_e32 v1, v1
	v_mul_f32_e64 v4, |v1|, s46
	v_floor_f32_e32 v4, v4
	v_fma_f32 v5, v4, s47, |v1|
	v_cvt_u32_f32_e32 v5, v5
	v_cvt_u32_f32_e32 v4, v4
	v_ashrrev_i32_e32 v1, 31, v1
	s_mov_b64 s[46:47], 0
	v_xor_b32_e32 v5, v5, v1
	v_xor_b32_e32 v4, v4, v1
	v_sub_co_u32_e32 v5, vcc, v5, v1
	v_subb_co_u32_e32 v1, vcc, v4, v1, vcc
	v_cmp_ne_u32_e32 vcc, 0, v0
	v_cndmask_b32_e32 v1, 0, v1, vcc
	v_cndmask_b32_e32 v0, 0, v5, vcc
	s_branch .LBB94_1161
.LBB94_1160:
	s_mov_b64 s[46:47], -1
                                        ; implicit-def: $vgpr0_vgpr1
.LBB94_1161:
	s_mov_b64 s[52:53], 0
.LBB94_1162:
	s_and_b64 vcc, exec, s[52:53]
	s_cbranch_vccz .LBB94_1166
; %bb.1163:
	s_cmp_eq_u32 s54, 29
	s_cbranch_scc0 .LBB94_1165
; %bb.1164:
	global_load_dwordx2 v[0:1], v[2:3], off
	s_mov_b64 s[46:47], 0
	s_mov_b64 s[50:51], -1
	s_branch .LBB94_1166
.LBB94_1165:
	s_mov_b64 s[46:47], -1
                                        ; implicit-def: $vgpr0_vgpr1
.LBB94_1166:
	s_mov_b64 s[52:53], 0
.LBB94_1167:
	s_and_b64 vcc, exec, s[52:53]
	s_cbranch_vccz .LBB94_1185
; %bb.1168:
	s_cmp_lt_i32 s54, 27
	s_cbranch_scc1 .LBB94_1171
; %bb.1169:
	s_cmp_gt_i32 s54, 27
	s_cbranch_scc0 .LBB94_1172
; %bb.1170:
	global_load_dword v0, v[2:3], off
	s_waitcnt vmcnt(1)
	v_mov_b32_e32 v1, 0
	s_mov_b64 s[50:51], 0
	s_branch .LBB94_1173
.LBB94_1171:
	s_mov_b64 s[50:51], -1
                                        ; implicit-def: $vgpr0_vgpr1
	s_branch .LBB94_1176
.LBB94_1172:
	s_mov_b64 s[50:51], -1
                                        ; implicit-def: $vgpr0_vgpr1
.LBB94_1173:
	s_andn2_b64 vcc, exec, s[50:51]
	s_cbranch_vccnz .LBB94_1175
; %bb.1174:
	global_load_ushort v0, v[2:3], off
	s_mov_b32 s50, 0
	s_waitcnt vmcnt(1)
	v_mov_b32_e32 v1, s50
	s_waitcnt vmcnt(0)
	v_and_b32_e32 v0, 0xffff, v0
.LBB94_1175:
	s_mov_b64 s[50:51], 0
.LBB94_1176:
	s_andn2_b64 vcc, exec, s[50:51]
	s_cbranch_vccnz .LBB94_1184
; %bb.1177:
	global_load_ubyte v4, v[2:3], off
	s_movk_i32 s50, 0x7f
	s_mov_b64 s[52:53], 0
	s_waitcnt vmcnt(0)
	v_cmp_lt_i16_e32 vcc, s50, v4
	s_and_saveexec_b64 s[50:51], vcc
	s_xor_b64 s[50:51], exec, s[50:51]
; %bb.1178:
	s_movk_i32 s52, 0x80
	v_cmp_ne_u16_e32 vcc, s52, v4
	s_and_b64 s[52:53], vcc, exec
; %bb.1179:
	s_andn2_saveexec_b64 s[50:51], s[50:51]
; %bb.1180:
	v_cmp_ne_u16_e32 vcc, 0, v4
	s_andn2_b64 s[52:53], s[52:53], exec
	s_and_b64 s[56:57], vcc, exec
	s_or_b64 s[52:53], s[52:53], s[56:57]
; %bb.1181:
	s_or_b64 exec, exec, s[50:51]
	v_mov_b32_e32 v0, 0
	v_mov_b32_e32 v1, 0
	s_and_saveexec_b64 s[50:51], s[52:53]
	s_cbranch_execz .LBB94_1183
; %bb.1182:
	v_and_b32_e32 v1, 0xffff, v4
	v_lshlrev_b32_e32 v0, 24, v4
	v_and_b32_e32 v4, 7, v1
	v_ffbh_u32_e32 v6, v4
	v_min_u32_e32 v6, 32, v6
	v_subrev_u32_e32 v7, 28, v6
	v_bfe_u32 v5, v1, 3, 4
	v_lshlrev_b32_e32 v1, v7, v1
	v_sub_u32_e32 v6, 29, v6
	v_and_b32_e32 v1, 7, v1
	v_cmp_eq_u32_e32 vcc, 0, v5
	v_cndmask_b32_e32 v5, v5, v6, vcc
	v_cndmask_b32_e32 v1, v4, v1, vcc
	v_mov_b32_e32 v4, 0x3b800000
	v_lshlrev_b32_e32 v1, 20, v1
	v_and_b32_e32 v0, 0x80000000, v0
	v_lshl_add_u32 v4, v5, 23, v4
	v_or3_b32 v0, v0, v4, v1
	v_trunc_f32_e32 v0, v0
	s_mov_b32 s52, 0x2f800000
	v_mul_f32_e64 v1, |v0|, s52
	v_floor_f32_e32 v1, v1
	s_mov_b32 s52, 0xcf800000
	v_fma_f32 v4, v1, s52, |v0|
	v_cvt_u32_f32_e32 v4, v4
	v_cvt_u32_f32_e32 v1, v1
	v_ashrrev_i32_e32 v5, 31, v0
	v_xor_b32_e32 v0, v4, v5
	v_xor_b32_e32 v1, v1, v5
	v_sub_co_u32_e32 v0, vcc, v0, v5
	v_subb_co_u32_e32 v1, vcc, v1, v5, vcc
.LBB94_1183:
	s_or_b64 exec, exec, s[50:51]
.LBB94_1184:
	s_mov_b64 s[50:51], -1
.LBB94_1185:
	s_mov_b64 s[52:53], 0
.LBB94_1186:
	s_and_b64 vcc, exec, s[52:53]
	s_cbranch_vccz .LBB94_1215
; %bb.1187:
	s_cmp_gt_i32 s54, 22
	s_cbranch_scc0 .LBB94_1197
; %bb.1188:
	s_cmp_lt_i32 s54, 24
	s_cbranch_scc1 .LBB94_1198
; %bb.1189:
	s_cmp_gt_i32 s54, 24
	s_cbranch_scc0 .LBB94_1199
; %bb.1190:
	global_load_ubyte v4, v[2:3], off
	s_movk_i32 s48, 0x7f
	s_mov_b64 s[50:51], 0
	s_waitcnt vmcnt(0)
	v_cmp_lt_i16_e32 vcc, s48, v4
	s_and_saveexec_b64 s[48:49], vcc
	s_xor_b64 s[48:49], exec, s[48:49]
; %bb.1191:
	s_movk_i32 s50, 0x80
	v_cmp_ne_u16_e32 vcc, s50, v4
	s_and_b64 s[50:51], vcc, exec
; %bb.1192:
	s_andn2_saveexec_b64 s[48:49], s[48:49]
; %bb.1193:
	v_cmp_ne_u16_e32 vcc, 0, v4
	s_andn2_b64 s[50:51], s[50:51], exec
	s_and_b64 s[52:53], vcc, exec
	s_or_b64 s[50:51], s[50:51], s[52:53]
; %bb.1194:
	s_or_b64 exec, exec, s[48:49]
	v_mov_b32_e32 v0, 0
	v_mov_b32_e32 v1, 0
	s_and_saveexec_b64 s[48:49], s[50:51]
	s_cbranch_execz .LBB94_1196
; %bb.1195:
	v_and_b32_e32 v1, 0xffff, v4
	v_lshlrev_b32_e32 v0, 24, v4
	v_and_b32_e32 v4, 3, v1
	v_ffbh_u32_e32 v6, v4
	v_min_u32_e32 v6, 32, v6
	v_subrev_u32_e32 v7, 29, v6
	v_bfe_u32 v5, v1, 2, 5
	v_lshlrev_b32_e32 v1, v7, v1
	v_sub_u32_e32 v6, 30, v6
	v_and_b32_e32 v1, 3, v1
	v_cmp_eq_u32_e32 vcc, 0, v5
	v_cndmask_b32_e32 v5, v5, v6, vcc
	v_cndmask_b32_e32 v1, v4, v1, vcc
	v_mov_b32_e32 v4, 0x37800000
	v_lshlrev_b32_e32 v1, 21, v1
	v_and_b32_e32 v0, 0x80000000, v0
	v_lshl_add_u32 v4, v5, 23, v4
	v_or3_b32 v0, v0, v4, v1
	v_trunc_f32_e32 v0, v0
	s_mov_b32 s50, 0x2f800000
	v_mul_f32_e64 v1, |v0|, s50
	v_floor_f32_e32 v1, v1
	s_mov_b32 s50, 0xcf800000
	v_fma_f32 v4, v1, s50, |v0|
	v_cvt_u32_f32_e32 v4, v4
	v_cvt_u32_f32_e32 v1, v1
	v_ashrrev_i32_e32 v5, 31, v0
	v_xor_b32_e32 v0, v4, v5
	v_xor_b32_e32 v1, v1, v5
	v_sub_co_u32_e32 v0, vcc, v0, v5
	v_subb_co_u32_e32 v1, vcc, v1, v5, vcc
.LBB94_1196:
	s_or_b64 exec, exec, s[48:49]
	s_mov_b64 s[48:49], 0
	s_branch .LBB94_1200
.LBB94_1197:
	s_mov_b64 s[48:49], -1
                                        ; implicit-def: $vgpr0_vgpr1
	s_branch .LBB94_1206
.LBB94_1198:
	s_mov_b64 s[48:49], -1
                                        ; implicit-def: $vgpr0_vgpr1
	s_branch .LBB94_1203
.LBB94_1199:
	s_mov_b64 s[48:49], -1
                                        ; implicit-def: $vgpr0_vgpr1
.LBB94_1200:
	s_and_b64 vcc, exec, s[48:49]
	s_cbranch_vccz .LBB94_1202
; %bb.1201:
	global_load_ubyte v0, v[2:3], off
	s_mov_b32 s48, 0x7f800000
	s_brev_b32 s49, 1
	s_mov_b32 s50, 0x2f800000
	s_mov_b32 s51, 0xcf800000
	s_waitcnt vmcnt(0)
	v_lshlrev_b32_e32 v0, 24, v0
	v_and_b32_e32 v1, 0x7f000000, v0
	v_ffbh_u32_e32 v4, v1
	v_min_u32_e32 v4, 32, v4
	v_sub_u32_e64 v4, v4, 4 clamp
	v_lshlrev_b32_e32 v6, v4, v1
	v_lshlrev_b32_e32 v4, 23, v4
	v_lshrrev_b32_e32 v6, 4, v6
	v_add_u32_e32 v5, 0x1000000, v1
	v_sub_u32_e32 v4, v6, v4
	v_ashrrev_i32_e32 v5, 8, v5
	v_add_u32_e32 v4, 0x3c000000, v4
	v_and_or_b32 v4, v5, s48, v4
	v_cmp_ne_u32_e32 vcc, 0, v1
	v_cndmask_b32_e32 v1, 0, v4, vcc
	v_and_or_b32 v0, v0, s49, v1
	v_trunc_f32_e32 v0, v0
	v_mul_f32_e64 v1, |v0|, s50
	v_floor_f32_e32 v1, v1
	v_fma_f32 v4, v1, s51, |v0|
	v_cvt_u32_f32_e32 v4, v4
	v_cvt_u32_f32_e32 v1, v1
	v_ashrrev_i32_e32 v5, 31, v0
	v_xor_b32_e32 v0, v4, v5
	v_xor_b32_e32 v1, v1, v5
	v_sub_co_u32_e32 v0, vcc, v0, v5
	v_subb_co_u32_e32 v1, vcc, v1, v5, vcc
.LBB94_1202:
	s_mov_b64 s[48:49], 0
.LBB94_1203:
	s_andn2_b64 vcc, exec, s[48:49]
	s_cbranch_vccnz .LBB94_1205
; %bb.1204:
	global_load_ubyte v0, v[2:3], off
	s_movk_i32 s48, 0x7f00
	s_brev_b32 s49, 16
	s_brev_b32 s50, 1
	s_mov_b32 s51, 0x2f800000
	s_mov_b32 s52, 0xcf800000
	s_waitcnt vmcnt(0)
	v_lshlrev_b16_e32 v1, 8, v0
	v_lshlrev_b32_e32 v0, 25, v0
	v_lshrrev_b32_e32 v4, 4, v0
	v_and_or_b32 v5, v1, s48, 0.5
	v_or_b32_e32 v4, 0x70000000, v4
	v_add_f32_e32 v5, -0.5, v5
	v_mul_f32_e32 v4, 0x7800000, v4
	v_cmp_gt_u32_e32 vcc, s49, v0
	v_bfe_i32 v1, v1, 0, 16
	v_cndmask_b32_e32 v0, v4, v5, vcc
	v_and_or_b32 v0, v1, s50, v0
	v_trunc_f32_e32 v0, v0
	v_mul_f32_e64 v1, |v0|, s51
	v_floor_f32_e32 v1, v1
	v_fma_f32 v4, v1, s52, |v0|
	v_cvt_u32_f32_e32 v4, v4
	v_cvt_u32_f32_e32 v1, v1
	v_ashrrev_i32_e32 v5, 31, v0
	v_xor_b32_e32 v0, v4, v5
	v_xor_b32_e32 v1, v1, v5
	v_sub_co_u32_e32 v0, vcc, v0, v5
	v_subb_co_u32_e32 v1, vcc, v1, v5, vcc
.LBB94_1205:
	s_mov_b64 s[48:49], 0
	s_mov_b64 s[50:51], -1
.LBB94_1206:
	s_andn2_b64 vcc, exec, s[48:49]
	s_mov_b64 s[48:49], 0
	s_cbranch_vccnz .LBB94_1215
; %bb.1207:
	s_cmp_gt_i32 s54, 14
	s_cbranch_scc0 .LBB94_1210
; %bb.1208:
	s_cmp_eq_u32 s54, 15
	s_cbranch_scc0 .LBB94_1211
; %bb.1209:
	global_load_ushort v0, v[2:3], off
	s_mov_b32 s46, 0x2f800000
	s_mov_b32 s47, 0xcf800000
	s_mov_b64 s[50:51], -1
	s_waitcnt vmcnt(0)
	v_lshlrev_b32_e32 v0, 16, v0
	v_trunc_f32_e32 v0, v0
	v_mul_f32_e64 v1, |v0|, s46
	v_floor_f32_e32 v1, v1
	v_fma_f32 v4, v1, s47, |v0|
	v_cvt_u32_f32_e32 v4, v4
	v_cvt_u32_f32_e32 v1, v1
	v_ashrrev_i32_e32 v5, 31, v0
	s_mov_b64 s[46:47], 0
	v_xor_b32_e32 v0, v4, v5
	v_xor_b32_e32 v1, v1, v5
	v_sub_co_u32_e32 v0, vcc, v0, v5
	v_subb_co_u32_e32 v1, vcc, v1, v5, vcc
	s_branch .LBB94_1212
.LBB94_1210:
	s_mov_b64 s[52:53], -1
                                        ; implicit-def: $vgpr0_vgpr1
	s_branch .LBB94_1213
.LBB94_1211:
	s_mov_b64 s[46:47], -1
                                        ; implicit-def: $vgpr0_vgpr1
.LBB94_1212:
	s_mov_b64 s[52:53], 0
.LBB94_1213:
	s_and_b64 vcc, exec, s[52:53]
	s_cbranch_vccz .LBB94_1215
; %bb.1214:
	s_cmp_lg_u32 s54, 11
	s_cselect_b64 s[52:53], -1, 0
	s_andn2_b64 s[46:47], s[46:47], exec
	s_and_b64 s[52:53], s[52:53], exec
	s_mov_b64 s[48:49], -1
	s_or_b64 s[46:47], s[46:47], s[52:53]
.LBB94_1215:
	s_mov_b64 s[52:53], 0
.LBB94_1216:
	s_and_b64 s[56:57], s[50:51], exec
	s_and_b64 s[50:51], s[48:49], exec
	s_andn2_b64 s[48:49], s[0:1], exec
	s_and_b64 s[46:47], s[46:47], exec
	s_and_b64 s[54:55], s[52:53], exec
	s_or_b64 s[52:53], s[48:49], s[46:47]
.LBB94_1217:
	s_or_b64 exec, exec, s[40:41]
	s_and_b64 s[46:47], s[50:51], exec
	s_andn2_b64 s[0:1], s[0:1], exec
	s_and_b64 s[50:51], s[52:53], exec
	s_and_b64 s[48:49], s[56:57], exec
	;; [unrolled: 1-line block ×3, first 2 shown]
	s_or_b64 s[0:1], s[0:1], s[50:51]
.LBB94_1218:
	s_or_b64 exec, exec, s[38:39]
	s_andn2_b64 s[34:35], s[34:35], exec
	s_and_b64 s[38:39], s[44:45], exec
	s_or_b64 s[34:35], s[34:35], s[38:39]
	s_andn2_b64 s[30:31], s[30:31], exec
	s_and_b64 s[38:39], s[42:43], exec
	s_andn2_b64 s[28:29], s[28:29], exec
	s_and_b64 s[0:1], s[0:1], exec
	s_or_b64 s[30:31], s[30:31], s[38:39]
	s_and_b64 s[42:43], s[48:49], exec
	s_and_b64 s[40:41], s[40:41], exec
	;; [unrolled: 1-line block ×3, first 2 shown]
	s_or_b64 s[28:29], s[28:29], s[0:1]
.LBB94_1219:
	s_or_b64 exec, exec, s[36:37]
	s_andn2_b64 s[0:1], s[20:21], exec
	s_and_b64 s[20:21], s[34:35], exec
	s_or_b64 s[20:21], s[0:1], s[20:21]
	s_andn2_b64 s[0:1], s[22:23], exec
	s_and_b64 s[22:23], s[30:31], exec
	s_or_b64 s[22:23], s[0:1], s[22:23]
	s_andn2_b64 s[0:1], s[24:25], exec
	s_and_b64 s[24:25], s[28:29], exec
	s_and_b64 s[34:35], s[42:43], exec
	;; [unrolled: 1-line block ×4, first 2 shown]
	s_or_b64 s[24:25], s[0:1], s[24:25]
	s_or_b64 exec, exec, s[26:27]
	s_mov_b64 s[26:27], 0
	s_and_saveexec_b64 s[0:1], s[24:25]
	s_cbranch_execz .LBB94_385
.LBB94_1220:
	s_mov_b64 s[26:27], exec
	s_andn2_b64 s[30:31], s[30:31], exec
	s_trap 2
	s_or_b64 exec, exec, s[0:1]
	s_and_saveexec_b64 s[0:1], s[30:31]
	s_xor_b64 s[0:1], exec, s[0:1]
	s_cbranch_execnz .LBB94_386
.LBB94_1221:
	s_or_b64 exec, exec, s[0:1]
	s_and_saveexec_b64 s[0:1], s[36:37]
	s_cbranch_execz .LBB94_1267
.LBB94_1222:
	s_sext_i32_i16 s24, s59
	s_cmp_lt_i32 s24, 5
	s_cbranch_scc1 .LBB94_1227
; %bb.1223:
	s_cmp_lt_i32 s24, 8
	s_cbranch_scc1 .LBB94_1228
; %bb.1224:
	s_cmp_lt_i32 s24, 9
	s_cbranch_scc1 .LBB94_1229
; %bb.1225:
	s_cmp_gt_i32 s24, 9
	s_cbranch_scc0 .LBB94_1230
; %bb.1226:
	global_load_dwordx2 v[0:1], v[2:3], off
	s_movk_i32 s24, 0xffe0
	s_waitcnt vmcnt(0)
	v_trunc_f64_e32 v[0:1], v[0:1]
	v_ldexp_f64 v[4:5], v[0:1], s24
	s_mov_b32 s24, 0
	s_mov_b32 s25, 0xc1f00000
	v_floor_f64_e32 v[4:5], v[4:5]
	v_fma_f64 v[6:7], v[4:5], s[24:25], v[0:1]
	v_cvt_i32_f64_e32 v1, v[4:5]
	s_mov_b64 s[24:25], 0
	v_cvt_u32_f64_e32 v0, v[6:7]
	s_branch .LBB94_1231
.LBB94_1227:
                                        ; implicit-def: $vgpr0_vgpr1
	s_branch .LBB94_1248
.LBB94_1228:
                                        ; implicit-def: $vgpr0_vgpr1
	s_branch .LBB94_1237
.LBB94_1229:
	s_mov_b64 s[24:25], -1
                                        ; implicit-def: $vgpr0_vgpr1
	s_branch .LBB94_1234
.LBB94_1230:
	s_mov_b64 s[24:25], -1
                                        ; implicit-def: $vgpr0_vgpr1
.LBB94_1231:
	s_andn2_b64 vcc, exec, s[24:25]
	s_cbranch_vccnz .LBB94_1233
; %bb.1232:
	global_load_dword v0, v[2:3], off
	s_mov_b32 s24, 0x2f800000
	s_mov_b32 s25, 0xcf800000
	s_waitcnt vmcnt(0)
	v_trunc_f32_e32 v0, v0
	v_mul_f32_e64 v1, |v0|, s24
	v_floor_f32_e32 v1, v1
	v_cvt_u32_f32_e32 v4, v1
	v_fma_f32 v1, v1, s25, |v0|
	v_cvt_u32_f32_e32 v1, v1
	v_ashrrev_i32_e32 v5, 31, v0
	v_xor_b32_e32 v4, v4, v5
	v_xor_b32_e32 v0, v1, v5
	v_sub_co_u32_e32 v0, vcc, v0, v5
	v_subb_co_u32_e32 v1, vcc, v4, v5, vcc
.LBB94_1233:
	s_mov_b64 s[24:25], 0
.LBB94_1234:
	s_andn2_b64 vcc, exec, s[24:25]
	s_cbranch_vccnz .LBB94_1236
; %bb.1235:
	global_load_dword v0, v[2:3], off
	s_waitcnt vmcnt(0)
	v_cvt_f32_f16_e32 v0, v0
	v_cvt_i32_f32_e32 v0, v0
	v_ashrrev_i32_e32 v1, 31, v0
.LBB94_1236:
	s_cbranch_execnz .LBB94_1247
.LBB94_1237:
	s_sext_i32_i16 s24, s59
	s_cmp_lt_i32 s24, 6
	s_cbranch_scc1 .LBB94_1240
; %bb.1238:
	s_cmp_gt_i32 s24, 6
	s_cbranch_scc0 .LBB94_1241
; %bb.1239:
	global_load_dwordx2 v[0:1], v[2:3], off
	s_movk_i32 s24, 0xffe0
	s_waitcnt vmcnt(0)
	v_trunc_f64_e32 v[0:1], v[0:1]
	v_ldexp_f64 v[4:5], v[0:1], s24
	s_mov_b32 s24, 0
	s_mov_b32 s25, 0xc1f00000
	v_floor_f64_e32 v[4:5], v[4:5]
	v_fma_f64 v[6:7], v[4:5], s[24:25], v[0:1]
	v_cvt_i32_f64_e32 v1, v[4:5]
	s_mov_b64 s[24:25], 0
	v_cvt_u32_f64_e32 v0, v[6:7]
	s_branch .LBB94_1242
.LBB94_1240:
	s_mov_b64 s[24:25], -1
                                        ; implicit-def: $vgpr0_vgpr1
	s_branch .LBB94_1245
.LBB94_1241:
	s_mov_b64 s[24:25], -1
                                        ; implicit-def: $vgpr0_vgpr1
.LBB94_1242:
	s_andn2_b64 vcc, exec, s[24:25]
	s_cbranch_vccnz .LBB94_1244
; %bb.1243:
	global_load_dword v0, v[2:3], off
	s_mov_b32 s24, 0x2f800000
	s_mov_b32 s25, 0xcf800000
	s_waitcnt vmcnt(0)
	v_trunc_f32_e32 v0, v0
	v_mul_f32_e64 v1, |v0|, s24
	v_floor_f32_e32 v1, v1
	v_cvt_u32_f32_e32 v4, v1
	v_fma_f32 v1, v1, s25, |v0|
	v_cvt_u32_f32_e32 v1, v1
	v_ashrrev_i32_e32 v5, 31, v0
	v_xor_b32_e32 v4, v4, v5
	v_xor_b32_e32 v0, v1, v5
	v_sub_co_u32_e32 v0, vcc, v0, v5
	v_subb_co_u32_e32 v1, vcc, v4, v5, vcc
.LBB94_1244:
	s_mov_b64 s[24:25], 0
.LBB94_1245:
	s_andn2_b64 vcc, exec, s[24:25]
	s_cbranch_vccnz .LBB94_1247
; %bb.1246:
	global_load_ushort v0, v[2:3], off
	s_waitcnt vmcnt(0)
	v_cvt_f32_f16_e32 v0, v0
	v_cvt_i32_f32_e32 v0, v0
	v_ashrrev_i32_e32 v1, 31, v0
.LBB94_1247:
	s_cbranch_execnz .LBB94_1266
.LBB94_1248:
	s_sext_i32_i16 s24, s59
	s_cmp_lt_i32 s24, 2
	s_cbranch_scc1 .LBB94_1252
; %bb.1249:
	s_cmp_lt_i32 s24, 3
	s_cbranch_scc1 .LBB94_1253
; %bb.1250:
	s_cmp_gt_i32 s24, 3
	s_cbranch_scc0 .LBB94_1254
; %bb.1251:
	global_load_dwordx2 v[0:1], v[2:3], off
	s_mov_b64 s[24:25], 0
	s_branch .LBB94_1255
.LBB94_1252:
                                        ; implicit-def: $vgpr0_vgpr1
	s_branch .LBB94_1261
.LBB94_1253:
	s_mov_b64 s[24:25], -1
                                        ; implicit-def: $vgpr0_vgpr1
	s_branch .LBB94_1258
.LBB94_1254:
	s_mov_b64 s[24:25], -1
                                        ; implicit-def: $vgpr0_vgpr1
.LBB94_1255:
	s_andn2_b64 vcc, exec, s[24:25]
	s_cbranch_vccnz .LBB94_1257
; %bb.1256:
	global_load_dword v0, v[2:3], off
	s_waitcnt vmcnt(0)
	v_ashrrev_i32_e32 v1, 31, v0
.LBB94_1257:
	s_mov_b64 s[24:25], 0
.LBB94_1258:
	s_andn2_b64 vcc, exec, s[24:25]
	s_cbranch_vccnz .LBB94_1260
; %bb.1259:
	global_load_ushort v0, v[2:3], off
	s_waitcnt vmcnt(0)
	v_bfe_i32 v0, v0, 0, 16
	v_ashrrev_i32_e32 v1, 31, v0
.LBB94_1260:
	s_cbranch_execnz .LBB94_1266
.LBB94_1261:
	s_sext_i32_i16 s24, s59
	s_cmp_gt_i32 s24, 0
	s_cbranch_scc0 .LBB94_1263
; %bb.1262:
	global_load_sbyte v0, v[2:3], off
	s_mov_b64 s[24:25], 0
	s_waitcnt vmcnt(0)
	v_bfe_i32 v0, v0, 0, 16
	v_ashrrev_i32_e32 v1, 31, v0
	s_branch .LBB94_1264
.LBB94_1263:
	s_mov_b64 s[24:25], -1
                                        ; implicit-def: $vgpr0_vgpr1
.LBB94_1264:
	s_andn2_b64 vcc, exec, s[24:25]
	s_cbranch_vccnz .LBB94_1266
; %bb.1265:
	global_load_ubyte v0, v[2:3], off
	s_mov_b32 s24, 0
	s_waitcnt vmcnt(1)
	v_mov_b32_e32 v1, s24
	s_waitcnt vmcnt(0)
	v_and_b32_e32 v0, 0xffff, v0
.LBB94_1266:
	s_or_b64 s[34:35], s[34:35], exec
.LBB94_1267:
	s_or_b64 exec, exec, s[0:1]
	s_mov_b64 s[30:31], 0
	s_mov_b64 s[36:37], 0
	s_mov_b64 s[28:29], 0
                                        ; implicit-def: $sgpr38
                                        ; implicit-def: $vgpr2_vgpr3
                                        ; implicit-def: $vgpr6_vgpr7
	s_and_saveexec_b64 s[0:1], s[34:35]
	s_cbranch_execz .LBB94_1275
; %bb.1268:
	v_mul_lo_u32 v2, v18, s10
	v_mov_b32_e32 v3, s3
	s_and_b32 s38, s11, 0xff
	s_cmp_lt_i32 s38, 11
	s_waitcnt vmcnt(0)
	v_ashrrev_i32_e32 v4, 31, v2
	v_add_co_u32_e32 v2, vcc, s2, v2
	v_addc_co_u32_e32 v3, vcc, v3, v4, vcc
	s_cbranch_scc1 .LBB94_1278
; %bb.1269:
	s_and_b32 s36, 0xffff, s38
	s_cmp_gt_i32 s36, 25
	s_cbranch_scc0 .LBB94_1279
; %bb.1270:
	s_cmp_gt_i32 s36, 28
	s_cbranch_scc0 .LBB94_1280
; %bb.1271:
	;; [unrolled: 3-line block ×4, first 2 shown]
	s_cmp_eq_u32 s36, 46
	s_mov_b64 s[34:35], 0
	s_cbranch_scc0 .LBB94_1283
; %bb.1274:
	global_load_dword v4, v[2:3], off
	s_mov_b32 s24, 0x2f800000
	s_mov_b32 s25, 0xcf800000
	s_mov_b64 s[28:29], -1
	s_waitcnt vmcnt(0)
	v_lshlrev_b32_e32 v4, 16, v4
	v_trunc_f32_e32 v4, v4
	v_mul_f32_e64 v5, |v4|, s24
	v_floor_f32_e32 v5, v5
	v_fma_f32 v6, v5, s25, |v4|
	v_cvt_u32_f32_e32 v6, v6
	v_cvt_u32_f32_e32 v5, v5
	v_ashrrev_i32_e32 v4, 31, v4
	s_mov_b64 s[24:25], 0
	v_xor_b32_e32 v6, v6, v4
	v_xor_b32_e32 v5, v5, v4
	v_sub_co_u32_e32 v6, vcc, v6, v4
	v_subb_co_u32_e32 v7, vcc, v5, v4, vcc
	s_branch .LBB94_1285
.LBB94_1275:
	s_or_b64 exec, exec, s[0:1]
	s_and_saveexec_b64 s[0:1], s[22:23]
	s_cbranch_execnz .LBB94_1344
.LBB94_1276:
	s_or_b64 exec, exec, s[0:1]
	s_and_saveexec_b64 s[0:1], s[30:31]
	s_xor_b64 s[0:1], exec, s[0:1]
	s_cbranch_execz .LBB94_1345
.LBB94_1277:
	global_load_ubyte v4, v[2:3], off
	s_mov_b32 s22, 0
	s_waitcnt vmcnt(1)
	v_mov_b32_e32 v7, s22
	s_or_b64 s[28:29], s[28:29], exec
	s_waitcnt vmcnt(0)
	v_cmp_ne_u16_e32 vcc, 0, v4
	v_cndmask_b32_e64 v6, 0, 1, vcc
	s_or_b64 exec, exec, s[0:1]
	s_and_saveexec_b64 s[0:1], s[36:37]
	s_cbranch_execz .LBB94_1391
	s_branch .LBB94_1346
.LBB94_1278:
	s_mov_b64 s[34:35], -1
                                        ; implicit-def: $vgpr6_vgpr7
	s_mov_b64 s[24:25], s[22:23]
	s_branch .LBB94_1343
.LBB94_1279:
	s_mov_b64 s[24:25], s[22:23]
                                        ; implicit-def: $vgpr6_vgpr7
	s_cbranch_execnz .LBB94_1314
	s_branch .LBB94_1342
.LBB94_1280:
	s_mov_b64 s[34:35], -1
	s_mov_b64 s[24:25], s[22:23]
                                        ; implicit-def: $vgpr6_vgpr7
	s_branch .LBB94_1295
.LBB94_1281:
	s_mov_b64 s[34:35], -1
	s_mov_b64 s[24:25], s[22:23]
                                        ; implicit-def: $vgpr6_vgpr7
	s_branch .LBB94_1290
.LBB94_1282:
	s_mov_b64 s[34:35], -1
	s_mov_b64 s[24:25], s[22:23]
	s_branch .LBB94_1284
.LBB94_1283:
	s_mov_b64 s[24:25], -1
.LBB94_1284:
                                        ; implicit-def: $vgpr6_vgpr7
.LBB94_1285:
	s_and_b64 vcc, exec, s[34:35]
	s_cbranch_vccz .LBB94_1289
; %bb.1286:
	s_cmp_eq_u32 s36, 44
	s_cbranch_scc0 .LBB94_1288
; %bb.1287:
	global_load_ubyte v4, v[2:3], off
	s_mov_b32 s24, 0x2f800000
	s_mov_b32 s25, 0xcf800000
	s_mov_b64 s[28:29], -1
	s_waitcnt vmcnt(0)
	v_lshlrev_b32_e32 v5, 23, v4
	v_trunc_f32_e32 v5, v5
	v_mul_f32_e64 v6, |v5|, s24
	v_floor_f32_e32 v6, v6
	v_fma_f32 v7, v6, s25, |v5|
	v_cvt_u32_f32_e32 v7, v7
	v_cvt_u32_f32_e32 v6, v6
	v_ashrrev_i32_e32 v5, 31, v5
	s_mov_b64 s[24:25], 0
	v_xor_b32_e32 v7, v7, v5
	v_xor_b32_e32 v6, v6, v5
	v_sub_co_u32_e32 v8, vcc, v7, v5
	v_subb_co_u32_e32 v5, vcc, v6, v5, vcc
	v_cmp_ne_u32_e32 vcc, 0, v4
	v_cndmask_b32_e32 v7, 0, v5, vcc
	v_cndmask_b32_e32 v6, 0, v8, vcc
	s_branch .LBB94_1289
.LBB94_1288:
	s_mov_b64 s[24:25], -1
                                        ; implicit-def: $vgpr6_vgpr7
.LBB94_1289:
	s_mov_b64 s[34:35], 0
.LBB94_1290:
	s_and_b64 vcc, exec, s[34:35]
	s_cbranch_vccz .LBB94_1294
; %bb.1291:
	s_cmp_eq_u32 s36, 29
	s_cbranch_scc0 .LBB94_1293
; %bb.1292:
	global_load_dwordx2 v[6:7], v[2:3], off
	s_mov_b64 s[24:25], 0
	s_mov_b64 s[28:29], -1
	s_branch .LBB94_1294
.LBB94_1293:
	s_mov_b64 s[24:25], -1
                                        ; implicit-def: $vgpr6_vgpr7
.LBB94_1294:
	s_mov_b64 s[34:35], 0
.LBB94_1295:
	s_and_b64 vcc, exec, s[34:35]
	s_cbranch_vccz .LBB94_1313
; %bb.1296:
	s_cmp_lt_i32 s36, 27
	s_cbranch_scc1 .LBB94_1299
; %bb.1297:
	s_cmp_gt_i32 s36, 27
	s_cbranch_scc0 .LBB94_1300
; %bb.1298:
	global_load_dword v6, v[2:3], off
	s_waitcnt vmcnt(1)
	v_mov_b32_e32 v7, 0
	s_mov_b64 s[28:29], 0
	s_branch .LBB94_1301
.LBB94_1299:
	s_mov_b64 s[28:29], -1
                                        ; implicit-def: $vgpr6_vgpr7
	s_branch .LBB94_1304
.LBB94_1300:
	s_mov_b64 s[28:29], -1
                                        ; implicit-def: $vgpr6_vgpr7
.LBB94_1301:
	s_andn2_b64 vcc, exec, s[28:29]
	s_cbranch_vccnz .LBB94_1303
; %bb.1302:
	global_load_ushort v4, v[2:3], off
	s_mov_b32 s28, 0
	s_waitcnt vmcnt(1)
	v_mov_b32_e32 v7, s28
	s_waitcnt vmcnt(0)
	v_and_b32_e32 v6, 0xffff, v4
.LBB94_1303:
	s_mov_b64 s[28:29], 0
.LBB94_1304:
	s_andn2_b64 vcc, exec, s[28:29]
	s_cbranch_vccnz .LBB94_1312
; %bb.1305:
	global_load_ubyte v4, v[2:3], off
	s_movk_i32 s28, 0x7f
	s_mov_b64 s[34:35], 0
	s_waitcnt vmcnt(0)
	v_cmp_lt_i16_e32 vcc, s28, v4
	s_and_saveexec_b64 s[28:29], vcc
	s_xor_b64 s[28:29], exec, s[28:29]
; %bb.1306:
	s_movk_i32 s34, 0x80
	v_cmp_ne_u16_e32 vcc, s34, v4
	s_and_b64 s[34:35], vcc, exec
; %bb.1307:
	s_andn2_saveexec_b64 s[28:29], s[28:29]
; %bb.1308:
	v_cmp_ne_u16_e32 vcc, 0, v4
	s_andn2_b64 s[34:35], s[34:35], exec
	s_and_b64 s[40:41], vcc, exec
	s_or_b64 s[34:35], s[34:35], s[40:41]
; %bb.1309:
	s_or_b64 exec, exec, s[28:29]
	v_mov_b32_e32 v6, 0
	v_mov_b32_e32 v7, 0
	s_and_saveexec_b64 s[28:29], s[34:35]
	s_cbranch_execz .LBB94_1311
; %bb.1310:
	v_lshlrev_b32_e32 v5, 24, v4
	v_and_b32_e32 v4, 0xffff, v4
	v_and_b32_e32 v6, 7, v4
	v_ffbh_u32_e32 v8, v6
	v_min_u32_e32 v8, 32, v8
	v_subrev_u32_e32 v9, 28, v8
	v_bfe_u32 v7, v4, 3, 4
	v_lshlrev_b32_e32 v4, v9, v4
	v_sub_u32_e32 v8, 29, v8
	v_and_b32_e32 v4, 7, v4
	v_cmp_eq_u32_e32 vcc, 0, v7
	v_cndmask_b32_e32 v7, v7, v8, vcc
	v_cndmask_b32_e32 v4, v6, v4, vcc
	v_mov_b32_e32 v6, 0x3b800000
	v_lshlrev_b32_e32 v4, 20, v4
	v_and_b32_e32 v5, 0x80000000, v5
	v_lshl_add_u32 v6, v7, 23, v6
	v_or3_b32 v4, v5, v6, v4
	v_trunc_f32_e32 v4, v4
	s_mov_b32 s34, 0x2f800000
	v_mul_f32_e64 v5, |v4|, s34
	v_floor_f32_e32 v5, v5
	s_mov_b32 s34, 0xcf800000
	v_fma_f32 v6, v5, s34, |v4|
	v_cvt_u32_f32_e32 v6, v6
	v_cvt_u32_f32_e32 v5, v5
	v_ashrrev_i32_e32 v4, 31, v4
	v_xor_b32_e32 v6, v6, v4
	v_xor_b32_e32 v5, v5, v4
	v_sub_co_u32_e32 v6, vcc, v6, v4
	v_subb_co_u32_e32 v7, vcc, v5, v4, vcc
.LBB94_1311:
	s_or_b64 exec, exec, s[28:29]
.LBB94_1312:
	s_mov_b64 s[28:29], -1
.LBB94_1313:
	s_branch .LBB94_1342
.LBB94_1314:
	s_cmp_gt_i32 s36, 22
	s_cbranch_scc0 .LBB94_1324
; %bb.1315:
	s_cmp_lt_i32 s36, 24
	s_cbranch_scc1 .LBB94_1325
; %bb.1316:
	s_cmp_gt_i32 s36, 24
	s_cbranch_scc0 .LBB94_1326
; %bb.1317:
	global_load_ubyte v4, v[2:3], off
	s_movk_i32 s28, 0x7f
	s_waitcnt vmcnt(0)
	v_cmp_lt_i16_e32 vcc, s28, v4
	s_and_saveexec_b64 s[28:29], vcc
	s_xor_b64 s[28:29], exec, s[28:29]
; %bb.1318:
	s_movk_i32 s30, 0x80
	v_cmp_ne_u16_e32 vcc, s30, v4
	s_and_b64 s[30:31], vcc, exec
; %bb.1319:
	s_andn2_saveexec_b64 s[28:29], s[28:29]
; %bb.1320:
	v_cmp_ne_u16_e32 vcc, 0, v4
	s_andn2_b64 s[30:31], s[30:31], exec
	s_and_b64 s[34:35], vcc, exec
	s_or_b64 s[30:31], s[30:31], s[34:35]
; %bb.1321:
	s_or_b64 exec, exec, s[28:29]
	v_mov_b32_e32 v6, 0
	v_mov_b32_e32 v7, 0
	s_and_saveexec_b64 s[28:29], s[30:31]
	s_cbranch_execz .LBB94_1323
; %bb.1322:
	v_lshlrev_b32_e32 v5, 24, v4
	v_and_b32_e32 v4, 0xffff, v4
	v_and_b32_e32 v6, 3, v4
	v_ffbh_u32_e32 v8, v6
	v_min_u32_e32 v8, 32, v8
	v_subrev_u32_e32 v9, 29, v8
	v_bfe_u32 v7, v4, 2, 5
	v_lshlrev_b32_e32 v4, v9, v4
	v_sub_u32_e32 v8, 30, v8
	v_and_b32_e32 v4, 3, v4
	v_cmp_eq_u32_e32 vcc, 0, v7
	v_cndmask_b32_e32 v7, v7, v8, vcc
	v_cndmask_b32_e32 v4, v6, v4, vcc
	v_mov_b32_e32 v6, 0x37800000
	v_lshlrev_b32_e32 v4, 21, v4
	v_and_b32_e32 v5, 0x80000000, v5
	v_lshl_add_u32 v6, v7, 23, v6
	v_or3_b32 v4, v5, v6, v4
	v_trunc_f32_e32 v4, v4
	s_mov_b32 s30, 0x2f800000
	v_mul_f32_e64 v5, |v4|, s30
	v_floor_f32_e32 v5, v5
	s_mov_b32 s30, 0xcf800000
	v_fma_f32 v6, v5, s30, |v4|
	v_cvt_u32_f32_e32 v6, v6
	v_cvt_u32_f32_e32 v5, v5
	v_ashrrev_i32_e32 v4, 31, v4
	v_xor_b32_e32 v6, v6, v4
	v_xor_b32_e32 v5, v5, v4
	v_sub_co_u32_e32 v6, vcc, v6, v4
	v_subb_co_u32_e32 v7, vcc, v5, v4, vcc
.LBB94_1323:
	s_or_b64 exec, exec, s[28:29]
	s_mov_b64 s[28:29], 0
	s_branch .LBB94_1327
.LBB94_1324:
	s_mov_b64 s[30:31], -1
                                        ; implicit-def: $vgpr6_vgpr7
	s_branch .LBB94_1333
.LBB94_1325:
	s_mov_b64 s[28:29], -1
                                        ; implicit-def: $vgpr6_vgpr7
	s_branch .LBB94_1330
.LBB94_1326:
	s_mov_b64 s[28:29], -1
                                        ; implicit-def: $vgpr6_vgpr7
.LBB94_1327:
	s_and_b64 vcc, exec, s[28:29]
	s_cbranch_vccz .LBB94_1329
; %bb.1328:
	global_load_ubyte v4, v[2:3], off
	s_mov_b32 s28, 0x7f800000
	s_brev_b32 s29, 1
	s_mov_b32 s30, 0x2f800000
	s_mov_b32 s31, 0xcf800000
	s_waitcnt vmcnt(0)
	v_lshlrev_b32_e32 v4, 24, v4
	v_and_b32_e32 v5, 0x7f000000, v4
	v_ffbh_u32_e32 v6, v5
	v_min_u32_e32 v6, 32, v6
	v_sub_u32_e64 v6, v6, 4 clamp
	v_lshlrev_b32_e32 v8, v6, v5
	v_lshlrev_b32_e32 v6, 23, v6
	v_lshrrev_b32_e32 v8, 4, v8
	v_add_u32_e32 v7, 0x1000000, v5
	v_sub_u32_e32 v6, v8, v6
	v_ashrrev_i32_e32 v7, 8, v7
	v_add_u32_e32 v6, 0x3c000000, v6
	v_and_or_b32 v6, v7, s28, v6
	v_cmp_ne_u32_e32 vcc, 0, v5
	v_cndmask_b32_e32 v5, 0, v6, vcc
	v_and_or_b32 v4, v4, s29, v5
	v_trunc_f32_e32 v4, v4
	v_mul_f32_e64 v5, |v4|, s30
	v_floor_f32_e32 v5, v5
	v_fma_f32 v6, v5, s31, |v4|
	v_cvt_u32_f32_e32 v6, v6
	v_cvt_u32_f32_e32 v5, v5
	v_ashrrev_i32_e32 v4, 31, v4
	v_xor_b32_e32 v6, v6, v4
	v_xor_b32_e32 v5, v5, v4
	v_sub_co_u32_e32 v6, vcc, v6, v4
	v_subb_co_u32_e32 v7, vcc, v5, v4, vcc
.LBB94_1329:
	s_mov_b64 s[28:29], 0
.LBB94_1330:
	s_andn2_b64 vcc, exec, s[28:29]
	s_cbranch_vccnz .LBB94_1332
; %bb.1331:
	global_load_ubyte v4, v[2:3], off
	s_movk_i32 s28, 0x7f00
	s_brev_b32 s29, 16
	s_brev_b32 s30, 1
	s_mov_b32 s31, 0x2f800000
	s_mov_b32 s34, 0xcf800000
	s_waitcnt vmcnt(0)
	v_lshlrev_b16_e32 v5, 8, v4
	v_lshlrev_b32_e32 v4, 25, v4
	v_lshrrev_b32_e32 v6, 4, v4
	v_and_or_b32 v7, v5, s28, 0.5
	v_or_b32_e32 v6, 0x70000000, v6
	v_add_f32_e32 v7, -0.5, v7
	v_mul_f32_e32 v6, 0x7800000, v6
	v_cmp_gt_u32_e32 vcc, s29, v4
	v_bfe_i32 v5, v5, 0, 16
	v_cndmask_b32_e32 v4, v6, v7, vcc
	v_and_or_b32 v4, v5, s30, v4
	v_trunc_f32_e32 v4, v4
	v_mul_f32_e64 v5, |v4|, s31
	v_floor_f32_e32 v5, v5
	v_fma_f32 v6, v5, s34, |v4|
	v_cvt_u32_f32_e32 v6, v6
	v_cvt_u32_f32_e32 v5, v5
	v_ashrrev_i32_e32 v4, 31, v4
	v_xor_b32_e32 v6, v6, v4
	v_xor_b32_e32 v5, v5, v4
	v_sub_co_u32_e32 v6, vcc, v6, v4
	v_subb_co_u32_e32 v7, vcc, v5, v4, vcc
.LBB94_1332:
	s_mov_b64 s[30:31], 0
	s_mov_b64 s[28:29], -1
.LBB94_1333:
	s_andn2_b64 vcc, exec, s[30:31]
	s_mov_b64 s[30:31], 0
	s_cbranch_vccnz .LBB94_1342
; %bb.1334:
	s_cmp_gt_i32 s36, 14
	s_cbranch_scc0 .LBB94_1337
; %bb.1335:
	s_cmp_eq_u32 s36, 15
	s_cbranch_scc0 .LBB94_1338
; %bb.1336:
	global_load_ushort v4, v[2:3], off
	s_mov_b32 s24, 0x2f800000
	s_mov_b32 s25, 0xcf800000
	s_mov_b64 s[28:29], -1
	s_waitcnt vmcnt(0)
	v_lshlrev_b32_e32 v4, 16, v4
	v_trunc_f32_e32 v4, v4
	v_mul_f32_e64 v5, |v4|, s24
	v_floor_f32_e32 v5, v5
	v_fma_f32 v6, v5, s25, |v4|
	v_cvt_u32_f32_e32 v6, v6
	v_cvt_u32_f32_e32 v5, v5
	v_ashrrev_i32_e32 v4, 31, v4
	s_mov_b64 s[24:25], 0
	v_xor_b32_e32 v6, v6, v4
	v_xor_b32_e32 v5, v5, v4
	v_sub_co_u32_e32 v6, vcc, v6, v4
	v_subb_co_u32_e32 v7, vcc, v5, v4, vcc
	s_branch .LBB94_1339
.LBB94_1337:
	s_mov_b64 s[34:35], -1
                                        ; implicit-def: $vgpr6_vgpr7
	s_branch .LBB94_1340
.LBB94_1338:
	s_mov_b64 s[24:25], -1
                                        ; implicit-def: $vgpr6_vgpr7
.LBB94_1339:
	s_mov_b64 s[34:35], 0
.LBB94_1340:
	s_and_b64 vcc, exec, s[34:35]
	s_cbranch_vccz .LBB94_1342
; %bb.1341:
	s_cmp_lg_u32 s36, 11
	s_cselect_b64 s[34:35], -1, 0
	s_andn2_b64 s[24:25], s[24:25], exec
	s_and_b64 s[34:35], s[34:35], exec
	s_mov_b64 s[30:31], -1
	s_or_b64 s[24:25], s[24:25], s[34:35]
.LBB94_1342:
	s_mov_b64 s[34:35], 0
.LBB94_1343:
	s_andn2_b64 s[22:23], s[22:23], exec
	s_and_b64 s[24:25], s[24:25], exec
	s_and_b64 s[28:29], s[28:29], exec
	;; [unrolled: 1-line block ×4, first 2 shown]
	s_or_b64 s[22:23], s[22:23], s[24:25]
	s_or_b64 exec, exec, s[0:1]
	s_and_saveexec_b64 s[0:1], s[22:23]
	s_cbranch_execz .LBB94_1276
.LBB94_1344:
	s_or_b64 s[26:27], s[26:27], exec
	s_andn2_b64 s[30:31], s[30:31], exec
	s_trap 2
	s_or_b64 exec, exec, s[0:1]
	s_and_saveexec_b64 s[0:1], s[30:31]
	s_xor_b64 s[0:1], exec, s[0:1]
	s_cbranch_execnz .LBB94_1277
.LBB94_1345:
	s_or_b64 exec, exec, s[0:1]
	s_and_saveexec_b64 s[0:1], s[36:37]
	s_cbranch_execz .LBB94_1391
.LBB94_1346:
	s_sext_i32_i16 s22, s38
	s_cmp_lt_i32 s22, 5
	s_cbranch_scc1 .LBB94_1351
; %bb.1347:
	s_cmp_lt_i32 s22, 8
	s_cbranch_scc1 .LBB94_1352
; %bb.1348:
	s_cmp_lt_i32 s22, 9
	s_cbranch_scc1 .LBB94_1353
; %bb.1349:
	s_cmp_gt_i32 s22, 9
	s_cbranch_scc0 .LBB94_1354
; %bb.1350:
	global_load_dwordx2 v[4:5], v[2:3], off
	s_movk_i32 s22, 0xffe0
	s_waitcnt vmcnt(0)
	v_trunc_f64_e32 v[4:5], v[4:5]
	v_ldexp_f64 v[6:7], v[4:5], s22
	s_mov_b32 s22, 0
	s_mov_b32 s23, 0xc1f00000
	v_floor_f64_e32 v[6:7], v[6:7]
	v_fma_f64 v[4:5], v[6:7], s[22:23], v[4:5]
	v_cvt_i32_f64_e32 v7, v[6:7]
	s_mov_b64 s[22:23], 0
	v_cvt_u32_f64_e32 v6, v[4:5]
	s_branch .LBB94_1355
.LBB94_1351:
                                        ; implicit-def: $vgpr6_vgpr7
	s_branch .LBB94_1372
.LBB94_1352:
                                        ; implicit-def: $vgpr6_vgpr7
	s_branch .LBB94_1361
.LBB94_1353:
	s_mov_b64 s[22:23], -1
                                        ; implicit-def: $vgpr6_vgpr7
	s_branch .LBB94_1358
.LBB94_1354:
	s_mov_b64 s[22:23], -1
                                        ; implicit-def: $vgpr6_vgpr7
.LBB94_1355:
	s_andn2_b64 vcc, exec, s[22:23]
	s_cbranch_vccnz .LBB94_1357
; %bb.1356:
	global_load_dword v4, v[2:3], off
	s_mov_b32 s22, 0x2f800000
	s_mov_b32 s23, 0xcf800000
	s_waitcnt vmcnt(0)
	v_trunc_f32_e32 v4, v4
	v_mul_f32_e64 v5, |v4|, s22
	v_floor_f32_e32 v5, v5
	v_cvt_u32_f32_e32 v6, v5
	v_fma_f32 v5, v5, s23, |v4|
	v_cvt_u32_f32_e32 v5, v5
	v_ashrrev_i32_e32 v4, 31, v4
	v_xor_b32_e32 v7, v6, v4
	v_xor_b32_e32 v5, v5, v4
	v_sub_co_u32_e32 v6, vcc, v5, v4
	v_subb_co_u32_e32 v7, vcc, v7, v4, vcc
.LBB94_1357:
	s_mov_b64 s[22:23], 0
.LBB94_1358:
	s_andn2_b64 vcc, exec, s[22:23]
	s_cbranch_vccnz .LBB94_1360
; %bb.1359:
	global_load_dword v4, v[2:3], off
	s_waitcnt vmcnt(0)
	v_cvt_f32_f16_e32 v4, v4
	v_cvt_i32_f32_e32 v6, v4
	v_ashrrev_i32_e32 v7, 31, v6
.LBB94_1360:
	s_cbranch_execnz .LBB94_1371
.LBB94_1361:
	s_sext_i32_i16 s22, s38
	s_cmp_lt_i32 s22, 6
	s_cbranch_scc1 .LBB94_1364
; %bb.1362:
	s_cmp_gt_i32 s22, 6
	s_cbranch_scc0 .LBB94_1365
; %bb.1363:
	global_load_dwordx2 v[4:5], v[2:3], off
	s_movk_i32 s22, 0xffe0
	s_waitcnt vmcnt(0)
	v_trunc_f64_e32 v[4:5], v[4:5]
	v_ldexp_f64 v[6:7], v[4:5], s22
	s_mov_b32 s22, 0
	s_mov_b32 s23, 0xc1f00000
	v_floor_f64_e32 v[6:7], v[6:7]
	v_fma_f64 v[4:5], v[6:7], s[22:23], v[4:5]
	v_cvt_i32_f64_e32 v7, v[6:7]
	s_mov_b64 s[22:23], 0
	v_cvt_u32_f64_e32 v6, v[4:5]
	s_branch .LBB94_1366
.LBB94_1364:
	s_mov_b64 s[22:23], -1
                                        ; implicit-def: $vgpr6_vgpr7
	s_branch .LBB94_1369
.LBB94_1365:
	s_mov_b64 s[22:23], -1
                                        ; implicit-def: $vgpr6_vgpr7
.LBB94_1366:
	s_andn2_b64 vcc, exec, s[22:23]
	s_cbranch_vccnz .LBB94_1368
; %bb.1367:
	global_load_dword v4, v[2:3], off
	s_mov_b32 s22, 0x2f800000
	s_mov_b32 s23, 0xcf800000
	s_waitcnt vmcnt(0)
	v_trunc_f32_e32 v4, v4
	v_mul_f32_e64 v5, |v4|, s22
	v_floor_f32_e32 v5, v5
	v_cvt_u32_f32_e32 v6, v5
	v_fma_f32 v5, v5, s23, |v4|
	v_cvt_u32_f32_e32 v5, v5
	v_ashrrev_i32_e32 v4, 31, v4
	v_xor_b32_e32 v7, v6, v4
	v_xor_b32_e32 v5, v5, v4
	v_sub_co_u32_e32 v6, vcc, v5, v4
	v_subb_co_u32_e32 v7, vcc, v7, v4, vcc
.LBB94_1368:
	s_mov_b64 s[22:23], 0
.LBB94_1369:
	s_andn2_b64 vcc, exec, s[22:23]
	s_cbranch_vccnz .LBB94_1371
; %bb.1370:
	global_load_ushort v4, v[2:3], off
	s_waitcnt vmcnt(0)
	v_cvt_f32_f16_e32 v4, v4
	v_cvt_i32_f32_e32 v6, v4
	v_ashrrev_i32_e32 v7, 31, v6
.LBB94_1371:
	s_cbranch_execnz .LBB94_1390
.LBB94_1372:
	s_sext_i32_i16 s22, s38
	s_cmp_lt_i32 s22, 2
	s_cbranch_scc1 .LBB94_1376
; %bb.1373:
	s_cmp_lt_i32 s22, 3
	s_cbranch_scc1 .LBB94_1377
; %bb.1374:
	s_cmp_gt_i32 s22, 3
	s_cbranch_scc0 .LBB94_1378
; %bb.1375:
	global_load_dwordx2 v[6:7], v[2:3], off
	s_mov_b64 s[22:23], 0
	s_branch .LBB94_1379
.LBB94_1376:
                                        ; implicit-def: $vgpr6_vgpr7
	s_branch .LBB94_1385
.LBB94_1377:
	s_mov_b64 s[22:23], -1
                                        ; implicit-def: $vgpr6_vgpr7
	s_branch .LBB94_1382
.LBB94_1378:
	s_mov_b64 s[22:23], -1
                                        ; implicit-def: $vgpr6_vgpr7
.LBB94_1379:
	s_andn2_b64 vcc, exec, s[22:23]
	s_cbranch_vccnz .LBB94_1381
; %bb.1380:
	global_load_dword v6, v[2:3], off
	s_waitcnt vmcnt(0)
	v_ashrrev_i32_e32 v7, 31, v6
.LBB94_1381:
	s_mov_b64 s[22:23], 0
.LBB94_1382:
	s_andn2_b64 vcc, exec, s[22:23]
	s_cbranch_vccnz .LBB94_1384
; %bb.1383:
	global_load_ushort v4, v[2:3], off
	s_waitcnt vmcnt(0)
	v_bfe_i32 v6, v4, 0, 16
	v_ashrrev_i32_e32 v7, 31, v6
.LBB94_1384:
	s_cbranch_execnz .LBB94_1390
.LBB94_1385:
	s_sext_i32_i16 s22, s38
	s_cmp_gt_i32 s22, 0
	s_cbranch_scc0 .LBB94_1387
; %bb.1386:
	global_load_sbyte v4, v[2:3], off
	s_mov_b64 s[22:23], 0
	s_waitcnt vmcnt(0)
	v_bfe_i32 v6, v4, 0, 16
	v_ashrrev_i32_e32 v7, 31, v6
	s_branch .LBB94_1388
.LBB94_1387:
	s_mov_b64 s[22:23], -1
                                        ; implicit-def: $vgpr6_vgpr7
.LBB94_1388:
	s_andn2_b64 vcc, exec, s[22:23]
	s_cbranch_vccnz .LBB94_1390
; %bb.1389:
	global_load_ubyte v2, v[2:3], off
	s_mov_b32 s22, 0
	s_waitcnt vmcnt(1)
	v_mov_b32_e32 v7, s22
	s_waitcnt vmcnt(0)
	v_and_b32_e32 v6, 0xffff, v2
.LBB94_1390:
	s_or_b64 s[28:29], s[28:29], exec
.LBB94_1391:
	s_or_b64 exec, exec, s[0:1]
	s_mov_b64 s[30:31], 0
	s_mov_b64 s[24:25], 0
                                        ; implicit-def: $sgpr36
                                        ; implicit-def: $vgpr4_vgpr5
                                        ; implicit-def: $vgpr2_vgpr3
	s_and_saveexec_b64 s[22:23], s[28:29]
	s_cbranch_execz .LBB94_1399
; %bb.1392:
	s_waitcnt vmcnt(0)
	v_mul_lo_u32 v4, v18, s8
	v_cmp_lt_i64_e32 vcc, s[12:13], v[0:1]
	v_mov_b32_e32 v2, s15
	v_mov_b32_e32 v0, s14
	v_cndmask_b32_e32 v3, v2, v7, vcc
	v_cndmask_b32_e32 v2, v0, v6, vcc
	v_ashrrev_i32_e32 v0, 31, v4
	v_mov_b32_e32 v1, s17
	s_and_b32 s36, s33, 0xff
	v_add_co_u32_e32 v4, vcc, s16, v4
	s_cmp_lt_i32 s36, 11
	v_addc_co_u32_e32 v5, vcc, v1, v0, vcc
	s_cbranch_scc1 .LBB94_1402
; %bb.1393:
	s_and_b32 s37, 0xffff, s36
	s_mov_b64 s[28:29], -1
	s_cmp_gt_i32 s37, 25
	s_mov_b64 s[0:1], s[20:21]
	s_cbranch_scc0 .LBB94_1430
; %bb.1394:
	s_mov_b64 s[24:25], -1
	s_cmp_gt_i32 s37, 28
	s_mov_b64 s[0:1], s[20:21]
	s_cbranch_scc0 .LBB94_1414
; %bb.1395:
	s_cmp_gt_i32 s37, 43
	s_mov_b64 s[0:1], s[20:21]
	s_cbranch_scc0 .LBB94_1410
; %bb.1396:
	;; [unrolled: 4-line block ×3, first 2 shown]
	s_cmp_eq_u32 s37, 46
	s_mov_b64 s[0:1], -1
	s_cbranch_scc0 .LBB94_1403
; %bb.1398:
	v_xor_b32_e32 v1, v2, v3
	v_ffbh_i32_e32 v0, v3
	v_ashrrev_i32_e32 v1, 31, v1
	v_add_u32_e32 v0, -1, v0
	v_add_u32_e32 v1, 32, v1
	v_min_u32_e32 v6, v0, v1
	v_lshlrev_b64 v[0:1], v6, v[2:3]
	s_movk_i32 s0, 0x7fff
	v_min_u32_e32 v0, 1, v0
	v_or_b32_e32 v0, v1, v0
	v_cvt_f32_i32_e32 v0, v0
	v_sub_u32_e32 v1, 32, v6
	s_mov_b64 s[24:25], 0
	v_ldexp_f32 v0, v0, v1
	v_bfe_u32 v1, v0, 16, 1
	v_add3_u32 v0, v0, v1, s0
	v_lshrrev_b32_e32 v0, 16, v0
	global_store_dword v[4:5], v0, off
	s_mov_b64 s[0:1], 0
	s_branch .LBB94_1404
.LBB94_1399:
	s_or_b64 exec, exec, s[22:23]
	s_and_saveexec_b64 s[0:1], s[20:21]
	s_cbranch_execnz .LBB94_1472
.LBB94_1400:
	s_or_b64 exec, exec, s[0:1]
	s_and_saveexec_b64 s[0:1], s[30:31]
	s_xor_b64 s[0:1], exec, s[0:1]
	s_cbranch_execz .LBB94_1473
.LBB94_1401:
	v_cmp_ne_u64_e32 vcc, 0, v[2:3]
	s_waitcnt vmcnt(0)
	v_cndmask_b32_e64 v0, 0, 1, vcc
	global_store_byte v[4:5], v0, off
	s_or_b64 exec, exec, s[0:1]
	s_and_saveexec_b64 s[0:1], s[24:25]
	s_xor_b64 s[0:1], exec, s[0:1]
	s_cbranch_execz .LBB94_1511
	s_branch .LBB94_1474
.LBB94_1402:
	s_mov_b64 s[28:29], 0
	s_mov_b64 s[24:25], -1
	s_mov_b64 s[0:1], s[20:21]
	s_branch .LBB94_1471
.LBB94_1403:
	s_mov_b64 s[24:25], 0
.LBB94_1404:
	s_and_b64 vcc, exec, s[24:25]
	s_cbranch_vccz .LBB94_1409
; %bb.1405:
	s_cmp_eq_u32 s37, 44
	s_mov_b64 s[0:1], -1
	s_cbranch_scc0 .LBB94_1409
; %bb.1406:
	v_xor_b32_e32 v1, v2, v3
	v_ffbh_i32_e32 v0, v3
	v_ashrrev_i32_e32 v1, 31, v1
	v_add_u32_e32 v0, -1, v0
	v_add_u32_e32 v1, 32, v1
	v_min_u32_e32 v6, v0, v1
	v_lshlrev_b64 v[0:1], v6, v[2:3]
	s_movk_i32 s0, 0xff
	v_min_u32_e32 v0, 1, v0
	v_or_b32_e32 v0, v1, v0
	v_cvt_f32_i32_e32 v0, v0
	v_sub_u32_e32 v1, 32, v6
	v_mov_b32_e32 v6, 0xff
	v_ldexp_f32 v0, v0, v1
	v_bfe_u32 v1, v0, 23, 8
	v_cmp_ne_u32_e32 vcc, s0, v1
	s_and_saveexec_b64 s[24:25], vcc
; %bb.1407:
	s_mov_b32 s0, 0x3fffff
	v_lshrrev_b32_e32 v6, 23, v0
	v_and_b32_e32 v7, 0x400000, v0
	v_and_or_b32 v0, v0, s0, v1
	v_cmp_ne_u32_e32 vcc, 0, v7
	v_cmp_ne_u32_e64 s[0:1], 0, v0
	s_and_b64 s[0:1], vcc, s[0:1]
	v_cndmask_b32_e64 v0, 0, 1, s[0:1]
	v_add_u32_e32 v6, v6, v0
; %bb.1408:
	s_or_b64 exec, exec, s[24:25]
	s_mov_b64 s[0:1], 0
	global_store_byte v[4:5], v6, off
.LBB94_1409:
	s_mov_b64 s[24:25], 0
.LBB94_1410:
	s_and_b64 vcc, exec, s[24:25]
	s_cbranch_vccz .LBB94_1413
; %bb.1411:
	s_cmp_eq_u32 s37, 29
	s_mov_b64 s[0:1], -1
	s_cbranch_scc0 .LBB94_1413
; %bb.1412:
	global_store_dwordx2 v[4:5], v[2:3], off
	s_mov_b64 s[0:1], 0
.LBB94_1413:
	s_mov_b64 s[24:25], 0
.LBB94_1414:
	s_and_b64 vcc, exec, s[24:25]
	s_cbranch_vccz .LBB94_1429
; %bb.1415:
	s_cmp_lt_i32 s37, 27
	s_mov_b64 s[24:25], -1
	s_cbranch_scc1 .LBB94_1421
; %bb.1416:
	s_cmp_gt_i32 s37, 27
	s_cbranch_scc0 .LBB94_1418
; %bb.1417:
	s_mov_b64 s[24:25], 0
	global_store_dword v[4:5], v2, off
.LBB94_1418:
	s_andn2_b64 vcc, exec, s[24:25]
	s_cbranch_vccnz .LBB94_1420
; %bb.1419:
	global_store_short v[4:5], v2, off
.LBB94_1420:
	s_mov_b64 s[24:25], 0
.LBB94_1421:
	s_andn2_b64 vcc, exec, s[24:25]
	s_cbranch_vccnz .LBB94_1429
; %bb.1422:
	v_xor_b32_e32 v1, v2, v3
	v_ffbh_i32_e32 v0, v3
	v_ashrrev_i32_e32 v1, 31, v1
	v_add_u32_e32 v0, -1, v0
	v_add_u32_e32 v1, 32, v1
	v_min_u32_e32 v6, v0, v1
	v_lshlrev_b64 v[0:1], v6, v[2:3]
	s_mov_b32 s24, 0x43800000
	v_min_u32_e32 v0, 1, v0
	v_or_b32_e32 v0, v1, v0
	v_cvt_f32_i32_e32 v0, v0
	v_sub_u32_e32 v1, 32, v6
	v_mov_b32_e32 v6, 0x80
	v_ldexp_f32 v0, v0, v1
	v_and_b32_e32 v1, 0x7fffffff, v0
	v_cmp_gt_u32_e32 vcc, s24, v1
	s_and_saveexec_b64 s[24:25], vcc
	s_cbranch_execz .LBB94_1428
; %bb.1423:
	s_mov_b32 s28, 0x3bffffff
	v_cmp_lt_u32_e32 vcc, s28, v1
	s_mov_b64 s[28:29], 0
                                        ; implicit-def: $vgpr1
	s_and_saveexec_b64 s[30:31], vcc
	s_xor_b64 s[30:31], exec, s[30:31]
	s_cbranch_execz .LBB94_1526
; %bb.1424:
	v_bfe_u32 v1, v0, 20, 1
	s_mov_b32 s34, 0x487ffff
	v_add3_u32 v1, v0, v1, s34
	s_mov_b64 s[28:29], exec
	v_lshrrev_b32_e32 v1, 20, v1
	s_andn2_saveexec_b64 s[30:31], s[30:31]
	s_cbranch_execnz .LBB94_1527
.LBB94_1425:
	s_or_b64 exec, exec, s[30:31]
	v_mov_b32_e32 v6, 0
	s_and_saveexec_b64 s[30:31], s[28:29]
.LBB94_1426:
	v_lshrrev_b32_e32 v0, 24, v0
	s_movk_i32 s28, 0x80
	v_and_or_b32 v6, v0, s28, v1
.LBB94_1427:
	s_or_b64 exec, exec, s[30:31]
.LBB94_1428:
	s_or_b64 exec, exec, s[24:25]
	global_store_byte v[4:5], v6, off
.LBB94_1429:
	s_mov_b64 s[28:29], 0
.LBB94_1430:
	s_mov_b64 s[24:25], 0
	s_and_b64 vcc, exec, s[28:29]
	s_cbranch_vccz .LBB94_1470
; %bb.1431:
	s_cmp_gt_i32 s37, 22
	s_mov_b64 s[28:29], -1
	s_cbranch_scc0 .LBB94_1463
; %bb.1432:
	s_cmp_lt_i32 s37, 24
	s_cbranch_scc1 .LBB94_1452
; %bb.1433:
	s_cmp_gt_i32 s37, 24
	s_cbranch_scc0 .LBB94_1441
; %bb.1434:
	v_xor_b32_e32 v1, v2, v3
	v_ffbh_i32_e32 v0, v3
	v_ashrrev_i32_e32 v1, 31, v1
	v_add_u32_e32 v0, -1, v0
	v_add_u32_e32 v1, 32, v1
	v_min_u32_e32 v6, v0, v1
	v_lshlrev_b64 v[0:1], v6, v[2:3]
	s_mov_b32 s28, 0x47800000
	v_min_u32_e32 v0, 1, v0
	v_or_b32_e32 v0, v1, v0
	v_cvt_f32_i32_e32 v0, v0
	v_sub_u32_e32 v1, 32, v6
	v_mov_b32_e32 v6, 0x80
	v_ldexp_f32 v0, v0, v1
	v_and_b32_e32 v1, 0x7fffffff, v0
	v_cmp_gt_u32_e32 vcc, s28, v1
	s_and_saveexec_b64 s[28:29], vcc
	s_cbranch_execz .LBB94_1440
; %bb.1435:
	s_mov_b32 s30, 0x37ffffff
	v_cmp_lt_u32_e32 vcc, s30, v1
	s_mov_b64 s[30:31], 0
                                        ; implicit-def: $vgpr1
	s_and_saveexec_b64 s[34:35], vcc
	s_xor_b64 s[34:35], exec, s[34:35]
	s_cbranch_execz .LBB94_1646
; %bb.1436:
	v_bfe_u32 v1, v0, 21, 1
	s_mov_b32 s38, 0x88fffff
	v_add3_u32 v1, v0, v1, s38
	s_mov_b64 s[30:31], exec
	v_lshrrev_b32_e32 v1, 21, v1
	s_andn2_saveexec_b64 s[34:35], s[34:35]
	s_cbranch_execnz .LBB94_1647
.LBB94_1437:
	s_or_b64 exec, exec, s[34:35]
	v_mov_b32_e32 v6, 0
	s_and_saveexec_b64 s[34:35], s[30:31]
.LBB94_1438:
	v_lshrrev_b32_e32 v0, 24, v0
	s_movk_i32 s30, 0x80
	v_and_or_b32 v6, v0, s30, v1
.LBB94_1439:
	s_or_b64 exec, exec, s[34:35]
.LBB94_1440:
	s_or_b64 exec, exec, s[28:29]
	s_mov_b64 s[28:29], 0
	global_store_byte v[4:5], v6, off
.LBB94_1441:
	s_and_b64 vcc, exec, s[28:29]
	s_cbranch_vccz .LBB94_1451
; %bb.1442:
	v_xor_b32_e32 v1, v2, v3
	v_ffbh_i32_e32 v0, v3
	v_ashrrev_i32_e32 v1, 31, v1
	v_add_u32_e32 v0, -1, v0
	v_add_u32_e32 v1, 32, v1
	v_min_u32_e32 v6, v0, v1
	v_lshlrev_b64 v[0:1], v6, v[2:3]
	s_mov_b32 s28, 0x43f00000
	v_min_u32_e32 v0, 1, v0
	v_or_b32_e32 v0, v1, v0
	v_cvt_f32_i32_e32 v0, v0
	v_sub_u32_e32 v1, 32, v6
	v_ldexp_f32 v0, v0, v1
	v_and_b32_e32 v6, 0x7fffffff, v0
	v_cmp_gt_u32_e32 vcc, s28, v6
                                        ; implicit-def: $vgpr1
	s_and_saveexec_b64 s[28:29], vcc
	s_xor_b64 s[28:29], exec, s[28:29]
	s_cbranch_execz .LBB94_1448
; %bb.1443:
	s_mov_b32 s30, 0x3c7fffff
	v_cmp_lt_u32_e32 vcc, s30, v6
                                        ; implicit-def: $vgpr1
	s_and_saveexec_b64 s[30:31], vcc
	s_xor_b64 s[30:31], exec, s[30:31]
; %bb.1444:
	v_bfe_u32 v1, v0, 20, 1
	s_mov_b32 s34, 0x407ffff
	v_add3_u32 v1, v0, v1, s34
	v_lshrrev_b32_e32 v6, 20, v1
	v_and_b32_e32 v1, 0xff00000, v1
	s_mov_b32 s34, 0x7f00000
	v_mov_b32_e32 v7, 0x7e
	v_cmp_ne_u32_e32 vcc, s34, v1
	v_cndmask_b32_e32 v1, v7, v6, vcc
; %bb.1445:
	s_andn2_saveexec_b64 s[30:31], s[30:31]
; %bb.1446:
	s_mov_b32 s34, 0x46800000
	v_add_f32_e64 v1, |v0|, s34
; %bb.1447:
	s_or_b64 exec, exec, s[30:31]
                                        ; implicit-def: $vgpr6
.LBB94_1448:
	s_andn2_saveexec_b64 s[28:29], s[28:29]
; %bb.1449:
	s_mov_b32 s30, 0x7f800000
	v_mov_b32_e32 v1, 0x7e
	v_mov_b32_e32 v7, 0x7f
	v_cmp_lt_u32_e32 vcc, s30, v6
	v_cndmask_b32_e32 v1, v1, v7, vcc
; %bb.1450:
	s_or_b64 exec, exec, s[28:29]
	v_lshrrev_b32_e32 v0, 24, v0
	s_movk_i32 s28, 0x80
	v_and_or_b32 v0, v0, s28, v1
	global_store_byte v[4:5], v0, off
.LBB94_1451:
	s_mov_b64 s[28:29], 0
.LBB94_1452:
	s_andn2_b64 vcc, exec, s[28:29]
	s_cbranch_vccnz .LBB94_1462
; %bb.1453:
	v_xor_b32_e32 v1, v2, v3
	v_ffbh_i32_e32 v0, v3
	v_ashrrev_i32_e32 v1, 31, v1
	v_add_u32_e32 v0, -1, v0
	v_add_u32_e32 v1, 32, v1
	v_min_u32_e32 v6, v0, v1
	v_lshlrev_b64 v[0:1], v6, v[2:3]
	s_mov_b32 s28, 0x47800000
	v_min_u32_e32 v0, 1, v0
	v_or_b32_e32 v0, v1, v0
	v_cvt_f32_i32_e32 v0, v0
	v_sub_u32_e32 v1, 32, v6
	v_ldexp_f32 v0, v0, v1
	v_and_b32_e32 v6, 0x7fffffff, v0
	v_cmp_gt_u32_e32 vcc, s28, v6
                                        ; implicit-def: $vgpr1
	s_and_saveexec_b64 s[28:29], vcc
	s_xor_b64 s[28:29], exec, s[28:29]
	s_cbranch_execz .LBB94_1459
; %bb.1454:
	s_mov_b32 s30, 0x387fffff
	v_cmp_lt_u32_e32 vcc, s30, v6
                                        ; implicit-def: $vgpr1
	s_and_saveexec_b64 s[30:31], vcc
	s_xor_b64 s[30:31], exec, s[30:31]
; %bb.1455:
	v_bfe_u32 v1, v0, 21, 1
	s_mov_b32 s34, 0x80fffff
	v_add3_u32 v1, v0, v1, s34
	v_lshrrev_b32_e32 v1, 21, v1
; %bb.1456:
	s_andn2_saveexec_b64 s[30:31], s[30:31]
; %bb.1457:
	s_mov_b32 s34, 0x43000000
	v_add_f32_e64 v1, |v0|, s34
; %bb.1458:
	s_or_b64 exec, exec, s[30:31]
                                        ; implicit-def: $vgpr6
.LBB94_1459:
	s_andn2_saveexec_b64 s[28:29], s[28:29]
; %bb.1460:
	s_mov_b32 s30, 0x7f800000
	v_mov_b32_e32 v1, 0x7c
	v_mov_b32_e32 v7, 0x7f
	v_cmp_lt_u32_e32 vcc, s30, v6
	v_cndmask_b32_e32 v1, v1, v7, vcc
; %bb.1461:
	s_or_b64 exec, exec, s[28:29]
	v_lshrrev_b32_e32 v0, 24, v0
	s_movk_i32 s28, 0x80
	v_and_or_b32 v0, v0, s28, v1
	global_store_byte v[4:5], v0, off
.LBB94_1462:
	s_mov_b64 s[28:29], 0
.LBB94_1463:
	s_andn2_b64 vcc, exec, s[28:29]
	s_mov_b64 s[28:29], 0
	s_cbranch_vccnz .LBB94_1471
; %bb.1464:
	s_cmp_gt_i32 s37, 14
	s_mov_b64 s[30:31], -1
	s_cbranch_scc0 .LBB94_1468
; %bb.1465:
	s_cmp_eq_u32 s37, 15
	s_mov_b64 s[0:1], -1
	s_cbranch_scc0 .LBB94_1467
; %bb.1466:
	v_xor_b32_e32 v1, v2, v3
	v_ffbh_i32_e32 v0, v3
	v_ashrrev_i32_e32 v1, 31, v1
	v_add_u32_e32 v0, -1, v0
	v_add_u32_e32 v1, 32, v1
	v_min_u32_e32 v6, v0, v1
	v_lshlrev_b64 v[0:1], v6, v[2:3]
	s_movk_i32 s0, 0x7fff
	v_min_u32_e32 v0, 1, v0
	v_or_b32_e32 v0, v1, v0
	v_cvt_f32_i32_e32 v0, v0
	v_sub_u32_e32 v1, 32, v6
	v_ldexp_f32 v0, v0, v1
	v_bfe_u32 v1, v0, 16, 1
	v_add3_u32 v0, v0, v1, s0
	global_store_short_d16_hi v[4:5], v0, off
	s_mov_b64 s[0:1], 0
.LBB94_1467:
	s_mov_b64 s[30:31], 0
.LBB94_1468:
	s_and_b64 vcc, exec, s[30:31]
	s_cbranch_vccz .LBB94_1471
; %bb.1469:
	s_cmp_lg_u32 s37, 11
	s_cselect_b64 s[30:31], -1, 0
	s_andn2_b64 s[0:1], s[0:1], exec
	s_and_b64 s[30:31], s[30:31], exec
	s_mov_b64 s[28:29], -1
	s_or_b64 s[0:1], s[0:1], s[30:31]
	s_branch .LBB94_1471
.LBB94_1470:
	s_mov_b64 s[28:29], 0
.LBB94_1471:
	s_andn2_b64 s[20:21], s[20:21], exec
	s_and_b64 s[0:1], s[0:1], exec
	s_and_b64 s[24:25], s[24:25], exec
	;; [unrolled: 1-line block ×3, first 2 shown]
	s_or_b64 s[20:21], s[20:21], s[0:1]
	s_or_b64 exec, exec, s[22:23]
	s_and_saveexec_b64 s[0:1], s[20:21]
	s_cbranch_execz .LBB94_1400
.LBB94_1472:
	s_or_b64 s[26:27], s[26:27], exec
	s_andn2_b64 s[30:31], s[30:31], exec
	s_trap 2
	s_or_b64 exec, exec, s[0:1]
	s_and_saveexec_b64 s[0:1], s[30:31]
	s_xor_b64 s[0:1], exec, s[0:1]
	s_cbranch_execnz .LBB94_1401
.LBB94_1473:
	s_or_b64 exec, exec, s[0:1]
	s_and_saveexec_b64 s[0:1], s[24:25]
	s_xor_b64 s[0:1], exec, s[0:1]
	s_cbranch_execz .LBB94_1511
.LBB94_1474:
	s_sext_i32_i16 s22, s36
	s_cmp_lt_i32 s22, 5
	s_mov_b64 s[20:21], -1
	s_cbranch_scc1 .LBB94_1495
; %bb.1475:
	s_cmp_lt_i32 s22, 8
	s_cbranch_scc1 .LBB94_1485
; %bb.1476:
	s_cmp_lt_i32 s22, 9
	s_cbranch_scc1 .LBB94_1482
; %bb.1477:
	s_cmp_gt_i32 s22, 9
	s_cbranch_scc0 .LBB94_1479
; %bb.1478:
	s_waitcnt vmcnt(0)
	v_cvt_f64_i32_e32 v[0:1], v3
	v_cvt_f64_u32_e32 v[6:7], v2
	v_mov_b32_e32 v8, 0
	v_mov_b32_e32 v9, v8
	v_ldexp_f64 v[0:1], v[0:1], 32
	s_mov_b64 s[20:21], 0
	v_add_f64 v[6:7], v[0:1], v[6:7]
	global_store_dwordx4 v[4:5], v[6:9], off
.LBB94_1479:
	s_andn2_b64 vcc, exec, s[20:21]
	s_cbranch_vccnz .LBB94_1481
; %bb.1480:
	s_waitcnt vmcnt(0)
	v_xor_b32_e32 v1, v2, v3
	v_ffbh_i32_e32 v0, v3
	v_ashrrev_i32_e32 v1, 31, v1
	v_add_u32_e32 v0, -1, v0
	v_add_u32_e32 v1, 32, v1
	v_min_u32_e32 v6, v0, v1
	v_lshlrev_b64 v[0:1], v6, v[2:3]
	v_min_u32_e32 v0, 1, v0
	v_or_b32_e32 v0, v1, v0
	v_cvt_f32_i32_e32 v0, v0
	v_sub_u32_e32 v1, 32, v6
	v_ldexp_f32 v0, v0, v1
	v_mov_b32_e32 v1, 0
	global_store_dwordx2 v[4:5], v[0:1], off
.LBB94_1481:
	s_mov_b64 s[20:21], 0
.LBB94_1482:
	s_andn2_b64 vcc, exec, s[20:21]
	s_cbranch_vccnz .LBB94_1484
; %bb.1483:
	s_waitcnt vmcnt(0)
	v_xor_b32_e32 v1, v2, v3
	v_ffbh_i32_e32 v0, v3
	v_ashrrev_i32_e32 v1, 31, v1
	v_add_u32_e32 v0, -1, v0
	v_add_u32_e32 v1, 32, v1
	v_min_u32_e32 v6, v0, v1
	v_lshlrev_b64 v[0:1], v6, v[2:3]
	v_min_u32_e32 v0, 1, v0
	v_or_b32_e32 v0, v1, v0
	v_cvt_f32_i32_e32 v0, v0
	v_sub_u32_e32 v1, 32, v6
	v_ldexp_f32 v0, v0, v1
	v_cvt_f16_f32_e32 v0, v0
	global_store_dword v[4:5], v0, off
.LBB94_1484:
	s_mov_b64 s[20:21], 0
.LBB94_1485:
	s_andn2_b64 vcc, exec, s[20:21]
	s_cbranch_vccnz .LBB94_1494
; %bb.1486:
	s_sext_i32_i16 s22, s36
	s_cmp_lt_i32 s22, 6
	s_mov_b64 s[20:21], -1
	s_cbranch_scc1 .LBB94_1492
; %bb.1487:
	s_cmp_gt_i32 s22, 6
	s_cbranch_scc0 .LBB94_1489
; %bb.1488:
	s_waitcnt vmcnt(0)
	v_cvt_f64_i32_e32 v[0:1], v3
	v_cvt_f64_u32_e32 v[6:7], v2
	s_mov_b64 s[20:21], 0
	v_ldexp_f64 v[0:1], v[0:1], 32
	v_add_f64 v[0:1], v[0:1], v[6:7]
	global_store_dwordx2 v[4:5], v[0:1], off
.LBB94_1489:
	s_andn2_b64 vcc, exec, s[20:21]
	s_cbranch_vccnz .LBB94_1491
; %bb.1490:
	s_waitcnt vmcnt(0)
	v_xor_b32_e32 v1, v2, v3
	v_ffbh_i32_e32 v0, v3
	v_ashrrev_i32_e32 v1, 31, v1
	v_add_u32_e32 v0, -1, v0
	v_add_u32_e32 v1, 32, v1
	v_min_u32_e32 v6, v0, v1
	v_lshlrev_b64 v[0:1], v6, v[2:3]
	v_min_u32_e32 v0, 1, v0
	v_or_b32_e32 v0, v1, v0
	v_cvt_f32_i32_e32 v0, v0
	v_sub_u32_e32 v1, 32, v6
	v_ldexp_f32 v0, v0, v1
	global_store_dword v[4:5], v0, off
.LBB94_1491:
	s_mov_b64 s[20:21], 0
.LBB94_1492:
	s_andn2_b64 vcc, exec, s[20:21]
	s_cbranch_vccnz .LBB94_1494
; %bb.1493:
	s_waitcnt vmcnt(0)
	v_xor_b32_e32 v1, v2, v3
	v_ffbh_i32_e32 v0, v3
	v_ashrrev_i32_e32 v1, 31, v1
	v_add_u32_e32 v0, -1, v0
	v_add_u32_e32 v1, 32, v1
	v_min_u32_e32 v6, v0, v1
	v_lshlrev_b64 v[0:1], v6, v[2:3]
	v_min_u32_e32 v0, 1, v0
	v_or_b32_e32 v0, v1, v0
	v_cvt_f32_i32_e32 v0, v0
	v_sub_u32_e32 v1, 32, v6
	v_ldexp_f32 v0, v0, v1
	v_cvt_f16_f32_e32 v0, v0
	global_store_short v[4:5], v0, off
.LBB94_1494:
	s_mov_b64 s[20:21], 0
.LBB94_1495:
	s_andn2_b64 vcc, exec, s[20:21]
	s_cbranch_vccnz .LBB94_1511
; %bb.1496:
	s_sext_i32_i16 s22, s36
	s_cmp_lt_i32 s22, 2
	s_mov_b64 s[20:21], -1
	s_cbranch_scc1 .LBB94_1506
; %bb.1497:
	s_cmp_lt_i32 s22, 3
	s_cbranch_scc1 .LBB94_1503
; %bb.1498:
	s_cmp_gt_i32 s22, 3
	s_cbranch_scc0 .LBB94_1500
; %bb.1499:
	s_mov_b64 s[20:21], 0
	s_waitcnt vmcnt(0)
	global_store_dwordx2 v[4:5], v[2:3], off
.LBB94_1500:
	s_andn2_b64 vcc, exec, s[20:21]
	s_cbranch_vccnz .LBB94_1502
; %bb.1501:
	s_waitcnt vmcnt(0)
	global_store_dword v[4:5], v2, off
.LBB94_1502:
	s_mov_b64 s[20:21], 0
.LBB94_1503:
	s_andn2_b64 vcc, exec, s[20:21]
	s_cbranch_vccnz .LBB94_1505
; %bb.1504:
	s_waitcnt vmcnt(0)
	global_store_short v[4:5], v2, off
.LBB94_1505:
	s_mov_b64 s[20:21], 0
.LBB94_1506:
	s_andn2_b64 vcc, exec, s[20:21]
	s_cbranch_vccnz .LBB94_1511
; %bb.1507:
	s_sext_i32_i16 s20, s36
	s_cmp_gt_i32 s20, 0
	s_mov_b64 s[20:21], -1
	s_cbranch_scc0 .LBB94_1509
; %bb.1508:
	s_mov_b64 s[20:21], 0
	s_waitcnt vmcnt(0)
	global_store_byte v[4:5], v2, off
.LBB94_1509:
	s_andn2_b64 vcc, exec, s[20:21]
	s_cbranch_vccnz .LBB94_1511
; %bb.1510:
	s_waitcnt vmcnt(0)
	global_store_byte v[4:5], v2, off
.LBB94_1511:
	s_or_b64 exec, exec, s[0:1]
	s_and_b64 s[20:21], s[26:27], exec
                                        ; implicit-def: $vgpr18
.LBB94_1512:
	s_or_saveexec_b64 s[6:7], s[6:7]
	s_mov_b64 s[0:1], 0
                                        ; implicit-def: $sgpr24
                                        ; implicit-def: $vgpr2_vgpr3
                                        ; implicit-def: $vgpr0_vgpr1
	s_xor_b64 exec, exec, s[6:7]
	s_cbranch_execz .LBB94_2949
; %bb.1513:
	s_waitcnt vmcnt(0)
	v_mul_lo_u32 v6, s9, v18
	v_mov_b32_e32 v0, s19
	s_and_b32 s28, s58, 0xff
	s_cmp_lt_i32 s28, 11
	v_ashrrev_i32_e32 v1, 31, v6
	v_add_co_u32_e32 v2, vcc, s18, v6
	v_addc_co_u32_e32 v3, vcc, v0, v1, vcc
	s_cbranch_scc1 .LBB94_1520
; %bb.1514:
	s_and_b32 s26, 0xffff, s28
	s_cmp_gt_i32 s26, 25
	s_cbranch_scc0 .LBB94_1522
; %bb.1515:
	s_cmp_gt_i32 s26, 28
	s_cbranch_scc0 .LBB94_1523
; %bb.1516:
	;; [unrolled: 3-line block ×4, first 2 shown]
	s_cmp_eq_u32 s26, 46
	s_mov_b64 s[22:23], 0
	s_cbranch_scc0 .LBB94_1528
; %bb.1519:
	global_load_dword v0, v[2:3], off
	s_mov_b32 s0, 0x2f800000
	s_mov_b32 s1, 0xcf800000
	s_mov_b64 s[24:25], -1
	s_waitcnt vmcnt(0)
	v_lshlrev_b32_e32 v0, 16, v0
	v_trunc_f32_e32 v0, v0
	v_mul_f32_e64 v1, |v0|, s0
	v_floor_f32_e32 v1, v1
	v_fma_f32 v4, v1, s1, |v0|
	v_cvt_u32_f32_e32 v4, v4
	v_cvt_u32_f32_e32 v1, v1
	v_ashrrev_i32_e32 v5, 31, v0
	s_mov_b64 s[0:1], 0
	v_xor_b32_e32 v0, v4, v5
	v_xor_b32_e32 v1, v1, v5
	v_sub_co_u32_e32 v0, vcc, v0, v5
	v_subb_co_u32_e32 v1, vcc, v1, v5, vcc
	s_branch .LBB94_1529
.LBB94_1520:
	s_mov_b64 s[24:25], 0
                                        ; implicit-def: $vgpr0_vgpr1
	s_mov_b64 s[22:23], s[20:21]
	s_cbranch_execnz .LBB94_1587
.LBB94_1521:
	s_andn2_b64 vcc, exec, s[24:25]
	s_cbranch_vccz .LBB94_1632
	s_branch .LBB94_2947
.LBB94_1522:
	s_mov_b64 s[24:25], 0
                                        ; implicit-def: $vgpr0_vgpr1
	s_cbranch_execnz .LBB94_1556
	s_branch .LBB94_1583
.LBB94_1523:
	s_mov_b64 s[24:25], 0
                                        ; implicit-def: $vgpr0_vgpr1
	s_cbranch_execz .LBB94_1555
	s_branch .LBB94_1538
.LBB94_1524:
	s_mov_b64 s[24:25], 0
                                        ; implicit-def: $vgpr0_vgpr1
	s_cbranch_execnz .LBB94_1534
	s_branch .LBB94_1537
.LBB94_1525:
	s_mov_b64 s[22:23], -1
	s_mov_b64 s[24:25], 0
                                        ; implicit-def: $vgpr0_vgpr1
	s_branch .LBB94_1529
.LBB94_1526:
	s_andn2_saveexec_b64 s[30:31], s[30:31]
	s_cbranch_execz .LBB94_1425
.LBB94_1527:
	s_mov_b32 s34, 0x46000000
	v_add_f32_e64 v1, |v0|, s34
	v_and_b32_e32 v1, 0xff, v1
	v_cmp_ne_u32_e32 vcc, 0, v1
	s_andn2_b64 s[28:29], s[28:29], exec
	s_and_b64 s[34:35], vcc, exec
	s_or_b64 s[28:29], s[28:29], s[34:35]
	s_or_b64 exec, exec, s[30:31]
	v_mov_b32_e32 v6, 0
	s_and_saveexec_b64 s[30:31], s[28:29]
	s_cbranch_execnz .LBB94_1426
	s_branch .LBB94_1427
.LBB94_1528:
	s_mov_b64 s[0:1], -1
                                        ; implicit-def: $vgpr0_vgpr1
	s_mov_b64 s[24:25], 0
.LBB94_1529:
	s_and_b64 vcc, exec, s[22:23]
	s_cbranch_vccz .LBB94_1532
; %bb.1530:
	s_cmp_eq_u32 s26, 44
	s_cbranch_scc0 .LBB94_1533
; %bb.1531:
	global_load_ubyte v0, v[2:3], off
	s_mov_b32 s0, 0x2f800000
	s_mov_b32 s1, 0xcf800000
	s_mov_b64 s[24:25], -1
	s_waitcnt vmcnt(0)
	v_lshlrev_b32_e32 v1, 23, v0
	v_trunc_f32_e32 v1, v1
	v_mul_f32_e64 v4, |v1|, s0
	v_floor_f32_e32 v4, v4
	v_fma_f32 v5, v4, s1, |v1|
	v_cvt_u32_f32_e32 v5, v5
	v_cvt_u32_f32_e32 v4, v4
	v_ashrrev_i32_e32 v1, 31, v1
	s_mov_b64 s[0:1], 0
	v_xor_b32_e32 v5, v5, v1
	v_xor_b32_e32 v4, v4, v1
	v_sub_co_u32_e32 v5, vcc, v5, v1
	v_subb_co_u32_e32 v1, vcc, v4, v1, vcc
	v_cmp_ne_u32_e32 vcc, 0, v0
	v_cndmask_b32_e32 v1, 0, v1, vcc
	v_cndmask_b32_e32 v0, 0, v5, vcc
.LBB94_1532:
	s_branch .LBB94_1537
.LBB94_1533:
	s_mov_b64 s[0:1], -1
                                        ; implicit-def: $vgpr0_vgpr1
	s_branch .LBB94_1537
.LBB94_1534:
	s_cmp_eq_u32 s26, 29
	s_cbranch_scc0 .LBB94_1536
; %bb.1535:
	global_load_dwordx2 v[0:1], v[2:3], off
	s_mov_b64 s[0:1], 0
	s_mov_b64 s[24:25], -1
	s_branch .LBB94_1537
.LBB94_1536:
	s_mov_b64 s[0:1], -1
                                        ; implicit-def: $vgpr0_vgpr1
.LBB94_1537:
	s_branch .LBB94_1555
.LBB94_1538:
	s_cmp_lt_i32 s26, 27
	s_cbranch_scc1 .LBB94_1541
; %bb.1539:
	s_cmp_gt_i32 s26, 27
	s_cbranch_scc0 .LBB94_1542
; %bb.1540:
	global_load_dword v0, v[2:3], off
	s_waitcnt vmcnt(1)
	v_mov_b32_e32 v1, 0
	s_mov_b64 s[22:23], 0
	s_branch .LBB94_1543
.LBB94_1541:
	s_mov_b64 s[22:23], -1
                                        ; implicit-def: $vgpr0_vgpr1
	s_branch .LBB94_1546
.LBB94_1542:
	s_mov_b64 s[22:23], -1
                                        ; implicit-def: $vgpr0_vgpr1
.LBB94_1543:
	s_andn2_b64 vcc, exec, s[22:23]
	s_cbranch_vccnz .LBB94_1545
; %bb.1544:
	global_load_ushort v0, v[2:3], off
	s_mov_b32 s22, 0
	s_waitcnt vmcnt(1)
	v_mov_b32_e32 v1, s22
	s_waitcnt vmcnt(0)
	v_and_b32_e32 v0, 0xffff, v0
.LBB94_1545:
	s_mov_b64 s[22:23], 0
.LBB94_1546:
	s_andn2_b64 vcc, exec, s[22:23]
	s_cbranch_vccnz .LBB94_1554
; %bb.1547:
	global_load_ubyte v4, v[2:3], off
	s_movk_i32 s22, 0x7f
	s_mov_b64 s[24:25], 0
	s_waitcnt vmcnt(0)
	v_cmp_lt_i16_e32 vcc, s22, v4
	s_and_saveexec_b64 s[22:23], vcc
	s_xor_b64 s[22:23], exec, s[22:23]
; %bb.1548:
	s_movk_i32 s24, 0x80
	v_cmp_ne_u16_e32 vcc, s24, v4
	s_and_b64 s[24:25], vcc, exec
; %bb.1549:
	s_andn2_saveexec_b64 s[22:23], s[22:23]
; %bb.1550:
	v_cmp_ne_u16_e32 vcc, 0, v4
	s_andn2_b64 s[24:25], s[24:25], exec
	s_and_b64 s[30:31], vcc, exec
	s_or_b64 s[24:25], s[24:25], s[30:31]
; %bb.1551:
	s_or_b64 exec, exec, s[22:23]
	v_mov_b32_e32 v0, 0
	v_mov_b32_e32 v1, 0
	s_and_saveexec_b64 s[22:23], s[24:25]
	s_cbranch_execz .LBB94_1553
; %bb.1552:
	v_and_b32_e32 v1, 0xffff, v4
	v_lshlrev_b32_e32 v0, 24, v4
	v_and_b32_e32 v4, 7, v1
	v_ffbh_u32_e32 v7, v4
	v_min_u32_e32 v7, 32, v7
	v_subrev_u32_e32 v8, 28, v7
	v_bfe_u32 v5, v1, 3, 4
	v_lshlrev_b32_e32 v1, v8, v1
	v_sub_u32_e32 v7, 29, v7
	v_and_b32_e32 v1, 7, v1
	v_cmp_eq_u32_e32 vcc, 0, v5
	v_cndmask_b32_e32 v5, v5, v7, vcc
	v_cndmask_b32_e32 v1, v4, v1, vcc
	v_mov_b32_e32 v4, 0x3b800000
	v_lshlrev_b32_e32 v1, 20, v1
	v_and_b32_e32 v0, 0x80000000, v0
	v_lshl_add_u32 v4, v5, 23, v4
	v_or3_b32 v0, v0, v4, v1
	v_trunc_f32_e32 v0, v0
	s_mov_b32 s24, 0x2f800000
	v_mul_f32_e64 v1, |v0|, s24
	v_floor_f32_e32 v1, v1
	s_mov_b32 s24, 0xcf800000
	v_fma_f32 v4, v1, s24, |v0|
	v_cvt_u32_f32_e32 v4, v4
	v_cvt_u32_f32_e32 v1, v1
	v_ashrrev_i32_e32 v5, 31, v0
	v_xor_b32_e32 v0, v4, v5
	v_xor_b32_e32 v1, v1, v5
	v_sub_co_u32_e32 v0, vcc, v0, v5
	v_subb_co_u32_e32 v1, vcc, v1, v5, vcc
.LBB94_1553:
	s_or_b64 exec, exec, s[22:23]
.LBB94_1554:
	s_mov_b64 s[24:25], -1
.LBB94_1555:
	s_branch .LBB94_1583
.LBB94_1556:
	s_cmp_gt_i32 s26, 22
	s_cbranch_scc0 .LBB94_1566
; %bb.1557:
	s_cmp_lt_i32 s26, 24
	s_cbranch_scc1 .LBB94_1567
; %bb.1558:
	s_cmp_gt_i32 s26, 24
	s_cbranch_scc0 .LBB94_1568
; %bb.1559:
	global_load_ubyte v4, v[2:3], off
	s_movk_i32 s4, 0x7f
	s_mov_b64 s[22:23], 0
	s_waitcnt vmcnt(0)
	v_cmp_lt_i16_e32 vcc, s4, v4
	s_and_saveexec_b64 s[4:5], vcc
	s_xor_b64 s[4:5], exec, s[4:5]
; %bb.1560:
	s_movk_i32 s22, 0x80
	v_cmp_ne_u16_e32 vcc, s22, v4
	s_and_b64 s[22:23], vcc, exec
; %bb.1561:
	s_andn2_saveexec_b64 s[4:5], s[4:5]
; %bb.1562:
	v_cmp_ne_u16_e32 vcc, 0, v4
	s_andn2_b64 s[22:23], s[22:23], exec
	s_and_b64 s[24:25], vcc, exec
	s_or_b64 s[22:23], s[22:23], s[24:25]
; %bb.1563:
	s_or_b64 exec, exec, s[4:5]
	v_mov_b32_e32 v0, 0
	v_mov_b32_e32 v1, 0
	s_and_saveexec_b64 s[4:5], s[22:23]
	s_cbranch_execz .LBB94_1565
; %bb.1564:
	v_and_b32_e32 v1, 0xffff, v4
	v_lshlrev_b32_e32 v0, 24, v4
	v_and_b32_e32 v4, 3, v1
	v_ffbh_u32_e32 v7, v4
	v_min_u32_e32 v7, 32, v7
	v_subrev_u32_e32 v8, 29, v7
	v_bfe_u32 v5, v1, 2, 5
	v_lshlrev_b32_e32 v1, v8, v1
	v_sub_u32_e32 v7, 30, v7
	v_and_b32_e32 v1, 3, v1
	v_cmp_eq_u32_e32 vcc, 0, v5
	v_cndmask_b32_e32 v5, v5, v7, vcc
	v_cndmask_b32_e32 v1, v4, v1, vcc
	v_mov_b32_e32 v4, 0x37800000
	v_lshlrev_b32_e32 v1, 21, v1
	v_and_b32_e32 v0, 0x80000000, v0
	v_lshl_add_u32 v4, v5, 23, v4
	v_or3_b32 v0, v0, v4, v1
	v_trunc_f32_e32 v0, v0
	s_mov_b32 s22, 0x2f800000
	v_mul_f32_e64 v1, |v0|, s22
	v_floor_f32_e32 v1, v1
	s_mov_b32 s22, 0xcf800000
	v_fma_f32 v4, v1, s22, |v0|
	v_cvt_u32_f32_e32 v4, v4
	v_cvt_u32_f32_e32 v1, v1
	v_ashrrev_i32_e32 v5, 31, v0
	v_xor_b32_e32 v0, v4, v5
	v_xor_b32_e32 v1, v1, v5
	v_sub_co_u32_e32 v0, vcc, v0, v5
	v_subb_co_u32_e32 v1, vcc, v1, v5, vcc
.LBB94_1565:
	s_or_b64 exec, exec, s[4:5]
	s_mov_b64 s[4:5], 0
	s_branch .LBB94_1569
.LBB94_1566:
                                        ; implicit-def: $vgpr0_vgpr1
	s_mov_b64 s[4:5], 0
	s_branch .LBB94_1575
.LBB94_1567:
	s_mov_b64 s[4:5], -1
                                        ; implicit-def: $vgpr0_vgpr1
	s_branch .LBB94_1572
.LBB94_1568:
	s_mov_b64 s[4:5], -1
                                        ; implicit-def: $vgpr0_vgpr1
.LBB94_1569:
	s_and_b64 vcc, exec, s[4:5]
	s_cbranch_vccz .LBB94_1571
; %bb.1570:
	global_load_ubyte v0, v[2:3], off
	s_mov_b32 s4, 0x7f800000
	s_brev_b32 s5, 1
	s_mov_b32 s22, 0x2f800000
	s_mov_b32 s23, 0xcf800000
	s_waitcnt vmcnt(0)
	v_lshlrev_b32_e32 v0, 24, v0
	v_and_b32_e32 v1, 0x7f000000, v0
	v_ffbh_u32_e32 v4, v1
	v_min_u32_e32 v4, 32, v4
	v_sub_u32_e64 v4, v4, 4 clamp
	v_lshlrev_b32_e32 v7, v4, v1
	v_lshlrev_b32_e32 v4, 23, v4
	v_lshrrev_b32_e32 v7, 4, v7
	v_add_u32_e32 v5, 0x1000000, v1
	v_sub_u32_e32 v4, v7, v4
	v_ashrrev_i32_e32 v5, 8, v5
	v_add_u32_e32 v4, 0x3c000000, v4
	v_and_or_b32 v4, v5, s4, v4
	v_cmp_ne_u32_e32 vcc, 0, v1
	v_cndmask_b32_e32 v1, 0, v4, vcc
	v_and_or_b32 v0, v0, s5, v1
	v_trunc_f32_e32 v0, v0
	v_mul_f32_e64 v1, |v0|, s22
	v_floor_f32_e32 v1, v1
	v_fma_f32 v4, v1, s23, |v0|
	v_cvt_u32_f32_e32 v4, v4
	v_cvt_u32_f32_e32 v1, v1
	v_ashrrev_i32_e32 v5, 31, v0
	v_xor_b32_e32 v0, v4, v5
	v_xor_b32_e32 v1, v1, v5
	v_sub_co_u32_e32 v0, vcc, v0, v5
	v_subb_co_u32_e32 v1, vcc, v1, v5, vcc
.LBB94_1571:
	s_mov_b64 s[4:5], 0
.LBB94_1572:
	s_andn2_b64 vcc, exec, s[4:5]
	s_cbranch_vccnz .LBB94_1574
; %bb.1573:
	global_load_ubyte v0, v[2:3], off
	s_movk_i32 s4, 0x7f00
	s_brev_b32 s5, 16
	s_brev_b32 s22, 1
	s_mov_b32 s23, 0x2f800000
	s_mov_b32 s24, 0xcf800000
	s_waitcnt vmcnt(0)
	v_lshlrev_b16_e32 v1, 8, v0
	v_lshlrev_b32_e32 v0, 25, v0
	v_lshrrev_b32_e32 v4, 4, v0
	v_and_or_b32 v5, v1, s4, 0.5
	v_or_b32_e32 v4, 0x70000000, v4
	v_add_f32_e32 v5, -0.5, v5
	v_mul_f32_e32 v4, 0x7800000, v4
	v_cmp_gt_u32_e32 vcc, s5, v0
	v_bfe_i32 v1, v1, 0, 16
	v_cndmask_b32_e32 v0, v4, v5, vcc
	v_and_or_b32 v0, v1, s22, v0
	v_trunc_f32_e32 v0, v0
	v_mul_f32_e64 v1, |v0|, s23
	v_floor_f32_e32 v1, v1
	v_fma_f32 v4, v1, s24, |v0|
	v_cvt_u32_f32_e32 v4, v4
	v_cvt_u32_f32_e32 v1, v1
	v_ashrrev_i32_e32 v5, 31, v0
	v_xor_b32_e32 v0, v4, v5
	v_xor_b32_e32 v1, v1, v5
	v_sub_co_u32_e32 v0, vcc, v0, v5
	v_subb_co_u32_e32 v1, vcc, v1, v5, vcc
.LBB94_1574:
	s_mov_b64 s[24:25], -1
	s_mov_b64 s[4:5], 0
	s_cbranch_execnz .LBB94_1583
.LBB94_1575:
	s_cmp_gt_i32 s26, 14
	s_cbranch_scc0 .LBB94_1578
; %bb.1576:
	s_cmp_eq_u32 s26, 15
	s_cbranch_scc0 .LBB94_1579
; %bb.1577:
	global_load_ushort v0, v[2:3], off
	s_mov_b32 s0, 0x2f800000
	s_mov_b32 s1, 0xcf800000
	s_mov_b64 s[24:25], -1
	s_waitcnt vmcnt(0)
	v_lshlrev_b32_e32 v0, 16, v0
	v_trunc_f32_e32 v0, v0
	v_mul_f32_e64 v1, |v0|, s0
	v_floor_f32_e32 v1, v1
	v_fma_f32 v4, v1, s1, |v0|
	v_cvt_u32_f32_e32 v4, v4
	v_cvt_u32_f32_e32 v1, v1
	v_ashrrev_i32_e32 v5, 31, v0
	s_mov_b64 s[0:1], 0
	v_xor_b32_e32 v0, v4, v5
	v_xor_b32_e32 v1, v1, v5
	v_sub_co_u32_e32 v0, vcc, v0, v5
	v_subb_co_u32_e32 v1, vcc, v1, v5, vcc
	s_branch .LBB94_1580
.LBB94_1578:
	s_mov_b64 s[22:23], -1
                                        ; implicit-def: $vgpr0_vgpr1
	s_branch .LBB94_1581
.LBB94_1579:
	s_mov_b64 s[0:1], -1
                                        ; implicit-def: $vgpr0_vgpr1
.LBB94_1580:
	s_mov_b64 s[22:23], 0
.LBB94_1581:
	s_and_b64 vcc, exec, s[22:23]
	s_cbranch_vccz .LBB94_1583
; %bb.1582:
	s_cmp_lg_u32 s26, 11
	s_mov_b64 s[4:5], -1
	s_cselect_b64 s[0:1], -1, 0
.LBB94_1583:
	s_and_b64 vcc, exec, s[0:1]
	s_mov_b64 s[22:23], s[20:21]
	s_cbranch_vccnz .LBB94_1644
; %bb.1584:
	s_andn2_b64 vcc, exec, s[4:5]
	s_cbranch_vccnz .LBB94_1586
.LBB94_1585:
	global_load_ubyte v0, v[2:3], off
	s_mov_b32 s0, 0
	s_waitcnt vmcnt(1)
	v_mov_b32_e32 v1, s0
	s_mov_b64 s[24:25], -1
	s_waitcnt vmcnt(0)
	v_cmp_ne_u16_e32 vcc, 0, v0
	v_cndmask_b32_e64 v0, 0, 1, vcc
.LBB94_1586:
	s_branch .LBB94_1521
.LBB94_1587:
	s_and_b32 s4, 0xffff, s28
	s_cmp_lt_i32 s4, 5
	s_cbranch_scc1 .LBB94_1592
; %bb.1588:
	s_cmp_lt_i32 s4, 8
	s_cbranch_scc1 .LBB94_1593
; %bb.1589:
	;; [unrolled: 3-line block ×3, first 2 shown]
	s_cmp_gt_i32 s4, 9
	s_cbranch_scc0 .LBB94_1595
; %bb.1591:
	global_load_dwordx2 v[0:1], v[2:3], off
	s_movk_i32 s0, 0xffe0
	s_waitcnt vmcnt(0)
	v_trunc_f64_e32 v[0:1], v[0:1]
	v_ldexp_f64 v[4:5], v[0:1], s0
	s_mov_b32 s0, 0
	s_mov_b32 s1, 0xc1f00000
	v_floor_f64_e32 v[4:5], v[4:5]
	v_fma_f64 v[7:8], v[4:5], s[0:1], v[0:1]
	v_cvt_i32_f64_e32 v1, v[4:5]
	s_mov_b64 s[0:1], 0
	v_cvt_u32_f64_e32 v0, v[7:8]
	s_branch .LBB94_1596
.LBB94_1592:
                                        ; implicit-def: $vgpr0_vgpr1
	s_branch .LBB94_1613
.LBB94_1593:
                                        ; implicit-def: $vgpr0_vgpr1
	s_branch .LBB94_1602
.LBB94_1594:
	s_mov_b64 s[0:1], -1
                                        ; implicit-def: $vgpr0_vgpr1
	s_branch .LBB94_1599
.LBB94_1595:
	s_mov_b64 s[0:1], -1
                                        ; implicit-def: $vgpr0_vgpr1
.LBB94_1596:
	s_andn2_b64 vcc, exec, s[0:1]
	s_cbranch_vccnz .LBB94_1598
; %bb.1597:
	global_load_dword v0, v[2:3], off
	s_mov_b32 s0, 0x2f800000
	s_mov_b32 s1, 0xcf800000
	s_waitcnt vmcnt(0)
	v_trunc_f32_e32 v0, v0
	v_mul_f32_e64 v1, |v0|, s0
	v_floor_f32_e32 v1, v1
	v_cvt_u32_f32_e32 v4, v1
	v_fma_f32 v1, v1, s1, |v0|
	v_cvt_u32_f32_e32 v1, v1
	v_ashrrev_i32_e32 v5, 31, v0
	v_xor_b32_e32 v4, v4, v5
	v_xor_b32_e32 v0, v1, v5
	v_sub_co_u32_e32 v0, vcc, v0, v5
	v_subb_co_u32_e32 v1, vcc, v4, v5, vcc
.LBB94_1598:
	s_mov_b64 s[0:1], 0
.LBB94_1599:
	s_andn2_b64 vcc, exec, s[0:1]
	s_cbranch_vccnz .LBB94_1601
; %bb.1600:
	global_load_dword v0, v[2:3], off
	s_waitcnt vmcnt(0)
	v_cvt_f32_f16_e32 v0, v0
	v_cvt_i32_f32_e32 v0, v0
	v_ashrrev_i32_e32 v1, 31, v0
.LBB94_1601:
	s_cbranch_execnz .LBB94_1612
.LBB94_1602:
	s_cmp_lt_i32 s4, 6
	s_cbranch_scc1 .LBB94_1605
; %bb.1603:
	s_cmp_gt_i32 s4, 6
	s_cbranch_scc0 .LBB94_1606
; %bb.1604:
	global_load_dwordx2 v[0:1], v[2:3], off
	s_movk_i32 s0, 0xffe0
	s_waitcnt vmcnt(0)
	v_trunc_f64_e32 v[0:1], v[0:1]
	v_ldexp_f64 v[4:5], v[0:1], s0
	s_mov_b32 s0, 0
	s_mov_b32 s1, 0xc1f00000
	v_floor_f64_e32 v[4:5], v[4:5]
	v_fma_f64 v[7:8], v[4:5], s[0:1], v[0:1]
	v_cvt_i32_f64_e32 v1, v[4:5]
	s_mov_b64 s[0:1], 0
	v_cvt_u32_f64_e32 v0, v[7:8]
	s_branch .LBB94_1607
.LBB94_1605:
	s_mov_b64 s[0:1], -1
                                        ; implicit-def: $vgpr0_vgpr1
	s_branch .LBB94_1610
.LBB94_1606:
	s_mov_b64 s[0:1], -1
                                        ; implicit-def: $vgpr0_vgpr1
.LBB94_1607:
	s_andn2_b64 vcc, exec, s[0:1]
	s_cbranch_vccnz .LBB94_1609
; %bb.1608:
	global_load_dword v0, v[2:3], off
	s_mov_b32 s0, 0x2f800000
	s_mov_b32 s1, 0xcf800000
	s_waitcnt vmcnt(0)
	v_trunc_f32_e32 v0, v0
	v_mul_f32_e64 v1, |v0|, s0
	v_floor_f32_e32 v1, v1
	v_cvt_u32_f32_e32 v4, v1
	v_fma_f32 v1, v1, s1, |v0|
	v_cvt_u32_f32_e32 v1, v1
	v_ashrrev_i32_e32 v5, 31, v0
	v_xor_b32_e32 v4, v4, v5
	v_xor_b32_e32 v0, v1, v5
	v_sub_co_u32_e32 v0, vcc, v0, v5
	v_subb_co_u32_e32 v1, vcc, v4, v5, vcc
.LBB94_1609:
	s_mov_b64 s[0:1], 0
.LBB94_1610:
	s_andn2_b64 vcc, exec, s[0:1]
	s_cbranch_vccnz .LBB94_1612
; %bb.1611:
	global_load_ushort v0, v[2:3], off
	s_waitcnt vmcnt(0)
	v_cvt_f32_f16_e32 v0, v0
	v_cvt_i32_f32_e32 v0, v0
	v_ashrrev_i32_e32 v1, 31, v0
.LBB94_1612:
	s_cbranch_execnz .LBB94_1631
.LBB94_1613:
	s_cmp_lt_i32 s4, 2
	s_cbranch_scc1 .LBB94_1617
; %bb.1614:
	s_cmp_lt_i32 s4, 3
	s_cbranch_scc1 .LBB94_1618
; %bb.1615:
	s_cmp_gt_i32 s4, 3
	s_cbranch_scc0 .LBB94_1619
; %bb.1616:
	global_load_dwordx2 v[0:1], v[2:3], off
	s_mov_b64 s[0:1], 0
	s_branch .LBB94_1620
.LBB94_1617:
                                        ; implicit-def: $vgpr0_vgpr1
	s_branch .LBB94_1626
.LBB94_1618:
	s_mov_b64 s[0:1], -1
                                        ; implicit-def: $vgpr0_vgpr1
	s_branch .LBB94_1623
.LBB94_1619:
	s_mov_b64 s[0:1], -1
                                        ; implicit-def: $vgpr0_vgpr1
.LBB94_1620:
	s_andn2_b64 vcc, exec, s[0:1]
	s_cbranch_vccnz .LBB94_1622
; %bb.1621:
	global_load_dword v0, v[2:3], off
	s_waitcnt vmcnt(0)
	v_ashrrev_i32_e32 v1, 31, v0
.LBB94_1622:
	s_mov_b64 s[0:1], 0
.LBB94_1623:
	s_andn2_b64 vcc, exec, s[0:1]
	s_cbranch_vccnz .LBB94_1625
; %bb.1624:
	global_load_ushort v0, v[2:3], off
	s_waitcnt vmcnt(0)
	v_bfe_i32 v0, v0, 0, 16
	v_ashrrev_i32_e32 v1, 31, v0
.LBB94_1625:
	s_cbranch_execnz .LBB94_1631
.LBB94_1626:
	s_cmp_gt_i32 s4, 0
	s_cbranch_scc0 .LBB94_1628
; %bb.1627:
	global_load_sbyte v0, v[2:3], off
	s_mov_b64 s[0:1], 0
	s_waitcnt vmcnt(0)
	v_bfe_i32 v0, v0, 0, 16
	v_ashrrev_i32_e32 v1, 31, v0
	s_branch .LBB94_1629
.LBB94_1628:
	s_mov_b64 s[0:1], -1
                                        ; implicit-def: $vgpr0_vgpr1
.LBB94_1629:
	s_andn2_b64 vcc, exec, s[0:1]
	s_cbranch_vccnz .LBB94_1631
; %bb.1630:
	global_load_ubyte v0, v[2:3], off
	s_mov_b32 s0, 0
	s_waitcnt vmcnt(1)
	v_mov_b32_e32 v1, s0
	s_waitcnt vmcnt(0)
	v_and_b32_e32 v0, 0xffff, v0
.LBB94_1631:
.LBB94_1632:
	v_mul_lo_u32 v8, s10, v18
	v_mov_b32_e32 v2, s3
	s_and_b32 s29, s11, 0xff
	s_cmp_lt_i32 s29, 11
	v_ashrrev_i32_e32 v3, 31, v8
	v_add_co_u32_e32 v4, vcc, s2, v8
	v_addc_co_u32_e32 v5, vcc, v2, v3, vcc
	s_cbranch_scc1 .LBB94_1639
; %bb.1633:
	s_and_b32 s11, 0xffff, s29
	s_cmp_gt_i32 s11, 25
	s_mov_b64 s[4:5], 0
	s_cbranch_scc0 .LBB94_1641
; %bb.1634:
	s_cmp_gt_i32 s11, 28
	s_cbranch_scc0 .LBB94_1642
; %bb.1635:
	s_cmp_gt_i32 s11, 43
	;; [unrolled: 3-line block ×3, first 2 shown]
	s_cbranch_scc0 .LBB94_1645
; %bb.1637:
	s_cmp_eq_u32 s11, 46
	s_mov_b64 s[26:27], 0
	s_cbranch_scc0 .LBB94_1648
; %bb.1638:
	global_load_dword v2, v[4:5], off
	s_mov_b32 s0, 0x2f800000
	s_mov_b32 s1, 0xcf800000
	s_mov_b64 s[24:25], -1
	s_waitcnt vmcnt(0)
	v_lshlrev_b32_e32 v2, 16, v2
	v_trunc_f32_e32 v2, v2
	v_mul_f32_e64 v3, |v2|, s0
	v_floor_f32_e32 v3, v3
	v_fma_f32 v7, v3, s1, |v2|
	v_cvt_u32_f32_e32 v7, v7
	v_cvt_u32_f32_e32 v3, v3
	v_ashrrev_i32_e32 v9, 31, v2
	s_mov_b64 s[0:1], 0
	v_xor_b32_e32 v2, v7, v9
	v_xor_b32_e32 v3, v3, v9
	v_sub_co_u32_e32 v2, vcc, v2, v9
	v_subb_co_u32_e32 v3, vcc, v3, v9, vcc
	s_branch .LBB94_1649
.LBB94_1639:
	s_mov_b64 s[24:25], 0
                                        ; implicit-def: $vgpr2_vgpr3
	s_cbranch_execnz .LBB94_1710
.LBB94_1640:
	s_andn2_b64 vcc, exec, s[24:25]
	s_cbranch_vccnz .LBB94_2947
	s_branch .LBB94_1757
.LBB94_1641:
	s_mov_b64 s[24:25], 0
	s_mov_b64 s[0:1], 0
                                        ; implicit-def: $vgpr2_vgpr3
	s_cbranch_execnz .LBB94_1678
	s_branch .LBB94_1706
.LBB94_1642:
	s_mov_b64 s[26:27], -1
	s_mov_b64 s[24:25], 0
	s_mov_b64 s[0:1], 0
                                        ; implicit-def: $vgpr2_vgpr3
	s_branch .LBB94_1659
.LBB94_1643:
	s_mov_b64 s[26:27], -1
	s_mov_b64 s[24:25], 0
	s_mov_b64 s[0:1], 0
                                        ; implicit-def: $vgpr2_vgpr3
	s_branch .LBB94_1654
.LBB94_1644:
	s_or_b64 s[22:23], s[20:21], exec
	s_trap 2
	s_cbranch_execz .LBB94_1585
	s_branch .LBB94_1586
.LBB94_1645:
	s_mov_b64 s[26:27], -1
	s_mov_b64 s[24:25], 0
	s_mov_b64 s[0:1], 0
                                        ; implicit-def: $vgpr2_vgpr3
	s_branch .LBB94_1649
.LBB94_1646:
	s_andn2_saveexec_b64 s[34:35], s[34:35]
	s_cbranch_execz .LBB94_1437
.LBB94_1647:
	s_mov_b32 s38, 0x42800000
	v_add_f32_e64 v1, |v0|, s38
	v_and_b32_e32 v1, 0xff, v1
	v_cmp_ne_u32_e32 vcc, 0, v1
	s_andn2_b64 s[30:31], s[30:31], exec
	s_and_b64 s[38:39], vcc, exec
	s_or_b64 s[30:31], s[30:31], s[38:39]
	s_or_b64 exec, exec, s[34:35]
	v_mov_b32_e32 v6, 0
	s_and_saveexec_b64 s[34:35], s[30:31]
	s_cbranch_execnz .LBB94_1438
	s_branch .LBB94_1439
.LBB94_1648:
	s_mov_b64 s[0:1], -1
                                        ; implicit-def: $vgpr2_vgpr3
	s_mov_b64 s[24:25], 0
.LBB94_1649:
	s_and_b64 vcc, exec, s[26:27]
	s_cbranch_vccz .LBB94_1653
; %bb.1650:
	s_cmp_eq_u32 s11, 44
	s_cbranch_scc0 .LBB94_1652
; %bb.1651:
	global_load_ubyte v2, v[4:5], off
	s_mov_b32 s0, 0x2f800000
	s_mov_b32 s1, 0xcf800000
	s_mov_b64 s[24:25], -1
	s_waitcnt vmcnt(0)
	v_lshlrev_b32_e32 v3, 23, v2
	v_trunc_f32_e32 v3, v3
	v_mul_f32_e64 v7, |v3|, s0
	v_floor_f32_e32 v7, v7
	v_fma_f32 v9, v7, s1, |v3|
	v_cvt_u32_f32_e32 v9, v9
	v_cvt_u32_f32_e32 v7, v7
	v_ashrrev_i32_e32 v3, 31, v3
	s_mov_b64 s[0:1], 0
	v_xor_b32_e32 v9, v9, v3
	v_xor_b32_e32 v7, v7, v3
	v_sub_co_u32_e32 v9, vcc, v9, v3
	v_subb_co_u32_e32 v3, vcc, v7, v3, vcc
	v_cmp_ne_u32_e32 vcc, 0, v2
	v_cndmask_b32_e32 v3, 0, v3, vcc
	v_cndmask_b32_e32 v2, 0, v9, vcc
	s_branch .LBB94_1653
.LBB94_1652:
	s_mov_b64 s[0:1], -1
                                        ; implicit-def: $vgpr2_vgpr3
.LBB94_1653:
	s_mov_b64 s[26:27], 0
.LBB94_1654:
	s_and_b64 vcc, exec, s[26:27]
	s_cbranch_vccz .LBB94_1658
; %bb.1655:
	s_cmp_eq_u32 s11, 29
	s_cbranch_scc0 .LBB94_1657
; %bb.1656:
	global_load_dwordx2 v[2:3], v[4:5], off
	s_mov_b64 s[0:1], 0
	s_mov_b64 s[24:25], -1
	s_branch .LBB94_1658
.LBB94_1657:
	s_mov_b64 s[0:1], -1
                                        ; implicit-def: $vgpr2_vgpr3
.LBB94_1658:
	s_mov_b64 s[26:27], 0
.LBB94_1659:
	s_and_b64 vcc, exec, s[26:27]
	s_cbranch_vccz .LBB94_1677
; %bb.1660:
	s_cmp_lt_i32 s11, 27
	s_cbranch_scc1 .LBB94_1663
; %bb.1661:
	s_cmp_gt_i32 s11, 27
	s_cbranch_scc0 .LBB94_1664
; %bb.1662:
	global_load_dword v2, v[4:5], off
	s_waitcnt vmcnt(1)
	v_mov_b32_e32 v3, 0
	s_mov_b64 s[24:25], 0
	s_branch .LBB94_1665
.LBB94_1663:
	s_mov_b64 s[24:25], -1
                                        ; implicit-def: $vgpr2_vgpr3
	s_branch .LBB94_1668
.LBB94_1664:
	s_mov_b64 s[24:25], -1
                                        ; implicit-def: $vgpr2_vgpr3
.LBB94_1665:
	s_andn2_b64 vcc, exec, s[24:25]
	s_cbranch_vccnz .LBB94_1667
; %bb.1666:
	global_load_ushort v2, v[4:5], off
	s_mov_b32 s24, 0
	s_waitcnt vmcnt(1)
	v_mov_b32_e32 v3, s24
	s_waitcnt vmcnt(0)
	v_and_b32_e32 v2, 0xffff, v2
.LBB94_1667:
	s_mov_b64 s[24:25], 0
.LBB94_1668:
	s_andn2_b64 vcc, exec, s[24:25]
	s_cbranch_vccnz .LBB94_1676
; %bb.1669:
	global_load_ubyte v7, v[4:5], off
	s_movk_i32 s24, 0x7f
	s_mov_b64 s[26:27], 0
	s_waitcnt vmcnt(0)
	v_cmp_lt_i16_e32 vcc, s24, v7
	s_and_saveexec_b64 s[24:25], vcc
	s_xor_b64 s[24:25], exec, s[24:25]
; %bb.1670:
	s_movk_i32 s26, 0x80
	v_cmp_ne_u16_e32 vcc, s26, v7
	s_and_b64 s[26:27], vcc, exec
; %bb.1671:
	s_andn2_saveexec_b64 s[24:25], s[24:25]
; %bb.1672:
	v_cmp_ne_u16_e32 vcc, 0, v7
	s_andn2_b64 s[26:27], s[26:27], exec
	s_and_b64 s[30:31], vcc, exec
	s_or_b64 s[26:27], s[26:27], s[30:31]
; %bb.1673:
	s_or_b64 exec, exec, s[24:25]
	v_mov_b32_e32 v2, 0
	v_mov_b32_e32 v3, 0
	s_and_saveexec_b64 s[24:25], s[26:27]
	s_cbranch_execz .LBB94_1675
; %bb.1674:
	v_and_b32_e32 v3, 0xffff, v7
	v_lshlrev_b32_e32 v2, 24, v7
	v_and_b32_e32 v7, 7, v3
	v_ffbh_u32_e32 v10, v7
	v_min_u32_e32 v10, 32, v10
	v_subrev_u32_e32 v11, 28, v10
	v_bfe_u32 v9, v3, 3, 4
	v_lshlrev_b32_e32 v3, v11, v3
	v_sub_u32_e32 v10, 29, v10
	v_and_b32_e32 v3, 7, v3
	v_cmp_eq_u32_e32 vcc, 0, v9
	v_cndmask_b32_e32 v9, v9, v10, vcc
	v_cndmask_b32_e32 v3, v7, v3, vcc
	v_mov_b32_e32 v7, 0x3b800000
	v_lshlrev_b32_e32 v3, 20, v3
	v_and_b32_e32 v2, 0x80000000, v2
	v_lshl_add_u32 v7, v9, 23, v7
	v_or3_b32 v2, v2, v7, v3
	v_trunc_f32_e32 v2, v2
	s_mov_b32 s26, 0x2f800000
	v_mul_f32_e64 v3, |v2|, s26
	v_floor_f32_e32 v3, v3
	s_mov_b32 s26, 0xcf800000
	v_fma_f32 v7, v3, s26, |v2|
	v_cvt_u32_f32_e32 v7, v7
	v_cvt_u32_f32_e32 v3, v3
	v_ashrrev_i32_e32 v9, 31, v2
	v_xor_b32_e32 v2, v7, v9
	v_xor_b32_e32 v3, v3, v9
	v_sub_co_u32_e32 v2, vcc, v2, v9
	v_subb_co_u32_e32 v3, vcc, v3, v9, vcc
.LBB94_1675:
	s_or_b64 exec, exec, s[24:25]
.LBB94_1676:
	s_mov_b64 s[24:25], -1
.LBB94_1677:
	s_branch .LBB94_1706
.LBB94_1678:
	s_cmp_gt_i32 s11, 22
	s_cbranch_scc0 .LBB94_1688
; %bb.1679:
	s_cmp_lt_i32 s11, 24
	s_cbranch_scc1 .LBB94_1689
; %bb.1680:
	s_cmp_gt_i32 s11, 24
	s_cbranch_scc0 .LBB94_1690
; %bb.1681:
	global_load_ubyte v7, v[4:5], off
	s_movk_i32 s4, 0x7f
	s_mov_b64 s[24:25], 0
	s_waitcnt vmcnt(0)
	v_cmp_lt_i16_e32 vcc, s4, v7
	s_and_saveexec_b64 s[4:5], vcc
	s_xor_b64 s[4:5], exec, s[4:5]
; %bb.1682:
	s_movk_i32 s24, 0x80
	v_cmp_ne_u16_e32 vcc, s24, v7
	s_and_b64 s[24:25], vcc, exec
; %bb.1683:
	s_andn2_saveexec_b64 s[4:5], s[4:5]
; %bb.1684:
	v_cmp_ne_u16_e32 vcc, 0, v7
	s_andn2_b64 s[24:25], s[24:25], exec
	s_and_b64 s[26:27], vcc, exec
	s_or_b64 s[24:25], s[24:25], s[26:27]
; %bb.1685:
	s_or_b64 exec, exec, s[4:5]
	v_mov_b32_e32 v2, 0
	v_mov_b32_e32 v3, 0
	s_and_saveexec_b64 s[4:5], s[24:25]
	s_cbranch_execz .LBB94_1687
; %bb.1686:
	v_and_b32_e32 v3, 0xffff, v7
	v_lshlrev_b32_e32 v2, 24, v7
	v_and_b32_e32 v7, 3, v3
	v_ffbh_u32_e32 v10, v7
	v_min_u32_e32 v10, 32, v10
	v_subrev_u32_e32 v11, 29, v10
	v_bfe_u32 v9, v3, 2, 5
	v_lshlrev_b32_e32 v3, v11, v3
	v_sub_u32_e32 v10, 30, v10
	v_and_b32_e32 v3, 3, v3
	v_cmp_eq_u32_e32 vcc, 0, v9
	v_cndmask_b32_e32 v9, v9, v10, vcc
	v_cndmask_b32_e32 v3, v7, v3, vcc
	v_mov_b32_e32 v7, 0x37800000
	v_lshlrev_b32_e32 v3, 21, v3
	v_and_b32_e32 v2, 0x80000000, v2
	v_lshl_add_u32 v7, v9, 23, v7
	v_or3_b32 v2, v2, v7, v3
	v_trunc_f32_e32 v2, v2
	s_mov_b32 s24, 0x2f800000
	v_mul_f32_e64 v3, |v2|, s24
	v_floor_f32_e32 v3, v3
	s_mov_b32 s24, 0xcf800000
	v_fma_f32 v7, v3, s24, |v2|
	v_cvt_u32_f32_e32 v7, v7
	v_cvt_u32_f32_e32 v3, v3
	v_ashrrev_i32_e32 v9, 31, v2
	v_xor_b32_e32 v2, v7, v9
	v_xor_b32_e32 v3, v3, v9
	v_sub_co_u32_e32 v2, vcc, v2, v9
	v_subb_co_u32_e32 v3, vcc, v3, v9, vcc
.LBB94_1687:
	s_or_b64 exec, exec, s[4:5]
	s_mov_b64 s[4:5], 0
	s_branch .LBB94_1691
.LBB94_1688:
	s_mov_b64 s[4:5], -1
                                        ; implicit-def: $vgpr2_vgpr3
	s_branch .LBB94_1697
.LBB94_1689:
	s_mov_b64 s[4:5], -1
                                        ; implicit-def: $vgpr2_vgpr3
	s_branch .LBB94_1694
.LBB94_1690:
	s_mov_b64 s[4:5], -1
                                        ; implicit-def: $vgpr2_vgpr3
.LBB94_1691:
	s_and_b64 vcc, exec, s[4:5]
	s_cbranch_vccz .LBB94_1693
; %bb.1692:
	global_load_ubyte v2, v[4:5], off
	s_mov_b32 s4, 0x7f800000
	s_brev_b32 s5, 1
	s_mov_b32 s24, 0x2f800000
	s_mov_b32 s25, 0xcf800000
	s_waitcnt vmcnt(0)
	v_lshlrev_b32_e32 v2, 24, v2
	v_and_b32_e32 v3, 0x7f000000, v2
	v_ffbh_u32_e32 v7, v3
	v_min_u32_e32 v7, 32, v7
	v_sub_u32_e64 v7, v7, 4 clamp
	v_lshlrev_b32_e32 v10, v7, v3
	v_lshlrev_b32_e32 v7, 23, v7
	v_lshrrev_b32_e32 v10, 4, v10
	v_add_u32_e32 v9, 0x1000000, v3
	v_sub_u32_e32 v7, v10, v7
	v_ashrrev_i32_e32 v9, 8, v9
	v_add_u32_e32 v7, 0x3c000000, v7
	v_and_or_b32 v7, v9, s4, v7
	v_cmp_ne_u32_e32 vcc, 0, v3
	v_cndmask_b32_e32 v3, 0, v7, vcc
	v_and_or_b32 v2, v2, s5, v3
	v_trunc_f32_e32 v2, v2
	v_mul_f32_e64 v3, |v2|, s24
	v_floor_f32_e32 v3, v3
	v_fma_f32 v7, v3, s25, |v2|
	v_cvt_u32_f32_e32 v7, v7
	v_cvt_u32_f32_e32 v3, v3
	v_ashrrev_i32_e32 v9, 31, v2
	v_xor_b32_e32 v2, v7, v9
	v_xor_b32_e32 v3, v3, v9
	v_sub_co_u32_e32 v2, vcc, v2, v9
	v_subb_co_u32_e32 v3, vcc, v3, v9, vcc
.LBB94_1693:
	s_mov_b64 s[4:5], 0
.LBB94_1694:
	s_andn2_b64 vcc, exec, s[4:5]
	s_cbranch_vccnz .LBB94_1696
; %bb.1695:
	global_load_ubyte v2, v[4:5], off
	s_movk_i32 s4, 0x7f00
	s_brev_b32 s5, 16
	s_brev_b32 s24, 1
	s_mov_b32 s25, 0x2f800000
	s_mov_b32 s26, 0xcf800000
	s_waitcnt vmcnt(0)
	v_lshlrev_b16_e32 v3, 8, v2
	v_lshlrev_b32_e32 v2, 25, v2
	v_lshrrev_b32_e32 v7, 4, v2
	v_and_or_b32 v9, v3, s4, 0.5
	v_or_b32_e32 v7, 0x70000000, v7
	v_add_f32_e32 v9, -0.5, v9
	v_mul_f32_e32 v7, 0x7800000, v7
	v_cmp_gt_u32_e32 vcc, s5, v2
	v_bfe_i32 v3, v3, 0, 16
	v_cndmask_b32_e32 v2, v7, v9, vcc
	v_and_or_b32 v2, v3, s24, v2
	v_trunc_f32_e32 v2, v2
	v_mul_f32_e64 v3, |v2|, s25
	v_floor_f32_e32 v3, v3
	v_fma_f32 v7, v3, s26, |v2|
	v_cvt_u32_f32_e32 v7, v7
	v_cvt_u32_f32_e32 v3, v3
	v_ashrrev_i32_e32 v9, 31, v2
	v_xor_b32_e32 v2, v7, v9
	v_xor_b32_e32 v3, v3, v9
	v_sub_co_u32_e32 v2, vcc, v2, v9
	v_subb_co_u32_e32 v3, vcc, v3, v9, vcc
.LBB94_1696:
	s_mov_b64 s[4:5], 0
	s_mov_b64 s[24:25], -1
.LBB94_1697:
	s_andn2_b64 vcc, exec, s[4:5]
	s_mov_b64 s[4:5], 0
	s_cbranch_vccnz .LBB94_1706
; %bb.1698:
	s_cmp_gt_i32 s11, 14
	s_cbranch_scc0 .LBB94_1701
; %bb.1699:
	s_cmp_eq_u32 s11, 15
	s_cbranch_scc0 .LBB94_1702
; %bb.1700:
	global_load_ushort v2, v[4:5], off
	s_mov_b32 s0, 0x2f800000
	s_mov_b32 s1, 0xcf800000
	s_mov_b64 s[24:25], -1
	s_waitcnt vmcnt(0)
	v_lshlrev_b32_e32 v2, 16, v2
	v_trunc_f32_e32 v2, v2
	v_mul_f32_e64 v3, |v2|, s0
	v_floor_f32_e32 v3, v3
	v_fma_f32 v7, v3, s1, |v2|
	v_cvt_u32_f32_e32 v7, v7
	v_cvt_u32_f32_e32 v3, v3
	v_ashrrev_i32_e32 v9, 31, v2
	s_mov_b64 s[0:1], 0
	v_xor_b32_e32 v2, v7, v9
	v_xor_b32_e32 v3, v3, v9
	v_sub_co_u32_e32 v2, vcc, v2, v9
	v_subb_co_u32_e32 v3, vcc, v3, v9, vcc
	s_branch .LBB94_1703
.LBB94_1701:
	s_mov_b64 s[26:27], -1
                                        ; implicit-def: $vgpr2_vgpr3
	s_branch .LBB94_1704
.LBB94_1702:
	s_mov_b64 s[0:1], -1
                                        ; implicit-def: $vgpr2_vgpr3
.LBB94_1703:
	s_mov_b64 s[26:27], 0
.LBB94_1704:
	s_and_b64 vcc, exec, s[26:27]
	s_cbranch_vccz .LBB94_1706
; %bb.1705:
	s_cmp_lg_u32 s11, 11
	s_mov_b64 s[4:5], -1
	s_cselect_b64 s[0:1], -1, 0
.LBB94_1706:
	s_and_b64 vcc, exec, s[0:1]
	s_cbranch_vccnz .LBB94_1769
; %bb.1707:
	s_andn2_b64 vcc, exec, s[4:5]
	s_cbranch_vccnz .LBB94_1709
.LBB94_1708:
	global_load_ubyte v2, v[4:5], off
	s_mov_b32 s0, 0
	s_waitcnt vmcnt(1)
	v_mov_b32_e32 v3, s0
	s_mov_b64 s[24:25], -1
	s_waitcnt vmcnt(0)
	v_cmp_ne_u16_e32 vcc, 0, v2
	v_cndmask_b32_e64 v2, 0, 1, vcc
.LBB94_1709:
	s_branch .LBB94_1640
.LBB94_1710:
	s_and_b32 s4, 0xffff, s29
	s_cmp_lt_i32 s4, 5
	s_cbranch_scc1 .LBB94_1715
; %bb.1711:
	s_cmp_lt_i32 s4, 8
	s_cbranch_scc1 .LBB94_1716
; %bb.1712:
	;; [unrolled: 3-line block ×3, first 2 shown]
	s_cmp_gt_i32 s4, 9
	s_cbranch_scc0 .LBB94_1718
; %bb.1714:
	global_load_dwordx2 v[2:3], v[4:5], off
	s_movk_i32 s0, 0xffe0
	s_waitcnt vmcnt(0)
	v_trunc_f64_e32 v[2:3], v[2:3]
	v_ldexp_f64 v[9:10], v[2:3], s0
	s_mov_b32 s0, 0
	s_mov_b32 s1, 0xc1f00000
	v_floor_f64_e32 v[9:10], v[9:10]
	v_fma_f64 v[11:12], v[9:10], s[0:1], v[2:3]
	v_cvt_i32_f64_e32 v3, v[9:10]
	s_mov_b64 s[0:1], 0
	v_cvt_u32_f64_e32 v2, v[11:12]
	s_branch .LBB94_1719
.LBB94_1715:
                                        ; implicit-def: $vgpr2_vgpr3
	s_branch .LBB94_1737
.LBB94_1716:
	s_mov_b64 s[0:1], -1
                                        ; implicit-def: $vgpr2_vgpr3
	s_branch .LBB94_1725
.LBB94_1717:
	s_mov_b64 s[0:1], -1
                                        ; implicit-def: $vgpr2_vgpr3
	s_branch .LBB94_1722
.LBB94_1718:
	s_mov_b64 s[0:1], -1
                                        ; implicit-def: $vgpr2_vgpr3
.LBB94_1719:
	s_andn2_b64 vcc, exec, s[0:1]
	s_cbranch_vccnz .LBB94_1721
; %bb.1720:
	global_load_dword v2, v[4:5], off
	s_mov_b32 s0, 0x2f800000
	s_mov_b32 s1, 0xcf800000
	s_waitcnt vmcnt(0)
	v_trunc_f32_e32 v2, v2
	v_mul_f32_e64 v3, |v2|, s0
	v_floor_f32_e32 v3, v3
	v_cvt_u32_f32_e32 v7, v3
	v_fma_f32 v3, v3, s1, |v2|
	v_cvt_u32_f32_e32 v3, v3
	v_ashrrev_i32_e32 v9, 31, v2
	v_xor_b32_e32 v7, v7, v9
	v_xor_b32_e32 v2, v3, v9
	v_sub_co_u32_e32 v2, vcc, v2, v9
	v_subb_co_u32_e32 v3, vcc, v7, v9, vcc
.LBB94_1721:
	s_mov_b64 s[0:1], 0
.LBB94_1722:
	s_andn2_b64 vcc, exec, s[0:1]
	s_cbranch_vccnz .LBB94_1724
; %bb.1723:
	global_load_dword v2, v[4:5], off
	s_waitcnt vmcnt(0)
	v_cvt_f32_f16_e32 v2, v2
	v_cvt_i32_f32_e32 v2, v2
	v_ashrrev_i32_e32 v3, 31, v2
.LBB94_1724:
	s_mov_b64 s[0:1], 0
.LBB94_1725:
	s_andn2_b64 vcc, exec, s[0:1]
	s_cbranch_vccnz .LBB94_1736
; %bb.1726:
	s_cmp_lt_i32 s4, 6
	s_cbranch_scc1 .LBB94_1729
; %bb.1727:
	s_cmp_gt_i32 s4, 6
	s_cbranch_scc0 .LBB94_1730
; %bb.1728:
	global_load_dwordx2 v[2:3], v[4:5], off
	s_movk_i32 s0, 0xffe0
	s_waitcnt vmcnt(0)
	v_trunc_f64_e32 v[2:3], v[2:3]
	v_ldexp_f64 v[9:10], v[2:3], s0
	s_mov_b32 s0, 0
	s_mov_b32 s1, 0xc1f00000
	v_floor_f64_e32 v[9:10], v[9:10]
	v_fma_f64 v[11:12], v[9:10], s[0:1], v[2:3]
	v_cvt_i32_f64_e32 v3, v[9:10]
	s_mov_b64 s[0:1], 0
	v_cvt_u32_f64_e32 v2, v[11:12]
	s_branch .LBB94_1731
.LBB94_1729:
	s_mov_b64 s[0:1], -1
                                        ; implicit-def: $vgpr2_vgpr3
	s_branch .LBB94_1734
.LBB94_1730:
	s_mov_b64 s[0:1], -1
                                        ; implicit-def: $vgpr2_vgpr3
.LBB94_1731:
	s_andn2_b64 vcc, exec, s[0:1]
	s_cbranch_vccnz .LBB94_1733
; %bb.1732:
	global_load_dword v2, v[4:5], off
	s_mov_b32 s0, 0x2f800000
	s_mov_b32 s1, 0xcf800000
	s_waitcnt vmcnt(0)
	v_trunc_f32_e32 v2, v2
	v_mul_f32_e64 v3, |v2|, s0
	v_floor_f32_e32 v3, v3
	v_cvt_u32_f32_e32 v7, v3
	v_fma_f32 v3, v3, s1, |v2|
	v_cvt_u32_f32_e32 v3, v3
	v_ashrrev_i32_e32 v9, 31, v2
	v_xor_b32_e32 v7, v7, v9
	v_xor_b32_e32 v2, v3, v9
	v_sub_co_u32_e32 v2, vcc, v2, v9
	v_subb_co_u32_e32 v3, vcc, v7, v9, vcc
.LBB94_1733:
	s_mov_b64 s[0:1], 0
.LBB94_1734:
	s_andn2_b64 vcc, exec, s[0:1]
	s_cbranch_vccnz .LBB94_1736
; %bb.1735:
	global_load_ushort v2, v[4:5], off
	s_waitcnt vmcnt(0)
	v_cvt_f32_f16_e32 v2, v2
	v_cvt_i32_f32_e32 v2, v2
	v_ashrrev_i32_e32 v3, 31, v2
.LBB94_1736:
	s_cbranch_execnz .LBB94_1756
.LBB94_1737:
	s_cmp_lt_i32 s4, 2
	s_cbranch_scc1 .LBB94_1741
; %bb.1738:
	s_cmp_lt_i32 s4, 3
	s_cbranch_scc1 .LBB94_1742
; %bb.1739:
	s_cmp_gt_i32 s4, 3
	s_cbranch_scc0 .LBB94_1743
; %bb.1740:
	global_load_dwordx2 v[2:3], v[4:5], off
	s_mov_b64 s[0:1], 0
	s_branch .LBB94_1744
.LBB94_1741:
	s_mov_b64 s[0:1], -1
                                        ; implicit-def: $vgpr2_vgpr3
	s_branch .LBB94_1750
.LBB94_1742:
	s_mov_b64 s[0:1], -1
                                        ; implicit-def: $vgpr2_vgpr3
	s_branch .LBB94_1747
.LBB94_1743:
	s_mov_b64 s[0:1], -1
                                        ; implicit-def: $vgpr2_vgpr3
.LBB94_1744:
	s_andn2_b64 vcc, exec, s[0:1]
	s_cbranch_vccnz .LBB94_1746
; %bb.1745:
	global_load_dword v2, v[4:5], off
	s_waitcnt vmcnt(0)
	v_ashrrev_i32_e32 v3, 31, v2
.LBB94_1746:
	s_mov_b64 s[0:1], 0
.LBB94_1747:
	s_andn2_b64 vcc, exec, s[0:1]
	s_cbranch_vccnz .LBB94_1749
; %bb.1748:
	global_load_ushort v2, v[4:5], off
	s_waitcnt vmcnt(0)
	v_bfe_i32 v2, v2, 0, 16
	v_ashrrev_i32_e32 v3, 31, v2
.LBB94_1749:
	s_mov_b64 s[0:1], 0
.LBB94_1750:
	s_andn2_b64 vcc, exec, s[0:1]
	s_cbranch_vccnz .LBB94_1756
; %bb.1751:
	s_cmp_gt_i32 s4, 0
	s_cbranch_scc0 .LBB94_1753
; %bb.1752:
	global_load_sbyte v2, v[4:5], off
	s_mov_b64 s[0:1], 0
	s_waitcnt vmcnt(0)
	v_bfe_i32 v2, v2, 0, 16
	v_ashrrev_i32_e32 v3, 31, v2
	s_branch .LBB94_1754
.LBB94_1753:
	s_mov_b64 s[0:1], -1
                                        ; implicit-def: $vgpr2_vgpr3
.LBB94_1754:
	s_andn2_b64 vcc, exec, s[0:1]
	s_cbranch_vccnz .LBB94_1756
; %bb.1755:
	global_load_ubyte v2, v[4:5], off
	s_mov_b32 s0, 0
	s_waitcnt vmcnt(1)
	v_mov_b32_e32 v3, s0
	s_waitcnt vmcnt(0)
	v_and_b32_e32 v2, 0xffff, v2
.LBB94_1756:
.LBB94_1757:
	s_lshl_b32 s9, s9, 7
	v_add_u32_e32 v10, s9, v6
	v_ashrrev_i32_e32 v4, 31, v10
	v_mov_b32_e32 v5, s19
	v_add_co_u32_e32 v6, vcc, s18, v10
	s_cmp_lt_i32 s28, 11
	v_addc_co_u32_e32 v7, vcc, v5, v4, vcc
	s_cbranch_scc1 .LBB94_1764
; %bb.1758:
	s_and_b32 s11, 0xffff, s28
	s_cmp_gt_i32 s11, 25
	s_mov_b64 s[4:5], 0
	s_cbranch_scc0 .LBB94_1766
; %bb.1759:
	s_cmp_gt_i32 s11, 28
	s_cbranch_scc0 .LBB94_1767
; %bb.1760:
	s_cmp_gt_i32 s11, 43
	;; [unrolled: 3-line block ×3, first 2 shown]
	s_cbranch_scc0 .LBB94_1770
; %bb.1762:
	s_cmp_eq_u32 s11, 46
	s_mov_b64 s[26:27], 0
	s_cbranch_scc0 .LBB94_1771
; %bb.1763:
	global_load_dword v4, v[6:7], off
	s_mov_b32 s0, 0x2f800000
	s_mov_b32 s1, 0xcf800000
	s_mov_b64 s[24:25], -1
	s_waitcnt vmcnt(0)
	v_lshlrev_b32_e32 v4, 16, v4
	v_trunc_f32_e32 v4, v4
	v_mul_f32_e64 v5, |v4|, s0
	v_floor_f32_e32 v5, v5
	v_fma_f32 v9, v5, s1, |v4|
	v_cvt_u32_f32_e32 v9, v9
	v_cvt_u32_f32_e32 v5, v5
	v_ashrrev_i32_e32 v11, 31, v4
	s_mov_b64 s[0:1], 0
	v_xor_b32_e32 v4, v9, v11
	v_xor_b32_e32 v5, v5, v11
	v_sub_co_u32_e32 v4, vcc, v4, v11
	v_subb_co_u32_e32 v5, vcc, v5, v11, vcc
	s_branch .LBB94_1772
.LBB94_1764:
	s_mov_b64 s[24:25], 0
                                        ; implicit-def: $vgpr4_vgpr5
	s_cbranch_execnz .LBB94_1834
.LBB94_1765:
	s_andn2_b64 vcc, exec, s[24:25]
	s_cbranch_vccnz .LBB94_2947
	s_branch .LBB94_1882
.LBB94_1766:
	s_mov_b64 s[26:27], -1
	s_mov_b64 s[24:25], 0
	s_mov_b64 s[0:1], 0
                                        ; implicit-def: $vgpr4_vgpr5
	s_branch .LBB94_1801
.LBB94_1767:
	s_mov_b64 s[26:27], -1
	s_mov_b64 s[24:25], 0
	s_mov_b64 s[0:1], 0
                                        ; implicit-def: $vgpr4_vgpr5
	s_branch .LBB94_1782
.LBB94_1768:
	s_mov_b64 s[26:27], -1
	s_mov_b64 s[24:25], 0
	s_mov_b64 s[0:1], 0
                                        ; implicit-def: $vgpr4_vgpr5
	s_branch .LBB94_1777
.LBB94_1769:
	s_trap 2
	s_or_b64 s[22:23], s[22:23], exec
	s_cbranch_execz .LBB94_1708
	s_branch .LBB94_1709
.LBB94_1770:
	s_mov_b64 s[26:27], -1
	s_mov_b64 s[24:25], 0
	s_mov_b64 s[0:1], 0
                                        ; implicit-def: $vgpr4_vgpr5
	s_branch .LBB94_1772
.LBB94_1771:
	s_mov_b64 s[0:1], -1
                                        ; implicit-def: $vgpr4_vgpr5
	s_mov_b64 s[24:25], 0
.LBB94_1772:
	s_and_b64 vcc, exec, s[26:27]
	s_cbranch_vccz .LBB94_1776
; %bb.1773:
	s_cmp_eq_u32 s11, 44
	s_cbranch_scc0 .LBB94_1775
; %bb.1774:
	global_load_ubyte v4, v[6:7], off
	s_mov_b32 s0, 0x2f800000
	s_mov_b32 s1, 0xcf800000
	s_mov_b64 s[24:25], -1
	s_waitcnt vmcnt(0)
	v_lshlrev_b32_e32 v5, 23, v4
	v_trunc_f32_e32 v5, v5
	v_mul_f32_e64 v9, |v5|, s0
	v_floor_f32_e32 v9, v9
	v_fma_f32 v11, v9, s1, |v5|
	v_cvt_u32_f32_e32 v11, v11
	v_cvt_u32_f32_e32 v9, v9
	v_ashrrev_i32_e32 v5, 31, v5
	s_mov_b64 s[0:1], 0
	v_xor_b32_e32 v11, v11, v5
	v_xor_b32_e32 v9, v9, v5
	v_sub_co_u32_e32 v11, vcc, v11, v5
	v_subb_co_u32_e32 v5, vcc, v9, v5, vcc
	v_cmp_ne_u32_e32 vcc, 0, v4
	v_cndmask_b32_e32 v5, 0, v5, vcc
	v_cndmask_b32_e32 v4, 0, v11, vcc
	s_branch .LBB94_1776
.LBB94_1775:
	s_mov_b64 s[0:1], -1
                                        ; implicit-def: $vgpr4_vgpr5
.LBB94_1776:
	s_mov_b64 s[26:27], 0
.LBB94_1777:
	s_and_b64 vcc, exec, s[26:27]
	s_cbranch_vccz .LBB94_1781
; %bb.1778:
	s_cmp_eq_u32 s11, 29
	s_cbranch_scc0 .LBB94_1780
; %bb.1779:
	global_load_dwordx2 v[4:5], v[6:7], off
	s_mov_b64 s[0:1], 0
	s_mov_b64 s[24:25], -1
	s_branch .LBB94_1781
.LBB94_1780:
	s_mov_b64 s[0:1], -1
                                        ; implicit-def: $vgpr4_vgpr5
.LBB94_1781:
	s_mov_b64 s[26:27], 0
.LBB94_1782:
	s_and_b64 vcc, exec, s[26:27]
	s_cbranch_vccz .LBB94_1800
; %bb.1783:
	s_cmp_lt_i32 s11, 27
	s_cbranch_scc1 .LBB94_1786
; %bb.1784:
	s_cmp_gt_i32 s11, 27
	s_cbranch_scc0 .LBB94_1787
; %bb.1785:
	global_load_dword v4, v[6:7], off
	s_waitcnt vmcnt(1)
	v_mov_b32_e32 v5, 0
	s_mov_b64 s[24:25], 0
	s_branch .LBB94_1788
.LBB94_1786:
	s_mov_b64 s[24:25], -1
                                        ; implicit-def: $vgpr4_vgpr5
	s_branch .LBB94_1791
.LBB94_1787:
	s_mov_b64 s[24:25], -1
                                        ; implicit-def: $vgpr4_vgpr5
.LBB94_1788:
	s_andn2_b64 vcc, exec, s[24:25]
	s_cbranch_vccnz .LBB94_1790
; %bb.1789:
	global_load_ushort v4, v[6:7], off
	s_mov_b32 s24, 0
	s_waitcnt vmcnt(1)
	v_mov_b32_e32 v5, s24
	s_waitcnt vmcnt(0)
	v_and_b32_e32 v4, 0xffff, v4
.LBB94_1790:
	s_mov_b64 s[24:25], 0
.LBB94_1791:
	s_andn2_b64 vcc, exec, s[24:25]
	s_cbranch_vccnz .LBB94_1799
; %bb.1792:
	global_load_ubyte v9, v[6:7], off
	s_movk_i32 s24, 0x7f
	s_mov_b64 s[26:27], 0
	s_waitcnt vmcnt(0)
	v_cmp_lt_i16_e32 vcc, s24, v9
	s_and_saveexec_b64 s[24:25], vcc
	s_xor_b64 s[24:25], exec, s[24:25]
; %bb.1793:
	s_movk_i32 s26, 0x80
	v_cmp_ne_u16_e32 vcc, s26, v9
	s_and_b64 s[26:27], vcc, exec
; %bb.1794:
	s_andn2_saveexec_b64 s[24:25], s[24:25]
; %bb.1795:
	v_cmp_ne_u16_e32 vcc, 0, v9
	s_andn2_b64 s[26:27], s[26:27], exec
	s_and_b64 s[30:31], vcc, exec
	s_or_b64 s[26:27], s[26:27], s[30:31]
; %bb.1796:
	s_or_b64 exec, exec, s[24:25]
	v_mov_b32_e32 v4, 0
	v_mov_b32_e32 v5, 0
	s_and_saveexec_b64 s[24:25], s[26:27]
	s_cbranch_execz .LBB94_1798
; %bb.1797:
	v_and_b32_e32 v5, 0xffff, v9
	v_lshlrev_b32_e32 v4, 24, v9
	v_and_b32_e32 v9, 7, v5
	v_ffbh_u32_e32 v12, v9
	v_min_u32_e32 v12, 32, v12
	v_subrev_u32_e32 v13, 28, v12
	v_bfe_u32 v11, v5, 3, 4
	v_lshlrev_b32_e32 v5, v13, v5
	v_sub_u32_e32 v12, 29, v12
	v_and_b32_e32 v5, 7, v5
	v_cmp_eq_u32_e32 vcc, 0, v11
	v_cndmask_b32_e32 v11, v11, v12, vcc
	v_cndmask_b32_e32 v5, v9, v5, vcc
	v_mov_b32_e32 v9, 0x3b800000
	v_lshlrev_b32_e32 v5, 20, v5
	v_and_b32_e32 v4, 0x80000000, v4
	v_lshl_add_u32 v9, v11, 23, v9
	v_or3_b32 v4, v4, v9, v5
	v_trunc_f32_e32 v4, v4
	s_mov_b32 s26, 0x2f800000
	v_mul_f32_e64 v5, |v4|, s26
	v_floor_f32_e32 v5, v5
	s_mov_b32 s26, 0xcf800000
	v_fma_f32 v9, v5, s26, |v4|
	v_cvt_u32_f32_e32 v9, v9
	v_cvt_u32_f32_e32 v5, v5
	v_ashrrev_i32_e32 v11, 31, v4
	v_xor_b32_e32 v4, v9, v11
	v_xor_b32_e32 v5, v5, v11
	v_sub_co_u32_e32 v4, vcc, v4, v11
	v_subb_co_u32_e32 v5, vcc, v5, v11, vcc
.LBB94_1798:
	s_or_b64 exec, exec, s[24:25]
.LBB94_1799:
	s_mov_b64 s[24:25], -1
.LBB94_1800:
	s_mov_b64 s[26:27], 0
.LBB94_1801:
	s_and_b64 vcc, exec, s[26:27]
	s_cbranch_vccz .LBB94_1830
; %bb.1802:
	s_cmp_gt_i32 s11, 22
	s_cbranch_scc0 .LBB94_1812
; %bb.1803:
	s_cmp_lt_i32 s11, 24
	s_cbranch_scc1 .LBB94_1813
; %bb.1804:
	s_cmp_gt_i32 s11, 24
	s_cbranch_scc0 .LBB94_1814
; %bb.1805:
	global_load_ubyte v9, v[6:7], off
	s_movk_i32 s4, 0x7f
	s_mov_b64 s[24:25], 0
	s_waitcnt vmcnt(0)
	v_cmp_lt_i16_e32 vcc, s4, v9
	s_and_saveexec_b64 s[4:5], vcc
	s_xor_b64 s[4:5], exec, s[4:5]
; %bb.1806:
	s_movk_i32 s24, 0x80
	v_cmp_ne_u16_e32 vcc, s24, v9
	s_and_b64 s[24:25], vcc, exec
; %bb.1807:
	s_andn2_saveexec_b64 s[4:5], s[4:5]
; %bb.1808:
	v_cmp_ne_u16_e32 vcc, 0, v9
	s_andn2_b64 s[24:25], s[24:25], exec
	s_and_b64 s[26:27], vcc, exec
	s_or_b64 s[24:25], s[24:25], s[26:27]
; %bb.1809:
	s_or_b64 exec, exec, s[4:5]
	v_mov_b32_e32 v4, 0
	v_mov_b32_e32 v5, 0
	s_and_saveexec_b64 s[4:5], s[24:25]
	s_cbranch_execz .LBB94_1811
; %bb.1810:
	v_and_b32_e32 v5, 0xffff, v9
	v_lshlrev_b32_e32 v4, 24, v9
	v_and_b32_e32 v9, 3, v5
	v_ffbh_u32_e32 v12, v9
	v_min_u32_e32 v12, 32, v12
	v_subrev_u32_e32 v13, 29, v12
	v_bfe_u32 v11, v5, 2, 5
	v_lshlrev_b32_e32 v5, v13, v5
	v_sub_u32_e32 v12, 30, v12
	v_and_b32_e32 v5, 3, v5
	v_cmp_eq_u32_e32 vcc, 0, v11
	v_cndmask_b32_e32 v11, v11, v12, vcc
	v_cndmask_b32_e32 v5, v9, v5, vcc
	v_mov_b32_e32 v9, 0x37800000
	v_lshlrev_b32_e32 v5, 21, v5
	v_and_b32_e32 v4, 0x80000000, v4
	v_lshl_add_u32 v9, v11, 23, v9
	v_or3_b32 v4, v4, v9, v5
	v_trunc_f32_e32 v4, v4
	s_mov_b32 s24, 0x2f800000
	v_mul_f32_e64 v5, |v4|, s24
	v_floor_f32_e32 v5, v5
	s_mov_b32 s24, 0xcf800000
	v_fma_f32 v9, v5, s24, |v4|
	v_cvt_u32_f32_e32 v9, v9
	v_cvt_u32_f32_e32 v5, v5
	v_ashrrev_i32_e32 v11, 31, v4
	v_xor_b32_e32 v4, v9, v11
	v_xor_b32_e32 v5, v5, v11
	v_sub_co_u32_e32 v4, vcc, v4, v11
	v_subb_co_u32_e32 v5, vcc, v5, v11, vcc
.LBB94_1811:
	s_or_b64 exec, exec, s[4:5]
	s_mov_b64 s[4:5], 0
	s_branch .LBB94_1815
.LBB94_1812:
	s_mov_b64 s[4:5], -1
                                        ; implicit-def: $vgpr4_vgpr5
	s_branch .LBB94_1821
.LBB94_1813:
	s_mov_b64 s[4:5], -1
                                        ; implicit-def: $vgpr4_vgpr5
	s_branch .LBB94_1818
.LBB94_1814:
	s_mov_b64 s[4:5], -1
                                        ; implicit-def: $vgpr4_vgpr5
.LBB94_1815:
	s_and_b64 vcc, exec, s[4:5]
	s_cbranch_vccz .LBB94_1817
; %bb.1816:
	global_load_ubyte v4, v[6:7], off
	s_mov_b32 s4, 0x7f800000
	s_brev_b32 s5, 1
	s_mov_b32 s24, 0x2f800000
	s_mov_b32 s25, 0xcf800000
	s_waitcnt vmcnt(0)
	v_lshlrev_b32_e32 v4, 24, v4
	v_and_b32_e32 v5, 0x7f000000, v4
	v_ffbh_u32_e32 v9, v5
	v_min_u32_e32 v9, 32, v9
	v_sub_u32_e64 v9, v9, 4 clamp
	v_lshlrev_b32_e32 v12, v9, v5
	v_lshlrev_b32_e32 v9, 23, v9
	v_lshrrev_b32_e32 v12, 4, v12
	v_add_u32_e32 v11, 0x1000000, v5
	v_sub_u32_e32 v9, v12, v9
	v_ashrrev_i32_e32 v11, 8, v11
	v_add_u32_e32 v9, 0x3c000000, v9
	v_and_or_b32 v9, v11, s4, v9
	v_cmp_ne_u32_e32 vcc, 0, v5
	v_cndmask_b32_e32 v5, 0, v9, vcc
	v_and_or_b32 v4, v4, s5, v5
	v_trunc_f32_e32 v4, v4
	v_mul_f32_e64 v5, |v4|, s24
	v_floor_f32_e32 v5, v5
	v_fma_f32 v9, v5, s25, |v4|
	v_cvt_u32_f32_e32 v9, v9
	v_cvt_u32_f32_e32 v5, v5
	v_ashrrev_i32_e32 v11, 31, v4
	v_xor_b32_e32 v4, v9, v11
	v_xor_b32_e32 v5, v5, v11
	v_sub_co_u32_e32 v4, vcc, v4, v11
	v_subb_co_u32_e32 v5, vcc, v5, v11, vcc
.LBB94_1817:
	s_mov_b64 s[4:5], 0
.LBB94_1818:
	s_andn2_b64 vcc, exec, s[4:5]
	s_cbranch_vccnz .LBB94_1820
; %bb.1819:
	global_load_ubyte v4, v[6:7], off
	s_movk_i32 s4, 0x7f00
	s_brev_b32 s5, 16
	s_brev_b32 s24, 1
	s_mov_b32 s25, 0x2f800000
	s_mov_b32 s26, 0xcf800000
	s_waitcnt vmcnt(0)
	v_lshlrev_b16_e32 v5, 8, v4
	v_lshlrev_b32_e32 v4, 25, v4
	v_lshrrev_b32_e32 v9, 4, v4
	v_and_or_b32 v11, v5, s4, 0.5
	v_or_b32_e32 v9, 0x70000000, v9
	v_add_f32_e32 v11, -0.5, v11
	v_mul_f32_e32 v9, 0x7800000, v9
	v_cmp_gt_u32_e32 vcc, s5, v4
	v_bfe_i32 v5, v5, 0, 16
	v_cndmask_b32_e32 v4, v9, v11, vcc
	v_and_or_b32 v4, v5, s24, v4
	v_trunc_f32_e32 v4, v4
	v_mul_f32_e64 v5, |v4|, s25
	v_floor_f32_e32 v5, v5
	v_fma_f32 v9, v5, s26, |v4|
	v_cvt_u32_f32_e32 v9, v9
	v_cvt_u32_f32_e32 v5, v5
	v_ashrrev_i32_e32 v11, 31, v4
	v_xor_b32_e32 v4, v9, v11
	v_xor_b32_e32 v5, v5, v11
	v_sub_co_u32_e32 v4, vcc, v4, v11
	v_subb_co_u32_e32 v5, vcc, v5, v11, vcc
.LBB94_1820:
	s_mov_b64 s[4:5], 0
	s_mov_b64 s[24:25], -1
.LBB94_1821:
	s_andn2_b64 vcc, exec, s[4:5]
	s_mov_b64 s[4:5], 0
	s_cbranch_vccnz .LBB94_1830
; %bb.1822:
	s_cmp_gt_i32 s11, 14
	s_cbranch_scc0 .LBB94_1825
; %bb.1823:
	s_cmp_eq_u32 s11, 15
	s_cbranch_scc0 .LBB94_1826
; %bb.1824:
	global_load_ushort v4, v[6:7], off
	s_mov_b32 s0, 0x2f800000
	s_mov_b32 s1, 0xcf800000
	s_mov_b64 s[24:25], -1
	s_waitcnt vmcnt(0)
	v_lshlrev_b32_e32 v4, 16, v4
	v_trunc_f32_e32 v4, v4
	v_mul_f32_e64 v5, |v4|, s0
	v_floor_f32_e32 v5, v5
	v_fma_f32 v9, v5, s1, |v4|
	v_cvt_u32_f32_e32 v9, v9
	v_cvt_u32_f32_e32 v5, v5
	v_ashrrev_i32_e32 v11, 31, v4
	s_mov_b64 s[0:1], 0
	v_xor_b32_e32 v4, v9, v11
	v_xor_b32_e32 v5, v5, v11
	v_sub_co_u32_e32 v4, vcc, v4, v11
	v_subb_co_u32_e32 v5, vcc, v5, v11, vcc
	s_branch .LBB94_1827
.LBB94_1825:
	s_mov_b64 s[26:27], -1
                                        ; implicit-def: $vgpr4_vgpr5
	s_branch .LBB94_1828
.LBB94_1826:
	s_mov_b64 s[0:1], -1
                                        ; implicit-def: $vgpr4_vgpr5
.LBB94_1827:
	s_mov_b64 s[26:27], 0
.LBB94_1828:
	s_and_b64 vcc, exec, s[26:27]
	s_cbranch_vccz .LBB94_1830
; %bb.1829:
	s_cmp_lg_u32 s11, 11
	s_mov_b64 s[4:5], -1
	s_cselect_b64 s[0:1], -1, 0
.LBB94_1830:
	s_and_b64 vcc, exec, s[0:1]
	s_cbranch_vccnz .LBB94_1893
; %bb.1831:
	s_andn2_b64 vcc, exec, s[4:5]
	s_cbranch_vccnz .LBB94_1833
.LBB94_1832:
	global_load_ubyte v4, v[6:7], off
	s_mov_b32 s0, 0
	s_waitcnt vmcnt(1)
	v_mov_b32_e32 v5, s0
	s_mov_b64 s[24:25], -1
	s_waitcnt vmcnt(0)
	v_cmp_ne_u16_e32 vcc, 0, v4
	v_cndmask_b32_e64 v4, 0, 1, vcc
.LBB94_1833:
	s_branch .LBB94_1765
.LBB94_1834:
	s_and_b32 s4, 0xffff, s28
	s_cmp_lt_i32 s4, 5
	s_cbranch_scc1 .LBB94_1839
; %bb.1835:
	s_cmp_lt_i32 s4, 8
	s_cbranch_scc1 .LBB94_1840
; %bb.1836:
	;; [unrolled: 3-line block ×3, first 2 shown]
	s_cmp_gt_i32 s4, 9
	s_cbranch_scc0 .LBB94_1842
; %bb.1838:
	global_load_dwordx2 v[4:5], v[6:7], off
	s_movk_i32 s0, 0xffe0
	s_waitcnt vmcnt(0)
	v_trunc_f64_e32 v[4:5], v[4:5]
	v_ldexp_f64 v[11:12], v[4:5], s0
	s_mov_b32 s0, 0
	s_mov_b32 s1, 0xc1f00000
	v_floor_f64_e32 v[11:12], v[11:12]
	v_fma_f64 v[13:14], v[11:12], s[0:1], v[4:5]
	v_cvt_i32_f64_e32 v5, v[11:12]
	s_mov_b64 s[0:1], 0
	v_cvt_u32_f64_e32 v4, v[13:14]
	s_branch .LBB94_1843
.LBB94_1839:
	s_mov_b64 s[0:1], -1
                                        ; implicit-def: $vgpr4_vgpr5
	s_branch .LBB94_1861
.LBB94_1840:
	s_mov_b64 s[0:1], -1
                                        ; implicit-def: $vgpr4_vgpr5
	s_branch .LBB94_1849
.LBB94_1841:
	s_mov_b64 s[0:1], -1
                                        ; implicit-def: $vgpr4_vgpr5
	s_branch .LBB94_1846
.LBB94_1842:
	s_mov_b64 s[0:1], -1
                                        ; implicit-def: $vgpr4_vgpr5
.LBB94_1843:
	s_andn2_b64 vcc, exec, s[0:1]
	s_cbranch_vccnz .LBB94_1845
; %bb.1844:
	global_load_dword v4, v[6:7], off
	s_mov_b32 s0, 0x2f800000
	s_mov_b32 s1, 0xcf800000
	s_waitcnt vmcnt(0)
	v_trunc_f32_e32 v4, v4
	v_mul_f32_e64 v5, |v4|, s0
	v_floor_f32_e32 v5, v5
	v_cvt_u32_f32_e32 v9, v5
	v_fma_f32 v5, v5, s1, |v4|
	v_cvt_u32_f32_e32 v5, v5
	v_ashrrev_i32_e32 v11, 31, v4
	v_xor_b32_e32 v9, v9, v11
	v_xor_b32_e32 v4, v5, v11
	v_sub_co_u32_e32 v4, vcc, v4, v11
	v_subb_co_u32_e32 v5, vcc, v9, v11, vcc
.LBB94_1845:
	s_mov_b64 s[0:1], 0
.LBB94_1846:
	s_andn2_b64 vcc, exec, s[0:1]
	s_cbranch_vccnz .LBB94_1848
; %bb.1847:
	global_load_dword v4, v[6:7], off
	s_waitcnt vmcnt(0)
	v_cvt_f32_f16_e32 v4, v4
	v_cvt_i32_f32_e32 v4, v4
	v_ashrrev_i32_e32 v5, 31, v4
.LBB94_1848:
	s_mov_b64 s[0:1], 0
.LBB94_1849:
	s_andn2_b64 vcc, exec, s[0:1]
	s_cbranch_vccnz .LBB94_1860
; %bb.1850:
	s_cmp_lt_i32 s4, 6
	s_cbranch_scc1 .LBB94_1853
; %bb.1851:
	s_cmp_gt_i32 s4, 6
	s_cbranch_scc0 .LBB94_1854
; %bb.1852:
	global_load_dwordx2 v[4:5], v[6:7], off
	s_movk_i32 s0, 0xffe0
	s_waitcnt vmcnt(0)
	v_trunc_f64_e32 v[4:5], v[4:5]
	v_ldexp_f64 v[11:12], v[4:5], s0
	s_mov_b32 s0, 0
	s_mov_b32 s1, 0xc1f00000
	v_floor_f64_e32 v[11:12], v[11:12]
	v_fma_f64 v[13:14], v[11:12], s[0:1], v[4:5]
	v_cvt_i32_f64_e32 v5, v[11:12]
	s_mov_b64 s[0:1], 0
	v_cvt_u32_f64_e32 v4, v[13:14]
	s_branch .LBB94_1855
.LBB94_1853:
	s_mov_b64 s[0:1], -1
                                        ; implicit-def: $vgpr4_vgpr5
	s_branch .LBB94_1858
.LBB94_1854:
	s_mov_b64 s[0:1], -1
                                        ; implicit-def: $vgpr4_vgpr5
.LBB94_1855:
	s_andn2_b64 vcc, exec, s[0:1]
	s_cbranch_vccnz .LBB94_1857
; %bb.1856:
	global_load_dword v4, v[6:7], off
	s_mov_b32 s0, 0x2f800000
	s_mov_b32 s1, 0xcf800000
	s_waitcnt vmcnt(0)
	v_trunc_f32_e32 v4, v4
	v_mul_f32_e64 v5, |v4|, s0
	v_floor_f32_e32 v5, v5
	v_cvt_u32_f32_e32 v9, v5
	v_fma_f32 v5, v5, s1, |v4|
	v_cvt_u32_f32_e32 v5, v5
	v_ashrrev_i32_e32 v11, 31, v4
	v_xor_b32_e32 v9, v9, v11
	v_xor_b32_e32 v4, v5, v11
	v_sub_co_u32_e32 v4, vcc, v4, v11
	v_subb_co_u32_e32 v5, vcc, v9, v11, vcc
.LBB94_1857:
	s_mov_b64 s[0:1], 0
.LBB94_1858:
	s_andn2_b64 vcc, exec, s[0:1]
	s_cbranch_vccnz .LBB94_1860
; %bb.1859:
	global_load_ushort v4, v[6:7], off
	s_waitcnt vmcnt(0)
	v_cvt_f32_f16_e32 v4, v4
	v_cvt_i32_f32_e32 v4, v4
	v_ashrrev_i32_e32 v5, 31, v4
.LBB94_1860:
	s_mov_b64 s[0:1], 0
.LBB94_1861:
	s_andn2_b64 vcc, exec, s[0:1]
	s_cbranch_vccnz .LBB94_1881
; %bb.1862:
	s_cmp_lt_i32 s4, 2
	s_cbranch_scc1 .LBB94_1866
; %bb.1863:
	s_cmp_lt_i32 s4, 3
	s_cbranch_scc1 .LBB94_1867
; %bb.1864:
	s_cmp_gt_i32 s4, 3
	s_cbranch_scc0 .LBB94_1868
; %bb.1865:
	global_load_dwordx2 v[4:5], v[6:7], off
	s_mov_b64 s[0:1], 0
	s_branch .LBB94_1869
.LBB94_1866:
	s_mov_b64 s[0:1], -1
                                        ; implicit-def: $vgpr4_vgpr5
	s_branch .LBB94_1875
.LBB94_1867:
	s_mov_b64 s[0:1], -1
                                        ; implicit-def: $vgpr4_vgpr5
	s_branch .LBB94_1872
.LBB94_1868:
	s_mov_b64 s[0:1], -1
                                        ; implicit-def: $vgpr4_vgpr5
.LBB94_1869:
	s_andn2_b64 vcc, exec, s[0:1]
	s_cbranch_vccnz .LBB94_1871
; %bb.1870:
	global_load_dword v4, v[6:7], off
	s_waitcnt vmcnt(0)
	v_ashrrev_i32_e32 v5, 31, v4
.LBB94_1871:
	s_mov_b64 s[0:1], 0
.LBB94_1872:
	s_andn2_b64 vcc, exec, s[0:1]
	s_cbranch_vccnz .LBB94_1874
; %bb.1873:
	global_load_ushort v4, v[6:7], off
	s_waitcnt vmcnt(0)
	v_bfe_i32 v4, v4, 0, 16
	v_ashrrev_i32_e32 v5, 31, v4
.LBB94_1874:
	s_mov_b64 s[0:1], 0
.LBB94_1875:
	s_andn2_b64 vcc, exec, s[0:1]
	s_cbranch_vccnz .LBB94_1881
; %bb.1876:
	s_cmp_gt_i32 s4, 0
	s_cbranch_scc0 .LBB94_1878
; %bb.1877:
	global_load_sbyte v4, v[6:7], off
	s_mov_b64 s[0:1], 0
	s_waitcnt vmcnt(0)
	v_bfe_i32 v4, v4, 0, 16
	v_ashrrev_i32_e32 v5, 31, v4
	s_branch .LBB94_1879
.LBB94_1878:
	s_mov_b64 s[0:1], -1
                                        ; implicit-def: $vgpr4_vgpr5
.LBB94_1879:
	s_andn2_b64 vcc, exec, s[0:1]
	s_cbranch_vccnz .LBB94_1881
; %bb.1880:
	global_load_ubyte v4, v[6:7], off
	s_mov_b32 s0, 0
	s_waitcnt vmcnt(1)
	v_mov_b32_e32 v5, s0
	s_waitcnt vmcnt(0)
	v_and_b32_e32 v4, 0xffff, v4
.LBB94_1881:
.LBB94_1882:
	s_lshl_b32 s26, s10, 7
	v_add_u32_e32 v12, s26, v8
	v_ashrrev_i32_e32 v6, 31, v12
	v_mov_b32_e32 v7, s3
	v_add_co_u32_e32 v8, vcc, s2, v12
	s_cmp_lt_i32 s29, 11
	v_addc_co_u32_e32 v9, vcc, v7, v6, vcc
	s_cbranch_scc1 .LBB94_1889
; %bb.1883:
	s_and_b32 s27, 0xffff, s29
	s_cmp_gt_i32 s27, 25
	s_mov_b64 s[4:5], 0
	s_cbranch_scc0 .LBB94_1890
; %bb.1884:
	s_cmp_gt_i32 s27, 28
	s_cbranch_scc0 .LBB94_1891
; %bb.1885:
	s_cmp_gt_i32 s27, 43
	;; [unrolled: 3-line block ×3, first 2 shown]
	s_cbranch_scc0 .LBB94_1894
; %bb.1887:
	s_cmp_eq_u32 s27, 46
	s_mov_b64 s[24:25], 0
	s_cbranch_scc0 .LBB94_1895
; %bb.1888:
	global_load_dword v6, v[8:9], off
	s_mov_b32 s0, 0x2f800000
	s_mov_b32 s1, 0xcf800000
	s_mov_b64 s[10:11], -1
	s_waitcnt vmcnt(0)
	v_lshlrev_b32_e32 v6, 16, v6
	v_trunc_f32_e32 v6, v6
	v_mul_f32_e64 v7, |v6|, s0
	v_floor_f32_e32 v7, v7
	v_fma_f32 v11, v7, s1, |v6|
	v_cvt_u32_f32_e32 v11, v11
	v_cvt_u32_f32_e32 v7, v7
	v_ashrrev_i32_e32 v13, 31, v6
	s_mov_b64 s[0:1], 0
	v_xor_b32_e32 v6, v11, v13
	v_xor_b32_e32 v7, v7, v13
	v_sub_co_u32_e32 v6, vcc, v6, v13
	v_subb_co_u32_e32 v7, vcc, v7, v13, vcc
	s_branch .LBB94_1896
.LBB94_1889:
	s_mov_b64 s[0:1], -1
	s_mov_b64 s[10:11], 0
                                        ; implicit-def: $vgpr6_vgpr7
	s_branch .LBB94_1958
.LBB94_1890:
	s_mov_b64 s[24:25], -1
	s_mov_b64 s[10:11], 0
	s_mov_b64 s[0:1], 0
                                        ; implicit-def: $vgpr6_vgpr7
	s_branch .LBB94_1925
.LBB94_1891:
	s_mov_b64 s[24:25], -1
	s_mov_b64 s[10:11], 0
	s_mov_b64 s[0:1], 0
                                        ; implicit-def: $vgpr6_vgpr7
	s_branch .LBB94_1906
.LBB94_1892:
	s_mov_b64 s[24:25], -1
	s_mov_b64 s[10:11], 0
	s_mov_b64 s[0:1], 0
                                        ; implicit-def: $vgpr6_vgpr7
	s_branch .LBB94_1901
.LBB94_1893:
	s_trap 2
	s_or_b64 s[22:23], s[22:23], exec
	s_cbranch_execz .LBB94_1832
	s_branch .LBB94_1833
.LBB94_1894:
	s_mov_b64 s[24:25], -1
	s_mov_b64 s[10:11], 0
	s_mov_b64 s[0:1], 0
                                        ; implicit-def: $vgpr6_vgpr7
	s_branch .LBB94_1896
.LBB94_1895:
	s_mov_b64 s[0:1], -1
                                        ; implicit-def: $vgpr6_vgpr7
	s_mov_b64 s[10:11], 0
.LBB94_1896:
	s_and_b64 vcc, exec, s[24:25]
	s_cbranch_vccz .LBB94_1900
; %bb.1897:
	s_cmp_eq_u32 s27, 44
	s_cbranch_scc0 .LBB94_1899
; %bb.1898:
	global_load_ubyte v6, v[8:9], off
	s_mov_b32 s0, 0x2f800000
	s_mov_b32 s1, 0xcf800000
	s_mov_b64 s[10:11], -1
	s_waitcnt vmcnt(0)
	v_lshlrev_b32_e32 v7, 23, v6
	v_trunc_f32_e32 v7, v7
	v_mul_f32_e64 v11, |v7|, s0
	v_floor_f32_e32 v11, v11
	v_fma_f32 v13, v11, s1, |v7|
	v_cvt_u32_f32_e32 v13, v13
	v_cvt_u32_f32_e32 v11, v11
	v_ashrrev_i32_e32 v7, 31, v7
	s_mov_b64 s[0:1], 0
	v_xor_b32_e32 v13, v13, v7
	v_xor_b32_e32 v11, v11, v7
	v_sub_co_u32_e32 v13, vcc, v13, v7
	v_subb_co_u32_e32 v7, vcc, v11, v7, vcc
	v_cmp_ne_u32_e32 vcc, 0, v6
	v_cndmask_b32_e32 v7, 0, v7, vcc
	v_cndmask_b32_e32 v6, 0, v13, vcc
	s_branch .LBB94_1900
.LBB94_1899:
	s_mov_b64 s[0:1], -1
                                        ; implicit-def: $vgpr6_vgpr7
.LBB94_1900:
	s_mov_b64 s[24:25], 0
.LBB94_1901:
	s_and_b64 vcc, exec, s[24:25]
	s_cbranch_vccz .LBB94_1905
; %bb.1902:
	s_cmp_eq_u32 s27, 29
	s_cbranch_scc0 .LBB94_1904
; %bb.1903:
	global_load_dwordx2 v[6:7], v[8:9], off
	s_mov_b64 s[0:1], 0
	s_mov_b64 s[10:11], -1
	s_branch .LBB94_1905
.LBB94_1904:
	s_mov_b64 s[0:1], -1
                                        ; implicit-def: $vgpr6_vgpr7
.LBB94_1905:
	s_mov_b64 s[24:25], 0
.LBB94_1906:
	s_and_b64 vcc, exec, s[24:25]
	s_cbranch_vccz .LBB94_1924
; %bb.1907:
	s_cmp_lt_i32 s27, 27
	s_cbranch_scc1 .LBB94_1910
; %bb.1908:
	s_cmp_gt_i32 s27, 27
	s_cbranch_scc0 .LBB94_1911
; %bb.1909:
	global_load_dword v6, v[8:9], off
	s_waitcnt vmcnt(1)
	v_mov_b32_e32 v7, 0
	s_mov_b64 s[10:11], 0
	s_branch .LBB94_1912
.LBB94_1910:
	s_mov_b64 s[10:11], -1
                                        ; implicit-def: $vgpr6_vgpr7
	s_branch .LBB94_1915
.LBB94_1911:
	s_mov_b64 s[10:11], -1
                                        ; implicit-def: $vgpr6_vgpr7
.LBB94_1912:
	s_andn2_b64 vcc, exec, s[10:11]
	s_cbranch_vccnz .LBB94_1914
; %bb.1913:
	global_load_ushort v6, v[8:9], off
	s_mov_b32 s10, 0
	s_waitcnt vmcnt(1)
	v_mov_b32_e32 v7, s10
	s_waitcnt vmcnt(0)
	v_and_b32_e32 v6, 0xffff, v6
.LBB94_1914:
	s_mov_b64 s[10:11], 0
.LBB94_1915:
	s_andn2_b64 vcc, exec, s[10:11]
	s_cbranch_vccnz .LBB94_1923
; %bb.1916:
	global_load_ubyte v11, v[8:9], off
	s_movk_i32 s10, 0x7f
	s_mov_b64 s[24:25], 0
	s_waitcnt vmcnt(0)
	v_cmp_lt_i16_e32 vcc, s10, v11
	s_and_saveexec_b64 s[10:11], vcc
	s_xor_b64 s[10:11], exec, s[10:11]
; %bb.1917:
	s_movk_i32 s24, 0x80
	v_cmp_ne_u16_e32 vcc, s24, v11
	s_and_b64 s[24:25], vcc, exec
; %bb.1918:
	s_andn2_saveexec_b64 s[10:11], s[10:11]
; %bb.1919:
	v_cmp_ne_u16_e32 vcc, 0, v11
	s_andn2_b64 s[24:25], s[24:25], exec
	s_and_b64 s[30:31], vcc, exec
	s_or_b64 s[24:25], s[24:25], s[30:31]
; %bb.1920:
	s_or_b64 exec, exec, s[10:11]
	v_mov_b32_e32 v6, 0
	v_mov_b32_e32 v7, 0
	s_and_saveexec_b64 s[10:11], s[24:25]
	s_cbranch_execz .LBB94_1922
; %bb.1921:
	v_and_b32_e32 v7, 0xffff, v11
	v_lshlrev_b32_e32 v6, 24, v11
	v_and_b32_e32 v11, 7, v7
	v_ffbh_u32_e32 v14, v11
	v_min_u32_e32 v14, 32, v14
	v_subrev_u32_e32 v15, 28, v14
	v_bfe_u32 v13, v7, 3, 4
	v_lshlrev_b32_e32 v7, v15, v7
	v_sub_u32_e32 v14, 29, v14
	v_and_b32_e32 v7, 7, v7
	v_cmp_eq_u32_e32 vcc, 0, v13
	v_cndmask_b32_e32 v13, v13, v14, vcc
	v_cndmask_b32_e32 v7, v11, v7, vcc
	v_mov_b32_e32 v11, 0x3b800000
	v_lshlrev_b32_e32 v7, 20, v7
	v_and_b32_e32 v6, 0x80000000, v6
	v_lshl_add_u32 v11, v13, 23, v11
	v_or3_b32 v6, v6, v11, v7
	v_trunc_f32_e32 v6, v6
	s_mov_b32 s24, 0x2f800000
	v_mul_f32_e64 v7, |v6|, s24
	v_floor_f32_e32 v7, v7
	s_mov_b32 s24, 0xcf800000
	v_fma_f32 v11, v7, s24, |v6|
	v_cvt_u32_f32_e32 v11, v11
	v_cvt_u32_f32_e32 v7, v7
	v_ashrrev_i32_e32 v13, 31, v6
	v_xor_b32_e32 v6, v11, v13
	v_xor_b32_e32 v7, v7, v13
	v_sub_co_u32_e32 v6, vcc, v6, v13
	v_subb_co_u32_e32 v7, vcc, v7, v13, vcc
.LBB94_1922:
	s_or_b64 exec, exec, s[10:11]
.LBB94_1923:
	s_mov_b64 s[10:11], -1
.LBB94_1924:
	s_mov_b64 s[24:25], 0
.LBB94_1925:
	s_and_b64 vcc, exec, s[24:25]
	s_cbranch_vccz .LBB94_1954
; %bb.1926:
	s_cmp_gt_i32 s27, 22
	s_cbranch_scc0 .LBB94_1936
; %bb.1927:
	s_cmp_lt_i32 s27, 24
	s_cbranch_scc1 .LBB94_1937
; %bb.1928:
	s_cmp_gt_i32 s27, 24
	s_cbranch_scc0 .LBB94_1938
; %bb.1929:
	global_load_ubyte v11, v[8:9], off
	s_movk_i32 s4, 0x7f
	s_mov_b64 s[10:11], 0
	s_waitcnt vmcnt(0)
	v_cmp_lt_i16_e32 vcc, s4, v11
	s_and_saveexec_b64 s[4:5], vcc
	s_xor_b64 s[4:5], exec, s[4:5]
; %bb.1930:
	s_movk_i32 s10, 0x80
	v_cmp_ne_u16_e32 vcc, s10, v11
	s_and_b64 s[10:11], vcc, exec
; %bb.1931:
	s_andn2_saveexec_b64 s[4:5], s[4:5]
; %bb.1932:
	v_cmp_ne_u16_e32 vcc, 0, v11
	s_andn2_b64 s[10:11], s[10:11], exec
	s_and_b64 s[24:25], vcc, exec
	s_or_b64 s[10:11], s[10:11], s[24:25]
; %bb.1933:
	s_or_b64 exec, exec, s[4:5]
	v_mov_b32_e32 v6, 0
	v_mov_b32_e32 v7, 0
	s_and_saveexec_b64 s[4:5], s[10:11]
	s_cbranch_execz .LBB94_1935
; %bb.1934:
	v_and_b32_e32 v7, 0xffff, v11
	v_lshlrev_b32_e32 v6, 24, v11
	v_and_b32_e32 v11, 3, v7
	v_ffbh_u32_e32 v14, v11
	v_min_u32_e32 v14, 32, v14
	v_subrev_u32_e32 v15, 29, v14
	v_bfe_u32 v13, v7, 2, 5
	v_lshlrev_b32_e32 v7, v15, v7
	v_sub_u32_e32 v14, 30, v14
	v_and_b32_e32 v7, 3, v7
	v_cmp_eq_u32_e32 vcc, 0, v13
	v_cndmask_b32_e32 v13, v13, v14, vcc
	v_cndmask_b32_e32 v7, v11, v7, vcc
	v_mov_b32_e32 v11, 0x37800000
	v_lshlrev_b32_e32 v7, 21, v7
	v_and_b32_e32 v6, 0x80000000, v6
	v_lshl_add_u32 v11, v13, 23, v11
	v_or3_b32 v6, v6, v11, v7
	v_trunc_f32_e32 v6, v6
	s_mov_b32 s10, 0x2f800000
	v_mul_f32_e64 v7, |v6|, s10
	v_floor_f32_e32 v7, v7
	s_mov_b32 s10, 0xcf800000
	v_fma_f32 v11, v7, s10, |v6|
	v_cvt_u32_f32_e32 v11, v11
	v_cvt_u32_f32_e32 v7, v7
	v_ashrrev_i32_e32 v13, 31, v6
	v_xor_b32_e32 v6, v11, v13
	v_xor_b32_e32 v7, v7, v13
	v_sub_co_u32_e32 v6, vcc, v6, v13
	v_subb_co_u32_e32 v7, vcc, v7, v13, vcc
.LBB94_1935:
	s_or_b64 exec, exec, s[4:5]
	s_mov_b64 s[4:5], 0
	s_branch .LBB94_1939
.LBB94_1936:
	s_mov_b64 s[4:5], -1
                                        ; implicit-def: $vgpr6_vgpr7
	s_branch .LBB94_1945
.LBB94_1937:
	s_mov_b64 s[4:5], -1
                                        ; implicit-def: $vgpr6_vgpr7
	s_branch .LBB94_1942
.LBB94_1938:
	s_mov_b64 s[4:5], -1
                                        ; implicit-def: $vgpr6_vgpr7
.LBB94_1939:
	s_and_b64 vcc, exec, s[4:5]
	s_cbranch_vccz .LBB94_1941
; %bb.1940:
	global_load_ubyte v6, v[8:9], off
	s_mov_b32 s4, 0x7f800000
	s_brev_b32 s5, 1
	s_mov_b32 s10, 0x2f800000
	s_mov_b32 s11, 0xcf800000
	s_waitcnt vmcnt(0)
	v_lshlrev_b32_e32 v6, 24, v6
	v_and_b32_e32 v7, 0x7f000000, v6
	v_ffbh_u32_e32 v11, v7
	v_min_u32_e32 v11, 32, v11
	v_sub_u32_e64 v11, v11, 4 clamp
	v_lshlrev_b32_e32 v14, v11, v7
	v_lshlrev_b32_e32 v11, 23, v11
	v_lshrrev_b32_e32 v14, 4, v14
	v_add_u32_e32 v13, 0x1000000, v7
	v_sub_u32_e32 v11, v14, v11
	v_ashrrev_i32_e32 v13, 8, v13
	v_add_u32_e32 v11, 0x3c000000, v11
	v_and_or_b32 v11, v13, s4, v11
	v_cmp_ne_u32_e32 vcc, 0, v7
	v_cndmask_b32_e32 v7, 0, v11, vcc
	v_and_or_b32 v6, v6, s5, v7
	v_trunc_f32_e32 v6, v6
	v_mul_f32_e64 v7, |v6|, s10
	v_floor_f32_e32 v7, v7
	v_fma_f32 v11, v7, s11, |v6|
	v_cvt_u32_f32_e32 v11, v11
	v_cvt_u32_f32_e32 v7, v7
	v_ashrrev_i32_e32 v13, 31, v6
	v_xor_b32_e32 v6, v11, v13
	v_xor_b32_e32 v7, v7, v13
	v_sub_co_u32_e32 v6, vcc, v6, v13
	v_subb_co_u32_e32 v7, vcc, v7, v13, vcc
.LBB94_1941:
	s_mov_b64 s[4:5], 0
.LBB94_1942:
	s_andn2_b64 vcc, exec, s[4:5]
	s_cbranch_vccnz .LBB94_1944
; %bb.1943:
	global_load_ubyte v6, v[8:9], off
	s_movk_i32 s4, 0x7f00
	s_brev_b32 s5, 16
	s_brev_b32 s10, 1
	s_mov_b32 s11, 0x2f800000
	s_mov_b32 s24, 0xcf800000
	s_waitcnt vmcnt(0)
	v_lshlrev_b16_e32 v7, 8, v6
	v_lshlrev_b32_e32 v6, 25, v6
	v_lshrrev_b32_e32 v11, 4, v6
	v_and_or_b32 v13, v7, s4, 0.5
	v_or_b32_e32 v11, 0x70000000, v11
	v_add_f32_e32 v13, -0.5, v13
	v_mul_f32_e32 v11, 0x7800000, v11
	v_cmp_gt_u32_e32 vcc, s5, v6
	v_bfe_i32 v7, v7, 0, 16
	v_cndmask_b32_e32 v6, v11, v13, vcc
	v_and_or_b32 v6, v7, s10, v6
	v_trunc_f32_e32 v6, v6
	v_mul_f32_e64 v7, |v6|, s11
	v_floor_f32_e32 v7, v7
	v_fma_f32 v11, v7, s24, |v6|
	v_cvt_u32_f32_e32 v11, v11
	v_cvt_u32_f32_e32 v7, v7
	v_ashrrev_i32_e32 v13, 31, v6
	v_xor_b32_e32 v6, v11, v13
	v_xor_b32_e32 v7, v7, v13
	v_sub_co_u32_e32 v6, vcc, v6, v13
	v_subb_co_u32_e32 v7, vcc, v7, v13, vcc
.LBB94_1944:
	s_mov_b64 s[4:5], 0
	s_mov_b64 s[10:11], -1
.LBB94_1945:
	s_andn2_b64 vcc, exec, s[4:5]
	s_mov_b64 s[4:5], 0
	s_cbranch_vccnz .LBB94_1954
; %bb.1946:
	s_cmp_gt_i32 s27, 14
	s_cbranch_scc0 .LBB94_1949
; %bb.1947:
	s_cmp_eq_u32 s27, 15
	s_cbranch_scc0 .LBB94_1950
; %bb.1948:
	global_load_ushort v6, v[8:9], off
	s_mov_b32 s0, 0x2f800000
	s_mov_b32 s1, 0xcf800000
	s_mov_b64 s[10:11], -1
	s_waitcnt vmcnt(0)
	v_lshlrev_b32_e32 v6, 16, v6
	v_trunc_f32_e32 v6, v6
	v_mul_f32_e64 v7, |v6|, s0
	v_floor_f32_e32 v7, v7
	v_fma_f32 v11, v7, s1, |v6|
	v_cvt_u32_f32_e32 v11, v11
	v_cvt_u32_f32_e32 v7, v7
	v_ashrrev_i32_e32 v13, 31, v6
	s_mov_b64 s[0:1], 0
	v_xor_b32_e32 v6, v11, v13
	v_xor_b32_e32 v7, v7, v13
	v_sub_co_u32_e32 v6, vcc, v6, v13
	v_subb_co_u32_e32 v7, vcc, v7, v13, vcc
	s_branch .LBB94_1951
.LBB94_1949:
	s_mov_b64 s[24:25], -1
                                        ; implicit-def: $vgpr6_vgpr7
	s_branch .LBB94_1952
.LBB94_1950:
	s_mov_b64 s[0:1], -1
                                        ; implicit-def: $vgpr6_vgpr7
.LBB94_1951:
	s_mov_b64 s[24:25], 0
.LBB94_1952:
	s_and_b64 vcc, exec, s[24:25]
	s_cbranch_vccz .LBB94_1954
; %bb.1953:
	s_cmp_lg_u32 s27, 11
	s_mov_b64 s[4:5], -1
	s_cselect_b64 s[0:1], -1, 0
.LBB94_1954:
	s_and_b64 vcc, exec, s[0:1]
	s_cbranch_vccnz .LBB94_2019
; %bb.1955:
	s_andn2_b64 vcc, exec, s[4:5]
	s_cbranch_vccnz .LBB94_1957
.LBB94_1956:
	global_load_ubyte v6, v[8:9], off
	s_mov_b32 s0, 0
	s_waitcnt vmcnt(1)
	v_mov_b32_e32 v7, s0
	s_mov_b64 s[10:11], -1
	s_waitcnt vmcnt(0)
	v_cmp_ne_u16_e32 vcc, 0, v6
	v_cndmask_b32_e64 v6, 0, 1, vcc
.LBB94_1957:
	s_mov_b64 s[0:1], 0
.LBB94_1958:
	s_and_b64 vcc, exec, s[0:1]
	s_cbranch_vccz .LBB94_2007
; %bb.1959:
	s_and_b32 s4, 0xffff, s29
	s_cmp_lt_i32 s4, 5
	s_cbranch_scc1 .LBB94_1964
; %bb.1960:
	s_cmp_lt_i32 s4, 8
	s_cbranch_scc1 .LBB94_1965
; %bb.1961:
	s_cmp_lt_i32 s4, 9
	s_cbranch_scc1 .LBB94_1966
; %bb.1962:
	s_cmp_gt_i32 s4, 9
	s_cbranch_scc0 .LBB94_1967
; %bb.1963:
	global_load_dwordx2 v[6:7], v[8:9], off
	s_movk_i32 s0, 0xffe0
	s_waitcnt vmcnt(0)
	v_trunc_f64_e32 v[6:7], v[6:7]
	v_ldexp_f64 v[13:14], v[6:7], s0
	s_mov_b32 s0, 0
	s_mov_b32 s1, 0xc1f00000
	v_floor_f64_e32 v[13:14], v[13:14]
	v_fma_f64 v[15:16], v[13:14], s[0:1], v[6:7]
	v_cvt_i32_f64_e32 v7, v[13:14]
	s_mov_b64 s[0:1], 0
	v_cvt_u32_f64_e32 v6, v[15:16]
	s_branch .LBB94_1968
.LBB94_1964:
	s_mov_b64 s[0:1], -1
                                        ; implicit-def: $vgpr6_vgpr7
	s_branch .LBB94_1986
.LBB94_1965:
	s_mov_b64 s[0:1], -1
                                        ; implicit-def: $vgpr6_vgpr7
	s_branch .LBB94_1974
.LBB94_1966:
	s_mov_b64 s[0:1], -1
                                        ; implicit-def: $vgpr6_vgpr7
	s_branch .LBB94_1971
.LBB94_1967:
	s_mov_b64 s[0:1], -1
                                        ; implicit-def: $vgpr6_vgpr7
.LBB94_1968:
	s_andn2_b64 vcc, exec, s[0:1]
	s_cbranch_vccnz .LBB94_1970
; %bb.1969:
	global_load_dword v6, v[8:9], off
	s_mov_b32 s0, 0x2f800000
	s_mov_b32 s1, 0xcf800000
	s_waitcnt vmcnt(0)
	v_trunc_f32_e32 v6, v6
	v_mul_f32_e64 v7, |v6|, s0
	v_floor_f32_e32 v7, v7
	v_cvt_u32_f32_e32 v11, v7
	v_fma_f32 v7, v7, s1, |v6|
	v_cvt_u32_f32_e32 v7, v7
	v_ashrrev_i32_e32 v13, 31, v6
	v_xor_b32_e32 v11, v11, v13
	v_xor_b32_e32 v6, v7, v13
	v_sub_co_u32_e32 v6, vcc, v6, v13
	v_subb_co_u32_e32 v7, vcc, v11, v13, vcc
.LBB94_1970:
	s_mov_b64 s[0:1], 0
.LBB94_1971:
	s_andn2_b64 vcc, exec, s[0:1]
	s_cbranch_vccnz .LBB94_1973
; %bb.1972:
	global_load_dword v6, v[8:9], off
	s_waitcnt vmcnt(0)
	v_cvt_f32_f16_e32 v6, v6
	v_cvt_i32_f32_e32 v6, v6
	v_ashrrev_i32_e32 v7, 31, v6
.LBB94_1973:
	s_mov_b64 s[0:1], 0
.LBB94_1974:
	s_andn2_b64 vcc, exec, s[0:1]
	s_cbranch_vccnz .LBB94_1985
; %bb.1975:
	s_cmp_lt_i32 s4, 6
	s_cbranch_scc1 .LBB94_1978
; %bb.1976:
	s_cmp_gt_i32 s4, 6
	s_cbranch_scc0 .LBB94_1979
; %bb.1977:
	global_load_dwordx2 v[6:7], v[8:9], off
	s_movk_i32 s0, 0xffe0
	s_waitcnt vmcnt(0)
	v_trunc_f64_e32 v[6:7], v[6:7]
	v_ldexp_f64 v[13:14], v[6:7], s0
	s_mov_b32 s0, 0
	s_mov_b32 s1, 0xc1f00000
	v_floor_f64_e32 v[13:14], v[13:14]
	v_fma_f64 v[15:16], v[13:14], s[0:1], v[6:7]
	v_cvt_i32_f64_e32 v7, v[13:14]
	s_mov_b64 s[0:1], 0
	v_cvt_u32_f64_e32 v6, v[15:16]
	s_branch .LBB94_1980
.LBB94_1978:
	s_mov_b64 s[0:1], -1
                                        ; implicit-def: $vgpr6_vgpr7
	s_branch .LBB94_1983
.LBB94_1979:
	s_mov_b64 s[0:1], -1
                                        ; implicit-def: $vgpr6_vgpr7
.LBB94_1980:
	s_andn2_b64 vcc, exec, s[0:1]
	s_cbranch_vccnz .LBB94_1982
; %bb.1981:
	global_load_dword v6, v[8:9], off
	s_mov_b32 s0, 0x2f800000
	s_mov_b32 s1, 0xcf800000
	s_waitcnt vmcnt(0)
	v_trunc_f32_e32 v6, v6
	v_mul_f32_e64 v7, |v6|, s0
	v_floor_f32_e32 v7, v7
	v_cvt_u32_f32_e32 v11, v7
	v_fma_f32 v7, v7, s1, |v6|
	v_cvt_u32_f32_e32 v7, v7
	v_ashrrev_i32_e32 v13, 31, v6
	v_xor_b32_e32 v11, v11, v13
	v_xor_b32_e32 v6, v7, v13
	v_sub_co_u32_e32 v6, vcc, v6, v13
	v_subb_co_u32_e32 v7, vcc, v11, v13, vcc
.LBB94_1982:
	s_mov_b64 s[0:1], 0
.LBB94_1983:
	s_andn2_b64 vcc, exec, s[0:1]
	s_cbranch_vccnz .LBB94_1985
; %bb.1984:
	global_load_ushort v6, v[8:9], off
	s_waitcnt vmcnt(0)
	v_cvt_f32_f16_e32 v6, v6
	v_cvt_i32_f32_e32 v6, v6
	v_ashrrev_i32_e32 v7, 31, v6
.LBB94_1985:
	s_mov_b64 s[0:1], 0
.LBB94_1986:
	s_andn2_b64 vcc, exec, s[0:1]
	s_cbranch_vccnz .LBB94_2006
; %bb.1987:
	s_cmp_lt_i32 s4, 2
	s_cbranch_scc1 .LBB94_1991
; %bb.1988:
	s_cmp_lt_i32 s4, 3
	s_cbranch_scc1 .LBB94_1992
; %bb.1989:
	s_cmp_gt_i32 s4, 3
	s_cbranch_scc0 .LBB94_1993
; %bb.1990:
	global_load_dwordx2 v[6:7], v[8:9], off
	s_mov_b64 s[0:1], 0
	s_branch .LBB94_1994
.LBB94_1991:
	s_mov_b64 s[0:1], -1
                                        ; implicit-def: $vgpr6_vgpr7
	s_branch .LBB94_2000
.LBB94_1992:
	s_mov_b64 s[0:1], -1
                                        ; implicit-def: $vgpr6_vgpr7
	s_branch .LBB94_1997
.LBB94_1993:
	s_mov_b64 s[0:1], -1
                                        ; implicit-def: $vgpr6_vgpr7
.LBB94_1994:
	s_andn2_b64 vcc, exec, s[0:1]
	s_cbranch_vccnz .LBB94_1996
; %bb.1995:
	global_load_dword v6, v[8:9], off
	s_waitcnt vmcnt(0)
	v_ashrrev_i32_e32 v7, 31, v6
.LBB94_1996:
	s_mov_b64 s[0:1], 0
.LBB94_1997:
	s_andn2_b64 vcc, exec, s[0:1]
	s_cbranch_vccnz .LBB94_1999
; %bb.1998:
	global_load_ushort v6, v[8:9], off
	s_waitcnt vmcnt(0)
	v_bfe_i32 v6, v6, 0, 16
	v_ashrrev_i32_e32 v7, 31, v6
.LBB94_1999:
	s_mov_b64 s[0:1], 0
.LBB94_2000:
	s_andn2_b64 vcc, exec, s[0:1]
	s_cbranch_vccnz .LBB94_2006
; %bb.2001:
	s_cmp_gt_i32 s4, 0
	s_cbranch_scc0 .LBB94_2003
; %bb.2002:
	global_load_sbyte v6, v[8:9], off
	s_mov_b64 s[0:1], 0
	s_waitcnt vmcnt(0)
	v_bfe_i32 v6, v6, 0, 16
	v_ashrrev_i32_e32 v7, 31, v6
	s_branch .LBB94_2004
.LBB94_2003:
	s_mov_b64 s[0:1], -1
                                        ; implicit-def: $vgpr6_vgpr7
.LBB94_2004:
	s_andn2_b64 vcc, exec, s[0:1]
	s_cbranch_vccnz .LBB94_2006
; %bb.2005:
	global_load_ubyte v6, v[8:9], off
	s_mov_b32 s0, 0
	s_waitcnt vmcnt(1)
	v_mov_b32_e32 v7, s0
	s_waitcnt vmcnt(0)
	v_and_b32_e32 v6, 0xffff, v6
.LBB94_2006:
	s_mov_b64 s[10:11], -1
.LBB94_2007:
	s_andn2_b64 vcc, exec, s[10:11]
	s_cbranch_vccnz .LBB94_2947
; %bb.2008:
	v_add_u32_e32 v14, s9, v10
	v_ashrrev_i32_e32 v8, 31, v14
	v_mov_b32_e32 v9, s19
	v_add_co_u32_e32 v10, vcc, s18, v14
	s_cmp_lt_i32 s28, 11
	v_addc_co_u32_e32 v11, vcc, v9, v8, vcc
	s_cbranch_scc1 .LBB94_2015
; %bb.2009:
	s_and_b32 s27, 0xffff, s28
	s_cmp_gt_i32 s27, 25
	s_mov_b64 s[4:5], 0
	s_cbranch_scc0 .LBB94_2016
; %bb.2010:
	s_cmp_gt_i32 s27, 28
	s_cbranch_scc0 .LBB94_2017
; %bb.2011:
	s_cmp_gt_i32 s27, 43
	s_cbranch_scc0 .LBB94_2018
; %bb.2012:
	s_cmp_gt_i32 s27, 45
	s_cbranch_scc0 .LBB94_2020
; %bb.2013:
	s_cmp_eq_u32 s27, 46
	s_mov_b64 s[24:25], 0
	s_cbranch_scc0 .LBB94_2021
; %bb.2014:
	global_load_dword v8, v[10:11], off
	s_mov_b32 s0, 0x2f800000
	s_mov_b32 s1, 0xcf800000
	s_mov_b64 s[10:11], -1
	s_waitcnt vmcnt(0)
	v_lshlrev_b32_e32 v8, 16, v8
	v_trunc_f32_e32 v8, v8
	v_mul_f32_e64 v9, |v8|, s0
	v_floor_f32_e32 v9, v9
	v_fma_f32 v13, v9, s1, |v8|
	v_cvt_u32_f32_e32 v13, v13
	v_cvt_u32_f32_e32 v9, v9
	v_ashrrev_i32_e32 v15, 31, v8
	s_mov_b64 s[0:1], 0
	v_xor_b32_e32 v8, v13, v15
	v_xor_b32_e32 v9, v9, v15
	v_sub_co_u32_e32 v8, vcc, v8, v15
	v_subb_co_u32_e32 v9, vcc, v9, v15, vcc
	s_branch .LBB94_2022
.LBB94_2015:
	s_mov_b64 s[0:1], -1
	s_mov_b64 s[10:11], 0
                                        ; implicit-def: $vgpr8_vgpr9
	s_branch .LBB94_2084
.LBB94_2016:
	s_mov_b64 s[24:25], -1
	s_mov_b64 s[10:11], 0
	s_mov_b64 s[0:1], 0
                                        ; implicit-def: $vgpr8_vgpr9
	s_branch .LBB94_2051
.LBB94_2017:
	s_mov_b64 s[24:25], -1
	s_mov_b64 s[10:11], 0
	s_mov_b64 s[0:1], 0
                                        ; implicit-def: $vgpr8_vgpr9
	s_branch .LBB94_2032
.LBB94_2018:
	s_mov_b64 s[24:25], -1
	s_mov_b64 s[10:11], 0
	s_mov_b64 s[0:1], 0
                                        ; implicit-def: $vgpr8_vgpr9
	s_branch .LBB94_2027
.LBB94_2019:
	s_trap 2
	s_or_b64 s[22:23], s[22:23], exec
	s_cbranch_execz .LBB94_1956
	s_branch .LBB94_1957
.LBB94_2020:
	s_mov_b64 s[24:25], -1
	s_mov_b64 s[10:11], 0
	s_mov_b64 s[0:1], 0
                                        ; implicit-def: $vgpr8_vgpr9
	s_branch .LBB94_2022
.LBB94_2021:
	s_mov_b64 s[0:1], -1
                                        ; implicit-def: $vgpr8_vgpr9
	s_mov_b64 s[10:11], 0
.LBB94_2022:
	s_and_b64 vcc, exec, s[24:25]
	s_cbranch_vccz .LBB94_2026
; %bb.2023:
	s_cmp_eq_u32 s27, 44
	s_cbranch_scc0 .LBB94_2025
; %bb.2024:
	global_load_ubyte v8, v[10:11], off
	s_mov_b32 s0, 0x2f800000
	s_mov_b32 s1, 0xcf800000
	s_mov_b64 s[10:11], -1
	s_waitcnt vmcnt(0)
	v_lshlrev_b32_e32 v9, 23, v8
	v_trunc_f32_e32 v9, v9
	v_mul_f32_e64 v13, |v9|, s0
	v_floor_f32_e32 v13, v13
	v_fma_f32 v15, v13, s1, |v9|
	v_cvt_u32_f32_e32 v15, v15
	v_cvt_u32_f32_e32 v13, v13
	v_ashrrev_i32_e32 v9, 31, v9
	s_mov_b64 s[0:1], 0
	v_xor_b32_e32 v15, v15, v9
	v_xor_b32_e32 v13, v13, v9
	v_sub_co_u32_e32 v15, vcc, v15, v9
	v_subb_co_u32_e32 v9, vcc, v13, v9, vcc
	v_cmp_ne_u32_e32 vcc, 0, v8
	v_cndmask_b32_e32 v9, 0, v9, vcc
	v_cndmask_b32_e32 v8, 0, v15, vcc
	s_branch .LBB94_2026
.LBB94_2025:
	s_mov_b64 s[0:1], -1
                                        ; implicit-def: $vgpr8_vgpr9
.LBB94_2026:
	s_mov_b64 s[24:25], 0
.LBB94_2027:
	s_and_b64 vcc, exec, s[24:25]
	s_cbranch_vccz .LBB94_2031
; %bb.2028:
	s_cmp_eq_u32 s27, 29
	s_cbranch_scc0 .LBB94_2030
; %bb.2029:
	global_load_dwordx2 v[8:9], v[10:11], off
	s_mov_b64 s[0:1], 0
	s_mov_b64 s[10:11], -1
	s_branch .LBB94_2031
.LBB94_2030:
	s_mov_b64 s[0:1], -1
                                        ; implicit-def: $vgpr8_vgpr9
.LBB94_2031:
	s_mov_b64 s[24:25], 0
.LBB94_2032:
	s_and_b64 vcc, exec, s[24:25]
	s_cbranch_vccz .LBB94_2050
; %bb.2033:
	s_cmp_lt_i32 s27, 27
	s_cbranch_scc1 .LBB94_2036
; %bb.2034:
	s_cmp_gt_i32 s27, 27
	s_cbranch_scc0 .LBB94_2037
; %bb.2035:
	global_load_dword v8, v[10:11], off
	s_waitcnt vmcnt(1)
	v_mov_b32_e32 v9, 0
	s_mov_b64 s[10:11], 0
	s_branch .LBB94_2038
.LBB94_2036:
	s_mov_b64 s[10:11], -1
                                        ; implicit-def: $vgpr8_vgpr9
	s_branch .LBB94_2041
.LBB94_2037:
	s_mov_b64 s[10:11], -1
                                        ; implicit-def: $vgpr8_vgpr9
.LBB94_2038:
	s_andn2_b64 vcc, exec, s[10:11]
	s_cbranch_vccnz .LBB94_2040
; %bb.2039:
	global_load_ushort v8, v[10:11], off
	s_mov_b32 s10, 0
	s_waitcnt vmcnt(1)
	v_mov_b32_e32 v9, s10
	s_waitcnt vmcnt(0)
	v_and_b32_e32 v8, 0xffff, v8
.LBB94_2040:
	s_mov_b64 s[10:11], 0
.LBB94_2041:
	s_andn2_b64 vcc, exec, s[10:11]
	s_cbranch_vccnz .LBB94_2049
; %bb.2042:
	global_load_ubyte v13, v[10:11], off
	s_movk_i32 s10, 0x7f
	s_mov_b64 s[24:25], 0
	s_waitcnt vmcnt(0)
	v_cmp_lt_i16_e32 vcc, s10, v13
	s_and_saveexec_b64 s[10:11], vcc
	s_xor_b64 s[10:11], exec, s[10:11]
; %bb.2043:
	s_movk_i32 s24, 0x80
	v_cmp_ne_u16_e32 vcc, s24, v13
	s_and_b64 s[24:25], vcc, exec
; %bb.2044:
	s_andn2_saveexec_b64 s[10:11], s[10:11]
; %bb.2045:
	v_cmp_ne_u16_e32 vcc, 0, v13
	s_andn2_b64 s[24:25], s[24:25], exec
	s_and_b64 s[30:31], vcc, exec
	s_or_b64 s[24:25], s[24:25], s[30:31]
; %bb.2046:
	s_or_b64 exec, exec, s[10:11]
	v_mov_b32_e32 v8, 0
	v_mov_b32_e32 v9, 0
	s_and_saveexec_b64 s[10:11], s[24:25]
	s_cbranch_execz .LBB94_2048
; %bb.2047:
	v_and_b32_e32 v9, 0xffff, v13
	v_lshlrev_b32_e32 v8, 24, v13
	v_and_b32_e32 v13, 7, v9
	v_ffbh_u32_e32 v16, v13
	v_min_u32_e32 v16, 32, v16
	v_subrev_u32_e32 v17, 28, v16
	v_bfe_u32 v15, v9, 3, 4
	v_lshlrev_b32_e32 v9, v17, v9
	v_sub_u32_e32 v16, 29, v16
	v_and_b32_e32 v9, 7, v9
	v_cmp_eq_u32_e32 vcc, 0, v15
	v_cndmask_b32_e32 v15, v15, v16, vcc
	v_cndmask_b32_e32 v9, v13, v9, vcc
	v_mov_b32_e32 v13, 0x3b800000
	v_lshlrev_b32_e32 v9, 20, v9
	v_and_b32_e32 v8, 0x80000000, v8
	v_lshl_add_u32 v13, v15, 23, v13
	v_or3_b32 v8, v8, v13, v9
	v_trunc_f32_e32 v8, v8
	s_mov_b32 s24, 0x2f800000
	v_mul_f32_e64 v9, |v8|, s24
	v_floor_f32_e32 v9, v9
	s_mov_b32 s24, 0xcf800000
	v_fma_f32 v13, v9, s24, |v8|
	v_cvt_u32_f32_e32 v13, v13
	v_cvt_u32_f32_e32 v9, v9
	v_ashrrev_i32_e32 v15, 31, v8
	v_xor_b32_e32 v8, v13, v15
	v_xor_b32_e32 v9, v9, v15
	v_sub_co_u32_e32 v8, vcc, v8, v15
	v_subb_co_u32_e32 v9, vcc, v9, v15, vcc
.LBB94_2048:
	s_or_b64 exec, exec, s[10:11]
.LBB94_2049:
	s_mov_b64 s[10:11], -1
.LBB94_2050:
	s_mov_b64 s[24:25], 0
.LBB94_2051:
	s_and_b64 vcc, exec, s[24:25]
	s_cbranch_vccz .LBB94_2080
; %bb.2052:
	s_cmp_gt_i32 s27, 22
	s_cbranch_scc0 .LBB94_2062
; %bb.2053:
	s_cmp_lt_i32 s27, 24
	s_cbranch_scc1 .LBB94_2063
; %bb.2054:
	s_cmp_gt_i32 s27, 24
	s_cbranch_scc0 .LBB94_2064
; %bb.2055:
	global_load_ubyte v13, v[10:11], off
	s_movk_i32 s4, 0x7f
	s_mov_b64 s[10:11], 0
	s_waitcnt vmcnt(0)
	v_cmp_lt_i16_e32 vcc, s4, v13
	s_and_saveexec_b64 s[4:5], vcc
	s_xor_b64 s[4:5], exec, s[4:5]
; %bb.2056:
	s_movk_i32 s10, 0x80
	v_cmp_ne_u16_e32 vcc, s10, v13
	s_and_b64 s[10:11], vcc, exec
; %bb.2057:
	s_andn2_saveexec_b64 s[4:5], s[4:5]
; %bb.2058:
	v_cmp_ne_u16_e32 vcc, 0, v13
	s_andn2_b64 s[10:11], s[10:11], exec
	s_and_b64 s[24:25], vcc, exec
	s_or_b64 s[10:11], s[10:11], s[24:25]
; %bb.2059:
	s_or_b64 exec, exec, s[4:5]
	v_mov_b32_e32 v8, 0
	v_mov_b32_e32 v9, 0
	s_and_saveexec_b64 s[4:5], s[10:11]
	s_cbranch_execz .LBB94_2061
; %bb.2060:
	v_and_b32_e32 v9, 0xffff, v13
	v_lshlrev_b32_e32 v8, 24, v13
	v_and_b32_e32 v13, 3, v9
	v_ffbh_u32_e32 v16, v13
	v_min_u32_e32 v16, 32, v16
	v_subrev_u32_e32 v17, 29, v16
	v_bfe_u32 v15, v9, 2, 5
	v_lshlrev_b32_e32 v9, v17, v9
	v_sub_u32_e32 v16, 30, v16
	v_and_b32_e32 v9, 3, v9
	v_cmp_eq_u32_e32 vcc, 0, v15
	v_cndmask_b32_e32 v15, v15, v16, vcc
	v_cndmask_b32_e32 v9, v13, v9, vcc
	v_mov_b32_e32 v13, 0x37800000
	v_lshlrev_b32_e32 v9, 21, v9
	v_and_b32_e32 v8, 0x80000000, v8
	v_lshl_add_u32 v13, v15, 23, v13
	v_or3_b32 v8, v8, v13, v9
	v_trunc_f32_e32 v8, v8
	s_mov_b32 s10, 0x2f800000
	v_mul_f32_e64 v9, |v8|, s10
	v_floor_f32_e32 v9, v9
	s_mov_b32 s10, 0xcf800000
	v_fma_f32 v13, v9, s10, |v8|
	v_cvt_u32_f32_e32 v13, v13
	v_cvt_u32_f32_e32 v9, v9
	v_ashrrev_i32_e32 v15, 31, v8
	v_xor_b32_e32 v8, v13, v15
	v_xor_b32_e32 v9, v9, v15
	v_sub_co_u32_e32 v8, vcc, v8, v15
	v_subb_co_u32_e32 v9, vcc, v9, v15, vcc
.LBB94_2061:
	s_or_b64 exec, exec, s[4:5]
	s_mov_b64 s[4:5], 0
	s_branch .LBB94_2065
.LBB94_2062:
	s_mov_b64 s[4:5], -1
                                        ; implicit-def: $vgpr8_vgpr9
	s_branch .LBB94_2071
.LBB94_2063:
	s_mov_b64 s[4:5], -1
                                        ; implicit-def: $vgpr8_vgpr9
	s_branch .LBB94_2068
.LBB94_2064:
	s_mov_b64 s[4:5], -1
                                        ; implicit-def: $vgpr8_vgpr9
.LBB94_2065:
	s_and_b64 vcc, exec, s[4:5]
	s_cbranch_vccz .LBB94_2067
; %bb.2066:
	global_load_ubyte v8, v[10:11], off
	s_mov_b32 s4, 0x7f800000
	s_brev_b32 s5, 1
	s_mov_b32 s10, 0x2f800000
	s_mov_b32 s11, 0xcf800000
	s_waitcnt vmcnt(0)
	v_lshlrev_b32_e32 v8, 24, v8
	v_and_b32_e32 v9, 0x7f000000, v8
	v_ffbh_u32_e32 v13, v9
	v_min_u32_e32 v13, 32, v13
	v_sub_u32_e64 v13, v13, 4 clamp
	v_lshlrev_b32_e32 v16, v13, v9
	v_lshlrev_b32_e32 v13, 23, v13
	v_lshrrev_b32_e32 v16, 4, v16
	v_add_u32_e32 v15, 0x1000000, v9
	v_sub_u32_e32 v13, v16, v13
	v_ashrrev_i32_e32 v15, 8, v15
	v_add_u32_e32 v13, 0x3c000000, v13
	v_and_or_b32 v13, v15, s4, v13
	v_cmp_ne_u32_e32 vcc, 0, v9
	v_cndmask_b32_e32 v9, 0, v13, vcc
	v_and_or_b32 v8, v8, s5, v9
	v_trunc_f32_e32 v8, v8
	v_mul_f32_e64 v9, |v8|, s10
	v_floor_f32_e32 v9, v9
	v_fma_f32 v13, v9, s11, |v8|
	v_cvt_u32_f32_e32 v13, v13
	v_cvt_u32_f32_e32 v9, v9
	v_ashrrev_i32_e32 v15, 31, v8
	v_xor_b32_e32 v8, v13, v15
	v_xor_b32_e32 v9, v9, v15
	v_sub_co_u32_e32 v8, vcc, v8, v15
	v_subb_co_u32_e32 v9, vcc, v9, v15, vcc
.LBB94_2067:
	s_mov_b64 s[4:5], 0
.LBB94_2068:
	s_andn2_b64 vcc, exec, s[4:5]
	s_cbranch_vccnz .LBB94_2070
; %bb.2069:
	global_load_ubyte v8, v[10:11], off
	s_movk_i32 s4, 0x7f00
	s_brev_b32 s5, 16
	s_brev_b32 s10, 1
	s_mov_b32 s11, 0x2f800000
	s_mov_b32 s24, 0xcf800000
	s_waitcnt vmcnt(0)
	v_lshlrev_b16_e32 v9, 8, v8
	v_lshlrev_b32_e32 v8, 25, v8
	v_lshrrev_b32_e32 v13, 4, v8
	v_and_or_b32 v15, v9, s4, 0.5
	v_or_b32_e32 v13, 0x70000000, v13
	v_add_f32_e32 v15, -0.5, v15
	v_mul_f32_e32 v13, 0x7800000, v13
	v_cmp_gt_u32_e32 vcc, s5, v8
	v_bfe_i32 v9, v9, 0, 16
	v_cndmask_b32_e32 v8, v13, v15, vcc
	v_and_or_b32 v8, v9, s10, v8
	v_trunc_f32_e32 v8, v8
	v_mul_f32_e64 v9, |v8|, s11
	v_floor_f32_e32 v9, v9
	v_fma_f32 v13, v9, s24, |v8|
	v_cvt_u32_f32_e32 v13, v13
	v_cvt_u32_f32_e32 v9, v9
	v_ashrrev_i32_e32 v15, 31, v8
	v_xor_b32_e32 v8, v13, v15
	v_xor_b32_e32 v9, v9, v15
	v_sub_co_u32_e32 v8, vcc, v8, v15
	v_subb_co_u32_e32 v9, vcc, v9, v15, vcc
.LBB94_2070:
	s_mov_b64 s[4:5], 0
	s_mov_b64 s[10:11], -1
.LBB94_2071:
	s_andn2_b64 vcc, exec, s[4:5]
	s_mov_b64 s[4:5], 0
	s_cbranch_vccnz .LBB94_2080
; %bb.2072:
	s_cmp_gt_i32 s27, 14
	s_cbranch_scc0 .LBB94_2075
; %bb.2073:
	s_cmp_eq_u32 s27, 15
	s_cbranch_scc0 .LBB94_2076
; %bb.2074:
	global_load_ushort v8, v[10:11], off
	s_mov_b32 s0, 0x2f800000
	s_mov_b32 s1, 0xcf800000
	s_mov_b64 s[10:11], -1
	s_waitcnt vmcnt(0)
	v_lshlrev_b32_e32 v8, 16, v8
	v_trunc_f32_e32 v8, v8
	v_mul_f32_e64 v9, |v8|, s0
	v_floor_f32_e32 v9, v9
	v_fma_f32 v13, v9, s1, |v8|
	v_cvt_u32_f32_e32 v13, v13
	v_cvt_u32_f32_e32 v9, v9
	v_ashrrev_i32_e32 v15, 31, v8
	s_mov_b64 s[0:1], 0
	v_xor_b32_e32 v8, v13, v15
	v_xor_b32_e32 v9, v9, v15
	v_sub_co_u32_e32 v8, vcc, v8, v15
	v_subb_co_u32_e32 v9, vcc, v9, v15, vcc
	s_branch .LBB94_2077
.LBB94_2075:
	s_mov_b64 s[24:25], -1
                                        ; implicit-def: $vgpr8_vgpr9
	s_branch .LBB94_2078
.LBB94_2076:
	s_mov_b64 s[0:1], -1
                                        ; implicit-def: $vgpr8_vgpr9
.LBB94_2077:
	s_mov_b64 s[24:25], 0
.LBB94_2078:
	s_and_b64 vcc, exec, s[24:25]
	s_cbranch_vccz .LBB94_2080
; %bb.2079:
	s_cmp_lg_u32 s27, 11
	s_mov_b64 s[4:5], -1
	s_cselect_b64 s[0:1], -1, 0
.LBB94_2080:
	s_and_b64 vcc, exec, s[0:1]
	s_cbranch_vccnz .LBB94_2145
; %bb.2081:
	s_andn2_b64 vcc, exec, s[4:5]
	s_cbranch_vccnz .LBB94_2083
.LBB94_2082:
	global_load_ubyte v8, v[10:11], off
	s_mov_b32 s0, 0
	s_waitcnt vmcnt(1)
	v_mov_b32_e32 v9, s0
	s_mov_b64 s[10:11], -1
	s_waitcnt vmcnt(0)
	v_cmp_ne_u16_e32 vcc, 0, v8
	v_cndmask_b32_e64 v8, 0, 1, vcc
.LBB94_2083:
	s_mov_b64 s[0:1], 0
.LBB94_2084:
	s_and_b64 vcc, exec, s[0:1]
	s_cbranch_vccz .LBB94_2133
; %bb.2085:
	s_and_b32 s4, 0xffff, s28
	s_cmp_lt_i32 s4, 5
	s_cbranch_scc1 .LBB94_2090
; %bb.2086:
	s_cmp_lt_i32 s4, 8
	s_cbranch_scc1 .LBB94_2091
; %bb.2087:
	;; [unrolled: 3-line block ×3, first 2 shown]
	s_cmp_gt_i32 s4, 9
	s_cbranch_scc0 .LBB94_2093
; %bb.2089:
	global_load_dwordx2 v[8:9], v[10:11], off
	s_movk_i32 s0, 0xffe0
	s_waitcnt vmcnt(0)
	v_trunc_f64_e32 v[8:9], v[8:9]
	v_ldexp_f64 v[15:16], v[8:9], s0
	s_mov_b32 s0, 0
	s_mov_b32 s1, 0xc1f00000
	v_floor_f64_e32 v[15:16], v[15:16]
	v_fma_f64 v[19:20], v[15:16], s[0:1], v[8:9]
	v_cvt_i32_f64_e32 v9, v[15:16]
	s_mov_b64 s[0:1], 0
	v_cvt_u32_f64_e32 v8, v[19:20]
	s_branch .LBB94_2094
.LBB94_2090:
	s_mov_b64 s[0:1], -1
                                        ; implicit-def: $vgpr8_vgpr9
	s_branch .LBB94_2112
.LBB94_2091:
	s_mov_b64 s[0:1], -1
                                        ; implicit-def: $vgpr8_vgpr9
	s_branch .LBB94_2100
.LBB94_2092:
	s_mov_b64 s[0:1], -1
                                        ; implicit-def: $vgpr8_vgpr9
	s_branch .LBB94_2097
.LBB94_2093:
	s_mov_b64 s[0:1], -1
                                        ; implicit-def: $vgpr8_vgpr9
.LBB94_2094:
	s_andn2_b64 vcc, exec, s[0:1]
	s_cbranch_vccnz .LBB94_2096
; %bb.2095:
	global_load_dword v8, v[10:11], off
	s_mov_b32 s0, 0x2f800000
	s_mov_b32 s1, 0xcf800000
	s_waitcnt vmcnt(0)
	v_trunc_f32_e32 v8, v8
	v_mul_f32_e64 v9, |v8|, s0
	v_floor_f32_e32 v9, v9
	v_cvt_u32_f32_e32 v13, v9
	v_fma_f32 v9, v9, s1, |v8|
	v_cvt_u32_f32_e32 v9, v9
	v_ashrrev_i32_e32 v15, 31, v8
	v_xor_b32_e32 v13, v13, v15
	v_xor_b32_e32 v8, v9, v15
	v_sub_co_u32_e32 v8, vcc, v8, v15
	v_subb_co_u32_e32 v9, vcc, v13, v15, vcc
.LBB94_2096:
	s_mov_b64 s[0:1], 0
.LBB94_2097:
	s_andn2_b64 vcc, exec, s[0:1]
	s_cbranch_vccnz .LBB94_2099
; %bb.2098:
	global_load_dword v8, v[10:11], off
	s_waitcnt vmcnt(0)
	v_cvt_f32_f16_e32 v8, v8
	v_cvt_i32_f32_e32 v8, v8
	v_ashrrev_i32_e32 v9, 31, v8
.LBB94_2099:
	s_mov_b64 s[0:1], 0
.LBB94_2100:
	s_andn2_b64 vcc, exec, s[0:1]
	s_cbranch_vccnz .LBB94_2111
; %bb.2101:
	s_cmp_lt_i32 s4, 6
	s_cbranch_scc1 .LBB94_2104
; %bb.2102:
	s_cmp_gt_i32 s4, 6
	s_cbranch_scc0 .LBB94_2105
; %bb.2103:
	global_load_dwordx2 v[8:9], v[10:11], off
	s_movk_i32 s0, 0xffe0
	s_waitcnt vmcnt(0)
	v_trunc_f64_e32 v[8:9], v[8:9]
	v_ldexp_f64 v[15:16], v[8:9], s0
	s_mov_b32 s0, 0
	s_mov_b32 s1, 0xc1f00000
	v_floor_f64_e32 v[15:16], v[15:16]
	v_fma_f64 v[19:20], v[15:16], s[0:1], v[8:9]
	v_cvt_i32_f64_e32 v9, v[15:16]
	s_mov_b64 s[0:1], 0
	v_cvt_u32_f64_e32 v8, v[19:20]
	s_branch .LBB94_2106
.LBB94_2104:
	s_mov_b64 s[0:1], -1
                                        ; implicit-def: $vgpr8_vgpr9
	s_branch .LBB94_2109
.LBB94_2105:
	s_mov_b64 s[0:1], -1
                                        ; implicit-def: $vgpr8_vgpr9
.LBB94_2106:
	s_andn2_b64 vcc, exec, s[0:1]
	s_cbranch_vccnz .LBB94_2108
; %bb.2107:
	global_load_dword v8, v[10:11], off
	s_mov_b32 s0, 0x2f800000
	s_mov_b32 s1, 0xcf800000
	s_waitcnt vmcnt(0)
	v_trunc_f32_e32 v8, v8
	v_mul_f32_e64 v9, |v8|, s0
	v_floor_f32_e32 v9, v9
	v_cvt_u32_f32_e32 v13, v9
	v_fma_f32 v9, v9, s1, |v8|
	v_cvt_u32_f32_e32 v9, v9
	v_ashrrev_i32_e32 v15, 31, v8
	v_xor_b32_e32 v13, v13, v15
	v_xor_b32_e32 v8, v9, v15
	v_sub_co_u32_e32 v8, vcc, v8, v15
	v_subb_co_u32_e32 v9, vcc, v13, v15, vcc
.LBB94_2108:
	s_mov_b64 s[0:1], 0
.LBB94_2109:
	s_andn2_b64 vcc, exec, s[0:1]
	s_cbranch_vccnz .LBB94_2111
; %bb.2110:
	global_load_ushort v8, v[10:11], off
	s_waitcnt vmcnt(0)
	v_cvt_f32_f16_e32 v8, v8
	v_cvt_i32_f32_e32 v8, v8
	v_ashrrev_i32_e32 v9, 31, v8
.LBB94_2111:
	s_mov_b64 s[0:1], 0
.LBB94_2112:
	s_andn2_b64 vcc, exec, s[0:1]
	s_cbranch_vccnz .LBB94_2132
; %bb.2113:
	s_cmp_lt_i32 s4, 2
	s_cbranch_scc1 .LBB94_2117
; %bb.2114:
	s_cmp_lt_i32 s4, 3
	s_cbranch_scc1 .LBB94_2118
; %bb.2115:
	s_cmp_gt_i32 s4, 3
	s_cbranch_scc0 .LBB94_2119
; %bb.2116:
	global_load_dwordx2 v[8:9], v[10:11], off
	s_mov_b64 s[0:1], 0
	s_branch .LBB94_2120
.LBB94_2117:
	s_mov_b64 s[0:1], -1
                                        ; implicit-def: $vgpr8_vgpr9
	s_branch .LBB94_2126
.LBB94_2118:
	s_mov_b64 s[0:1], -1
                                        ; implicit-def: $vgpr8_vgpr9
	s_branch .LBB94_2123
.LBB94_2119:
	s_mov_b64 s[0:1], -1
                                        ; implicit-def: $vgpr8_vgpr9
.LBB94_2120:
	s_andn2_b64 vcc, exec, s[0:1]
	s_cbranch_vccnz .LBB94_2122
; %bb.2121:
	global_load_dword v8, v[10:11], off
	s_waitcnt vmcnt(0)
	v_ashrrev_i32_e32 v9, 31, v8
.LBB94_2122:
	s_mov_b64 s[0:1], 0
.LBB94_2123:
	s_andn2_b64 vcc, exec, s[0:1]
	s_cbranch_vccnz .LBB94_2125
; %bb.2124:
	global_load_ushort v8, v[10:11], off
	s_waitcnt vmcnt(0)
	v_bfe_i32 v8, v8, 0, 16
	v_ashrrev_i32_e32 v9, 31, v8
.LBB94_2125:
	s_mov_b64 s[0:1], 0
.LBB94_2126:
	s_andn2_b64 vcc, exec, s[0:1]
	s_cbranch_vccnz .LBB94_2132
; %bb.2127:
	s_cmp_gt_i32 s4, 0
	s_cbranch_scc0 .LBB94_2129
; %bb.2128:
	global_load_sbyte v8, v[10:11], off
	s_mov_b64 s[0:1], 0
	s_waitcnt vmcnt(0)
	v_bfe_i32 v8, v8, 0, 16
	v_ashrrev_i32_e32 v9, 31, v8
	s_branch .LBB94_2130
.LBB94_2129:
	s_mov_b64 s[0:1], -1
                                        ; implicit-def: $vgpr8_vgpr9
.LBB94_2130:
	s_andn2_b64 vcc, exec, s[0:1]
	s_cbranch_vccnz .LBB94_2132
; %bb.2131:
	global_load_ubyte v8, v[10:11], off
	s_mov_b32 s0, 0
	s_waitcnt vmcnt(1)
	v_mov_b32_e32 v9, s0
	s_waitcnt vmcnt(0)
	v_and_b32_e32 v8, 0xffff, v8
.LBB94_2132:
	s_mov_b64 s[10:11], -1
.LBB94_2133:
	s_andn2_b64 vcc, exec, s[10:11]
	s_cbranch_vccnz .LBB94_2947
; %bb.2134:
	v_add_u32_e32 v16, s26, v12
	v_ashrrev_i32_e32 v10, 31, v16
	v_mov_b32_e32 v11, s3
	v_add_co_u32_e32 v12, vcc, s2, v16
	s_cmp_lt_i32 s29, 11
	v_addc_co_u32_e32 v13, vcc, v11, v10, vcc
	s_cbranch_scc1 .LBB94_2141
; %bb.2135:
	s_and_b32 s27, 0xffff, s29
	s_cmp_gt_i32 s27, 25
	s_mov_b64 s[4:5], 0
	s_cbranch_scc0 .LBB94_2142
; %bb.2136:
	s_cmp_gt_i32 s27, 28
	s_cbranch_scc0 .LBB94_2143
; %bb.2137:
	s_cmp_gt_i32 s27, 43
	;; [unrolled: 3-line block ×3, first 2 shown]
	s_cbranch_scc0 .LBB94_2146
; %bb.2139:
	s_cmp_eq_u32 s27, 46
	s_mov_b64 s[24:25], 0
	s_cbranch_scc0 .LBB94_2149
; %bb.2140:
	global_load_dword v10, v[12:13], off
	s_mov_b32 s0, 0x2f800000
	s_mov_b32 s1, 0xcf800000
	s_mov_b64 s[10:11], -1
	s_waitcnt vmcnt(0)
	v_lshlrev_b32_e32 v10, 16, v10
	v_trunc_f32_e32 v10, v10
	v_mul_f32_e64 v11, |v10|, s0
	v_floor_f32_e32 v11, v11
	v_fma_f32 v15, v11, s1, |v10|
	v_cvt_u32_f32_e32 v15, v15
	v_cvt_u32_f32_e32 v11, v11
	v_ashrrev_i32_e32 v17, 31, v10
	s_mov_b64 s[0:1], 0
	v_xor_b32_e32 v10, v15, v17
	v_xor_b32_e32 v11, v11, v17
	v_sub_co_u32_e32 v10, vcc, v10, v17
	v_subb_co_u32_e32 v11, vcc, v11, v17, vcc
	s_branch .LBB94_2150
.LBB94_2141:
	s_mov_b64 s[0:1], -1
	s_mov_b64 s[10:11], 0
                                        ; implicit-def: $vgpr10_vgpr11
	s_branch .LBB94_2212
.LBB94_2142:
	s_mov_b64 s[24:25], -1
	s_mov_b64 s[10:11], 0
	s_mov_b64 s[0:1], 0
                                        ; implicit-def: $vgpr10_vgpr11
	s_branch .LBB94_2179
.LBB94_2143:
	s_mov_b64 s[24:25], -1
	s_mov_b64 s[10:11], 0
	s_mov_b64 s[0:1], 0
                                        ; implicit-def: $vgpr10_vgpr11
	s_branch .LBB94_2160
.LBB94_2144:
	s_mov_b64 s[24:25], -1
	s_mov_b64 s[10:11], 0
	s_mov_b64 s[0:1], 0
                                        ; implicit-def: $vgpr10_vgpr11
	s_branch .LBB94_2155
.LBB94_2145:
	s_trap 2
	s_or_b64 s[22:23], s[22:23], exec
	s_cbranch_execz .LBB94_2082
	s_branch .LBB94_2083
.LBB94_2146:
	s_mov_b64 s[24:25], -1
	s_mov_b64 s[10:11], 0
	s_mov_b64 s[0:1], 0
                                        ; implicit-def: $vgpr10_vgpr11
	s_branch .LBB94_2150
.LBB94_2147:
	s_andn2_saveexec_b64 s[48:49], s[48:49]
	s_cbranch_execz .LBB94_1061
.LBB94_2148:
	s_mov_b32 s53, 0x42800000
	v_add_f32_e64 v5, |v4|, s53
	v_and_b32_e32 v5, 0xff, v5
	v_cmp_ne_u32_e32 vcc, 0, v5
	s_andn2_b64 s[46:47], s[46:47], exec
	s_and_b64 s[54:55], vcc, exec
	s_or_b64 s[46:47], s[46:47], s[54:55]
	s_or_b64 exec, exec, s[48:49]
	v_mov_b32_e32 v6, 0
	s_and_saveexec_b64 s[48:49], s[46:47]
	s_cbranch_execnz .LBB94_1062
	s_branch .LBB94_1063
.LBB94_2149:
	s_mov_b64 s[0:1], -1
                                        ; implicit-def: $vgpr10_vgpr11
	s_mov_b64 s[10:11], 0
.LBB94_2150:
	s_and_b64 vcc, exec, s[24:25]
	s_cbranch_vccz .LBB94_2154
; %bb.2151:
	s_cmp_eq_u32 s27, 44
	s_cbranch_scc0 .LBB94_2153
; %bb.2152:
	global_load_ubyte v10, v[12:13], off
	s_mov_b32 s0, 0x2f800000
	s_mov_b32 s1, 0xcf800000
	s_mov_b64 s[10:11], -1
	s_waitcnt vmcnt(0)
	v_lshlrev_b32_e32 v11, 23, v10
	v_trunc_f32_e32 v11, v11
	v_mul_f32_e64 v15, |v11|, s0
	v_floor_f32_e32 v15, v15
	v_fma_f32 v17, v15, s1, |v11|
	v_cvt_u32_f32_e32 v17, v17
	v_cvt_u32_f32_e32 v15, v15
	v_ashrrev_i32_e32 v11, 31, v11
	s_mov_b64 s[0:1], 0
	v_xor_b32_e32 v17, v17, v11
	v_xor_b32_e32 v15, v15, v11
	v_sub_co_u32_e32 v17, vcc, v17, v11
	v_subb_co_u32_e32 v11, vcc, v15, v11, vcc
	v_cmp_ne_u32_e32 vcc, 0, v10
	v_cndmask_b32_e32 v11, 0, v11, vcc
	v_cndmask_b32_e32 v10, 0, v17, vcc
	s_branch .LBB94_2154
.LBB94_2153:
	s_mov_b64 s[0:1], -1
                                        ; implicit-def: $vgpr10_vgpr11
.LBB94_2154:
	s_mov_b64 s[24:25], 0
.LBB94_2155:
	s_and_b64 vcc, exec, s[24:25]
	s_cbranch_vccz .LBB94_2159
; %bb.2156:
	s_cmp_eq_u32 s27, 29
	s_cbranch_scc0 .LBB94_2158
; %bb.2157:
	global_load_dwordx2 v[10:11], v[12:13], off
	s_mov_b64 s[0:1], 0
	s_mov_b64 s[10:11], -1
	s_branch .LBB94_2159
.LBB94_2158:
	s_mov_b64 s[0:1], -1
                                        ; implicit-def: $vgpr10_vgpr11
.LBB94_2159:
	s_mov_b64 s[24:25], 0
.LBB94_2160:
	s_and_b64 vcc, exec, s[24:25]
	s_cbranch_vccz .LBB94_2178
; %bb.2161:
	s_cmp_lt_i32 s27, 27
	s_cbranch_scc1 .LBB94_2164
; %bb.2162:
	s_cmp_gt_i32 s27, 27
	s_cbranch_scc0 .LBB94_2165
; %bb.2163:
	global_load_dword v10, v[12:13], off
	s_waitcnt vmcnt(1)
	v_mov_b32_e32 v11, 0
	s_mov_b64 s[10:11], 0
	s_branch .LBB94_2166
.LBB94_2164:
	s_mov_b64 s[10:11], -1
                                        ; implicit-def: $vgpr10_vgpr11
	s_branch .LBB94_2169
.LBB94_2165:
	s_mov_b64 s[10:11], -1
                                        ; implicit-def: $vgpr10_vgpr11
.LBB94_2166:
	s_andn2_b64 vcc, exec, s[10:11]
	s_cbranch_vccnz .LBB94_2168
; %bb.2167:
	global_load_ushort v10, v[12:13], off
	s_mov_b32 s10, 0
	s_waitcnt vmcnt(1)
	v_mov_b32_e32 v11, s10
	s_waitcnt vmcnt(0)
	v_and_b32_e32 v10, 0xffff, v10
.LBB94_2168:
	s_mov_b64 s[10:11], 0
.LBB94_2169:
	s_andn2_b64 vcc, exec, s[10:11]
	s_cbranch_vccnz .LBB94_2177
; %bb.2170:
	global_load_ubyte v15, v[12:13], off
	s_movk_i32 s10, 0x7f
	s_mov_b64 s[24:25], 0
	s_waitcnt vmcnt(0)
	v_cmp_lt_i16_e32 vcc, s10, v15
	s_and_saveexec_b64 s[10:11], vcc
	s_xor_b64 s[10:11], exec, s[10:11]
; %bb.2171:
	s_movk_i32 s24, 0x80
	v_cmp_ne_u16_e32 vcc, s24, v15
	s_and_b64 s[24:25], vcc, exec
; %bb.2172:
	s_andn2_saveexec_b64 s[10:11], s[10:11]
; %bb.2173:
	v_cmp_ne_u16_e32 vcc, 0, v15
	s_andn2_b64 s[24:25], s[24:25], exec
	s_and_b64 s[30:31], vcc, exec
	s_or_b64 s[24:25], s[24:25], s[30:31]
; %bb.2174:
	s_or_b64 exec, exec, s[10:11]
	v_mov_b32_e32 v10, 0
	v_mov_b32_e32 v11, 0
	s_and_saveexec_b64 s[10:11], s[24:25]
	s_cbranch_execz .LBB94_2176
; %bb.2175:
	v_and_b32_e32 v11, 0xffff, v15
	v_lshlrev_b32_e32 v10, 24, v15
	v_and_b32_e32 v15, 7, v11
	v_ffbh_u32_e32 v19, v15
	v_min_u32_e32 v19, 32, v19
	v_subrev_u32_e32 v20, 28, v19
	v_bfe_u32 v17, v11, 3, 4
	v_lshlrev_b32_e32 v11, v20, v11
	v_sub_u32_e32 v19, 29, v19
	v_and_b32_e32 v11, 7, v11
	v_cmp_eq_u32_e32 vcc, 0, v17
	v_cndmask_b32_e32 v17, v17, v19, vcc
	v_cndmask_b32_e32 v11, v15, v11, vcc
	v_mov_b32_e32 v15, 0x3b800000
	v_lshlrev_b32_e32 v11, 20, v11
	v_and_b32_e32 v10, 0x80000000, v10
	v_lshl_add_u32 v15, v17, 23, v15
	v_or3_b32 v10, v10, v15, v11
	v_trunc_f32_e32 v10, v10
	s_mov_b32 s24, 0x2f800000
	v_mul_f32_e64 v11, |v10|, s24
	v_floor_f32_e32 v11, v11
	s_mov_b32 s24, 0xcf800000
	v_fma_f32 v15, v11, s24, |v10|
	v_cvt_u32_f32_e32 v15, v15
	v_cvt_u32_f32_e32 v11, v11
	v_ashrrev_i32_e32 v17, 31, v10
	v_xor_b32_e32 v10, v15, v17
	v_xor_b32_e32 v11, v11, v17
	v_sub_co_u32_e32 v10, vcc, v10, v17
	v_subb_co_u32_e32 v11, vcc, v11, v17, vcc
.LBB94_2176:
	s_or_b64 exec, exec, s[10:11]
.LBB94_2177:
	s_mov_b64 s[10:11], -1
.LBB94_2178:
	s_mov_b64 s[24:25], 0
.LBB94_2179:
	s_and_b64 vcc, exec, s[24:25]
	s_cbranch_vccz .LBB94_2208
; %bb.2180:
	s_cmp_gt_i32 s27, 22
	s_cbranch_scc0 .LBB94_2190
; %bb.2181:
	s_cmp_lt_i32 s27, 24
	s_cbranch_scc1 .LBB94_2191
; %bb.2182:
	s_cmp_gt_i32 s27, 24
	s_cbranch_scc0 .LBB94_2192
; %bb.2183:
	global_load_ubyte v15, v[12:13], off
	s_movk_i32 s4, 0x7f
	s_mov_b64 s[10:11], 0
	s_waitcnt vmcnt(0)
	v_cmp_lt_i16_e32 vcc, s4, v15
	s_and_saveexec_b64 s[4:5], vcc
	s_xor_b64 s[4:5], exec, s[4:5]
; %bb.2184:
	s_movk_i32 s10, 0x80
	v_cmp_ne_u16_e32 vcc, s10, v15
	s_and_b64 s[10:11], vcc, exec
; %bb.2185:
	s_andn2_saveexec_b64 s[4:5], s[4:5]
; %bb.2186:
	v_cmp_ne_u16_e32 vcc, 0, v15
	s_andn2_b64 s[10:11], s[10:11], exec
	s_and_b64 s[24:25], vcc, exec
	s_or_b64 s[10:11], s[10:11], s[24:25]
; %bb.2187:
	s_or_b64 exec, exec, s[4:5]
	v_mov_b32_e32 v10, 0
	v_mov_b32_e32 v11, 0
	s_and_saveexec_b64 s[4:5], s[10:11]
	s_cbranch_execz .LBB94_2189
; %bb.2188:
	v_and_b32_e32 v11, 0xffff, v15
	v_lshlrev_b32_e32 v10, 24, v15
	v_and_b32_e32 v15, 3, v11
	v_ffbh_u32_e32 v19, v15
	v_min_u32_e32 v19, 32, v19
	v_subrev_u32_e32 v20, 29, v19
	v_bfe_u32 v17, v11, 2, 5
	v_lshlrev_b32_e32 v11, v20, v11
	v_sub_u32_e32 v19, 30, v19
	v_and_b32_e32 v11, 3, v11
	v_cmp_eq_u32_e32 vcc, 0, v17
	v_cndmask_b32_e32 v17, v17, v19, vcc
	v_cndmask_b32_e32 v11, v15, v11, vcc
	v_mov_b32_e32 v15, 0x37800000
	v_lshlrev_b32_e32 v11, 21, v11
	v_and_b32_e32 v10, 0x80000000, v10
	v_lshl_add_u32 v15, v17, 23, v15
	v_or3_b32 v10, v10, v15, v11
	v_trunc_f32_e32 v10, v10
	s_mov_b32 s10, 0x2f800000
	v_mul_f32_e64 v11, |v10|, s10
	v_floor_f32_e32 v11, v11
	s_mov_b32 s10, 0xcf800000
	v_fma_f32 v15, v11, s10, |v10|
	v_cvt_u32_f32_e32 v15, v15
	v_cvt_u32_f32_e32 v11, v11
	v_ashrrev_i32_e32 v17, 31, v10
	v_xor_b32_e32 v10, v15, v17
	v_xor_b32_e32 v11, v11, v17
	v_sub_co_u32_e32 v10, vcc, v10, v17
	v_subb_co_u32_e32 v11, vcc, v11, v17, vcc
.LBB94_2189:
	s_or_b64 exec, exec, s[4:5]
	s_mov_b64 s[4:5], 0
	s_branch .LBB94_2193
.LBB94_2190:
	s_mov_b64 s[4:5], -1
                                        ; implicit-def: $vgpr10_vgpr11
	s_branch .LBB94_2199
.LBB94_2191:
	s_mov_b64 s[4:5], -1
                                        ; implicit-def: $vgpr10_vgpr11
	s_branch .LBB94_2196
.LBB94_2192:
	s_mov_b64 s[4:5], -1
                                        ; implicit-def: $vgpr10_vgpr11
.LBB94_2193:
	s_and_b64 vcc, exec, s[4:5]
	s_cbranch_vccz .LBB94_2195
; %bb.2194:
	global_load_ubyte v10, v[12:13], off
	s_mov_b32 s4, 0x7f800000
	s_brev_b32 s5, 1
	s_mov_b32 s10, 0x2f800000
	s_mov_b32 s11, 0xcf800000
	s_waitcnt vmcnt(0)
	v_lshlrev_b32_e32 v10, 24, v10
	v_and_b32_e32 v11, 0x7f000000, v10
	v_ffbh_u32_e32 v15, v11
	v_min_u32_e32 v15, 32, v15
	v_sub_u32_e64 v15, v15, 4 clamp
	v_lshlrev_b32_e32 v19, v15, v11
	v_lshlrev_b32_e32 v15, 23, v15
	v_lshrrev_b32_e32 v19, 4, v19
	v_add_u32_e32 v17, 0x1000000, v11
	v_sub_u32_e32 v15, v19, v15
	v_ashrrev_i32_e32 v17, 8, v17
	v_add_u32_e32 v15, 0x3c000000, v15
	v_and_or_b32 v15, v17, s4, v15
	v_cmp_ne_u32_e32 vcc, 0, v11
	v_cndmask_b32_e32 v11, 0, v15, vcc
	v_and_or_b32 v10, v10, s5, v11
	v_trunc_f32_e32 v10, v10
	v_mul_f32_e64 v11, |v10|, s10
	v_floor_f32_e32 v11, v11
	v_fma_f32 v15, v11, s11, |v10|
	v_cvt_u32_f32_e32 v15, v15
	v_cvt_u32_f32_e32 v11, v11
	v_ashrrev_i32_e32 v17, 31, v10
	v_xor_b32_e32 v10, v15, v17
	v_xor_b32_e32 v11, v11, v17
	v_sub_co_u32_e32 v10, vcc, v10, v17
	v_subb_co_u32_e32 v11, vcc, v11, v17, vcc
.LBB94_2195:
	s_mov_b64 s[4:5], 0
.LBB94_2196:
	s_andn2_b64 vcc, exec, s[4:5]
	s_cbranch_vccnz .LBB94_2198
; %bb.2197:
	global_load_ubyte v10, v[12:13], off
	s_movk_i32 s4, 0x7f00
	s_brev_b32 s5, 16
	s_brev_b32 s10, 1
	s_mov_b32 s11, 0x2f800000
	s_mov_b32 s24, 0xcf800000
	s_waitcnt vmcnt(0)
	v_lshlrev_b16_e32 v11, 8, v10
	v_lshlrev_b32_e32 v10, 25, v10
	v_lshrrev_b32_e32 v15, 4, v10
	v_and_or_b32 v17, v11, s4, 0.5
	v_or_b32_e32 v15, 0x70000000, v15
	v_add_f32_e32 v17, -0.5, v17
	v_mul_f32_e32 v15, 0x7800000, v15
	v_cmp_gt_u32_e32 vcc, s5, v10
	v_bfe_i32 v11, v11, 0, 16
	v_cndmask_b32_e32 v10, v15, v17, vcc
	v_and_or_b32 v10, v11, s10, v10
	v_trunc_f32_e32 v10, v10
	v_mul_f32_e64 v11, |v10|, s11
	v_floor_f32_e32 v11, v11
	v_fma_f32 v15, v11, s24, |v10|
	v_cvt_u32_f32_e32 v15, v15
	v_cvt_u32_f32_e32 v11, v11
	v_ashrrev_i32_e32 v17, 31, v10
	v_xor_b32_e32 v10, v15, v17
	v_xor_b32_e32 v11, v11, v17
	v_sub_co_u32_e32 v10, vcc, v10, v17
	v_subb_co_u32_e32 v11, vcc, v11, v17, vcc
.LBB94_2198:
	s_mov_b64 s[4:5], 0
	s_mov_b64 s[10:11], -1
.LBB94_2199:
	s_andn2_b64 vcc, exec, s[4:5]
	s_mov_b64 s[4:5], 0
	s_cbranch_vccnz .LBB94_2208
; %bb.2200:
	s_cmp_gt_i32 s27, 14
	s_cbranch_scc0 .LBB94_2203
; %bb.2201:
	s_cmp_eq_u32 s27, 15
	s_cbranch_scc0 .LBB94_2204
; %bb.2202:
	global_load_ushort v10, v[12:13], off
	s_mov_b32 s0, 0x2f800000
	s_mov_b32 s1, 0xcf800000
	s_mov_b64 s[10:11], -1
	s_waitcnt vmcnt(0)
	v_lshlrev_b32_e32 v10, 16, v10
	v_trunc_f32_e32 v10, v10
	v_mul_f32_e64 v11, |v10|, s0
	v_floor_f32_e32 v11, v11
	v_fma_f32 v15, v11, s1, |v10|
	v_cvt_u32_f32_e32 v15, v15
	v_cvt_u32_f32_e32 v11, v11
	v_ashrrev_i32_e32 v17, 31, v10
	s_mov_b64 s[0:1], 0
	v_xor_b32_e32 v10, v15, v17
	v_xor_b32_e32 v11, v11, v17
	v_sub_co_u32_e32 v10, vcc, v10, v17
	v_subb_co_u32_e32 v11, vcc, v11, v17, vcc
	s_branch .LBB94_2205
.LBB94_2203:
	s_mov_b64 s[24:25], -1
                                        ; implicit-def: $vgpr10_vgpr11
	s_branch .LBB94_2206
.LBB94_2204:
	s_mov_b64 s[0:1], -1
                                        ; implicit-def: $vgpr10_vgpr11
.LBB94_2205:
	s_mov_b64 s[24:25], 0
.LBB94_2206:
	s_and_b64 vcc, exec, s[24:25]
	s_cbranch_vccz .LBB94_2208
; %bb.2207:
	s_cmp_lg_u32 s27, 11
	s_mov_b64 s[4:5], -1
	s_cselect_b64 s[0:1], -1, 0
.LBB94_2208:
	s_and_b64 vcc, exec, s[0:1]
	s_cbranch_vccnz .LBB94_2273
; %bb.2209:
	s_andn2_b64 vcc, exec, s[4:5]
	s_cbranch_vccnz .LBB94_2211
.LBB94_2210:
	global_load_ubyte v10, v[12:13], off
	s_mov_b32 s0, 0
	s_waitcnt vmcnt(1)
	v_mov_b32_e32 v11, s0
	s_mov_b64 s[10:11], -1
	s_waitcnt vmcnt(0)
	v_cmp_ne_u16_e32 vcc, 0, v10
	v_cndmask_b32_e64 v10, 0, 1, vcc
.LBB94_2211:
	s_mov_b64 s[0:1], 0
.LBB94_2212:
	s_and_b64 vcc, exec, s[0:1]
	s_cbranch_vccz .LBB94_2261
; %bb.2213:
	s_and_b32 s4, 0xffff, s29
	s_cmp_lt_i32 s4, 5
	s_cbranch_scc1 .LBB94_2218
; %bb.2214:
	s_cmp_lt_i32 s4, 8
	s_cbranch_scc1 .LBB94_2219
; %bb.2215:
	;; [unrolled: 3-line block ×3, first 2 shown]
	s_cmp_gt_i32 s4, 9
	s_cbranch_scc0 .LBB94_2221
; %bb.2217:
	global_load_dwordx2 v[10:11], v[12:13], off
	s_movk_i32 s0, 0xffe0
	s_waitcnt vmcnt(0)
	v_trunc_f64_e32 v[10:11], v[10:11]
	v_ldexp_f64 v[19:20], v[10:11], s0
	s_mov_b32 s0, 0
	s_mov_b32 s1, 0xc1f00000
	v_floor_f64_e32 v[19:20], v[19:20]
	v_fma_f64 v[21:22], v[19:20], s[0:1], v[10:11]
	v_cvt_i32_f64_e32 v11, v[19:20]
	s_mov_b64 s[0:1], 0
	v_cvt_u32_f64_e32 v10, v[21:22]
	s_branch .LBB94_2222
.LBB94_2218:
	s_mov_b64 s[0:1], -1
                                        ; implicit-def: $vgpr10_vgpr11
	s_branch .LBB94_2240
.LBB94_2219:
	s_mov_b64 s[0:1], -1
                                        ; implicit-def: $vgpr10_vgpr11
	s_branch .LBB94_2228
.LBB94_2220:
	s_mov_b64 s[0:1], -1
                                        ; implicit-def: $vgpr10_vgpr11
	s_branch .LBB94_2225
.LBB94_2221:
	s_mov_b64 s[0:1], -1
                                        ; implicit-def: $vgpr10_vgpr11
.LBB94_2222:
	s_andn2_b64 vcc, exec, s[0:1]
	s_cbranch_vccnz .LBB94_2224
; %bb.2223:
	global_load_dword v10, v[12:13], off
	s_mov_b32 s0, 0x2f800000
	s_mov_b32 s1, 0xcf800000
	s_waitcnt vmcnt(0)
	v_trunc_f32_e32 v10, v10
	v_mul_f32_e64 v11, |v10|, s0
	v_floor_f32_e32 v11, v11
	v_cvt_u32_f32_e32 v15, v11
	v_fma_f32 v11, v11, s1, |v10|
	v_cvt_u32_f32_e32 v11, v11
	v_ashrrev_i32_e32 v17, 31, v10
	v_xor_b32_e32 v15, v15, v17
	v_xor_b32_e32 v10, v11, v17
	v_sub_co_u32_e32 v10, vcc, v10, v17
	v_subb_co_u32_e32 v11, vcc, v15, v17, vcc
.LBB94_2224:
	s_mov_b64 s[0:1], 0
.LBB94_2225:
	s_andn2_b64 vcc, exec, s[0:1]
	s_cbranch_vccnz .LBB94_2227
; %bb.2226:
	global_load_dword v10, v[12:13], off
	s_waitcnt vmcnt(0)
	v_cvt_f32_f16_e32 v10, v10
	v_cvt_i32_f32_e32 v10, v10
	v_ashrrev_i32_e32 v11, 31, v10
.LBB94_2227:
	s_mov_b64 s[0:1], 0
.LBB94_2228:
	s_andn2_b64 vcc, exec, s[0:1]
	s_cbranch_vccnz .LBB94_2239
; %bb.2229:
	s_cmp_lt_i32 s4, 6
	s_cbranch_scc1 .LBB94_2232
; %bb.2230:
	s_cmp_gt_i32 s4, 6
	s_cbranch_scc0 .LBB94_2233
; %bb.2231:
	global_load_dwordx2 v[10:11], v[12:13], off
	s_movk_i32 s0, 0xffe0
	s_waitcnt vmcnt(0)
	v_trunc_f64_e32 v[10:11], v[10:11]
	v_ldexp_f64 v[19:20], v[10:11], s0
	s_mov_b32 s0, 0
	s_mov_b32 s1, 0xc1f00000
	v_floor_f64_e32 v[19:20], v[19:20]
	v_fma_f64 v[21:22], v[19:20], s[0:1], v[10:11]
	v_cvt_i32_f64_e32 v11, v[19:20]
	s_mov_b64 s[0:1], 0
	v_cvt_u32_f64_e32 v10, v[21:22]
	s_branch .LBB94_2234
.LBB94_2232:
	s_mov_b64 s[0:1], -1
                                        ; implicit-def: $vgpr10_vgpr11
	s_branch .LBB94_2237
.LBB94_2233:
	s_mov_b64 s[0:1], -1
                                        ; implicit-def: $vgpr10_vgpr11
.LBB94_2234:
	s_andn2_b64 vcc, exec, s[0:1]
	s_cbranch_vccnz .LBB94_2236
; %bb.2235:
	global_load_dword v10, v[12:13], off
	s_mov_b32 s0, 0x2f800000
	s_mov_b32 s1, 0xcf800000
	s_waitcnt vmcnt(0)
	v_trunc_f32_e32 v10, v10
	v_mul_f32_e64 v11, |v10|, s0
	v_floor_f32_e32 v11, v11
	v_cvt_u32_f32_e32 v15, v11
	v_fma_f32 v11, v11, s1, |v10|
	v_cvt_u32_f32_e32 v11, v11
	v_ashrrev_i32_e32 v17, 31, v10
	v_xor_b32_e32 v15, v15, v17
	v_xor_b32_e32 v10, v11, v17
	v_sub_co_u32_e32 v10, vcc, v10, v17
	v_subb_co_u32_e32 v11, vcc, v15, v17, vcc
.LBB94_2236:
	s_mov_b64 s[0:1], 0
.LBB94_2237:
	s_andn2_b64 vcc, exec, s[0:1]
	s_cbranch_vccnz .LBB94_2239
; %bb.2238:
	global_load_ushort v10, v[12:13], off
	s_waitcnt vmcnt(0)
	v_cvt_f32_f16_e32 v10, v10
	v_cvt_i32_f32_e32 v10, v10
	v_ashrrev_i32_e32 v11, 31, v10
.LBB94_2239:
	s_mov_b64 s[0:1], 0
.LBB94_2240:
	s_andn2_b64 vcc, exec, s[0:1]
	s_cbranch_vccnz .LBB94_2260
; %bb.2241:
	s_cmp_lt_i32 s4, 2
	s_cbranch_scc1 .LBB94_2245
; %bb.2242:
	s_cmp_lt_i32 s4, 3
	s_cbranch_scc1 .LBB94_2246
; %bb.2243:
	s_cmp_gt_i32 s4, 3
	s_cbranch_scc0 .LBB94_2247
; %bb.2244:
	global_load_dwordx2 v[10:11], v[12:13], off
	s_mov_b64 s[0:1], 0
	s_branch .LBB94_2248
.LBB94_2245:
	s_mov_b64 s[0:1], -1
                                        ; implicit-def: $vgpr10_vgpr11
	s_branch .LBB94_2254
.LBB94_2246:
	s_mov_b64 s[0:1], -1
                                        ; implicit-def: $vgpr10_vgpr11
	s_branch .LBB94_2251
.LBB94_2247:
	s_mov_b64 s[0:1], -1
                                        ; implicit-def: $vgpr10_vgpr11
.LBB94_2248:
	s_andn2_b64 vcc, exec, s[0:1]
	s_cbranch_vccnz .LBB94_2250
; %bb.2249:
	global_load_dword v10, v[12:13], off
	s_waitcnt vmcnt(0)
	v_ashrrev_i32_e32 v11, 31, v10
.LBB94_2250:
	s_mov_b64 s[0:1], 0
.LBB94_2251:
	s_andn2_b64 vcc, exec, s[0:1]
	s_cbranch_vccnz .LBB94_2253
; %bb.2252:
	global_load_ushort v10, v[12:13], off
	s_waitcnt vmcnt(0)
	v_bfe_i32 v10, v10, 0, 16
	v_ashrrev_i32_e32 v11, 31, v10
.LBB94_2253:
	s_mov_b64 s[0:1], 0
.LBB94_2254:
	s_andn2_b64 vcc, exec, s[0:1]
	s_cbranch_vccnz .LBB94_2260
; %bb.2255:
	s_cmp_gt_i32 s4, 0
	s_cbranch_scc0 .LBB94_2257
; %bb.2256:
	global_load_sbyte v10, v[12:13], off
	s_mov_b64 s[0:1], 0
	s_waitcnt vmcnt(0)
	v_bfe_i32 v10, v10, 0, 16
	v_ashrrev_i32_e32 v11, 31, v10
	s_branch .LBB94_2258
.LBB94_2257:
	s_mov_b64 s[0:1], -1
                                        ; implicit-def: $vgpr10_vgpr11
.LBB94_2258:
	s_andn2_b64 vcc, exec, s[0:1]
	s_cbranch_vccnz .LBB94_2260
; %bb.2259:
	global_load_ubyte v10, v[12:13], off
	s_mov_b32 s0, 0
	s_waitcnt vmcnt(1)
	v_mov_b32_e32 v11, s0
	s_waitcnt vmcnt(0)
	v_and_b32_e32 v10, 0xffff, v10
.LBB94_2260:
	s_mov_b64 s[10:11], -1
.LBB94_2261:
	s_andn2_b64 vcc, exec, s[10:11]
	s_cbranch_vccnz .LBB94_2947
; %bb.2262:
	v_add_u32_e32 v12, s9, v14
	v_ashrrev_i32_e32 v13, 31, v12
	v_mov_b32_e32 v15, s19
	v_add_co_u32_e32 v14, vcc, s18, v12
	s_cmp_lt_i32 s28, 11
	v_addc_co_u32_e32 v15, vcc, v15, v13, vcc
	s_cbranch_scc1 .LBB94_2269
; %bb.2263:
	s_and_b32 s9, 0xffff, s28
	s_cmp_gt_i32 s9, 25
	s_mov_b64 s[4:5], 0
	s_cbranch_scc0 .LBB94_2270
; %bb.2264:
	s_cmp_gt_i32 s9, 28
	s_cbranch_scc0 .LBB94_2271
; %bb.2265:
	s_cmp_gt_i32 s9, 43
	;; [unrolled: 3-line block ×3, first 2 shown]
	s_cbranch_scc0 .LBB94_2274
; %bb.2267:
	s_cmp_eq_u32 s9, 46
	s_mov_b64 s[18:19], 0
	s_cbranch_scc0 .LBB94_2275
; %bb.2268:
	global_load_dword v12, v[14:15], off
	s_mov_b32 s0, 0x2f800000
	s_mov_b32 s1, 0xcf800000
	s_mov_b64 s[10:11], -1
	s_waitcnt vmcnt(0)
	v_lshlrev_b32_e32 v12, 16, v12
	v_trunc_f32_e32 v12, v12
	v_mul_f32_e64 v13, |v12|, s0
	v_floor_f32_e32 v13, v13
	v_fma_f32 v17, v13, s1, |v12|
	v_cvt_u32_f32_e32 v17, v17
	v_cvt_u32_f32_e32 v13, v13
	v_ashrrev_i32_e32 v19, 31, v12
	s_mov_b64 s[0:1], 0
	v_xor_b32_e32 v12, v17, v19
	v_xor_b32_e32 v13, v13, v19
	v_sub_co_u32_e32 v12, vcc, v12, v19
	v_subb_co_u32_e32 v13, vcc, v13, v19, vcc
	s_branch .LBB94_2276
.LBB94_2269:
	s_mov_b64 s[0:1], -1
	s_mov_b64 s[10:11], 0
                                        ; implicit-def: $vgpr12_vgpr13
	s_branch .LBB94_2338
.LBB94_2270:
	s_mov_b64 s[18:19], -1
	s_mov_b64 s[10:11], 0
	s_mov_b64 s[0:1], 0
                                        ; implicit-def: $vgpr12_vgpr13
	s_branch .LBB94_2305
.LBB94_2271:
	s_mov_b64 s[18:19], -1
	s_mov_b64 s[10:11], 0
	s_mov_b64 s[0:1], 0
                                        ; implicit-def: $vgpr12_vgpr13
	s_branch .LBB94_2286
.LBB94_2272:
	s_mov_b64 s[18:19], -1
	s_mov_b64 s[10:11], 0
	s_mov_b64 s[0:1], 0
                                        ; implicit-def: $vgpr12_vgpr13
	s_branch .LBB94_2281
.LBB94_2273:
	s_trap 2
	s_or_b64 s[22:23], s[22:23], exec
	s_cbranch_execz .LBB94_2210
	s_branch .LBB94_2211
.LBB94_2274:
	s_mov_b64 s[18:19], -1
	s_mov_b64 s[10:11], 0
	s_mov_b64 s[0:1], 0
                                        ; implicit-def: $vgpr12_vgpr13
	s_branch .LBB94_2276
.LBB94_2275:
	s_mov_b64 s[0:1], -1
                                        ; implicit-def: $vgpr12_vgpr13
	s_mov_b64 s[10:11], 0
.LBB94_2276:
	s_and_b64 vcc, exec, s[18:19]
	s_cbranch_vccz .LBB94_2280
; %bb.2277:
	s_cmp_eq_u32 s9, 44
	s_cbranch_scc0 .LBB94_2279
; %bb.2278:
	global_load_ubyte v12, v[14:15], off
	s_mov_b32 s0, 0x2f800000
	s_mov_b32 s1, 0xcf800000
	s_mov_b64 s[10:11], -1
	s_waitcnt vmcnt(0)
	v_lshlrev_b32_e32 v13, 23, v12
	v_trunc_f32_e32 v13, v13
	v_mul_f32_e64 v17, |v13|, s0
	v_floor_f32_e32 v17, v17
	v_fma_f32 v19, v17, s1, |v13|
	v_cvt_u32_f32_e32 v19, v19
	v_cvt_u32_f32_e32 v17, v17
	v_ashrrev_i32_e32 v13, 31, v13
	s_mov_b64 s[0:1], 0
	v_xor_b32_e32 v19, v19, v13
	v_xor_b32_e32 v17, v17, v13
	v_sub_co_u32_e32 v19, vcc, v19, v13
	v_subb_co_u32_e32 v13, vcc, v17, v13, vcc
	v_cmp_ne_u32_e32 vcc, 0, v12
	v_cndmask_b32_e32 v13, 0, v13, vcc
	v_cndmask_b32_e32 v12, 0, v19, vcc
	s_branch .LBB94_2280
.LBB94_2279:
	s_mov_b64 s[0:1], -1
                                        ; implicit-def: $vgpr12_vgpr13
.LBB94_2280:
	s_mov_b64 s[18:19], 0
.LBB94_2281:
	s_and_b64 vcc, exec, s[18:19]
	s_cbranch_vccz .LBB94_2285
; %bb.2282:
	s_cmp_eq_u32 s9, 29
	s_cbranch_scc0 .LBB94_2284
; %bb.2283:
	global_load_dwordx2 v[12:13], v[14:15], off
	s_mov_b64 s[0:1], 0
	s_mov_b64 s[10:11], -1
	s_branch .LBB94_2285
.LBB94_2284:
	s_mov_b64 s[0:1], -1
                                        ; implicit-def: $vgpr12_vgpr13
.LBB94_2285:
	s_mov_b64 s[18:19], 0
.LBB94_2286:
	s_and_b64 vcc, exec, s[18:19]
	s_cbranch_vccz .LBB94_2304
; %bb.2287:
	s_cmp_lt_i32 s9, 27
	s_cbranch_scc1 .LBB94_2290
; %bb.2288:
	s_cmp_gt_i32 s9, 27
	s_cbranch_scc0 .LBB94_2291
; %bb.2289:
	global_load_dword v12, v[14:15], off
	s_waitcnt vmcnt(1)
	v_mov_b32_e32 v13, 0
	s_mov_b64 s[10:11], 0
	s_branch .LBB94_2292
.LBB94_2290:
	s_mov_b64 s[10:11], -1
                                        ; implicit-def: $vgpr12_vgpr13
	s_branch .LBB94_2295
.LBB94_2291:
	s_mov_b64 s[10:11], -1
                                        ; implicit-def: $vgpr12_vgpr13
.LBB94_2292:
	s_andn2_b64 vcc, exec, s[10:11]
	s_cbranch_vccnz .LBB94_2294
; %bb.2293:
	global_load_ushort v12, v[14:15], off
	s_mov_b32 s10, 0
	s_waitcnt vmcnt(1)
	v_mov_b32_e32 v13, s10
	s_waitcnt vmcnt(0)
	v_and_b32_e32 v12, 0xffff, v12
.LBB94_2294:
	s_mov_b64 s[10:11], 0
.LBB94_2295:
	s_andn2_b64 vcc, exec, s[10:11]
	s_cbranch_vccnz .LBB94_2303
; %bb.2296:
	global_load_ubyte v17, v[14:15], off
	s_movk_i32 s10, 0x7f
	s_mov_b64 s[18:19], 0
	s_waitcnt vmcnt(0)
	v_cmp_lt_i16_e32 vcc, s10, v17
	s_and_saveexec_b64 s[10:11], vcc
	s_xor_b64 s[10:11], exec, s[10:11]
; %bb.2297:
	s_movk_i32 s18, 0x80
	v_cmp_ne_u16_e32 vcc, s18, v17
	s_and_b64 s[18:19], vcc, exec
; %bb.2298:
	s_andn2_saveexec_b64 s[10:11], s[10:11]
; %bb.2299:
	v_cmp_ne_u16_e32 vcc, 0, v17
	s_andn2_b64 s[18:19], s[18:19], exec
	s_and_b64 s[24:25], vcc, exec
	s_or_b64 s[18:19], s[18:19], s[24:25]
; %bb.2300:
	s_or_b64 exec, exec, s[10:11]
	v_mov_b32_e32 v12, 0
	v_mov_b32_e32 v13, 0
	s_and_saveexec_b64 s[10:11], s[18:19]
	s_cbranch_execz .LBB94_2302
; %bb.2301:
	v_and_b32_e32 v13, 0xffff, v17
	v_lshlrev_b32_e32 v12, 24, v17
	v_and_b32_e32 v17, 7, v13
	v_ffbh_u32_e32 v20, v17
	v_min_u32_e32 v20, 32, v20
	v_subrev_u32_e32 v21, 28, v20
	v_bfe_u32 v19, v13, 3, 4
	v_lshlrev_b32_e32 v13, v21, v13
	v_sub_u32_e32 v20, 29, v20
	v_and_b32_e32 v13, 7, v13
	v_cmp_eq_u32_e32 vcc, 0, v19
	v_cndmask_b32_e32 v19, v19, v20, vcc
	v_cndmask_b32_e32 v13, v17, v13, vcc
	v_mov_b32_e32 v17, 0x3b800000
	v_lshlrev_b32_e32 v13, 20, v13
	v_and_b32_e32 v12, 0x80000000, v12
	v_lshl_add_u32 v17, v19, 23, v17
	v_or3_b32 v12, v12, v17, v13
	v_trunc_f32_e32 v12, v12
	s_mov_b32 s18, 0x2f800000
	v_mul_f32_e64 v13, |v12|, s18
	v_floor_f32_e32 v13, v13
	s_mov_b32 s18, 0xcf800000
	v_fma_f32 v17, v13, s18, |v12|
	v_cvt_u32_f32_e32 v17, v17
	v_cvt_u32_f32_e32 v13, v13
	v_ashrrev_i32_e32 v19, 31, v12
	v_xor_b32_e32 v12, v17, v19
	v_xor_b32_e32 v13, v13, v19
	v_sub_co_u32_e32 v12, vcc, v12, v19
	v_subb_co_u32_e32 v13, vcc, v13, v19, vcc
.LBB94_2302:
	s_or_b64 exec, exec, s[10:11]
.LBB94_2303:
	s_mov_b64 s[10:11], -1
.LBB94_2304:
	s_mov_b64 s[18:19], 0
.LBB94_2305:
	s_and_b64 vcc, exec, s[18:19]
	s_cbranch_vccz .LBB94_2334
; %bb.2306:
	s_cmp_gt_i32 s9, 22
	s_cbranch_scc0 .LBB94_2316
; %bb.2307:
	s_cmp_lt_i32 s9, 24
	s_cbranch_scc1 .LBB94_2317
; %bb.2308:
	s_cmp_gt_i32 s9, 24
	s_cbranch_scc0 .LBB94_2318
; %bb.2309:
	global_load_ubyte v17, v[14:15], off
	s_movk_i32 s4, 0x7f
	s_mov_b64 s[10:11], 0
	s_waitcnt vmcnt(0)
	v_cmp_lt_i16_e32 vcc, s4, v17
	s_and_saveexec_b64 s[4:5], vcc
	s_xor_b64 s[4:5], exec, s[4:5]
; %bb.2310:
	s_movk_i32 s10, 0x80
	v_cmp_ne_u16_e32 vcc, s10, v17
	s_and_b64 s[10:11], vcc, exec
; %bb.2311:
	s_andn2_saveexec_b64 s[4:5], s[4:5]
; %bb.2312:
	v_cmp_ne_u16_e32 vcc, 0, v17
	s_andn2_b64 s[10:11], s[10:11], exec
	s_and_b64 s[18:19], vcc, exec
	s_or_b64 s[10:11], s[10:11], s[18:19]
; %bb.2313:
	s_or_b64 exec, exec, s[4:5]
	v_mov_b32_e32 v12, 0
	v_mov_b32_e32 v13, 0
	s_and_saveexec_b64 s[4:5], s[10:11]
	s_cbranch_execz .LBB94_2315
; %bb.2314:
	v_and_b32_e32 v13, 0xffff, v17
	v_lshlrev_b32_e32 v12, 24, v17
	v_and_b32_e32 v17, 3, v13
	v_ffbh_u32_e32 v20, v17
	v_min_u32_e32 v20, 32, v20
	v_subrev_u32_e32 v21, 29, v20
	v_bfe_u32 v19, v13, 2, 5
	v_lshlrev_b32_e32 v13, v21, v13
	v_sub_u32_e32 v20, 30, v20
	v_and_b32_e32 v13, 3, v13
	v_cmp_eq_u32_e32 vcc, 0, v19
	v_cndmask_b32_e32 v19, v19, v20, vcc
	v_cndmask_b32_e32 v13, v17, v13, vcc
	v_mov_b32_e32 v17, 0x37800000
	v_lshlrev_b32_e32 v13, 21, v13
	v_and_b32_e32 v12, 0x80000000, v12
	v_lshl_add_u32 v17, v19, 23, v17
	v_or3_b32 v12, v12, v17, v13
	v_trunc_f32_e32 v12, v12
	s_mov_b32 s10, 0x2f800000
	v_mul_f32_e64 v13, |v12|, s10
	v_floor_f32_e32 v13, v13
	s_mov_b32 s10, 0xcf800000
	v_fma_f32 v17, v13, s10, |v12|
	v_cvt_u32_f32_e32 v17, v17
	v_cvt_u32_f32_e32 v13, v13
	v_ashrrev_i32_e32 v19, 31, v12
	v_xor_b32_e32 v12, v17, v19
	v_xor_b32_e32 v13, v13, v19
	v_sub_co_u32_e32 v12, vcc, v12, v19
	v_subb_co_u32_e32 v13, vcc, v13, v19, vcc
.LBB94_2315:
	s_or_b64 exec, exec, s[4:5]
	s_mov_b64 s[4:5], 0
	s_branch .LBB94_2319
.LBB94_2316:
	s_mov_b64 s[4:5], -1
                                        ; implicit-def: $vgpr12_vgpr13
	s_branch .LBB94_2325
.LBB94_2317:
	s_mov_b64 s[4:5], -1
                                        ; implicit-def: $vgpr12_vgpr13
	s_branch .LBB94_2322
.LBB94_2318:
	s_mov_b64 s[4:5], -1
                                        ; implicit-def: $vgpr12_vgpr13
.LBB94_2319:
	s_and_b64 vcc, exec, s[4:5]
	s_cbranch_vccz .LBB94_2321
; %bb.2320:
	global_load_ubyte v12, v[14:15], off
	s_mov_b32 s4, 0x7f800000
	s_brev_b32 s5, 1
	s_mov_b32 s10, 0x2f800000
	s_mov_b32 s11, 0xcf800000
	s_waitcnt vmcnt(0)
	v_lshlrev_b32_e32 v12, 24, v12
	v_and_b32_e32 v13, 0x7f000000, v12
	v_ffbh_u32_e32 v17, v13
	v_min_u32_e32 v17, 32, v17
	v_sub_u32_e64 v17, v17, 4 clamp
	v_lshlrev_b32_e32 v20, v17, v13
	v_lshlrev_b32_e32 v17, 23, v17
	v_lshrrev_b32_e32 v20, 4, v20
	v_add_u32_e32 v19, 0x1000000, v13
	v_sub_u32_e32 v17, v20, v17
	v_ashrrev_i32_e32 v19, 8, v19
	v_add_u32_e32 v17, 0x3c000000, v17
	v_and_or_b32 v17, v19, s4, v17
	v_cmp_ne_u32_e32 vcc, 0, v13
	v_cndmask_b32_e32 v13, 0, v17, vcc
	v_and_or_b32 v12, v12, s5, v13
	v_trunc_f32_e32 v12, v12
	v_mul_f32_e64 v13, |v12|, s10
	v_floor_f32_e32 v13, v13
	v_fma_f32 v17, v13, s11, |v12|
	v_cvt_u32_f32_e32 v17, v17
	v_cvt_u32_f32_e32 v13, v13
	v_ashrrev_i32_e32 v19, 31, v12
	v_xor_b32_e32 v12, v17, v19
	v_xor_b32_e32 v13, v13, v19
	v_sub_co_u32_e32 v12, vcc, v12, v19
	v_subb_co_u32_e32 v13, vcc, v13, v19, vcc
.LBB94_2321:
	s_mov_b64 s[4:5], 0
.LBB94_2322:
	s_andn2_b64 vcc, exec, s[4:5]
	s_cbranch_vccnz .LBB94_2324
; %bb.2323:
	global_load_ubyte v12, v[14:15], off
	s_movk_i32 s4, 0x7f00
	s_brev_b32 s5, 16
	s_brev_b32 s10, 1
	s_mov_b32 s11, 0x2f800000
	s_mov_b32 s18, 0xcf800000
	s_waitcnt vmcnt(0)
	v_lshlrev_b16_e32 v13, 8, v12
	v_lshlrev_b32_e32 v12, 25, v12
	v_lshrrev_b32_e32 v17, 4, v12
	v_and_or_b32 v19, v13, s4, 0.5
	v_or_b32_e32 v17, 0x70000000, v17
	v_add_f32_e32 v19, -0.5, v19
	v_mul_f32_e32 v17, 0x7800000, v17
	v_cmp_gt_u32_e32 vcc, s5, v12
	v_bfe_i32 v13, v13, 0, 16
	v_cndmask_b32_e32 v12, v17, v19, vcc
	v_and_or_b32 v12, v13, s10, v12
	v_trunc_f32_e32 v12, v12
	v_mul_f32_e64 v13, |v12|, s11
	v_floor_f32_e32 v13, v13
	v_fma_f32 v17, v13, s18, |v12|
	v_cvt_u32_f32_e32 v17, v17
	v_cvt_u32_f32_e32 v13, v13
	v_ashrrev_i32_e32 v19, 31, v12
	v_xor_b32_e32 v12, v17, v19
	v_xor_b32_e32 v13, v13, v19
	v_sub_co_u32_e32 v12, vcc, v12, v19
	v_subb_co_u32_e32 v13, vcc, v13, v19, vcc
.LBB94_2324:
	s_mov_b64 s[4:5], 0
	s_mov_b64 s[10:11], -1
.LBB94_2325:
	s_andn2_b64 vcc, exec, s[4:5]
	s_mov_b64 s[4:5], 0
	s_cbranch_vccnz .LBB94_2334
; %bb.2326:
	s_cmp_gt_i32 s9, 14
	s_cbranch_scc0 .LBB94_2329
; %bb.2327:
	s_cmp_eq_u32 s9, 15
	s_cbranch_scc0 .LBB94_2330
; %bb.2328:
	global_load_ushort v12, v[14:15], off
	s_mov_b32 s0, 0x2f800000
	s_mov_b32 s1, 0xcf800000
	s_mov_b64 s[10:11], -1
	s_waitcnt vmcnt(0)
	v_lshlrev_b32_e32 v12, 16, v12
	v_trunc_f32_e32 v12, v12
	v_mul_f32_e64 v13, |v12|, s0
	v_floor_f32_e32 v13, v13
	v_fma_f32 v17, v13, s1, |v12|
	v_cvt_u32_f32_e32 v17, v17
	v_cvt_u32_f32_e32 v13, v13
	v_ashrrev_i32_e32 v19, 31, v12
	s_mov_b64 s[0:1], 0
	v_xor_b32_e32 v12, v17, v19
	v_xor_b32_e32 v13, v13, v19
	v_sub_co_u32_e32 v12, vcc, v12, v19
	v_subb_co_u32_e32 v13, vcc, v13, v19, vcc
	s_branch .LBB94_2331
.LBB94_2329:
	s_mov_b64 s[18:19], -1
                                        ; implicit-def: $vgpr12_vgpr13
	s_branch .LBB94_2332
.LBB94_2330:
	s_mov_b64 s[0:1], -1
                                        ; implicit-def: $vgpr12_vgpr13
.LBB94_2331:
	s_mov_b64 s[18:19], 0
.LBB94_2332:
	s_and_b64 vcc, exec, s[18:19]
	s_cbranch_vccz .LBB94_2334
; %bb.2333:
	s_cmp_lg_u32 s9, 11
	s_mov_b64 s[4:5], -1
	s_cselect_b64 s[0:1], -1, 0
.LBB94_2334:
	s_and_b64 vcc, exec, s[0:1]
	s_cbranch_vccnz .LBB94_2399
; %bb.2335:
	s_andn2_b64 vcc, exec, s[4:5]
	s_cbranch_vccnz .LBB94_2337
.LBB94_2336:
	global_load_ubyte v12, v[14:15], off
	s_mov_b32 s0, 0
	s_waitcnt vmcnt(1)
	v_mov_b32_e32 v13, s0
	s_mov_b64 s[10:11], -1
	s_waitcnt vmcnt(0)
	v_cmp_ne_u16_e32 vcc, 0, v12
	v_cndmask_b32_e64 v12, 0, 1, vcc
.LBB94_2337:
	s_mov_b64 s[0:1], 0
.LBB94_2338:
	s_and_b64 vcc, exec, s[0:1]
	s_cbranch_vccz .LBB94_2387
; %bb.2339:
	s_and_b32 s4, 0xffff, s28
	s_cmp_lt_i32 s4, 5
	s_cbranch_scc1 .LBB94_2344
; %bb.2340:
	s_cmp_lt_i32 s4, 8
	s_cbranch_scc1 .LBB94_2345
; %bb.2341:
	;; [unrolled: 3-line block ×3, first 2 shown]
	s_cmp_gt_i32 s4, 9
	s_cbranch_scc0 .LBB94_2347
; %bb.2343:
	global_load_dwordx2 v[12:13], v[14:15], off
	s_movk_i32 s0, 0xffe0
	s_waitcnt vmcnt(0)
	v_trunc_f64_e32 v[12:13], v[12:13]
	v_ldexp_f64 v[19:20], v[12:13], s0
	s_mov_b32 s0, 0
	s_mov_b32 s1, 0xc1f00000
	v_floor_f64_e32 v[19:20], v[19:20]
	v_fma_f64 v[21:22], v[19:20], s[0:1], v[12:13]
	v_cvt_i32_f64_e32 v13, v[19:20]
	s_mov_b64 s[0:1], 0
	v_cvt_u32_f64_e32 v12, v[21:22]
	s_branch .LBB94_2348
.LBB94_2344:
	s_mov_b64 s[0:1], -1
                                        ; implicit-def: $vgpr12_vgpr13
	s_branch .LBB94_2366
.LBB94_2345:
	s_mov_b64 s[0:1], -1
                                        ; implicit-def: $vgpr12_vgpr13
	s_branch .LBB94_2354
.LBB94_2346:
	s_mov_b64 s[0:1], -1
                                        ; implicit-def: $vgpr12_vgpr13
	s_branch .LBB94_2351
.LBB94_2347:
	s_mov_b64 s[0:1], -1
                                        ; implicit-def: $vgpr12_vgpr13
.LBB94_2348:
	s_andn2_b64 vcc, exec, s[0:1]
	s_cbranch_vccnz .LBB94_2350
; %bb.2349:
	global_load_dword v12, v[14:15], off
	s_mov_b32 s0, 0x2f800000
	s_mov_b32 s1, 0xcf800000
	s_waitcnt vmcnt(0)
	v_trunc_f32_e32 v12, v12
	v_mul_f32_e64 v13, |v12|, s0
	v_floor_f32_e32 v13, v13
	v_cvt_u32_f32_e32 v17, v13
	v_fma_f32 v13, v13, s1, |v12|
	v_cvt_u32_f32_e32 v13, v13
	v_ashrrev_i32_e32 v19, 31, v12
	v_xor_b32_e32 v17, v17, v19
	v_xor_b32_e32 v12, v13, v19
	v_sub_co_u32_e32 v12, vcc, v12, v19
	v_subb_co_u32_e32 v13, vcc, v17, v19, vcc
.LBB94_2350:
	s_mov_b64 s[0:1], 0
.LBB94_2351:
	s_andn2_b64 vcc, exec, s[0:1]
	s_cbranch_vccnz .LBB94_2353
; %bb.2352:
	global_load_dword v12, v[14:15], off
	s_waitcnt vmcnt(0)
	v_cvt_f32_f16_e32 v12, v12
	v_cvt_i32_f32_e32 v12, v12
	v_ashrrev_i32_e32 v13, 31, v12
.LBB94_2353:
	s_mov_b64 s[0:1], 0
.LBB94_2354:
	s_andn2_b64 vcc, exec, s[0:1]
	s_cbranch_vccnz .LBB94_2365
; %bb.2355:
	s_cmp_lt_i32 s4, 6
	s_cbranch_scc1 .LBB94_2358
; %bb.2356:
	s_cmp_gt_i32 s4, 6
	s_cbranch_scc0 .LBB94_2359
; %bb.2357:
	global_load_dwordx2 v[12:13], v[14:15], off
	s_movk_i32 s0, 0xffe0
	s_waitcnt vmcnt(0)
	v_trunc_f64_e32 v[12:13], v[12:13]
	v_ldexp_f64 v[19:20], v[12:13], s0
	s_mov_b32 s0, 0
	s_mov_b32 s1, 0xc1f00000
	v_floor_f64_e32 v[19:20], v[19:20]
	v_fma_f64 v[21:22], v[19:20], s[0:1], v[12:13]
	v_cvt_i32_f64_e32 v13, v[19:20]
	s_mov_b64 s[0:1], 0
	v_cvt_u32_f64_e32 v12, v[21:22]
	s_branch .LBB94_2360
.LBB94_2358:
	s_mov_b64 s[0:1], -1
                                        ; implicit-def: $vgpr12_vgpr13
	s_branch .LBB94_2363
.LBB94_2359:
	s_mov_b64 s[0:1], -1
                                        ; implicit-def: $vgpr12_vgpr13
.LBB94_2360:
	s_andn2_b64 vcc, exec, s[0:1]
	s_cbranch_vccnz .LBB94_2362
; %bb.2361:
	global_load_dword v12, v[14:15], off
	s_mov_b32 s0, 0x2f800000
	s_mov_b32 s1, 0xcf800000
	s_waitcnt vmcnt(0)
	v_trunc_f32_e32 v12, v12
	v_mul_f32_e64 v13, |v12|, s0
	v_floor_f32_e32 v13, v13
	v_cvt_u32_f32_e32 v17, v13
	v_fma_f32 v13, v13, s1, |v12|
	v_cvt_u32_f32_e32 v13, v13
	v_ashrrev_i32_e32 v19, 31, v12
	v_xor_b32_e32 v17, v17, v19
	v_xor_b32_e32 v12, v13, v19
	v_sub_co_u32_e32 v12, vcc, v12, v19
	v_subb_co_u32_e32 v13, vcc, v17, v19, vcc
.LBB94_2362:
	s_mov_b64 s[0:1], 0
.LBB94_2363:
	s_andn2_b64 vcc, exec, s[0:1]
	s_cbranch_vccnz .LBB94_2365
; %bb.2364:
	global_load_ushort v12, v[14:15], off
	s_waitcnt vmcnt(0)
	v_cvt_f32_f16_e32 v12, v12
	v_cvt_i32_f32_e32 v12, v12
	v_ashrrev_i32_e32 v13, 31, v12
.LBB94_2365:
	s_mov_b64 s[0:1], 0
.LBB94_2366:
	s_andn2_b64 vcc, exec, s[0:1]
	s_cbranch_vccnz .LBB94_2386
; %bb.2367:
	s_cmp_lt_i32 s4, 2
	s_cbranch_scc1 .LBB94_2371
; %bb.2368:
	s_cmp_lt_i32 s4, 3
	s_cbranch_scc1 .LBB94_2372
; %bb.2369:
	s_cmp_gt_i32 s4, 3
	s_cbranch_scc0 .LBB94_2373
; %bb.2370:
	global_load_dwordx2 v[12:13], v[14:15], off
	s_mov_b64 s[0:1], 0
	s_branch .LBB94_2374
.LBB94_2371:
	s_mov_b64 s[0:1], -1
                                        ; implicit-def: $vgpr12_vgpr13
	s_branch .LBB94_2380
.LBB94_2372:
	s_mov_b64 s[0:1], -1
                                        ; implicit-def: $vgpr12_vgpr13
	s_branch .LBB94_2377
.LBB94_2373:
	s_mov_b64 s[0:1], -1
                                        ; implicit-def: $vgpr12_vgpr13
.LBB94_2374:
	s_andn2_b64 vcc, exec, s[0:1]
	s_cbranch_vccnz .LBB94_2376
; %bb.2375:
	global_load_dword v12, v[14:15], off
	s_waitcnt vmcnt(0)
	v_ashrrev_i32_e32 v13, 31, v12
.LBB94_2376:
	s_mov_b64 s[0:1], 0
.LBB94_2377:
	s_andn2_b64 vcc, exec, s[0:1]
	s_cbranch_vccnz .LBB94_2379
; %bb.2378:
	global_load_ushort v12, v[14:15], off
	s_waitcnt vmcnt(0)
	v_bfe_i32 v12, v12, 0, 16
	v_ashrrev_i32_e32 v13, 31, v12
.LBB94_2379:
	s_mov_b64 s[0:1], 0
.LBB94_2380:
	s_andn2_b64 vcc, exec, s[0:1]
	s_cbranch_vccnz .LBB94_2386
; %bb.2381:
	s_cmp_gt_i32 s4, 0
	s_cbranch_scc0 .LBB94_2383
; %bb.2382:
	global_load_sbyte v12, v[14:15], off
	s_mov_b64 s[0:1], 0
	s_waitcnt vmcnt(0)
	v_bfe_i32 v12, v12, 0, 16
	v_ashrrev_i32_e32 v13, 31, v12
	s_branch .LBB94_2384
.LBB94_2383:
	s_mov_b64 s[0:1], -1
                                        ; implicit-def: $vgpr12_vgpr13
.LBB94_2384:
	s_andn2_b64 vcc, exec, s[0:1]
	s_cbranch_vccnz .LBB94_2386
; %bb.2385:
	global_load_ubyte v12, v[14:15], off
	s_mov_b32 s0, 0
	s_waitcnt vmcnt(1)
	v_mov_b32_e32 v13, s0
	s_waitcnt vmcnt(0)
	v_and_b32_e32 v12, 0xffff, v12
.LBB94_2386:
	s_mov_b64 s[10:11], -1
.LBB94_2387:
	s_andn2_b64 vcc, exec, s[10:11]
	s_cbranch_vccnz .LBB94_2947
; %bb.2388:
	v_add_u32_e32 v14, s26, v16
	v_ashrrev_i32_e32 v15, 31, v14
	v_mov_b32_e32 v17, s3
	v_add_co_u32_e32 v16, vcc, s2, v14
	s_cmp_lt_i32 s29, 11
	v_addc_co_u32_e32 v17, vcc, v17, v15, vcc
	s_cbranch_scc1 .LBB94_2395
; %bb.2389:
	s_and_b32 s9, 0xffff, s29
	s_cmp_gt_i32 s9, 25
	s_mov_b64 s[2:3], 0
	s_cbranch_scc0 .LBB94_2396
; %bb.2390:
	s_cmp_gt_i32 s9, 28
	s_cbranch_scc0 .LBB94_2397
; %bb.2391:
	s_cmp_gt_i32 s9, 43
	;; [unrolled: 3-line block ×3, first 2 shown]
	s_cbranch_scc0 .LBB94_2400
; %bb.2393:
	s_cmp_eq_u32 s9, 46
	s_mov_b64 s[10:11], 0
	s_cbranch_scc0 .LBB94_2401
; %bb.2394:
	global_load_dword v14, v[16:17], off
	s_mov_b32 s0, 0x2f800000
	s_mov_b32 s1, 0xcf800000
	s_mov_b64 s[4:5], -1
	s_waitcnt vmcnt(0)
	v_lshlrev_b32_e32 v14, 16, v14
	v_trunc_f32_e32 v14, v14
	v_mul_f32_e64 v15, |v14|, s0
	v_floor_f32_e32 v15, v15
	v_fma_f32 v19, v15, s1, |v14|
	v_cvt_u32_f32_e32 v19, v19
	v_cvt_u32_f32_e32 v15, v15
	v_ashrrev_i32_e32 v20, 31, v14
	s_mov_b64 s[0:1], 0
	v_xor_b32_e32 v14, v19, v20
	v_xor_b32_e32 v15, v15, v20
	v_sub_co_u32_e32 v14, vcc, v14, v20
	v_subb_co_u32_e32 v15, vcc, v15, v20, vcc
	s_branch .LBB94_2402
.LBB94_2395:
	s_mov_b64 s[0:1], -1
	s_mov_b64 s[4:5], 0
                                        ; implicit-def: $vgpr14_vgpr15
	s_branch .LBB94_2464
.LBB94_2396:
	s_mov_b64 s[10:11], -1
	s_mov_b64 s[4:5], 0
	s_mov_b64 s[0:1], 0
                                        ; implicit-def: $vgpr14_vgpr15
	s_branch .LBB94_2431
.LBB94_2397:
	s_mov_b64 s[10:11], -1
	s_mov_b64 s[4:5], 0
	s_mov_b64 s[0:1], 0
                                        ; implicit-def: $vgpr14_vgpr15
	s_branch .LBB94_2412
.LBB94_2398:
	s_mov_b64 s[10:11], -1
	s_mov_b64 s[4:5], 0
	s_mov_b64 s[0:1], 0
                                        ; implicit-def: $vgpr14_vgpr15
	s_branch .LBB94_2407
.LBB94_2399:
	s_trap 2
	s_or_b64 s[22:23], s[22:23], exec
	s_cbranch_execz .LBB94_2336
	s_branch .LBB94_2337
.LBB94_2400:
	s_mov_b64 s[10:11], -1
	s_mov_b64 s[4:5], 0
	s_mov_b64 s[0:1], 0
                                        ; implicit-def: $vgpr14_vgpr15
	s_branch .LBB94_2402
.LBB94_2401:
	s_mov_b64 s[0:1], -1
                                        ; implicit-def: $vgpr14_vgpr15
	s_mov_b64 s[4:5], 0
.LBB94_2402:
	s_and_b64 vcc, exec, s[10:11]
	s_cbranch_vccz .LBB94_2406
; %bb.2403:
	s_cmp_eq_u32 s9, 44
	s_cbranch_scc0 .LBB94_2405
; %bb.2404:
	global_load_ubyte v14, v[16:17], off
	s_mov_b32 s0, 0x2f800000
	s_mov_b32 s1, 0xcf800000
	s_mov_b64 s[4:5], -1
	s_waitcnt vmcnt(0)
	v_lshlrev_b32_e32 v15, 23, v14
	v_trunc_f32_e32 v15, v15
	v_mul_f32_e64 v19, |v15|, s0
	v_floor_f32_e32 v19, v19
	v_fma_f32 v20, v19, s1, |v15|
	v_cvt_u32_f32_e32 v20, v20
	v_cvt_u32_f32_e32 v19, v19
	v_ashrrev_i32_e32 v15, 31, v15
	s_mov_b64 s[0:1], 0
	v_xor_b32_e32 v20, v20, v15
	v_xor_b32_e32 v19, v19, v15
	v_sub_co_u32_e32 v20, vcc, v20, v15
	v_subb_co_u32_e32 v15, vcc, v19, v15, vcc
	v_cmp_ne_u32_e32 vcc, 0, v14
	v_cndmask_b32_e32 v15, 0, v15, vcc
	v_cndmask_b32_e32 v14, 0, v20, vcc
	s_branch .LBB94_2406
.LBB94_2405:
	s_mov_b64 s[0:1], -1
                                        ; implicit-def: $vgpr14_vgpr15
.LBB94_2406:
	s_mov_b64 s[10:11], 0
.LBB94_2407:
	s_and_b64 vcc, exec, s[10:11]
	s_cbranch_vccz .LBB94_2411
; %bb.2408:
	s_cmp_eq_u32 s9, 29
	s_cbranch_scc0 .LBB94_2410
; %bb.2409:
	global_load_dwordx2 v[14:15], v[16:17], off
	s_mov_b64 s[0:1], 0
	s_mov_b64 s[4:5], -1
	s_branch .LBB94_2411
.LBB94_2410:
	s_mov_b64 s[0:1], -1
                                        ; implicit-def: $vgpr14_vgpr15
.LBB94_2411:
	s_mov_b64 s[10:11], 0
.LBB94_2412:
	s_and_b64 vcc, exec, s[10:11]
	s_cbranch_vccz .LBB94_2430
; %bb.2413:
	s_cmp_lt_i32 s9, 27
	s_cbranch_scc1 .LBB94_2416
; %bb.2414:
	s_cmp_gt_i32 s9, 27
	s_cbranch_scc0 .LBB94_2417
; %bb.2415:
	global_load_dword v14, v[16:17], off
	s_waitcnt vmcnt(1)
	v_mov_b32_e32 v15, 0
	s_mov_b64 s[4:5], 0
	s_branch .LBB94_2418
.LBB94_2416:
	s_mov_b64 s[4:5], -1
                                        ; implicit-def: $vgpr14_vgpr15
	s_branch .LBB94_2421
.LBB94_2417:
	s_mov_b64 s[4:5], -1
                                        ; implicit-def: $vgpr14_vgpr15
.LBB94_2418:
	s_andn2_b64 vcc, exec, s[4:5]
	s_cbranch_vccnz .LBB94_2420
; %bb.2419:
	global_load_ushort v14, v[16:17], off
	s_mov_b32 s4, 0
	s_waitcnt vmcnt(1)
	v_mov_b32_e32 v15, s4
	s_waitcnt vmcnt(0)
	v_and_b32_e32 v14, 0xffff, v14
.LBB94_2420:
	s_mov_b64 s[4:5], 0
.LBB94_2421:
	s_andn2_b64 vcc, exec, s[4:5]
	s_cbranch_vccnz .LBB94_2429
; %bb.2422:
	global_load_ubyte v19, v[16:17], off
	s_movk_i32 s4, 0x7f
	s_mov_b64 s[10:11], 0
	s_waitcnt vmcnt(0)
	v_cmp_lt_i16_e32 vcc, s4, v19
	s_and_saveexec_b64 s[4:5], vcc
	s_xor_b64 s[4:5], exec, s[4:5]
; %bb.2423:
	s_movk_i32 s10, 0x80
	v_cmp_ne_u16_e32 vcc, s10, v19
	s_and_b64 s[10:11], vcc, exec
; %bb.2424:
	s_andn2_saveexec_b64 s[4:5], s[4:5]
; %bb.2425:
	v_cmp_ne_u16_e32 vcc, 0, v19
	s_andn2_b64 s[10:11], s[10:11], exec
	s_and_b64 s[18:19], vcc, exec
	s_or_b64 s[10:11], s[10:11], s[18:19]
; %bb.2426:
	s_or_b64 exec, exec, s[4:5]
	v_mov_b32_e32 v14, 0
	v_mov_b32_e32 v15, 0
	s_and_saveexec_b64 s[4:5], s[10:11]
	s_cbranch_execz .LBB94_2428
; %bb.2427:
	v_and_b32_e32 v15, 0xffff, v19
	v_lshlrev_b32_e32 v14, 24, v19
	v_and_b32_e32 v19, 7, v15
	v_ffbh_u32_e32 v21, v19
	v_min_u32_e32 v21, 32, v21
	v_subrev_u32_e32 v22, 28, v21
	v_bfe_u32 v20, v15, 3, 4
	v_lshlrev_b32_e32 v15, v22, v15
	v_sub_u32_e32 v21, 29, v21
	v_and_b32_e32 v15, 7, v15
	v_cmp_eq_u32_e32 vcc, 0, v20
	v_cndmask_b32_e32 v20, v20, v21, vcc
	v_cndmask_b32_e32 v15, v19, v15, vcc
	v_mov_b32_e32 v19, 0x3b800000
	v_lshlrev_b32_e32 v15, 20, v15
	v_and_b32_e32 v14, 0x80000000, v14
	v_lshl_add_u32 v19, v20, 23, v19
	v_or3_b32 v14, v14, v19, v15
	v_trunc_f32_e32 v14, v14
	s_mov_b32 s10, 0x2f800000
	v_mul_f32_e64 v15, |v14|, s10
	v_floor_f32_e32 v15, v15
	s_mov_b32 s10, 0xcf800000
	v_fma_f32 v19, v15, s10, |v14|
	v_cvt_u32_f32_e32 v19, v19
	v_cvt_u32_f32_e32 v15, v15
	v_ashrrev_i32_e32 v20, 31, v14
	v_xor_b32_e32 v14, v19, v20
	v_xor_b32_e32 v15, v15, v20
	v_sub_co_u32_e32 v14, vcc, v14, v20
	v_subb_co_u32_e32 v15, vcc, v15, v20, vcc
.LBB94_2428:
	s_or_b64 exec, exec, s[4:5]
.LBB94_2429:
	s_mov_b64 s[4:5], -1
.LBB94_2430:
	s_mov_b64 s[10:11], 0
.LBB94_2431:
	s_and_b64 vcc, exec, s[10:11]
	s_cbranch_vccz .LBB94_2460
; %bb.2432:
	s_cmp_gt_i32 s9, 22
	s_cbranch_scc0 .LBB94_2442
; %bb.2433:
	s_cmp_lt_i32 s9, 24
	s_cbranch_scc1 .LBB94_2443
; %bb.2434:
	s_cmp_gt_i32 s9, 24
	s_cbranch_scc0 .LBB94_2444
; %bb.2435:
	global_load_ubyte v19, v[16:17], off
	s_movk_i32 s2, 0x7f
	s_mov_b64 s[4:5], 0
	s_waitcnt vmcnt(0)
	v_cmp_lt_i16_e32 vcc, s2, v19
	s_and_saveexec_b64 s[2:3], vcc
	s_xor_b64 s[2:3], exec, s[2:3]
; %bb.2436:
	s_movk_i32 s4, 0x80
	v_cmp_ne_u16_e32 vcc, s4, v19
	s_and_b64 s[4:5], vcc, exec
; %bb.2437:
	s_andn2_saveexec_b64 s[2:3], s[2:3]
; %bb.2438:
	v_cmp_ne_u16_e32 vcc, 0, v19
	s_andn2_b64 s[4:5], s[4:5], exec
	s_and_b64 s[10:11], vcc, exec
	s_or_b64 s[4:5], s[4:5], s[10:11]
; %bb.2439:
	s_or_b64 exec, exec, s[2:3]
	v_mov_b32_e32 v14, 0
	v_mov_b32_e32 v15, 0
	s_and_saveexec_b64 s[2:3], s[4:5]
	s_cbranch_execz .LBB94_2441
; %bb.2440:
	v_and_b32_e32 v15, 0xffff, v19
	v_lshlrev_b32_e32 v14, 24, v19
	v_and_b32_e32 v19, 3, v15
	v_ffbh_u32_e32 v21, v19
	v_min_u32_e32 v21, 32, v21
	v_subrev_u32_e32 v22, 29, v21
	v_bfe_u32 v20, v15, 2, 5
	v_lshlrev_b32_e32 v15, v22, v15
	v_sub_u32_e32 v21, 30, v21
	v_and_b32_e32 v15, 3, v15
	v_cmp_eq_u32_e32 vcc, 0, v20
	v_cndmask_b32_e32 v20, v20, v21, vcc
	v_cndmask_b32_e32 v15, v19, v15, vcc
	v_mov_b32_e32 v19, 0x37800000
	v_lshlrev_b32_e32 v15, 21, v15
	v_and_b32_e32 v14, 0x80000000, v14
	v_lshl_add_u32 v19, v20, 23, v19
	v_or3_b32 v14, v14, v19, v15
	v_trunc_f32_e32 v14, v14
	s_mov_b32 s4, 0x2f800000
	v_mul_f32_e64 v15, |v14|, s4
	v_floor_f32_e32 v15, v15
	s_mov_b32 s4, 0xcf800000
	v_fma_f32 v19, v15, s4, |v14|
	v_cvt_u32_f32_e32 v19, v19
	v_cvt_u32_f32_e32 v15, v15
	v_ashrrev_i32_e32 v20, 31, v14
	v_xor_b32_e32 v14, v19, v20
	v_xor_b32_e32 v15, v15, v20
	v_sub_co_u32_e32 v14, vcc, v14, v20
	v_subb_co_u32_e32 v15, vcc, v15, v20, vcc
.LBB94_2441:
	s_or_b64 exec, exec, s[2:3]
	s_mov_b64 s[2:3], 0
	s_branch .LBB94_2445
.LBB94_2442:
	s_mov_b64 s[2:3], -1
                                        ; implicit-def: $vgpr14_vgpr15
	s_branch .LBB94_2451
.LBB94_2443:
	s_mov_b64 s[2:3], -1
                                        ; implicit-def: $vgpr14_vgpr15
	s_branch .LBB94_2448
.LBB94_2444:
	s_mov_b64 s[2:3], -1
                                        ; implicit-def: $vgpr14_vgpr15
.LBB94_2445:
	s_and_b64 vcc, exec, s[2:3]
	s_cbranch_vccz .LBB94_2447
; %bb.2446:
	global_load_ubyte v14, v[16:17], off
	s_mov_b32 s2, 0x7f800000
	s_brev_b32 s3, 1
	s_mov_b32 s4, 0x2f800000
	s_mov_b32 s5, 0xcf800000
	s_waitcnt vmcnt(0)
	v_lshlrev_b32_e32 v14, 24, v14
	v_and_b32_e32 v15, 0x7f000000, v14
	v_ffbh_u32_e32 v19, v15
	v_min_u32_e32 v19, 32, v19
	v_sub_u32_e64 v19, v19, 4 clamp
	v_lshlrev_b32_e32 v21, v19, v15
	v_lshlrev_b32_e32 v19, 23, v19
	v_lshrrev_b32_e32 v21, 4, v21
	v_add_u32_e32 v20, 0x1000000, v15
	v_sub_u32_e32 v19, v21, v19
	v_ashrrev_i32_e32 v20, 8, v20
	v_add_u32_e32 v19, 0x3c000000, v19
	v_and_or_b32 v19, v20, s2, v19
	v_cmp_ne_u32_e32 vcc, 0, v15
	v_cndmask_b32_e32 v15, 0, v19, vcc
	v_and_or_b32 v14, v14, s3, v15
	v_trunc_f32_e32 v14, v14
	v_mul_f32_e64 v15, |v14|, s4
	v_floor_f32_e32 v15, v15
	v_fma_f32 v19, v15, s5, |v14|
	v_cvt_u32_f32_e32 v19, v19
	v_cvt_u32_f32_e32 v15, v15
	v_ashrrev_i32_e32 v20, 31, v14
	v_xor_b32_e32 v14, v19, v20
	v_xor_b32_e32 v15, v15, v20
	v_sub_co_u32_e32 v14, vcc, v14, v20
	v_subb_co_u32_e32 v15, vcc, v15, v20, vcc
.LBB94_2447:
	s_mov_b64 s[2:3], 0
.LBB94_2448:
	s_andn2_b64 vcc, exec, s[2:3]
	s_cbranch_vccnz .LBB94_2450
; %bb.2449:
	global_load_ubyte v14, v[16:17], off
	s_movk_i32 s2, 0x7f00
	s_brev_b32 s3, 16
	s_brev_b32 s4, 1
	s_mov_b32 s5, 0x2f800000
	s_mov_b32 s10, 0xcf800000
	s_waitcnt vmcnt(0)
	v_lshlrev_b16_e32 v15, 8, v14
	v_lshlrev_b32_e32 v14, 25, v14
	v_lshrrev_b32_e32 v19, 4, v14
	v_and_or_b32 v20, v15, s2, 0.5
	v_or_b32_e32 v19, 0x70000000, v19
	v_add_f32_e32 v20, -0.5, v20
	v_mul_f32_e32 v19, 0x7800000, v19
	v_cmp_gt_u32_e32 vcc, s3, v14
	v_bfe_i32 v15, v15, 0, 16
	v_cndmask_b32_e32 v14, v19, v20, vcc
	v_and_or_b32 v14, v15, s4, v14
	v_trunc_f32_e32 v14, v14
	v_mul_f32_e64 v15, |v14|, s5
	v_floor_f32_e32 v15, v15
	v_fma_f32 v19, v15, s10, |v14|
	v_cvt_u32_f32_e32 v19, v19
	v_cvt_u32_f32_e32 v15, v15
	v_ashrrev_i32_e32 v20, 31, v14
	v_xor_b32_e32 v14, v19, v20
	v_xor_b32_e32 v15, v15, v20
	v_sub_co_u32_e32 v14, vcc, v14, v20
	v_subb_co_u32_e32 v15, vcc, v15, v20, vcc
.LBB94_2450:
	s_mov_b64 s[2:3], 0
	s_mov_b64 s[4:5], -1
.LBB94_2451:
	s_andn2_b64 vcc, exec, s[2:3]
	s_mov_b64 s[2:3], 0
	s_cbranch_vccnz .LBB94_2460
; %bb.2452:
	s_cmp_gt_i32 s9, 14
	s_cbranch_scc0 .LBB94_2455
; %bb.2453:
	s_cmp_eq_u32 s9, 15
	s_cbranch_scc0 .LBB94_2456
; %bb.2454:
	global_load_ushort v14, v[16:17], off
	s_mov_b32 s0, 0x2f800000
	s_mov_b32 s1, 0xcf800000
	s_mov_b64 s[4:5], -1
	s_waitcnt vmcnt(0)
	v_lshlrev_b32_e32 v14, 16, v14
	v_trunc_f32_e32 v14, v14
	v_mul_f32_e64 v15, |v14|, s0
	v_floor_f32_e32 v15, v15
	v_fma_f32 v19, v15, s1, |v14|
	v_cvt_u32_f32_e32 v19, v19
	v_cvt_u32_f32_e32 v15, v15
	v_ashrrev_i32_e32 v20, 31, v14
	s_mov_b64 s[0:1], 0
	v_xor_b32_e32 v14, v19, v20
	v_xor_b32_e32 v15, v15, v20
	v_sub_co_u32_e32 v14, vcc, v14, v20
	v_subb_co_u32_e32 v15, vcc, v15, v20, vcc
	s_branch .LBB94_2457
.LBB94_2455:
	s_mov_b64 s[10:11], -1
                                        ; implicit-def: $vgpr14_vgpr15
	s_branch .LBB94_2458
.LBB94_2456:
	s_mov_b64 s[0:1], -1
                                        ; implicit-def: $vgpr14_vgpr15
.LBB94_2457:
	s_mov_b64 s[10:11], 0
.LBB94_2458:
	s_and_b64 vcc, exec, s[10:11]
	s_cbranch_vccz .LBB94_2460
; %bb.2459:
	s_cmp_lg_u32 s9, 11
	s_mov_b64 s[2:3], -1
	s_cselect_b64 s[0:1], -1, 0
.LBB94_2460:
	s_and_b64 vcc, exec, s[0:1]
	s_cbranch_vccnz .LBB94_2993
; %bb.2461:
	s_andn2_b64 vcc, exec, s[2:3]
	s_cbranch_vccnz .LBB94_2463
.LBB94_2462:
	global_load_ubyte v14, v[16:17], off
	s_mov_b32 s0, 0
	s_waitcnt vmcnt(1)
	v_mov_b32_e32 v15, s0
	s_mov_b64 s[4:5], -1
	s_waitcnt vmcnt(0)
	v_cmp_ne_u16_e32 vcc, 0, v14
	v_cndmask_b32_e64 v14, 0, 1, vcc
.LBB94_2463:
	s_mov_b64 s[0:1], 0
.LBB94_2464:
	s_and_b64 vcc, exec, s[0:1]
	s_cbranch_vccz .LBB94_2513
; %bb.2465:
	s_and_b32 s2, 0xffff, s29
	s_cmp_lt_i32 s2, 5
	s_cbranch_scc1 .LBB94_2470
; %bb.2466:
	s_cmp_lt_i32 s2, 8
	s_cbranch_scc1 .LBB94_2471
; %bb.2467:
	;; [unrolled: 3-line block ×3, first 2 shown]
	s_cmp_gt_i32 s2, 9
	s_cbranch_scc0 .LBB94_2473
; %bb.2469:
	global_load_dwordx2 v[14:15], v[16:17], off
	s_movk_i32 s0, 0xffe0
	s_waitcnt vmcnt(0)
	v_trunc_f64_e32 v[14:15], v[14:15]
	v_ldexp_f64 v[19:20], v[14:15], s0
	s_mov_b32 s0, 0
	s_mov_b32 s1, 0xc1f00000
	v_floor_f64_e32 v[19:20], v[19:20]
	v_fma_f64 v[21:22], v[19:20], s[0:1], v[14:15]
	v_cvt_i32_f64_e32 v15, v[19:20]
	s_mov_b64 s[0:1], 0
	v_cvt_u32_f64_e32 v14, v[21:22]
	s_branch .LBB94_2474
.LBB94_2470:
	s_mov_b64 s[0:1], -1
                                        ; implicit-def: $vgpr14_vgpr15
	s_branch .LBB94_2492
.LBB94_2471:
	s_mov_b64 s[0:1], -1
                                        ; implicit-def: $vgpr14_vgpr15
	s_branch .LBB94_2480
.LBB94_2472:
	s_mov_b64 s[0:1], -1
                                        ; implicit-def: $vgpr14_vgpr15
	s_branch .LBB94_2477
.LBB94_2473:
	s_mov_b64 s[0:1], -1
                                        ; implicit-def: $vgpr14_vgpr15
.LBB94_2474:
	s_andn2_b64 vcc, exec, s[0:1]
	s_cbranch_vccnz .LBB94_2476
; %bb.2475:
	global_load_dword v14, v[16:17], off
	s_mov_b32 s0, 0x2f800000
	s_mov_b32 s1, 0xcf800000
	s_waitcnt vmcnt(0)
	v_trunc_f32_e32 v14, v14
	v_mul_f32_e64 v15, |v14|, s0
	v_floor_f32_e32 v15, v15
	v_cvt_u32_f32_e32 v19, v15
	v_fma_f32 v15, v15, s1, |v14|
	v_cvt_u32_f32_e32 v15, v15
	v_ashrrev_i32_e32 v20, 31, v14
	v_xor_b32_e32 v19, v19, v20
	v_xor_b32_e32 v14, v15, v20
	v_sub_co_u32_e32 v14, vcc, v14, v20
	v_subb_co_u32_e32 v15, vcc, v19, v20, vcc
.LBB94_2476:
	s_mov_b64 s[0:1], 0
.LBB94_2477:
	s_andn2_b64 vcc, exec, s[0:1]
	s_cbranch_vccnz .LBB94_2479
; %bb.2478:
	global_load_dword v14, v[16:17], off
	s_waitcnt vmcnt(0)
	v_cvt_f32_f16_e32 v14, v14
	v_cvt_i32_f32_e32 v14, v14
	v_ashrrev_i32_e32 v15, 31, v14
.LBB94_2479:
	s_mov_b64 s[0:1], 0
.LBB94_2480:
	s_andn2_b64 vcc, exec, s[0:1]
	s_cbranch_vccnz .LBB94_2491
; %bb.2481:
	s_cmp_lt_i32 s2, 6
	s_cbranch_scc1 .LBB94_2484
; %bb.2482:
	s_cmp_gt_i32 s2, 6
	s_cbranch_scc0 .LBB94_2485
; %bb.2483:
	global_load_dwordx2 v[14:15], v[16:17], off
	s_movk_i32 s0, 0xffe0
	s_waitcnt vmcnt(0)
	v_trunc_f64_e32 v[14:15], v[14:15]
	v_ldexp_f64 v[19:20], v[14:15], s0
	s_mov_b32 s0, 0
	s_mov_b32 s1, 0xc1f00000
	v_floor_f64_e32 v[19:20], v[19:20]
	v_fma_f64 v[21:22], v[19:20], s[0:1], v[14:15]
	v_cvt_i32_f64_e32 v15, v[19:20]
	s_mov_b64 s[0:1], 0
	v_cvt_u32_f64_e32 v14, v[21:22]
	s_branch .LBB94_2486
.LBB94_2484:
	s_mov_b64 s[0:1], -1
                                        ; implicit-def: $vgpr14_vgpr15
	s_branch .LBB94_2489
.LBB94_2485:
	s_mov_b64 s[0:1], -1
                                        ; implicit-def: $vgpr14_vgpr15
.LBB94_2486:
	s_andn2_b64 vcc, exec, s[0:1]
	s_cbranch_vccnz .LBB94_2488
; %bb.2487:
	global_load_dword v14, v[16:17], off
	s_mov_b32 s0, 0x2f800000
	s_mov_b32 s1, 0xcf800000
	s_waitcnt vmcnt(0)
	v_trunc_f32_e32 v14, v14
	v_mul_f32_e64 v15, |v14|, s0
	v_floor_f32_e32 v15, v15
	v_cvt_u32_f32_e32 v19, v15
	v_fma_f32 v15, v15, s1, |v14|
	v_cvt_u32_f32_e32 v15, v15
	v_ashrrev_i32_e32 v20, 31, v14
	v_xor_b32_e32 v19, v19, v20
	v_xor_b32_e32 v14, v15, v20
	v_sub_co_u32_e32 v14, vcc, v14, v20
	v_subb_co_u32_e32 v15, vcc, v19, v20, vcc
.LBB94_2488:
	s_mov_b64 s[0:1], 0
.LBB94_2489:
	s_andn2_b64 vcc, exec, s[0:1]
	s_cbranch_vccnz .LBB94_2491
; %bb.2490:
	global_load_ushort v14, v[16:17], off
	s_waitcnt vmcnt(0)
	v_cvt_f32_f16_e32 v14, v14
	v_cvt_i32_f32_e32 v14, v14
	v_ashrrev_i32_e32 v15, 31, v14
.LBB94_2491:
	s_mov_b64 s[0:1], 0
.LBB94_2492:
	s_andn2_b64 vcc, exec, s[0:1]
	s_cbranch_vccnz .LBB94_2512
; %bb.2493:
	s_cmp_lt_i32 s2, 2
	s_cbranch_scc1 .LBB94_2497
; %bb.2494:
	s_cmp_lt_i32 s2, 3
	s_cbranch_scc1 .LBB94_2498
; %bb.2495:
	s_cmp_gt_i32 s2, 3
	s_cbranch_scc0 .LBB94_2499
; %bb.2496:
	global_load_dwordx2 v[14:15], v[16:17], off
	s_mov_b64 s[0:1], 0
	s_branch .LBB94_2500
.LBB94_2497:
	s_mov_b64 s[0:1], -1
                                        ; implicit-def: $vgpr14_vgpr15
	s_branch .LBB94_2506
.LBB94_2498:
	s_mov_b64 s[0:1], -1
                                        ; implicit-def: $vgpr14_vgpr15
	s_branch .LBB94_2503
.LBB94_2499:
	s_mov_b64 s[0:1], -1
                                        ; implicit-def: $vgpr14_vgpr15
.LBB94_2500:
	s_andn2_b64 vcc, exec, s[0:1]
	s_cbranch_vccnz .LBB94_2502
; %bb.2501:
	global_load_dword v14, v[16:17], off
	s_waitcnt vmcnt(0)
	v_ashrrev_i32_e32 v15, 31, v14
.LBB94_2502:
	s_mov_b64 s[0:1], 0
.LBB94_2503:
	s_andn2_b64 vcc, exec, s[0:1]
	s_cbranch_vccnz .LBB94_2505
; %bb.2504:
	global_load_ushort v14, v[16:17], off
	s_waitcnt vmcnt(0)
	v_bfe_i32 v14, v14, 0, 16
	v_ashrrev_i32_e32 v15, 31, v14
.LBB94_2505:
	s_mov_b64 s[0:1], 0
.LBB94_2506:
	s_andn2_b64 vcc, exec, s[0:1]
	s_cbranch_vccnz .LBB94_2512
; %bb.2507:
	s_cmp_gt_i32 s2, 0
	s_cbranch_scc0 .LBB94_2509
; %bb.2508:
	global_load_sbyte v14, v[16:17], off
	s_mov_b64 s[0:1], 0
	s_waitcnt vmcnt(0)
	v_bfe_i32 v14, v14, 0, 16
	v_ashrrev_i32_e32 v15, 31, v14
	s_branch .LBB94_2510
.LBB94_2509:
	s_mov_b64 s[0:1], -1
                                        ; implicit-def: $vgpr14_vgpr15
.LBB94_2510:
	s_andn2_b64 vcc, exec, s[0:1]
	s_cbranch_vccnz .LBB94_2512
; %bb.2511:
	global_load_ubyte v14, v[16:17], off
	s_mov_b32 s0, 0
	s_waitcnt vmcnt(1)
	v_mov_b32_e32 v15, s0
	s_waitcnt vmcnt(0)
	v_and_b32_e32 v14, 0xffff, v14
.LBB94_2512:
	s_mov_b64 s[4:5], -1
.LBB94_2513:
	s_andn2_b64 vcc, exec, s[4:5]
	s_cbranch_vccnz .LBB94_2947
; %bb.2514:
	v_mul_lo_u32 v16, s8, v18
	s_waitcnt vmcnt(0)
	v_cmp_lt_i64_e32 vcc, s[12:13], v[0:1]
	v_mov_b32_e32 v17, s15
	v_mov_b32_e32 v0, s14
	v_cndmask_b32_e32 v1, v17, v3, vcc
	v_cndmask_b32_e32 v0, v0, v2, vcc
	v_ashrrev_i32_e32 v3, 31, v16
	v_mov_b32_e32 v17, s17
	s_and_b32 s24, s33, 0xff
	v_add_co_u32_e32 v2, vcc, s16, v16
	s_cmp_lt_i32 s24, 11
	v_addc_co_u32_e32 v3, vcc, v17, v3, vcc
	s_cbranch_scc1 .LBB94_2592
; %bb.2515:
	s_and_b32 s9, 0xffff, s24
	s_mov_b64 s[10:11], -1
	s_mov_b64 s[2:3], 0
	s_cmp_gt_i32 s9, 25
	s_mov_b64 s[4:5], 0
	s_mov_b64 s[0:1], 0
	s_cbranch_scc0 .LBB94_2548
; %bb.2516:
	s_cmp_gt_i32 s9, 28
	s_cbranch_scc0 .LBB94_2531
; %bb.2517:
	s_cmp_gt_i32 s9, 43
	;; [unrolled: 3-line block ×3, first 2 shown]
	s_cbranch_scc0 .LBB94_2521
; %bb.2519:
	s_mov_b64 s[0:1], -1
	s_mov_b64 s[10:11], 0
	s_cmp_eq_u32 s9, 46
	s_cbranch_scc0 .LBB94_2521
; %bb.2520:
	v_xor_b32_e32 v18, v0, v1
	v_ffbh_i32_e32 v17, v1
	v_ashrrev_i32_e32 v18, 31, v18
	v_add_u32_e32 v17, -1, v17
	v_add_u32_e32 v18, 32, v18
	v_min_u32_e32 v19, v17, v18
	v_lshlrev_b64 v[17:18], v19, v[0:1]
	s_movk_i32 s0, 0x7fff
	v_min_u32_e32 v17, 1, v17
	v_or_b32_e32 v17, v18, v17
	v_cvt_f32_i32_e32 v17, v17
	v_sub_u32_e32 v18, 32, v19
	s_mov_b64 s[4:5], -1
	v_ldexp_f32 v17, v17, v18
	v_bfe_u32 v18, v17, 16, 1
	v_add3_u32 v17, v17, v18, s0
	v_lshrrev_b32_e32 v17, 16, v17
	global_store_dword v[2:3], v17, off
	s_mov_b64 s[0:1], 0
.LBB94_2521:
	s_and_b64 vcc, exec, s[10:11]
	s_cbranch_vccz .LBB94_2526
; %bb.2522:
	s_cmp_eq_u32 s9, 44
	s_mov_b64 s[0:1], -1
	s_cbranch_scc0 .LBB94_2526
; %bb.2523:
	v_xor_b32_e32 v18, v0, v1
	v_ffbh_i32_e32 v17, v1
	v_ashrrev_i32_e32 v18, 31, v18
	v_add_u32_e32 v17, -1, v17
	v_add_u32_e32 v18, 32, v18
	v_min_u32_e32 v19, v17, v18
	v_lshlrev_b64 v[17:18], v19, v[0:1]
	s_movk_i32 s0, 0xff
	v_min_u32_e32 v17, 1, v17
	v_or_b32_e32 v17, v18, v17
	v_cvt_f32_i32_e32 v17, v17
	v_sub_u32_e32 v18, 32, v19
	v_mov_b32_e32 v19, 0xff
	v_ldexp_f32 v17, v17, v18
	v_bfe_u32 v18, v17, 23, 8
	v_cmp_ne_u32_e32 vcc, s0, v18
	s_and_saveexec_b64 s[4:5], vcc
; %bb.2524:
	s_mov_b32 s0, 0x3fffff
	v_lshrrev_b32_e32 v19, 23, v17
	v_and_b32_e32 v20, 0x400000, v17
	v_and_or_b32 v17, v17, s0, v18
	v_cmp_ne_u32_e32 vcc, 0, v20
	v_cmp_ne_u32_e64 s[0:1], 0, v17
	s_and_b64 s[0:1], vcc, s[0:1]
	v_cndmask_b32_e64 v17, 0, 1, s[0:1]
	v_add_u32_e32 v19, v19, v17
; %bb.2525:
	s_or_b64 exec, exec, s[4:5]
	s_mov_b64 s[0:1], 0
	s_mov_b64 s[4:5], -1
	global_store_byte v[2:3], v19, off
.LBB94_2526:
	s_mov_b64 s[10:11], 0
.LBB94_2527:
	s_and_b64 vcc, exec, s[10:11]
	s_cbranch_vccz .LBB94_2530
; %bb.2528:
	s_cmp_eq_u32 s9, 29
	s_mov_b64 s[0:1], -1
	s_cbranch_scc0 .LBB94_2530
; %bb.2529:
	global_store_dwordx2 v[2:3], v[0:1], off
	s_mov_b64 s[0:1], 0
	s_mov_b64 s[4:5], -1
.LBB94_2530:
	s_mov_b64 s[10:11], 0
.LBB94_2531:
	s_and_b64 vcc, exec, s[10:11]
	s_cbranch_vccz .LBB94_2547
; %bb.2532:
	s_cmp_lt_i32 s9, 27
	s_mov_b64 s[4:5], -1
	s_cbranch_scc1 .LBB94_2538
; %bb.2533:
	s_cmp_gt_i32 s9, 27
	s_cbranch_scc0 .LBB94_2535
; %bb.2534:
	s_mov_b64 s[4:5], 0
	global_store_dword v[2:3], v0, off
.LBB94_2535:
	s_andn2_b64 vcc, exec, s[4:5]
	s_cbranch_vccnz .LBB94_2537
; %bb.2536:
	global_store_short v[2:3], v0, off
.LBB94_2537:
	s_mov_b64 s[4:5], 0
.LBB94_2538:
	s_andn2_b64 vcc, exec, s[4:5]
	s_cbranch_vccnz .LBB94_2546
; %bb.2539:
	v_xor_b32_e32 v18, v0, v1
	v_ffbh_i32_e32 v17, v1
	v_ashrrev_i32_e32 v18, 31, v18
	v_add_u32_e32 v17, -1, v17
	v_add_u32_e32 v18, 32, v18
	v_min_u32_e32 v19, v17, v18
	v_lshlrev_b64 v[17:18], v19, v[0:1]
	s_mov_b32 s4, 0x43800000
	v_min_u32_e32 v17, 1, v17
	v_or_b32_e32 v17, v18, v17
	v_cvt_f32_i32_e32 v17, v17
	v_sub_u32_e32 v18, 32, v19
	v_mov_b32_e32 v19, 0x80
	v_ldexp_f32 v17, v17, v18
	v_and_b32_e32 v18, 0x7fffffff, v17
	v_cmp_gt_u32_e32 vcc, s4, v18
	s_and_saveexec_b64 s[4:5], vcc
	s_cbranch_execz .LBB94_2545
; %bb.2540:
	s_mov_b32 s10, 0x3bffffff
	v_cmp_lt_u32_e32 vcc, s10, v18
	s_mov_b64 s[10:11], 0
                                        ; implicit-def: $vgpr18
	s_and_saveexec_b64 s[18:19], vcc
	s_xor_b64 s[18:19], exec, s[18:19]
	s_cbranch_execz .LBB94_2994
; %bb.2541:
	v_bfe_u32 v18, v17, 20, 1
	s_mov_b32 s25, 0x487ffff
	v_add3_u32 v18, v17, v18, s25
	s_mov_b64 s[10:11], exec
	v_lshrrev_b32_e32 v18, 20, v18
	s_andn2_saveexec_b64 s[18:19], s[18:19]
	s_cbranch_execnz .LBB94_2995
.LBB94_2542:
	s_or_b64 exec, exec, s[18:19]
	v_mov_b32_e32 v19, 0
	s_and_saveexec_b64 s[18:19], s[10:11]
.LBB94_2543:
	v_lshrrev_b32_e32 v17, 24, v17
	s_movk_i32 s10, 0x80
	v_and_or_b32 v19, v17, s10, v18
.LBB94_2544:
	s_or_b64 exec, exec, s[18:19]
.LBB94_2545:
	s_or_b64 exec, exec, s[4:5]
	global_store_byte v[2:3], v19, off
.LBB94_2546:
	s_mov_b64 s[4:5], -1
.LBB94_2547:
	s_mov_b64 s[10:11], 0
.LBB94_2548:
	s_and_b64 vcc, exec, s[10:11]
	s_cbranch_vccz .LBB94_2588
; %bb.2549:
	s_cmp_gt_i32 s9, 22
	s_mov_b64 s[2:3], -1
	s_cbranch_scc0 .LBB94_2581
; %bb.2550:
	s_cmp_lt_i32 s9, 24
	s_cbranch_scc1 .LBB94_2570
; %bb.2551:
	s_cmp_gt_i32 s9, 24
	s_cbranch_scc0 .LBB94_2559
; %bb.2552:
	v_xor_b32_e32 v18, v0, v1
	v_ffbh_i32_e32 v17, v1
	v_ashrrev_i32_e32 v18, 31, v18
	v_add_u32_e32 v17, -1, v17
	v_add_u32_e32 v18, 32, v18
	v_min_u32_e32 v19, v17, v18
	v_lshlrev_b64 v[17:18], v19, v[0:1]
	s_mov_b32 s2, 0x47800000
	v_min_u32_e32 v17, 1, v17
	v_or_b32_e32 v17, v18, v17
	v_cvt_f32_i32_e32 v17, v17
	v_sub_u32_e32 v18, 32, v19
	v_mov_b32_e32 v19, 0x80
	v_ldexp_f32 v17, v17, v18
	v_and_b32_e32 v18, 0x7fffffff, v17
	v_cmp_gt_u32_e32 vcc, s2, v18
	s_and_saveexec_b64 s[2:3], vcc
	s_cbranch_execz .LBB94_2558
; %bb.2553:
	s_mov_b32 s4, 0x37ffffff
	v_cmp_lt_u32_e32 vcc, s4, v18
	s_mov_b64 s[4:5], 0
                                        ; implicit-def: $vgpr18
	s_and_saveexec_b64 s[10:11], vcc
	s_xor_b64 s[10:11], exec, s[10:11]
	s_cbranch_execz .LBB94_2997
; %bb.2554:
	v_bfe_u32 v18, v17, 21, 1
	s_mov_b32 s18, 0x88fffff
	v_add3_u32 v18, v17, v18, s18
	s_mov_b64 s[4:5], exec
	v_lshrrev_b32_e32 v18, 21, v18
	s_andn2_saveexec_b64 s[10:11], s[10:11]
	s_cbranch_execnz .LBB94_2998
.LBB94_2555:
	s_or_b64 exec, exec, s[10:11]
	v_mov_b32_e32 v19, 0
	s_and_saveexec_b64 s[10:11], s[4:5]
.LBB94_2556:
	v_lshrrev_b32_e32 v17, 24, v17
	s_movk_i32 s4, 0x80
	v_and_or_b32 v19, v17, s4, v18
.LBB94_2557:
	s_or_b64 exec, exec, s[10:11]
.LBB94_2558:
	s_or_b64 exec, exec, s[2:3]
	s_mov_b64 s[2:3], 0
	global_store_byte v[2:3], v19, off
.LBB94_2559:
	s_and_b64 vcc, exec, s[2:3]
	s_cbranch_vccz .LBB94_2569
; %bb.2560:
	v_xor_b32_e32 v18, v0, v1
	v_ffbh_i32_e32 v17, v1
	v_ashrrev_i32_e32 v18, 31, v18
	v_add_u32_e32 v17, -1, v17
	v_add_u32_e32 v18, 32, v18
	v_min_u32_e32 v19, v17, v18
	v_lshlrev_b64 v[17:18], v19, v[0:1]
	s_mov_b32 s2, 0x43f00000
	v_min_u32_e32 v17, 1, v17
	v_or_b32_e32 v17, v18, v17
	v_cvt_f32_i32_e32 v17, v17
	v_sub_u32_e32 v18, 32, v19
	v_ldexp_f32 v17, v17, v18
	v_and_b32_e32 v19, 0x7fffffff, v17
	v_cmp_gt_u32_e32 vcc, s2, v19
                                        ; implicit-def: $vgpr18
	s_and_saveexec_b64 s[2:3], vcc
	s_xor_b64 s[2:3], exec, s[2:3]
	s_cbranch_execz .LBB94_2566
; %bb.2561:
	s_mov_b32 s4, 0x3c7fffff
	v_cmp_lt_u32_e32 vcc, s4, v19
                                        ; implicit-def: $vgpr18
	s_and_saveexec_b64 s[4:5], vcc
	s_xor_b64 s[4:5], exec, s[4:5]
; %bb.2562:
	v_bfe_u32 v18, v17, 20, 1
	s_mov_b32 s10, 0x407ffff
	v_add3_u32 v18, v17, v18, s10
	v_lshrrev_b32_e32 v19, 20, v18
	v_and_b32_e32 v18, 0xff00000, v18
	s_mov_b32 s10, 0x7f00000
	v_mov_b32_e32 v20, 0x7e
	v_cmp_ne_u32_e32 vcc, s10, v18
	v_cndmask_b32_e32 v18, v20, v19, vcc
; %bb.2563:
	s_andn2_saveexec_b64 s[4:5], s[4:5]
; %bb.2564:
	s_mov_b32 s10, 0x46800000
	v_add_f32_e64 v18, |v17|, s10
; %bb.2565:
	s_or_b64 exec, exec, s[4:5]
                                        ; implicit-def: $vgpr19
.LBB94_2566:
	s_andn2_saveexec_b64 s[2:3], s[2:3]
; %bb.2567:
	s_mov_b32 s4, 0x7f800000
	v_mov_b32_e32 v18, 0x7e
	v_mov_b32_e32 v20, 0x7f
	v_cmp_lt_u32_e32 vcc, s4, v19
	v_cndmask_b32_e32 v18, v18, v20, vcc
; %bb.2568:
	s_or_b64 exec, exec, s[2:3]
	v_lshrrev_b32_e32 v17, 24, v17
	s_movk_i32 s2, 0x80
	v_and_or_b32 v17, v17, s2, v18
	global_store_byte v[2:3], v17, off
.LBB94_2569:
	s_mov_b64 s[2:3], 0
.LBB94_2570:
	s_andn2_b64 vcc, exec, s[2:3]
	s_cbranch_vccnz .LBB94_2580
; %bb.2571:
	v_xor_b32_e32 v18, v0, v1
	v_ffbh_i32_e32 v17, v1
	v_ashrrev_i32_e32 v18, 31, v18
	v_add_u32_e32 v17, -1, v17
	v_add_u32_e32 v18, 32, v18
	v_min_u32_e32 v19, v17, v18
	v_lshlrev_b64 v[17:18], v19, v[0:1]
	s_mov_b32 s2, 0x47800000
	v_min_u32_e32 v17, 1, v17
	v_or_b32_e32 v17, v18, v17
	v_cvt_f32_i32_e32 v17, v17
	v_sub_u32_e32 v18, 32, v19
	v_ldexp_f32 v17, v17, v18
	v_and_b32_e32 v19, 0x7fffffff, v17
	v_cmp_gt_u32_e32 vcc, s2, v19
                                        ; implicit-def: $vgpr18
	s_and_saveexec_b64 s[2:3], vcc
	s_xor_b64 s[2:3], exec, s[2:3]
	s_cbranch_execz .LBB94_2577
; %bb.2572:
	s_mov_b32 s4, 0x387fffff
	v_cmp_lt_u32_e32 vcc, s4, v19
                                        ; implicit-def: $vgpr18
	s_and_saveexec_b64 s[4:5], vcc
	s_xor_b64 s[4:5], exec, s[4:5]
; %bb.2573:
	v_bfe_u32 v18, v17, 21, 1
	s_mov_b32 s10, 0x80fffff
	v_add3_u32 v18, v17, v18, s10
	v_lshrrev_b32_e32 v18, 21, v18
; %bb.2574:
	s_andn2_saveexec_b64 s[4:5], s[4:5]
; %bb.2575:
	s_mov_b32 s10, 0x43000000
	v_add_f32_e64 v18, |v17|, s10
; %bb.2576:
	s_or_b64 exec, exec, s[4:5]
                                        ; implicit-def: $vgpr19
.LBB94_2577:
	s_andn2_saveexec_b64 s[2:3], s[2:3]
; %bb.2578:
	s_mov_b32 s4, 0x7f800000
	v_mov_b32_e32 v18, 0x7c
	v_mov_b32_e32 v20, 0x7f
	v_cmp_lt_u32_e32 vcc, s4, v19
	v_cndmask_b32_e32 v18, v18, v20, vcc
; %bb.2579:
	s_or_b64 exec, exec, s[2:3]
	v_lshrrev_b32_e32 v17, 24, v17
	s_movk_i32 s2, 0x80
	v_and_or_b32 v17, v17, s2, v18
	global_store_byte v[2:3], v17, off
.LBB94_2580:
	s_mov_b64 s[2:3], 0
	s_mov_b64 s[4:5], -1
.LBB94_2581:
	s_andn2_b64 vcc, exec, s[2:3]
	s_mov_b64 s[2:3], 0
	s_cbranch_vccnz .LBB94_2588
; %bb.2582:
	s_cmp_gt_i32 s9, 14
	s_mov_b64 s[10:11], -1
	s_cbranch_scc0 .LBB94_2586
; %bb.2583:
	s_cmp_eq_u32 s9, 15
	s_mov_b64 s[0:1], -1
	s_cbranch_scc0 .LBB94_2585
; %bb.2584:
	v_xor_b32_e32 v18, v0, v1
	v_ffbh_i32_e32 v17, v1
	v_ashrrev_i32_e32 v18, 31, v18
	v_add_u32_e32 v17, -1, v17
	v_add_u32_e32 v18, 32, v18
	v_min_u32_e32 v19, v17, v18
	v_lshlrev_b64 v[17:18], v19, v[0:1]
	s_movk_i32 s0, 0x7fff
	v_min_u32_e32 v17, 1, v17
	v_or_b32_e32 v17, v18, v17
	v_cvt_f32_i32_e32 v17, v17
	v_sub_u32_e32 v18, 32, v19
	s_mov_b64 s[4:5], -1
	v_ldexp_f32 v17, v17, v18
	v_bfe_u32 v18, v17, 16, 1
	v_add3_u32 v17, v17, v18, s0
	global_store_short_d16_hi v[2:3], v17, off
	s_mov_b64 s[0:1], 0
.LBB94_2585:
	s_mov_b64 s[10:11], 0
.LBB94_2586:
	s_and_b64 vcc, exec, s[10:11]
	s_cbranch_vccz .LBB94_2588
; %bb.2587:
	s_cmp_lg_u32 s9, 11
	s_mov_b64 s[2:3], -1
	s_cselect_b64 s[0:1], -1, 0
.LBB94_2588:
	s_and_b64 vcc, exec, s[0:1]
	s_cbranch_vccnz .LBB94_2996
; %bb.2589:
	s_andn2_b64 vcc, exec, s[2:3]
	s_cbranch_vccnz .LBB94_2591
.LBB94_2590:
	v_cmp_ne_u64_e32 vcc, 0, v[0:1]
	s_mov_b64 s[4:5], -1
	v_cndmask_b32_e64 v17, 0, 1, vcc
	global_store_byte v[2:3], v17, off
.LBB94_2591:
	s_mov_b64 s[0:1], 0
	s_branch .LBB94_2593
.LBB94_2592:
	s_mov_b64 s[0:1], -1
	s_mov_b64 s[4:5], 0
.LBB94_2593:
	s_and_b64 vcc, exec, s[0:1]
	s_cbranch_vccz .LBB94_2632
; %bb.2594:
	s_and_b32 s2, 0xffff, s24
	s_cmp_lt_i32 s2, 5
	s_mov_b64 s[0:1], -1
	s_cbranch_scc1 .LBB94_2615
; %bb.2595:
	s_cmp_lt_i32 s2, 8
	s_cbranch_scc1 .LBB94_2605
; %bb.2596:
	s_cmp_lt_i32 s2, 9
	s_cbranch_scc1 .LBB94_2602
; %bb.2597:
	s_cmp_gt_i32 s2, 9
	s_cbranch_scc0 .LBB94_2599
; %bb.2598:
	v_cvt_f64_i32_e32 v[17:18], v1
	v_cvt_f64_u32_e32 v[19:20], v0
	s_mov_b64 s[0:1], 0
	v_ldexp_f64 v[17:18], v[17:18], 32
	v_add_f64 v[17:18], v[17:18], v[19:20]
	v_mov_b32_e32 v19, 0
	v_mov_b32_e32 v20, v19
	global_store_dwordx4 v[2:3], v[17:20], off
.LBB94_2599:
	s_andn2_b64 vcc, exec, s[0:1]
	s_cbranch_vccnz .LBB94_2601
; %bb.2600:
	v_xor_b32_e32 v18, v0, v1
	v_ffbh_i32_e32 v17, v1
	v_ashrrev_i32_e32 v18, 31, v18
	v_add_u32_e32 v17, -1, v17
	v_add_u32_e32 v18, 32, v18
	v_min_u32_e32 v19, v17, v18
	v_lshlrev_b64 v[17:18], v19, v[0:1]
	v_min_u32_e32 v17, 1, v17
	v_or_b32_e32 v17, v18, v17
	v_cvt_f32_i32_e32 v17, v17
	v_sub_u32_e32 v18, 32, v19
	v_ldexp_f32 v17, v17, v18
	v_mov_b32_e32 v18, 0
	global_store_dwordx2 v[2:3], v[17:18], off
.LBB94_2601:
	s_mov_b64 s[0:1], 0
.LBB94_2602:
	s_andn2_b64 vcc, exec, s[0:1]
	s_cbranch_vccnz .LBB94_2604
; %bb.2603:
	v_xor_b32_e32 v18, v0, v1
	v_ffbh_i32_e32 v17, v1
	v_ashrrev_i32_e32 v18, 31, v18
	v_add_u32_e32 v17, -1, v17
	v_add_u32_e32 v18, 32, v18
	v_min_u32_e32 v19, v17, v18
	v_lshlrev_b64 v[17:18], v19, v[0:1]
	v_min_u32_e32 v17, 1, v17
	v_or_b32_e32 v17, v18, v17
	v_cvt_f32_i32_e32 v17, v17
	v_sub_u32_e32 v18, 32, v19
	v_ldexp_f32 v17, v17, v18
	v_cvt_f16_f32_e32 v17, v17
	global_store_dword v[2:3], v17, off
.LBB94_2604:
	s_mov_b64 s[0:1], 0
.LBB94_2605:
	s_andn2_b64 vcc, exec, s[0:1]
	s_cbranch_vccnz .LBB94_2614
; %bb.2606:
	s_cmp_lt_i32 s2, 6
	s_mov_b64 s[0:1], -1
	s_cbranch_scc1 .LBB94_2612
; %bb.2607:
	s_cmp_gt_i32 s2, 6
	s_cbranch_scc0 .LBB94_2609
; %bb.2608:
	v_cvt_f64_i32_e32 v[17:18], v1
	v_cvt_f64_u32_e32 v[19:20], v0
	s_mov_b64 s[0:1], 0
	v_ldexp_f64 v[17:18], v[17:18], 32
	v_add_f64 v[17:18], v[17:18], v[19:20]
	global_store_dwordx2 v[2:3], v[17:18], off
.LBB94_2609:
	s_andn2_b64 vcc, exec, s[0:1]
	s_cbranch_vccnz .LBB94_2611
; %bb.2610:
	v_xor_b32_e32 v18, v0, v1
	v_ffbh_i32_e32 v17, v1
	v_ashrrev_i32_e32 v18, 31, v18
	v_add_u32_e32 v17, -1, v17
	v_add_u32_e32 v18, 32, v18
	v_min_u32_e32 v19, v17, v18
	v_lshlrev_b64 v[17:18], v19, v[0:1]
	v_min_u32_e32 v17, 1, v17
	v_or_b32_e32 v17, v18, v17
	v_cvt_f32_i32_e32 v17, v17
	v_sub_u32_e32 v18, 32, v19
	v_ldexp_f32 v17, v17, v18
	global_store_dword v[2:3], v17, off
.LBB94_2611:
	s_mov_b64 s[0:1], 0
.LBB94_2612:
	s_andn2_b64 vcc, exec, s[0:1]
	s_cbranch_vccnz .LBB94_2614
; %bb.2613:
	v_xor_b32_e32 v18, v0, v1
	v_ffbh_i32_e32 v17, v1
	v_ashrrev_i32_e32 v18, 31, v18
	v_add_u32_e32 v17, -1, v17
	v_add_u32_e32 v18, 32, v18
	v_min_u32_e32 v19, v17, v18
	v_lshlrev_b64 v[17:18], v19, v[0:1]
	v_min_u32_e32 v17, 1, v17
	v_or_b32_e32 v17, v18, v17
	v_cvt_f32_i32_e32 v17, v17
	v_sub_u32_e32 v18, 32, v19
	v_ldexp_f32 v17, v17, v18
	v_cvt_f16_f32_e32 v17, v17
	global_store_short v[2:3], v17, off
.LBB94_2614:
	s_mov_b64 s[0:1], 0
.LBB94_2615:
	s_andn2_b64 vcc, exec, s[0:1]
	s_cbranch_vccnz .LBB94_2631
; %bb.2616:
	s_cmp_lt_i32 s2, 2
	s_mov_b64 s[0:1], -1
	s_cbranch_scc1 .LBB94_2626
; %bb.2617:
	s_cmp_lt_i32 s2, 3
	s_cbranch_scc1 .LBB94_2623
; %bb.2618:
	s_cmp_gt_i32 s2, 3
	s_cbranch_scc0 .LBB94_2620
; %bb.2619:
	global_store_dwordx2 v[2:3], v[0:1], off
	s_mov_b64 s[0:1], 0
.LBB94_2620:
	s_andn2_b64 vcc, exec, s[0:1]
	s_cbranch_vccnz .LBB94_2622
; %bb.2621:
	global_store_dword v[2:3], v0, off
.LBB94_2622:
	s_mov_b64 s[0:1], 0
.LBB94_2623:
	s_andn2_b64 vcc, exec, s[0:1]
	s_cbranch_vccnz .LBB94_2625
; %bb.2624:
	global_store_short v[2:3], v0, off
.LBB94_2625:
	s_mov_b64 s[0:1], 0
.LBB94_2626:
	s_andn2_b64 vcc, exec, s[0:1]
	s_cbranch_vccnz .LBB94_2631
; %bb.2627:
	s_cmp_gt_i32 s2, 0
	s_mov_b64 s[0:1], -1
	s_cbranch_scc0 .LBB94_2629
; %bb.2628:
	global_store_byte v[2:3], v0, off
	s_mov_b64 s[0:1], 0
.LBB94_2629:
	s_andn2_b64 vcc, exec, s[0:1]
	s_cbranch_vccnz .LBB94_2631
; %bb.2630:
	global_store_byte v[2:3], v0, off
.LBB94_2631:
	s_mov_b64 s[4:5], -1
.LBB94_2632:
	s_andn2_b64 vcc, exec, s[4:5]
	s_cbranch_vccnz .LBB94_2947
; %bb.2633:
	v_cmp_lt_i64_e32 vcc, s[12:13], v[4:5]
	v_mov_b32_e32 v0, s15
	s_lshl_b32 s18, s8, 7
	v_cndmask_b32_e32 v1, v0, v7, vcc
	v_mov_b32_e32 v0, s14
	v_add_u32_e32 v4, s18, v16
	v_cndmask_b32_e32 v0, v0, v6, vcc
	v_ashrrev_i32_e32 v3, 31, v4
	v_mov_b32_e32 v5, s17
	v_add_co_u32_e32 v2, vcc, s16, v4
	s_cmp_lt_i32 s24, 11
	v_addc_co_u32_e32 v3, vcc, v5, v3, vcc
	s_cbranch_scc1 .LBB94_2711
; %bb.2634:
	s_and_b32 s19, 0xffff, s24
	s_mov_b64 s[8:9], -1
	s_mov_b64 s[2:3], 0
	s_cmp_gt_i32 s19, 25
	s_mov_b64 s[4:5], 0
	s_mov_b64 s[0:1], 0
	s_cbranch_scc0 .LBB94_2667
; %bb.2635:
	s_cmp_gt_i32 s19, 28
	s_cbranch_scc0 .LBB94_2650
; %bb.2636:
	s_cmp_gt_i32 s19, 43
	;; [unrolled: 3-line block ×3, first 2 shown]
	s_cbranch_scc0 .LBB94_2640
; %bb.2638:
	s_mov_b64 s[0:1], -1
	s_mov_b64 s[8:9], 0
	s_cmp_eq_u32 s19, 46
	s_cbranch_scc0 .LBB94_2640
; %bb.2639:
	v_xor_b32_e32 v6, v0, v1
	v_ffbh_i32_e32 v5, v1
	v_ashrrev_i32_e32 v6, 31, v6
	v_add_u32_e32 v5, -1, v5
	v_add_u32_e32 v6, 32, v6
	v_min_u32_e32 v7, v5, v6
	v_lshlrev_b64 v[5:6], v7, v[0:1]
	s_movk_i32 s0, 0x7fff
	v_min_u32_e32 v5, 1, v5
	v_or_b32_e32 v5, v6, v5
	v_cvt_f32_i32_e32 v5, v5
	v_sub_u32_e32 v6, 32, v7
	s_mov_b64 s[4:5], -1
	v_ldexp_f32 v5, v5, v6
	v_bfe_u32 v6, v5, 16, 1
	v_add3_u32 v5, v5, v6, s0
	v_lshrrev_b32_e32 v5, 16, v5
	global_store_dword v[2:3], v5, off
	s_mov_b64 s[0:1], 0
.LBB94_2640:
	s_and_b64 vcc, exec, s[8:9]
	s_cbranch_vccz .LBB94_2645
; %bb.2641:
	s_cmp_eq_u32 s19, 44
	s_mov_b64 s[0:1], -1
	s_cbranch_scc0 .LBB94_2645
; %bb.2642:
	v_xor_b32_e32 v6, v0, v1
	v_ffbh_i32_e32 v5, v1
	v_ashrrev_i32_e32 v6, 31, v6
	v_add_u32_e32 v5, -1, v5
	v_add_u32_e32 v6, 32, v6
	v_min_u32_e32 v7, v5, v6
	v_lshlrev_b64 v[5:6], v7, v[0:1]
	s_movk_i32 s0, 0xff
	v_min_u32_e32 v5, 1, v5
	v_or_b32_e32 v5, v6, v5
	v_cvt_f32_i32_e32 v5, v5
	v_sub_u32_e32 v6, 32, v7
	v_mov_b32_e32 v7, 0xff
	v_ldexp_f32 v5, v5, v6
	v_bfe_u32 v6, v5, 23, 8
	v_cmp_ne_u32_e32 vcc, s0, v6
	s_and_saveexec_b64 s[4:5], vcc
; %bb.2643:
	s_mov_b32 s0, 0x3fffff
	v_lshrrev_b32_e32 v7, 23, v5
	v_and_b32_e32 v16, 0x400000, v5
	v_and_or_b32 v5, v5, s0, v6
	v_cmp_ne_u32_e32 vcc, 0, v16
	v_cmp_ne_u32_e64 s[0:1], 0, v5
	s_and_b64 s[0:1], vcc, s[0:1]
	v_cndmask_b32_e64 v5, 0, 1, s[0:1]
	v_add_u32_e32 v7, v7, v5
; %bb.2644:
	s_or_b64 exec, exec, s[4:5]
	s_mov_b64 s[0:1], 0
	s_mov_b64 s[4:5], -1
	global_store_byte v[2:3], v7, off
.LBB94_2645:
	s_mov_b64 s[8:9], 0
.LBB94_2646:
	s_and_b64 vcc, exec, s[8:9]
	s_cbranch_vccz .LBB94_2649
; %bb.2647:
	s_cmp_eq_u32 s19, 29
	s_mov_b64 s[0:1], -1
	s_cbranch_scc0 .LBB94_2649
; %bb.2648:
	global_store_dwordx2 v[2:3], v[0:1], off
	s_mov_b64 s[0:1], 0
	s_mov_b64 s[4:5], -1
.LBB94_2649:
	s_mov_b64 s[8:9], 0
.LBB94_2650:
	s_and_b64 vcc, exec, s[8:9]
	s_cbranch_vccz .LBB94_2666
; %bb.2651:
	s_cmp_lt_i32 s19, 27
	s_mov_b64 s[4:5], -1
	s_cbranch_scc1 .LBB94_2657
; %bb.2652:
	s_cmp_gt_i32 s19, 27
	s_cbranch_scc0 .LBB94_2654
; %bb.2653:
	s_mov_b64 s[4:5], 0
	global_store_dword v[2:3], v0, off
.LBB94_2654:
	s_andn2_b64 vcc, exec, s[4:5]
	s_cbranch_vccnz .LBB94_2656
; %bb.2655:
	global_store_short v[2:3], v0, off
.LBB94_2656:
	s_mov_b64 s[4:5], 0
.LBB94_2657:
	s_andn2_b64 vcc, exec, s[4:5]
	s_cbranch_vccnz .LBB94_2665
; %bb.2658:
	v_xor_b32_e32 v6, v0, v1
	v_ffbh_i32_e32 v5, v1
	v_ashrrev_i32_e32 v6, 31, v6
	v_add_u32_e32 v5, -1, v5
	v_add_u32_e32 v6, 32, v6
	v_min_u32_e32 v7, v5, v6
	v_lshlrev_b64 v[5:6], v7, v[0:1]
	s_mov_b32 s4, 0x43800000
	v_min_u32_e32 v5, 1, v5
	v_or_b32_e32 v5, v6, v5
	v_cvt_f32_i32_e32 v5, v5
	v_sub_u32_e32 v6, 32, v7
	v_mov_b32_e32 v7, 0x80
	v_ldexp_f32 v5, v5, v6
	v_and_b32_e32 v6, 0x7fffffff, v5
	v_cmp_gt_u32_e32 vcc, s4, v6
	s_and_saveexec_b64 s[4:5], vcc
	s_cbranch_execz .LBB94_2664
; %bb.2659:
	s_mov_b32 s8, 0x3bffffff
	v_cmp_lt_u32_e32 vcc, s8, v6
	s_mov_b64 s[8:9], 0
                                        ; implicit-def: $vgpr6
	s_and_saveexec_b64 s[10:11], vcc
	s_xor_b64 s[10:11], exec, s[10:11]
	s_cbranch_execz .LBB94_2999
; %bb.2660:
	v_bfe_u32 v6, v5, 20, 1
	s_mov_b32 s25, 0x487ffff
	v_add3_u32 v6, v5, v6, s25
	s_mov_b64 s[8:9], exec
	v_lshrrev_b32_e32 v6, 20, v6
	s_andn2_saveexec_b64 s[10:11], s[10:11]
	s_cbranch_execnz .LBB94_3000
.LBB94_2661:
	s_or_b64 exec, exec, s[10:11]
	v_mov_b32_e32 v7, 0
	s_and_saveexec_b64 s[10:11], s[8:9]
.LBB94_2662:
	v_lshrrev_b32_e32 v5, 24, v5
	s_movk_i32 s8, 0x80
	v_and_or_b32 v7, v5, s8, v6
.LBB94_2663:
	s_or_b64 exec, exec, s[10:11]
.LBB94_2664:
	s_or_b64 exec, exec, s[4:5]
	global_store_byte v[2:3], v7, off
.LBB94_2665:
	s_mov_b64 s[4:5], -1
.LBB94_2666:
	s_mov_b64 s[8:9], 0
.LBB94_2667:
	s_and_b64 vcc, exec, s[8:9]
	s_cbranch_vccz .LBB94_2707
; %bb.2668:
	s_cmp_gt_i32 s19, 22
	s_mov_b64 s[2:3], -1
	s_cbranch_scc0 .LBB94_2700
; %bb.2669:
	s_cmp_lt_i32 s19, 24
	s_cbranch_scc1 .LBB94_2689
; %bb.2670:
	s_cmp_gt_i32 s19, 24
	s_cbranch_scc0 .LBB94_2678
; %bb.2671:
	v_xor_b32_e32 v6, v0, v1
	v_ffbh_i32_e32 v5, v1
	v_ashrrev_i32_e32 v6, 31, v6
	v_add_u32_e32 v5, -1, v5
	v_add_u32_e32 v6, 32, v6
	v_min_u32_e32 v7, v5, v6
	v_lshlrev_b64 v[5:6], v7, v[0:1]
	s_mov_b32 s2, 0x47800000
	v_min_u32_e32 v5, 1, v5
	v_or_b32_e32 v5, v6, v5
	v_cvt_f32_i32_e32 v5, v5
	v_sub_u32_e32 v6, 32, v7
	v_mov_b32_e32 v7, 0x80
	v_ldexp_f32 v5, v5, v6
	v_and_b32_e32 v6, 0x7fffffff, v5
	v_cmp_gt_u32_e32 vcc, s2, v6
	s_and_saveexec_b64 s[2:3], vcc
	s_cbranch_execz .LBB94_2677
; %bb.2672:
	s_mov_b32 s4, 0x37ffffff
	v_cmp_lt_u32_e32 vcc, s4, v6
	s_mov_b64 s[4:5], 0
                                        ; implicit-def: $vgpr6
	s_and_saveexec_b64 s[8:9], vcc
	s_xor_b64 s[8:9], exec, s[8:9]
	s_cbranch_execz .LBB94_3002
; %bb.2673:
	v_bfe_u32 v6, v5, 21, 1
	s_mov_b32 s10, 0x88fffff
	v_add3_u32 v6, v5, v6, s10
	s_mov_b64 s[4:5], exec
	v_lshrrev_b32_e32 v6, 21, v6
	s_andn2_saveexec_b64 s[8:9], s[8:9]
	s_cbranch_execnz .LBB94_3003
.LBB94_2674:
	s_or_b64 exec, exec, s[8:9]
	v_mov_b32_e32 v7, 0
	s_and_saveexec_b64 s[8:9], s[4:5]
.LBB94_2675:
	v_lshrrev_b32_e32 v5, 24, v5
	s_movk_i32 s4, 0x80
	v_and_or_b32 v7, v5, s4, v6
.LBB94_2676:
	s_or_b64 exec, exec, s[8:9]
.LBB94_2677:
	s_or_b64 exec, exec, s[2:3]
	s_mov_b64 s[2:3], 0
	global_store_byte v[2:3], v7, off
.LBB94_2678:
	s_and_b64 vcc, exec, s[2:3]
	s_cbranch_vccz .LBB94_2688
; %bb.2679:
	v_xor_b32_e32 v6, v0, v1
	v_ffbh_i32_e32 v5, v1
	v_ashrrev_i32_e32 v6, 31, v6
	v_add_u32_e32 v5, -1, v5
	v_add_u32_e32 v6, 32, v6
	v_min_u32_e32 v7, v5, v6
	v_lshlrev_b64 v[5:6], v7, v[0:1]
	s_mov_b32 s2, 0x43f00000
	v_min_u32_e32 v5, 1, v5
	v_or_b32_e32 v5, v6, v5
	v_cvt_f32_i32_e32 v5, v5
	v_sub_u32_e32 v6, 32, v7
	v_ldexp_f32 v5, v5, v6
	v_and_b32_e32 v7, 0x7fffffff, v5
	v_cmp_gt_u32_e32 vcc, s2, v7
                                        ; implicit-def: $vgpr6
	s_and_saveexec_b64 s[2:3], vcc
	s_xor_b64 s[2:3], exec, s[2:3]
	s_cbranch_execz .LBB94_2685
; %bb.2680:
	s_mov_b32 s4, 0x3c7fffff
	v_cmp_lt_u32_e32 vcc, s4, v7
                                        ; implicit-def: $vgpr6
	s_and_saveexec_b64 s[4:5], vcc
	s_xor_b64 s[4:5], exec, s[4:5]
; %bb.2681:
	v_bfe_u32 v6, v5, 20, 1
	s_mov_b32 s8, 0x407ffff
	v_add3_u32 v6, v5, v6, s8
	v_lshrrev_b32_e32 v7, 20, v6
	v_and_b32_e32 v6, 0xff00000, v6
	s_mov_b32 s8, 0x7f00000
	v_mov_b32_e32 v16, 0x7e
	v_cmp_ne_u32_e32 vcc, s8, v6
	v_cndmask_b32_e32 v6, v16, v7, vcc
; %bb.2682:
	s_andn2_saveexec_b64 s[4:5], s[4:5]
; %bb.2683:
	s_mov_b32 s8, 0x46800000
	v_add_f32_e64 v6, |v5|, s8
; %bb.2684:
	s_or_b64 exec, exec, s[4:5]
                                        ; implicit-def: $vgpr7
.LBB94_2685:
	s_andn2_saveexec_b64 s[2:3], s[2:3]
; %bb.2686:
	s_mov_b32 s4, 0x7f800000
	v_mov_b32_e32 v6, 0x7e
	v_mov_b32_e32 v16, 0x7f
	v_cmp_lt_u32_e32 vcc, s4, v7
	v_cndmask_b32_e32 v6, v6, v16, vcc
; %bb.2687:
	s_or_b64 exec, exec, s[2:3]
	v_lshrrev_b32_e32 v5, 24, v5
	s_movk_i32 s2, 0x80
	v_and_or_b32 v5, v5, s2, v6
	global_store_byte v[2:3], v5, off
.LBB94_2688:
	s_mov_b64 s[2:3], 0
.LBB94_2689:
	s_andn2_b64 vcc, exec, s[2:3]
	s_cbranch_vccnz .LBB94_2699
; %bb.2690:
	v_xor_b32_e32 v6, v0, v1
	v_ffbh_i32_e32 v5, v1
	v_ashrrev_i32_e32 v6, 31, v6
	v_add_u32_e32 v5, -1, v5
	v_add_u32_e32 v6, 32, v6
	v_min_u32_e32 v7, v5, v6
	v_lshlrev_b64 v[5:6], v7, v[0:1]
	s_mov_b32 s2, 0x47800000
	v_min_u32_e32 v5, 1, v5
	v_or_b32_e32 v5, v6, v5
	v_cvt_f32_i32_e32 v5, v5
	v_sub_u32_e32 v6, 32, v7
	v_ldexp_f32 v5, v5, v6
	v_and_b32_e32 v7, 0x7fffffff, v5
	v_cmp_gt_u32_e32 vcc, s2, v7
                                        ; implicit-def: $vgpr6
	s_and_saveexec_b64 s[2:3], vcc
	s_xor_b64 s[2:3], exec, s[2:3]
	s_cbranch_execz .LBB94_2696
; %bb.2691:
	s_mov_b32 s4, 0x387fffff
	v_cmp_lt_u32_e32 vcc, s4, v7
                                        ; implicit-def: $vgpr6
	s_and_saveexec_b64 s[4:5], vcc
	s_xor_b64 s[4:5], exec, s[4:5]
; %bb.2692:
	v_bfe_u32 v6, v5, 21, 1
	s_mov_b32 s8, 0x80fffff
	v_add3_u32 v6, v5, v6, s8
	v_lshrrev_b32_e32 v6, 21, v6
; %bb.2693:
	s_andn2_saveexec_b64 s[4:5], s[4:5]
; %bb.2694:
	s_mov_b32 s8, 0x43000000
	v_add_f32_e64 v6, |v5|, s8
; %bb.2695:
	s_or_b64 exec, exec, s[4:5]
                                        ; implicit-def: $vgpr7
.LBB94_2696:
	s_andn2_saveexec_b64 s[2:3], s[2:3]
; %bb.2697:
	s_mov_b32 s4, 0x7f800000
	v_mov_b32_e32 v6, 0x7c
	v_mov_b32_e32 v16, 0x7f
	v_cmp_lt_u32_e32 vcc, s4, v7
	v_cndmask_b32_e32 v6, v6, v16, vcc
; %bb.2698:
	s_or_b64 exec, exec, s[2:3]
	v_lshrrev_b32_e32 v5, 24, v5
	s_movk_i32 s2, 0x80
	v_and_or_b32 v5, v5, s2, v6
	global_store_byte v[2:3], v5, off
.LBB94_2699:
	s_mov_b64 s[2:3], 0
	s_mov_b64 s[4:5], -1
.LBB94_2700:
	s_andn2_b64 vcc, exec, s[2:3]
	s_mov_b64 s[2:3], 0
	s_cbranch_vccnz .LBB94_2707
; %bb.2701:
	s_cmp_gt_i32 s19, 14
	s_mov_b64 s[8:9], -1
	s_cbranch_scc0 .LBB94_2705
; %bb.2702:
	s_cmp_eq_u32 s19, 15
	s_mov_b64 s[0:1], -1
	s_cbranch_scc0 .LBB94_2704
; %bb.2703:
	v_xor_b32_e32 v6, v0, v1
	v_ffbh_i32_e32 v5, v1
	v_ashrrev_i32_e32 v6, 31, v6
	v_add_u32_e32 v5, -1, v5
	v_add_u32_e32 v6, 32, v6
	v_min_u32_e32 v7, v5, v6
	v_lshlrev_b64 v[5:6], v7, v[0:1]
	s_movk_i32 s0, 0x7fff
	v_min_u32_e32 v5, 1, v5
	v_or_b32_e32 v5, v6, v5
	v_cvt_f32_i32_e32 v5, v5
	v_sub_u32_e32 v6, 32, v7
	s_mov_b64 s[4:5], -1
	v_ldexp_f32 v5, v5, v6
	v_bfe_u32 v6, v5, 16, 1
	v_add3_u32 v5, v5, v6, s0
	global_store_short_d16_hi v[2:3], v5, off
	s_mov_b64 s[0:1], 0
.LBB94_2704:
	s_mov_b64 s[8:9], 0
.LBB94_2705:
	s_and_b64 vcc, exec, s[8:9]
	s_cbranch_vccz .LBB94_2707
; %bb.2706:
	s_cmp_lg_u32 s19, 11
	s_mov_b64 s[2:3], -1
	s_cselect_b64 s[0:1], -1, 0
.LBB94_2707:
	s_and_b64 vcc, exec, s[0:1]
	s_cbranch_vccnz .LBB94_3001
; %bb.2708:
	s_andn2_b64 vcc, exec, s[2:3]
	s_cbranch_vccnz .LBB94_2710
.LBB94_2709:
	v_cmp_ne_u64_e32 vcc, 0, v[0:1]
	s_mov_b64 s[4:5], -1
	v_cndmask_b32_e64 v5, 0, 1, vcc
	global_store_byte v[2:3], v5, off
.LBB94_2710:
	s_mov_b64 s[0:1], 0
	s_branch .LBB94_2712
.LBB94_2711:
	s_mov_b64 s[0:1], -1
	s_mov_b64 s[4:5], 0
.LBB94_2712:
	s_and_b64 vcc, exec, s[0:1]
	s_cbranch_vccz .LBB94_2751
; %bb.2713:
	s_and_b32 s2, 0xffff, s24
	s_cmp_lt_i32 s2, 5
	s_mov_b64 s[0:1], -1
	s_cbranch_scc1 .LBB94_2734
; %bb.2714:
	s_cmp_lt_i32 s2, 8
	s_cbranch_scc1 .LBB94_2724
; %bb.2715:
	s_cmp_lt_i32 s2, 9
	s_cbranch_scc1 .LBB94_2721
; %bb.2716:
	s_cmp_gt_i32 s2, 9
	s_cbranch_scc0 .LBB94_2718
; %bb.2717:
	v_cvt_f64_i32_e32 v[5:6], v1
	v_cvt_f64_u32_e32 v[16:17], v0
	v_mov_b32_e32 v18, 0
	v_mov_b32_e32 v19, v18
	v_ldexp_f64 v[5:6], v[5:6], 32
	s_mov_b64 s[0:1], 0
	v_add_f64 v[16:17], v[5:6], v[16:17]
	global_store_dwordx4 v[2:3], v[16:19], off
.LBB94_2718:
	s_andn2_b64 vcc, exec, s[0:1]
	s_cbranch_vccnz .LBB94_2720
; %bb.2719:
	v_xor_b32_e32 v6, v0, v1
	v_ffbh_i32_e32 v5, v1
	v_ashrrev_i32_e32 v6, 31, v6
	v_add_u32_e32 v5, -1, v5
	v_add_u32_e32 v6, 32, v6
	v_min_u32_e32 v7, v5, v6
	v_lshlrev_b64 v[5:6], v7, v[0:1]
	v_min_u32_e32 v5, 1, v5
	v_or_b32_e32 v5, v6, v5
	v_cvt_f32_i32_e32 v5, v5
	v_sub_u32_e32 v6, 32, v7
	v_ldexp_f32 v5, v5, v6
	v_mov_b32_e32 v6, 0
	global_store_dwordx2 v[2:3], v[5:6], off
.LBB94_2720:
	s_mov_b64 s[0:1], 0
.LBB94_2721:
	s_andn2_b64 vcc, exec, s[0:1]
	s_cbranch_vccnz .LBB94_2723
; %bb.2722:
	v_xor_b32_e32 v6, v0, v1
	v_ffbh_i32_e32 v5, v1
	v_ashrrev_i32_e32 v6, 31, v6
	v_add_u32_e32 v5, -1, v5
	v_add_u32_e32 v6, 32, v6
	v_min_u32_e32 v7, v5, v6
	v_lshlrev_b64 v[5:6], v7, v[0:1]
	v_min_u32_e32 v5, 1, v5
	v_or_b32_e32 v5, v6, v5
	v_cvt_f32_i32_e32 v5, v5
	v_sub_u32_e32 v6, 32, v7
	v_ldexp_f32 v5, v5, v6
	v_cvt_f16_f32_e32 v5, v5
	global_store_dword v[2:3], v5, off
.LBB94_2723:
	s_mov_b64 s[0:1], 0
.LBB94_2724:
	s_andn2_b64 vcc, exec, s[0:1]
	s_cbranch_vccnz .LBB94_2733
; %bb.2725:
	s_cmp_lt_i32 s2, 6
	s_mov_b64 s[0:1], -1
	s_cbranch_scc1 .LBB94_2731
; %bb.2726:
	s_cmp_gt_i32 s2, 6
	s_cbranch_scc0 .LBB94_2728
; %bb.2727:
	v_cvt_f64_i32_e32 v[5:6], v1
	v_cvt_f64_u32_e32 v[16:17], v0
	s_mov_b64 s[0:1], 0
	v_ldexp_f64 v[5:6], v[5:6], 32
	v_add_f64 v[5:6], v[5:6], v[16:17]
	global_store_dwordx2 v[2:3], v[5:6], off
.LBB94_2728:
	s_andn2_b64 vcc, exec, s[0:1]
	s_cbranch_vccnz .LBB94_2730
; %bb.2729:
	v_xor_b32_e32 v6, v0, v1
	v_ffbh_i32_e32 v5, v1
	v_ashrrev_i32_e32 v6, 31, v6
	v_add_u32_e32 v5, -1, v5
	v_add_u32_e32 v6, 32, v6
	v_min_u32_e32 v7, v5, v6
	v_lshlrev_b64 v[5:6], v7, v[0:1]
	v_min_u32_e32 v5, 1, v5
	v_or_b32_e32 v5, v6, v5
	v_cvt_f32_i32_e32 v5, v5
	v_sub_u32_e32 v6, 32, v7
	v_ldexp_f32 v5, v5, v6
	global_store_dword v[2:3], v5, off
.LBB94_2730:
	s_mov_b64 s[0:1], 0
.LBB94_2731:
	s_andn2_b64 vcc, exec, s[0:1]
	s_cbranch_vccnz .LBB94_2733
; %bb.2732:
	v_xor_b32_e32 v6, v0, v1
	v_ffbh_i32_e32 v5, v1
	v_ashrrev_i32_e32 v6, 31, v6
	v_add_u32_e32 v5, -1, v5
	v_add_u32_e32 v6, 32, v6
	v_min_u32_e32 v7, v5, v6
	v_lshlrev_b64 v[5:6], v7, v[0:1]
	v_min_u32_e32 v5, 1, v5
	v_or_b32_e32 v5, v6, v5
	v_cvt_f32_i32_e32 v5, v5
	v_sub_u32_e32 v6, 32, v7
	v_ldexp_f32 v5, v5, v6
	v_cvt_f16_f32_e32 v5, v5
	global_store_short v[2:3], v5, off
.LBB94_2733:
	s_mov_b64 s[0:1], 0
.LBB94_2734:
	s_andn2_b64 vcc, exec, s[0:1]
	s_cbranch_vccnz .LBB94_2750
; %bb.2735:
	s_cmp_lt_i32 s2, 2
	s_mov_b64 s[0:1], -1
	s_cbranch_scc1 .LBB94_2745
; %bb.2736:
	s_cmp_lt_i32 s2, 3
	s_cbranch_scc1 .LBB94_2742
; %bb.2737:
	s_cmp_gt_i32 s2, 3
	s_cbranch_scc0 .LBB94_2739
; %bb.2738:
	global_store_dwordx2 v[2:3], v[0:1], off
	s_mov_b64 s[0:1], 0
.LBB94_2739:
	s_andn2_b64 vcc, exec, s[0:1]
	s_cbranch_vccnz .LBB94_2741
; %bb.2740:
	global_store_dword v[2:3], v0, off
.LBB94_2741:
	s_mov_b64 s[0:1], 0
.LBB94_2742:
	s_andn2_b64 vcc, exec, s[0:1]
	s_cbranch_vccnz .LBB94_2744
; %bb.2743:
	global_store_short v[2:3], v0, off
.LBB94_2744:
	s_mov_b64 s[0:1], 0
.LBB94_2745:
	s_andn2_b64 vcc, exec, s[0:1]
	s_cbranch_vccnz .LBB94_2750
; %bb.2746:
	s_cmp_gt_i32 s2, 0
	s_mov_b64 s[0:1], -1
	s_cbranch_scc0 .LBB94_2748
; %bb.2747:
	global_store_byte v[2:3], v0, off
	s_mov_b64 s[0:1], 0
.LBB94_2748:
	s_andn2_b64 vcc, exec, s[0:1]
	s_cbranch_vccnz .LBB94_2750
; %bb.2749:
	global_store_byte v[2:3], v0, off
.LBB94_2750:
	s_mov_b64 s[4:5], -1
.LBB94_2751:
	s_andn2_b64 vcc, exec, s[4:5]
	s_cbranch_vccnz .LBB94_2947
; %bb.2752:
	v_cmp_lt_i64_e32 vcc, s[12:13], v[8:9]
	v_mov_b32_e32 v0, s15
	v_cndmask_b32_e32 v1, v0, v11, vcc
	v_mov_b32_e32 v0, s14
	v_add_u32_e32 v4, s18, v4
	v_cndmask_b32_e32 v0, v0, v10, vcc
	v_ashrrev_i32_e32 v3, 31, v4
	v_mov_b32_e32 v5, s17
	v_add_co_u32_e32 v2, vcc, s16, v4
	s_cmp_lt_i32 s24, 11
	v_addc_co_u32_e32 v3, vcc, v5, v3, vcc
	s_cbranch_scc1 .LBB94_2830
; %bb.2753:
	s_and_b32 s19, 0xffff, s24
	s_mov_b64 s[8:9], -1
	s_mov_b64 s[2:3], 0
	s_cmp_gt_i32 s19, 25
	s_mov_b64 s[4:5], 0
	s_mov_b64 s[0:1], 0
	s_cbranch_scc0 .LBB94_2786
; %bb.2754:
	s_cmp_gt_i32 s19, 28
	s_cbranch_scc0 .LBB94_2769
; %bb.2755:
	s_cmp_gt_i32 s19, 43
	;; [unrolled: 3-line block ×3, first 2 shown]
	s_cbranch_scc0 .LBB94_2759
; %bb.2757:
	s_mov_b64 s[0:1], -1
	s_mov_b64 s[8:9], 0
	s_cmp_eq_u32 s19, 46
	s_cbranch_scc0 .LBB94_2759
; %bb.2758:
	v_xor_b32_e32 v6, v0, v1
	v_ffbh_i32_e32 v5, v1
	v_ashrrev_i32_e32 v6, 31, v6
	v_add_u32_e32 v5, -1, v5
	v_add_u32_e32 v6, 32, v6
	v_min_u32_e32 v7, v5, v6
	v_lshlrev_b64 v[5:6], v7, v[0:1]
	s_movk_i32 s0, 0x7fff
	v_min_u32_e32 v5, 1, v5
	v_or_b32_e32 v5, v6, v5
	v_cvt_f32_i32_e32 v5, v5
	v_sub_u32_e32 v6, 32, v7
	s_mov_b64 s[4:5], -1
	v_ldexp_f32 v5, v5, v6
	v_bfe_u32 v6, v5, 16, 1
	v_add3_u32 v5, v5, v6, s0
	v_lshrrev_b32_e32 v5, 16, v5
	global_store_dword v[2:3], v5, off
	s_mov_b64 s[0:1], 0
.LBB94_2759:
	s_and_b64 vcc, exec, s[8:9]
	s_cbranch_vccz .LBB94_2764
; %bb.2760:
	s_cmp_eq_u32 s19, 44
	s_mov_b64 s[0:1], -1
	s_cbranch_scc0 .LBB94_2764
; %bb.2761:
	v_xor_b32_e32 v6, v0, v1
	v_ffbh_i32_e32 v5, v1
	v_ashrrev_i32_e32 v6, 31, v6
	v_add_u32_e32 v5, -1, v5
	v_add_u32_e32 v6, 32, v6
	v_min_u32_e32 v7, v5, v6
	v_lshlrev_b64 v[5:6], v7, v[0:1]
	s_movk_i32 s0, 0xff
	v_min_u32_e32 v5, 1, v5
	v_or_b32_e32 v5, v6, v5
	v_cvt_f32_i32_e32 v5, v5
	v_sub_u32_e32 v6, 32, v7
	v_mov_b32_e32 v7, 0xff
	v_ldexp_f32 v5, v5, v6
	v_bfe_u32 v6, v5, 23, 8
	v_cmp_ne_u32_e32 vcc, s0, v6
	s_and_saveexec_b64 s[4:5], vcc
; %bb.2762:
	s_mov_b32 s0, 0x3fffff
	v_lshrrev_b32_e32 v7, 23, v5
	v_and_b32_e32 v8, 0x400000, v5
	v_and_or_b32 v5, v5, s0, v6
	v_cmp_ne_u32_e32 vcc, 0, v8
	v_cmp_ne_u32_e64 s[0:1], 0, v5
	s_and_b64 s[0:1], vcc, s[0:1]
	v_cndmask_b32_e64 v5, 0, 1, s[0:1]
	v_add_u32_e32 v7, v7, v5
; %bb.2763:
	s_or_b64 exec, exec, s[4:5]
	s_mov_b64 s[0:1], 0
	s_mov_b64 s[4:5], -1
	global_store_byte v[2:3], v7, off
.LBB94_2764:
	s_mov_b64 s[8:9], 0
.LBB94_2765:
	s_and_b64 vcc, exec, s[8:9]
	s_cbranch_vccz .LBB94_2768
; %bb.2766:
	s_cmp_eq_u32 s19, 29
	s_mov_b64 s[0:1], -1
	s_cbranch_scc0 .LBB94_2768
; %bb.2767:
	global_store_dwordx2 v[2:3], v[0:1], off
	s_mov_b64 s[0:1], 0
	s_mov_b64 s[4:5], -1
.LBB94_2768:
	s_mov_b64 s[8:9], 0
.LBB94_2769:
	s_and_b64 vcc, exec, s[8:9]
	s_cbranch_vccz .LBB94_2785
; %bb.2770:
	s_cmp_lt_i32 s19, 27
	s_mov_b64 s[4:5], -1
	s_cbranch_scc1 .LBB94_2776
; %bb.2771:
	s_cmp_gt_i32 s19, 27
	s_cbranch_scc0 .LBB94_2773
; %bb.2772:
	s_mov_b64 s[4:5], 0
	global_store_dword v[2:3], v0, off
.LBB94_2773:
	s_andn2_b64 vcc, exec, s[4:5]
	s_cbranch_vccnz .LBB94_2775
; %bb.2774:
	global_store_short v[2:3], v0, off
.LBB94_2775:
	s_mov_b64 s[4:5], 0
.LBB94_2776:
	s_andn2_b64 vcc, exec, s[4:5]
	s_cbranch_vccnz .LBB94_2784
; %bb.2777:
	v_xor_b32_e32 v6, v0, v1
	v_ffbh_i32_e32 v5, v1
	v_ashrrev_i32_e32 v6, 31, v6
	v_add_u32_e32 v5, -1, v5
	v_add_u32_e32 v6, 32, v6
	v_min_u32_e32 v7, v5, v6
	v_lshlrev_b64 v[5:6], v7, v[0:1]
	s_mov_b32 s4, 0x43800000
	v_min_u32_e32 v5, 1, v5
	v_or_b32_e32 v5, v6, v5
	v_cvt_f32_i32_e32 v5, v5
	v_sub_u32_e32 v6, 32, v7
	v_mov_b32_e32 v7, 0x80
	v_ldexp_f32 v5, v5, v6
	v_and_b32_e32 v6, 0x7fffffff, v5
	v_cmp_gt_u32_e32 vcc, s4, v6
	s_and_saveexec_b64 s[4:5], vcc
	s_cbranch_execz .LBB94_2783
; %bb.2778:
	s_mov_b32 s8, 0x3bffffff
	v_cmp_lt_u32_e32 vcc, s8, v6
	s_mov_b64 s[8:9], 0
                                        ; implicit-def: $vgpr6
	s_and_saveexec_b64 s[10:11], vcc
	s_xor_b64 s[10:11], exec, s[10:11]
	s_cbranch_execz .LBB94_3004
; %bb.2779:
	v_bfe_u32 v6, v5, 20, 1
	s_mov_b32 s25, 0x487ffff
	v_add3_u32 v6, v5, v6, s25
	s_mov_b64 s[8:9], exec
	v_lshrrev_b32_e32 v6, 20, v6
	s_andn2_saveexec_b64 s[10:11], s[10:11]
	s_cbranch_execnz .LBB94_3005
.LBB94_2780:
	s_or_b64 exec, exec, s[10:11]
	v_mov_b32_e32 v7, 0
	s_and_saveexec_b64 s[10:11], s[8:9]
.LBB94_2781:
	v_lshrrev_b32_e32 v5, 24, v5
	s_movk_i32 s8, 0x80
	v_and_or_b32 v7, v5, s8, v6
.LBB94_2782:
	s_or_b64 exec, exec, s[10:11]
.LBB94_2783:
	s_or_b64 exec, exec, s[4:5]
	global_store_byte v[2:3], v7, off
.LBB94_2784:
	s_mov_b64 s[4:5], -1
.LBB94_2785:
	s_mov_b64 s[8:9], 0
.LBB94_2786:
	s_and_b64 vcc, exec, s[8:9]
	s_cbranch_vccz .LBB94_2826
; %bb.2787:
	s_cmp_gt_i32 s19, 22
	s_mov_b64 s[2:3], -1
	s_cbranch_scc0 .LBB94_2819
; %bb.2788:
	s_cmp_lt_i32 s19, 24
	s_cbranch_scc1 .LBB94_2808
; %bb.2789:
	s_cmp_gt_i32 s19, 24
	s_cbranch_scc0 .LBB94_2797
; %bb.2790:
	v_xor_b32_e32 v6, v0, v1
	v_ffbh_i32_e32 v5, v1
	v_ashrrev_i32_e32 v6, 31, v6
	v_add_u32_e32 v5, -1, v5
	v_add_u32_e32 v6, 32, v6
	v_min_u32_e32 v7, v5, v6
	v_lshlrev_b64 v[5:6], v7, v[0:1]
	s_mov_b32 s2, 0x47800000
	v_min_u32_e32 v5, 1, v5
	v_or_b32_e32 v5, v6, v5
	v_cvt_f32_i32_e32 v5, v5
	v_sub_u32_e32 v6, 32, v7
	v_mov_b32_e32 v7, 0x80
	v_ldexp_f32 v5, v5, v6
	v_and_b32_e32 v6, 0x7fffffff, v5
	v_cmp_gt_u32_e32 vcc, s2, v6
	s_and_saveexec_b64 s[2:3], vcc
	s_cbranch_execz .LBB94_2796
; %bb.2791:
	s_mov_b32 s4, 0x37ffffff
	v_cmp_lt_u32_e32 vcc, s4, v6
	s_mov_b64 s[4:5], 0
                                        ; implicit-def: $vgpr6
	s_and_saveexec_b64 s[8:9], vcc
	s_xor_b64 s[8:9], exec, s[8:9]
	s_cbranch_execz .LBB94_3007
; %bb.2792:
	v_bfe_u32 v6, v5, 21, 1
	s_mov_b32 s10, 0x88fffff
	v_add3_u32 v6, v5, v6, s10
	s_mov_b64 s[4:5], exec
	v_lshrrev_b32_e32 v6, 21, v6
	s_andn2_saveexec_b64 s[8:9], s[8:9]
	s_cbranch_execnz .LBB94_3008
.LBB94_2793:
	s_or_b64 exec, exec, s[8:9]
	v_mov_b32_e32 v7, 0
	s_and_saveexec_b64 s[8:9], s[4:5]
.LBB94_2794:
	v_lshrrev_b32_e32 v5, 24, v5
	s_movk_i32 s4, 0x80
	v_and_or_b32 v7, v5, s4, v6
.LBB94_2795:
	s_or_b64 exec, exec, s[8:9]
.LBB94_2796:
	s_or_b64 exec, exec, s[2:3]
	s_mov_b64 s[2:3], 0
	global_store_byte v[2:3], v7, off
.LBB94_2797:
	s_and_b64 vcc, exec, s[2:3]
	s_cbranch_vccz .LBB94_2807
; %bb.2798:
	v_xor_b32_e32 v6, v0, v1
	v_ffbh_i32_e32 v5, v1
	v_ashrrev_i32_e32 v6, 31, v6
	v_add_u32_e32 v5, -1, v5
	v_add_u32_e32 v6, 32, v6
	v_min_u32_e32 v7, v5, v6
	v_lshlrev_b64 v[5:6], v7, v[0:1]
	s_mov_b32 s2, 0x43f00000
	v_min_u32_e32 v5, 1, v5
	v_or_b32_e32 v5, v6, v5
	v_cvt_f32_i32_e32 v5, v5
	v_sub_u32_e32 v6, 32, v7
	v_ldexp_f32 v5, v5, v6
	v_and_b32_e32 v7, 0x7fffffff, v5
	v_cmp_gt_u32_e32 vcc, s2, v7
                                        ; implicit-def: $vgpr6
	s_and_saveexec_b64 s[2:3], vcc
	s_xor_b64 s[2:3], exec, s[2:3]
	s_cbranch_execz .LBB94_2804
; %bb.2799:
	s_mov_b32 s4, 0x3c7fffff
	v_cmp_lt_u32_e32 vcc, s4, v7
                                        ; implicit-def: $vgpr6
	s_and_saveexec_b64 s[4:5], vcc
	s_xor_b64 s[4:5], exec, s[4:5]
; %bb.2800:
	v_bfe_u32 v6, v5, 20, 1
	s_mov_b32 s8, 0x407ffff
	v_add3_u32 v6, v5, v6, s8
	v_lshrrev_b32_e32 v7, 20, v6
	v_and_b32_e32 v6, 0xff00000, v6
	s_mov_b32 s8, 0x7f00000
	v_mov_b32_e32 v8, 0x7e
	v_cmp_ne_u32_e32 vcc, s8, v6
	v_cndmask_b32_e32 v6, v8, v7, vcc
; %bb.2801:
	s_andn2_saveexec_b64 s[4:5], s[4:5]
; %bb.2802:
	s_mov_b32 s8, 0x46800000
	v_add_f32_e64 v6, |v5|, s8
; %bb.2803:
	s_or_b64 exec, exec, s[4:5]
                                        ; implicit-def: $vgpr7
.LBB94_2804:
	s_andn2_saveexec_b64 s[2:3], s[2:3]
; %bb.2805:
	s_mov_b32 s4, 0x7f800000
	v_mov_b32_e32 v6, 0x7e
	v_mov_b32_e32 v8, 0x7f
	v_cmp_lt_u32_e32 vcc, s4, v7
	v_cndmask_b32_e32 v6, v6, v8, vcc
; %bb.2806:
	s_or_b64 exec, exec, s[2:3]
	v_lshrrev_b32_e32 v5, 24, v5
	s_movk_i32 s2, 0x80
	v_and_or_b32 v5, v5, s2, v6
	global_store_byte v[2:3], v5, off
.LBB94_2807:
	s_mov_b64 s[2:3], 0
.LBB94_2808:
	s_andn2_b64 vcc, exec, s[2:3]
	s_cbranch_vccnz .LBB94_2818
; %bb.2809:
	v_xor_b32_e32 v6, v0, v1
	v_ffbh_i32_e32 v5, v1
	v_ashrrev_i32_e32 v6, 31, v6
	v_add_u32_e32 v5, -1, v5
	v_add_u32_e32 v6, 32, v6
	v_min_u32_e32 v7, v5, v6
	v_lshlrev_b64 v[5:6], v7, v[0:1]
	s_mov_b32 s2, 0x47800000
	v_min_u32_e32 v5, 1, v5
	v_or_b32_e32 v5, v6, v5
	v_cvt_f32_i32_e32 v5, v5
	v_sub_u32_e32 v6, 32, v7
	v_ldexp_f32 v5, v5, v6
	v_and_b32_e32 v7, 0x7fffffff, v5
	v_cmp_gt_u32_e32 vcc, s2, v7
                                        ; implicit-def: $vgpr6
	s_and_saveexec_b64 s[2:3], vcc
	s_xor_b64 s[2:3], exec, s[2:3]
	s_cbranch_execz .LBB94_2815
; %bb.2810:
	s_mov_b32 s4, 0x387fffff
	v_cmp_lt_u32_e32 vcc, s4, v7
                                        ; implicit-def: $vgpr6
	s_and_saveexec_b64 s[4:5], vcc
	s_xor_b64 s[4:5], exec, s[4:5]
; %bb.2811:
	v_bfe_u32 v6, v5, 21, 1
	s_mov_b32 s8, 0x80fffff
	v_add3_u32 v6, v5, v6, s8
	v_lshrrev_b32_e32 v6, 21, v6
; %bb.2812:
	s_andn2_saveexec_b64 s[4:5], s[4:5]
; %bb.2813:
	s_mov_b32 s8, 0x43000000
	v_add_f32_e64 v6, |v5|, s8
; %bb.2814:
	s_or_b64 exec, exec, s[4:5]
                                        ; implicit-def: $vgpr7
.LBB94_2815:
	s_andn2_saveexec_b64 s[2:3], s[2:3]
; %bb.2816:
	s_mov_b32 s4, 0x7f800000
	v_mov_b32_e32 v6, 0x7c
	v_mov_b32_e32 v8, 0x7f
	v_cmp_lt_u32_e32 vcc, s4, v7
	v_cndmask_b32_e32 v6, v6, v8, vcc
; %bb.2817:
	s_or_b64 exec, exec, s[2:3]
	v_lshrrev_b32_e32 v5, 24, v5
	s_movk_i32 s2, 0x80
	v_and_or_b32 v5, v5, s2, v6
	global_store_byte v[2:3], v5, off
.LBB94_2818:
	s_mov_b64 s[2:3], 0
	s_mov_b64 s[4:5], -1
.LBB94_2819:
	s_andn2_b64 vcc, exec, s[2:3]
	s_mov_b64 s[2:3], 0
	s_cbranch_vccnz .LBB94_2826
; %bb.2820:
	s_cmp_gt_i32 s19, 14
	s_mov_b64 s[8:9], -1
	s_cbranch_scc0 .LBB94_2824
; %bb.2821:
	s_cmp_eq_u32 s19, 15
	s_mov_b64 s[0:1], -1
	s_cbranch_scc0 .LBB94_2823
; %bb.2822:
	v_xor_b32_e32 v6, v0, v1
	v_ffbh_i32_e32 v5, v1
	v_ashrrev_i32_e32 v6, 31, v6
	v_add_u32_e32 v5, -1, v5
	v_add_u32_e32 v6, 32, v6
	v_min_u32_e32 v7, v5, v6
	v_lshlrev_b64 v[5:6], v7, v[0:1]
	s_movk_i32 s0, 0x7fff
	v_min_u32_e32 v5, 1, v5
	v_or_b32_e32 v5, v6, v5
	v_cvt_f32_i32_e32 v5, v5
	v_sub_u32_e32 v6, 32, v7
	s_mov_b64 s[4:5], -1
	v_ldexp_f32 v5, v5, v6
	v_bfe_u32 v6, v5, 16, 1
	v_add3_u32 v5, v5, v6, s0
	global_store_short_d16_hi v[2:3], v5, off
	s_mov_b64 s[0:1], 0
.LBB94_2823:
	s_mov_b64 s[8:9], 0
.LBB94_2824:
	s_and_b64 vcc, exec, s[8:9]
	s_cbranch_vccz .LBB94_2826
; %bb.2825:
	s_cmp_lg_u32 s19, 11
	s_mov_b64 s[2:3], -1
	s_cselect_b64 s[0:1], -1, 0
.LBB94_2826:
	s_and_b64 vcc, exec, s[0:1]
	s_cbranch_vccnz .LBB94_3006
; %bb.2827:
	s_andn2_b64 vcc, exec, s[2:3]
	s_cbranch_vccnz .LBB94_2829
.LBB94_2828:
	v_cmp_ne_u64_e32 vcc, 0, v[0:1]
	s_mov_b64 s[4:5], -1
	v_cndmask_b32_e64 v5, 0, 1, vcc
	global_store_byte v[2:3], v5, off
.LBB94_2829:
	s_mov_b64 s[0:1], 0
	s_branch .LBB94_2831
.LBB94_2830:
	s_mov_b64 s[0:1], -1
	s_mov_b64 s[4:5], 0
.LBB94_2831:
	s_and_b64 vcc, exec, s[0:1]
	s_cbranch_vccz .LBB94_2870
; %bb.2832:
	s_and_b32 s2, 0xffff, s24
	s_cmp_lt_i32 s2, 5
	s_mov_b64 s[0:1], -1
	s_cbranch_scc1 .LBB94_2853
; %bb.2833:
	s_cmp_lt_i32 s2, 8
	s_cbranch_scc1 .LBB94_2843
; %bb.2834:
	s_cmp_lt_i32 s2, 9
	s_cbranch_scc1 .LBB94_2840
; %bb.2835:
	s_cmp_gt_i32 s2, 9
	s_cbranch_scc0 .LBB94_2837
; %bb.2836:
	v_cvt_f64_i32_e32 v[5:6], v1
	v_cvt_f64_u32_e32 v[7:8], v0
	s_mov_b64 s[0:1], 0
	v_ldexp_f64 v[5:6], v[5:6], 32
	v_add_f64 v[5:6], v[5:6], v[7:8]
	v_mov_b32_e32 v7, 0
	v_mov_b32_e32 v8, v7
	global_store_dwordx4 v[2:3], v[5:8], off
.LBB94_2837:
	s_andn2_b64 vcc, exec, s[0:1]
	s_cbranch_vccnz .LBB94_2839
; %bb.2838:
	v_xor_b32_e32 v6, v0, v1
	v_ffbh_i32_e32 v5, v1
	v_ashrrev_i32_e32 v6, 31, v6
	v_add_u32_e32 v5, -1, v5
	v_add_u32_e32 v6, 32, v6
	v_min_u32_e32 v7, v5, v6
	v_lshlrev_b64 v[5:6], v7, v[0:1]
	v_min_u32_e32 v5, 1, v5
	v_or_b32_e32 v5, v6, v5
	v_cvt_f32_i32_e32 v5, v5
	v_sub_u32_e32 v6, 32, v7
	v_ldexp_f32 v5, v5, v6
	v_mov_b32_e32 v6, 0
	global_store_dwordx2 v[2:3], v[5:6], off
.LBB94_2839:
	s_mov_b64 s[0:1], 0
.LBB94_2840:
	s_andn2_b64 vcc, exec, s[0:1]
	s_cbranch_vccnz .LBB94_2842
; %bb.2841:
	v_xor_b32_e32 v6, v0, v1
	v_ffbh_i32_e32 v5, v1
	v_ashrrev_i32_e32 v6, 31, v6
	v_add_u32_e32 v5, -1, v5
	v_add_u32_e32 v6, 32, v6
	v_min_u32_e32 v7, v5, v6
	v_lshlrev_b64 v[5:6], v7, v[0:1]
	v_min_u32_e32 v5, 1, v5
	v_or_b32_e32 v5, v6, v5
	v_cvt_f32_i32_e32 v5, v5
	v_sub_u32_e32 v6, 32, v7
	v_ldexp_f32 v5, v5, v6
	v_cvt_f16_f32_e32 v5, v5
	global_store_dword v[2:3], v5, off
.LBB94_2842:
	s_mov_b64 s[0:1], 0
.LBB94_2843:
	s_andn2_b64 vcc, exec, s[0:1]
	s_cbranch_vccnz .LBB94_2852
; %bb.2844:
	s_cmp_lt_i32 s2, 6
	s_mov_b64 s[0:1], -1
	s_cbranch_scc1 .LBB94_2850
; %bb.2845:
	s_cmp_gt_i32 s2, 6
	s_cbranch_scc0 .LBB94_2847
; %bb.2846:
	v_cvt_f64_i32_e32 v[5:6], v1
	v_cvt_f64_u32_e32 v[7:8], v0
	s_mov_b64 s[0:1], 0
	v_ldexp_f64 v[5:6], v[5:6], 32
	v_add_f64 v[5:6], v[5:6], v[7:8]
	global_store_dwordx2 v[2:3], v[5:6], off
.LBB94_2847:
	s_andn2_b64 vcc, exec, s[0:1]
	s_cbranch_vccnz .LBB94_2849
; %bb.2848:
	v_xor_b32_e32 v6, v0, v1
	v_ffbh_i32_e32 v5, v1
	v_ashrrev_i32_e32 v6, 31, v6
	v_add_u32_e32 v5, -1, v5
	v_add_u32_e32 v6, 32, v6
	v_min_u32_e32 v7, v5, v6
	v_lshlrev_b64 v[5:6], v7, v[0:1]
	v_min_u32_e32 v5, 1, v5
	v_or_b32_e32 v5, v6, v5
	v_cvt_f32_i32_e32 v5, v5
	v_sub_u32_e32 v6, 32, v7
	v_ldexp_f32 v5, v5, v6
	global_store_dword v[2:3], v5, off
.LBB94_2849:
	s_mov_b64 s[0:1], 0
.LBB94_2850:
	s_andn2_b64 vcc, exec, s[0:1]
	s_cbranch_vccnz .LBB94_2852
; %bb.2851:
	v_xor_b32_e32 v6, v0, v1
	v_ffbh_i32_e32 v5, v1
	v_ashrrev_i32_e32 v6, 31, v6
	v_add_u32_e32 v5, -1, v5
	v_add_u32_e32 v6, 32, v6
	v_min_u32_e32 v7, v5, v6
	v_lshlrev_b64 v[5:6], v7, v[0:1]
	v_min_u32_e32 v5, 1, v5
	v_or_b32_e32 v5, v6, v5
	v_cvt_f32_i32_e32 v5, v5
	v_sub_u32_e32 v6, 32, v7
	v_ldexp_f32 v5, v5, v6
	v_cvt_f16_f32_e32 v5, v5
	global_store_short v[2:3], v5, off
.LBB94_2852:
	s_mov_b64 s[0:1], 0
.LBB94_2853:
	s_andn2_b64 vcc, exec, s[0:1]
	s_cbranch_vccnz .LBB94_2869
; %bb.2854:
	s_cmp_lt_i32 s2, 2
	s_mov_b64 s[0:1], -1
	s_cbranch_scc1 .LBB94_2864
; %bb.2855:
	s_cmp_lt_i32 s2, 3
	s_cbranch_scc1 .LBB94_2861
; %bb.2856:
	s_cmp_gt_i32 s2, 3
	s_cbranch_scc0 .LBB94_2858
; %bb.2857:
	global_store_dwordx2 v[2:3], v[0:1], off
	s_mov_b64 s[0:1], 0
.LBB94_2858:
	s_andn2_b64 vcc, exec, s[0:1]
	s_cbranch_vccnz .LBB94_2860
; %bb.2859:
	global_store_dword v[2:3], v0, off
.LBB94_2860:
	s_mov_b64 s[0:1], 0
.LBB94_2861:
	s_andn2_b64 vcc, exec, s[0:1]
	s_cbranch_vccnz .LBB94_2863
; %bb.2862:
	global_store_short v[2:3], v0, off
.LBB94_2863:
	s_mov_b64 s[0:1], 0
.LBB94_2864:
	s_andn2_b64 vcc, exec, s[0:1]
	s_cbranch_vccnz .LBB94_2869
; %bb.2865:
	s_cmp_gt_i32 s2, 0
	s_mov_b64 s[0:1], -1
	s_cbranch_scc0 .LBB94_2867
; %bb.2866:
	global_store_byte v[2:3], v0, off
	s_mov_b64 s[0:1], 0
.LBB94_2867:
	s_andn2_b64 vcc, exec, s[0:1]
	s_cbranch_vccnz .LBB94_2869
; %bb.2868:
	global_store_byte v[2:3], v0, off
.LBB94_2869:
	s_mov_b64 s[4:5], -1
.LBB94_2870:
	s_andn2_b64 vcc, exec, s[4:5]
	s_cbranch_vccnz .LBB94_2947
; %bb.2871:
	v_cmp_lt_i64_e32 vcc, s[12:13], v[12:13]
	v_mov_b32_e32 v0, s15
	v_cndmask_b32_e32 v1, v0, v15, vcc
	v_mov_b32_e32 v0, s14
	v_add_u32_e32 v2, s18, v4
	v_cndmask_b32_e32 v0, v0, v14, vcc
	v_ashrrev_i32_e32 v3, 31, v2
	v_mov_b32_e32 v4, s17
	v_add_co_u32_e32 v2, vcc, s16, v2
	s_cmp_lt_i32 s24, 11
	v_addc_co_u32_e32 v3, vcc, v4, v3, vcc
	s_cbranch_scc1 .LBB94_2992
; %bb.2872:
	s_and_b32 s12, 0xffff, s24
	s_mov_b64 s[4:5], -1
	s_mov_b64 s[2:3], 0
	s_cmp_gt_i32 s12, 25
	s_mov_b64 s[0:1], 0
	s_cbranch_scc0 .LBB94_2905
; %bb.2873:
	s_cmp_gt_i32 s12, 28
	s_cbranch_scc0 .LBB94_2889
; %bb.2874:
	s_cmp_gt_i32 s12, 43
	;; [unrolled: 3-line block ×3, first 2 shown]
	s_cbranch_scc0 .LBB94_2879
; %bb.2876:
	s_cmp_eq_u32 s12, 46
	s_mov_b64 s[0:1], -1
	s_cbranch_scc0 .LBB94_2878
; %bb.2877:
	v_xor_b32_e32 v5, v0, v1
	v_ffbh_i32_e32 v4, v1
	v_ashrrev_i32_e32 v5, 31, v5
	v_add_u32_e32 v4, -1, v4
	v_add_u32_e32 v5, 32, v5
	v_min_u32_e32 v6, v4, v5
	v_lshlrev_b64 v[4:5], v6, v[0:1]
	s_movk_i32 s0, 0x7fff
	v_min_u32_e32 v4, 1, v4
	v_or_b32_e32 v4, v5, v4
	v_cvt_f32_i32_e32 v4, v4
	v_sub_u32_e32 v5, 32, v6
	v_ldexp_f32 v4, v4, v5
	v_bfe_u32 v5, v4, 16, 1
	v_add3_u32 v4, v4, v5, s0
	v_lshrrev_b32_e32 v4, 16, v4
	global_store_dword v[2:3], v4, off
	s_mov_b64 s[0:1], 0
.LBB94_2878:
	s_mov_b64 s[4:5], 0
.LBB94_2879:
	s_and_b64 vcc, exec, s[4:5]
	s_cbranch_vccz .LBB94_2884
; %bb.2880:
	s_cmp_eq_u32 s12, 44
	s_mov_b64 s[0:1], -1
	s_cbranch_scc0 .LBB94_2884
; %bb.2881:
	v_xor_b32_e32 v5, v0, v1
	v_ffbh_i32_e32 v4, v1
	v_ashrrev_i32_e32 v5, 31, v5
	v_add_u32_e32 v4, -1, v4
	v_add_u32_e32 v5, 32, v5
	v_min_u32_e32 v6, v4, v5
	v_lshlrev_b64 v[4:5], v6, v[0:1]
	s_movk_i32 s0, 0xff
	v_min_u32_e32 v4, 1, v4
	v_or_b32_e32 v4, v5, v4
	v_cvt_f32_i32_e32 v4, v4
	v_sub_u32_e32 v5, 32, v6
	v_mov_b32_e32 v6, 0xff
	v_ldexp_f32 v4, v4, v5
	v_bfe_u32 v5, v4, 23, 8
	v_cmp_ne_u32_e32 vcc, s0, v5
	s_and_saveexec_b64 s[4:5], vcc
; %bb.2882:
	s_mov_b32 s0, 0x3fffff
	v_lshrrev_b32_e32 v6, 23, v4
	v_and_b32_e32 v7, 0x400000, v4
	v_and_or_b32 v4, v4, s0, v5
	v_cmp_ne_u32_e32 vcc, 0, v7
	v_cmp_ne_u32_e64 s[0:1], 0, v4
	s_and_b64 s[0:1], vcc, s[0:1]
	v_cndmask_b32_e64 v4, 0, 1, s[0:1]
	v_add_u32_e32 v6, v6, v4
; %bb.2883:
	s_or_b64 exec, exec, s[4:5]
	s_mov_b64 s[0:1], 0
	global_store_byte v[2:3], v6, off
.LBB94_2884:
	s_mov_b64 s[4:5], 0
.LBB94_2885:
	s_and_b64 vcc, exec, s[4:5]
	s_cbranch_vccz .LBB94_2888
; %bb.2886:
	s_cmp_eq_u32 s12, 29
	s_mov_b64 s[0:1], -1
	s_cbranch_scc0 .LBB94_2888
; %bb.2887:
	global_store_dwordx2 v[2:3], v[0:1], off
	s_mov_b64 s[0:1], 0
.LBB94_2888:
	s_mov_b64 s[4:5], 0
.LBB94_2889:
	s_and_b64 vcc, exec, s[4:5]
	s_cbranch_vccz .LBB94_2904
; %bb.2890:
	s_cmp_lt_i32 s12, 27
	s_mov_b64 s[4:5], -1
	s_cbranch_scc1 .LBB94_2896
; %bb.2891:
	s_cmp_gt_i32 s12, 27
	s_cbranch_scc0 .LBB94_2893
; %bb.2892:
	global_store_dword v[2:3], v0, off
	s_mov_b64 s[4:5], 0
.LBB94_2893:
	s_andn2_b64 vcc, exec, s[4:5]
	s_cbranch_vccnz .LBB94_2895
; %bb.2894:
	global_store_short v[2:3], v0, off
.LBB94_2895:
	s_mov_b64 s[4:5], 0
.LBB94_2896:
	s_andn2_b64 vcc, exec, s[4:5]
	s_cbranch_vccnz .LBB94_2904
; %bb.2897:
	v_xor_b32_e32 v5, v0, v1
	v_ffbh_i32_e32 v4, v1
	v_ashrrev_i32_e32 v5, 31, v5
	v_add_u32_e32 v4, -1, v4
	v_add_u32_e32 v5, 32, v5
	v_min_u32_e32 v6, v4, v5
	v_lshlrev_b64 v[4:5], v6, v[0:1]
	s_mov_b32 s4, 0x43800000
	v_min_u32_e32 v4, 1, v4
	v_or_b32_e32 v4, v5, v4
	v_cvt_f32_i32_e32 v4, v4
	v_sub_u32_e32 v5, 32, v6
	v_mov_b32_e32 v6, 0x80
	v_ldexp_f32 v4, v4, v5
	v_and_b32_e32 v5, 0x7fffffff, v4
	v_cmp_gt_u32_e32 vcc, s4, v5
	s_and_saveexec_b64 s[4:5], vcc
	s_cbranch_execz .LBB94_2903
; %bb.2898:
	s_mov_b32 s8, 0x3bffffff
	v_cmp_lt_u32_e32 vcc, s8, v5
	s_mov_b64 s[8:9], 0
                                        ; implicit-def: $vgpr5
	s_and_saveexec_b64 s[10:11], vcc
	s_xor_b64 s[10:11], exec, s[10:11]
	s_cbranch_execz .LBB94_3009
; %bb.2899:
	v_bfe_u32 v5, v4, 20, 1
	s_mov_b32 s13, 0x487ffff
	v_add3_u32 v5, v4, v5, s13
	s_mov_b64 s[8:9], exec
	v_lshrrev_b32_e32 v5, 20, v5
	s_andn2_saveexec_b64 s[10:11], s[10:11]
	s_cbranch_execnz .LBB94_3010
.LBB94_2900:
	s_or_b64 exec, exec, s[10:11]
	v_mov_b32_e32 v6, 0
	s_and_saveexec_b64 s[10:11], s[8:9]
.LBB94_2901:
	v_lshrrev_b32_e32 v4, 24, v4
	s_movk_i32 s8, 0x80
	v_and_or_b32 v6, v4, s8, v5
.LBB94_2902:
	s_or_b64 exec, exec, s[10:11]
.LBB94_2903:
	s_or_b64 exec, exec, s[4:5]
	global_store_byte v[2:3], v6, off
.LBB94_2904:
	s_mov_b64 s[4:5], 0
.LBB94_2905:
	s_and_b64 vcc, exec, s[4:5]
	s_cbranch_vccz .LBB94_2945
; %bb.2906:
	s_cmp_gt_i32 s12, 22
	s_mov_b64 s[2:3], -1
	s_cbranch_scc0 .LBB94_2938
; %bb.2907:
	s_cmp_lt_i32 s12, 24
	s_cbranch_scc1 .LBB94_2927
; %bb.2908:
	s_cmp_gt_i32 s12, 24
	s_cbranch_scc0 .LBB94_2916
; %bb.2909:
	v_xor_b32_e32 v5, v0, v1
	v_ffbh_i32_e32 v4, v1
	v_ashrrev_i32_e32 v5, 31, v5
	v_add_u32_e32 v4, -1, v4
	v_add_u32_e32 v5, 32, v5
	v_min_u32_e32 v6, v4, v5
	v_lshlrev_b64 v[4:5], v6, v[0:1]
	s_mov_b32 s2, 0x47800000
	v_min_u32_e32 v4, 1, v4
	v_or_b32_e32 v4, v5, v4
	v_cvt_f32_i32_e32 v4, v4
	v_sub_u32_e32 v5, 32, v6
	v_mov_b32_e32 v6, 0x80
	v_ldexp_f32 v4, v4, v5
	v_and_b32_e32 v5, 0x7fffffff, v4
	v_cmp_gt_u32_e32 vcc, s2, v5
	s_and_saveexec_b64 s[2:3], vcc
	s_cbranch_execz .LBB94_2915
; %bb.2910:
	s_mov_b32 s4, 0x37ffffff
	v_cmp_lt_u32_e32 vcc, s4, v5
	s_mov_b64 s[4:5], 0
                                        ; implicit-def: $vgpr5
	s_and_saveexec_b64 s[8:9], vcc
	s_xor_b64 s[8:9], exec, s[8:9]
	s_cbranch_execz .LBB94_3012
; %bb.2911:
	v_bfe_u32 v5, v4, 21, 1
	s_mov_b32 s10, 0x88fffff
	v_add3_u32 v5, v4, v5, s10
	s_mov_b64 s[4:5], exec
	v_lshrrev_b32_e32 v5, 21, v5
	s_andn2_saveexec_b64 s[8:9], s[8:9]
	s_cbranch_execnz .LBB94_3013
.LBB94_2912:
	s_or_b64 exec, exec, s[8:9]
	v_mov_b32_e32 v6, 0
	s_and_saveexec_b64 s[8:9], s[4:5]
.LBB94_2913:
	v_lshrrev_b32_e32 v4, 24, v4
	s_movk_i32 s4, 0x80
	v_and_or_b32 v6, v4, s4, v5
.LBB94_2914:
	s_or_b64 exec, exec, s[8:9]
.LBB94_2915:
	s_or_b64 exec, exec, s[2:3]
	s_mov_b64 s[2:3], 0
	global_store_byte v[2:3], v6, off
.LBB94_2916:
	s_and_b64 vcc, exec, s[2:3]
	s_cbranch_vccz .LBB94_2926
; %bb.2917:
	v_xor_b32_e32 v5, v0, v1
	v_ffbh_i32_e32 v4, v1
	v_ashrrev_i32_e32 v5, 31, v5
	v_add_u32_e32 v4, -1, v4
	v_add_u32_e32 v5, 32, v5
	v_min_u32_e32 v6, v4, v5
	v_lshlrev_b64 v[4:5], v6, v[0:1]
	s_mov_b32 s2, 0x43f00000
	v_min_u32_e32 v4, 1, v4
	v_or_b32_e32 v4, v5, v4
	v_cvt_f32_i32_e32 v4, v4
	v_sub_u32_e32 v5, 32, v6
	v_ldexp_f32 v4, v4, v5
	v_and_b32_e32 v6, 0x7fffffff, v4
	v_cmp_gt_u32_e32 vcc, s2, v6
                                        ; implicit-def: $vgpr5
	s_and_saveexec_b64 s[2:3], vcc
	s_xor_b64 s[2:3], exec, s[2:3]
	s_cbranch_execz .LBB94_2923
; %bb.2918:
	s_mov_b32 s4, 0x3c7fffff
	v_cmp_lt_u32_e32 vcc, s4, v6
                                        ; implicit-def: $vgpr5
	s_and_saveexec_b64 s[4:5], vcc
	s_xor_b64 s[4:5], exec, s[4:5]
; %bb.2919:
	v_bfe_u32 v5, v4, 20, 1
	s_mov_b32 s8, 0x407ffff
	v_add3_u32 v5, v4, v5, s8
	v_lshrrev_b32_e32 v6, 20, v5
	v_and_b32_e32 v5, 0xff00000, v5
	s_mov_b32 s8, 0x7f00000
	v_mov_b32_e32 v7, 0x7e
	v_cmp_ne_u32_e32 vcc, s8, v5
	v_cndmask_b32_e32 v5, v7, v6, vcc
; %bb.2920:
	s_andn2_saveexec_b64 s[4:5], s[4:5]
; %bb.2921:
	s_mov_b32 s8, 0x46800000
	v_add_f32_e64 v5, |v4|, s8
; %bb.2922:
	s_or_b64 exec, exec, s[4:5]
                                        ; implicit-def: $vgpr6
.LBB94_2923:
	s_andn2_saveexec_b64 s[2:3], s[2:3]
; %bb.2924:
	s_mov_b32 s4, 0x7f800000
	v_mov_b32_e32 v5, 0x7e
	v_mov_b32_e32 v7, 0x7f
	v_cmp_lt_u32_e32 vcc, s4, v6
	v_cndmask_b32_e32 v5, v5, v7, vcc
; %bb.2925:
	s_or_b64 exec, exec, s[2:3]
	v_lshrrev_b32_e32 v4, 24, v4
	s_movk_i32 s2, 0x80
	v_and_or_b32 v4, v4, s2, v5
	global_store_byte v[2:3], v4, off
.LBB94_2926:
	s_mov_b64 s[2:3], 0
.LBB94_2927:
	s_andn2_b64 vcc, exec, s[2:3]
	s_cbranch_vccnz .LBB94_2937
; %bb.2928:
	v_xor_b32_e32 v5, v0, v1
	v_ffbh_i32_e32 v4, v1
	v_ashrrev_i32_e32 v5, 31, v5
	v_add_u32_e32 v4, -1, v4
	v_add_u32_e32 v5, 32, v5
	v_min_u32_e32 v6, v4, v5
	v_lshlrev_b64 v[4:5], v6, v[0:1]
	s_mov_b32 s2, 0x47800000
	v_min_u32_e32 v4, 1, v4
	v_or_b32_e32 v4, v5, v4
	v_cvt_f32_i32_e32 v4, v4
	v_sub_u32_e32 v5, 32, v6
	v_ldexp_f32 v4, v4, v5
	v_and_b32_e32 v6, 0x7fffffff, v4
	v_cmp_gt_u32_e32 vcc, s2, v6
                                        ; implicit-def: $vgpr5
	s_and_saveexec_b64 s[2:3], vcc
	s_xor_b64 s[2:3], exec, s[2:3]
	s_cbranch_execz .LBB94_2934
; %bb.2929:
	s_mov_b32 s4, 0x387fffff
	v_cmp_lt_u32_e32 vcc, s4, v6
                                        ; implicit-def: $vgpr5
	s_and_saveexec_b64 s[4:5], vcc
	s_xor_b64 s[4:5], exec, s[4:5]
; %bb.2930:
	v_bfe_u32 v5, v4, 21, 1
	s_mov_b32 s8, 0x80fffff
	v_add3_u32 v5, v4, v5, s8
	v_lshrrev_b32_e32 v5, 21, v5
; %bb.2931:
	s_andn2_saveexec_b64 s[4:5], s[4:5]
; %bb.2932:
	s_mov_b32 s8, 0x43000000
	v_add_f32_e64 v5, |v4|, s8
; %bb.2933:
	s_or_b64 exec, exec, s[4:5]
                                        ; implicit-def: $vgpr6
.LBB94_2934:
	s_andn2_saveexec_b64 s[2:3], s[2:3]
; %bb.2935:
	s_mov_b32 s4, 0x7f800000
	v_mov_b32_e32 v5, 0x7c
	v_mov_b32_e32 v7, 0x7f
	v_cmp_lt_u32_e32 vcc, s4, v6
	v_cndmask_b32_e32 v5, v5, v7, vcc
; %bb.2936:
	s_or_b64 exec, exec, s[2:3]
	v_lshrrev_b32_e32 v4, 24, v4
	s_movk_i32 s2, 0x80
	v_and_or_b32 v4, v4, s2, v5
	global_store_byte v[2:3], v4, off
.LBB94_2937:
	s_mov_b64 s[2:3], 0
.LBB94_2938:
	s_andn2_b64 vcc, exec, s[2:3]
	s_mov_b64 s[2:3], 0
	s_cbranch_vccnz .LBB94_2945
; %bb.2939:
	s_cmp_gt_i32 s12, 14
	s_mov_b64 s[4:5], -1
	s_cbranch_scc0 .LBB94_2943
; %bb.2940:
	s_cmp_eq_u32 s12, 15
	s_mov_b64 s[0:1], -1
	s_cbranch_scc0 .LBB94_2942
; %bb.2941:
	v_xor_b32_e32 v5, v0, v1
	v_ffbh_i32_e32 v4, v1
	v_ashrrev_i32_e32 v5, 31, v5
	v_add_u32_e32 v4, -1, v4
	v_add_u32_e32 v5, 32, v5
	v_min_u32_e32 v6, v4, v5
	v_lshlrev_b64 v[4:5], v6, v[0:1]
	s_movk_i32 s0, 0x7fff
	v_min_u32_e32 v4, 1, v4
	v_or_b32_e32 v4, v5, v4
	v_cvt_f32_i32_e32 v4, v4
	v_sub_u32_e32 v5, 32, v6
	v_ldexp_f32 v4, v4, v5
	v_bfe_u32 v5, v4, 16, 1
	v_add3_u32 v4, v4, v5, s0
	global_store_short_d16_hi v[2:3], v4, off
	s_mov_b64 s[0:1], 0
.LBB94_2942:
	s_mov_b64 s[4:5], 0
.LBB94_2943:
	s_and_b64 vcc, exec, s[4:5]
	s_cbranch_vccz .LBB94_2945
; %bb.2944:
	s_cmp_lg_u32 s12, 11
	s_mov_b64 s[2:3], -1
	s_cselect_b64 s[0:1], -1, 0
.LBB94_2945:
	s_and_b64 vcc, exec, s[0:1]
	s_cbranch_vccnz .LBB94_3011
.LBB94_2946:
	s_mov_b64 s[0:1], 0
	s_branch .LBB94_2948
.LBB94_2947:
	s_mov_b64 s[0:1], 0
	s_mov_b64 s[2:3], 0
                                        ; implicit-def: $sgpr24
                                        ; implicit-def: $vgpr2_vgpr3
                                        ; implicit-def: $vgpr0_vgpr1
.LBB94_2948:
	s_and_b64 s[4:5], s[2:3], exec
	s_andn2_b64 s[2:3], s[20:21], exec
	s_and_b64 s[8:9], s[22:23], exec
	s_and_b64 s[0:1], s[0:1], exec
	s_or_b64 s[20:21], s[2:3], s[8:9]
.LBB94_2949:
	s_or_b64 exec, exec, s[6:7]
	s_and_saveexec_b64 s[2:3], s[20:21]
	s_cbranch_execz .LBB94_2952
; %bb.2950:
	; divergent unreachable
	s_or_b64 exec, exec, s[2:3]
	s_and_saveexec_b64 s[2:3], s[4:5]
	s_xor_b64 s[2:3], exec, s[2:3]
	s_cbranch_execnz .LBB94_2953
.LBB94_2951:
	s_or_b64 exec, exec, s[2:3]
	s_and_saveexec_b64 s[2:3], s[0:1]
	s_cbranch_execnz .LBB94_2954
	s_branch .LBB94_2991
.LBB94_2952:
	s_or_b64 exec, exec, s[2:3]
	s_and_saveexec_b64 s[2:3], s[4:5]
	s_xor_b64 s[2:3], exec, s[2:3]
	s_cbranch_execz .LBB94_2951
.LBB94_2953:
	s_waitcnt vmcnt(0)
	v_cmp_ne_u64_e32 vcc, 0, v[0:1]
	v_cndmask_b32_e64 v4, 0, 1, vcc
	global_store_byte v[2:3], v4, off
	s_or_b64 exec, exec, s[2:3]
	s_and_saveexec_b64 s[2:3], s[0:1]
	s_cbranch_execz .LBB94_2991
.LBB94_2954:
	s_sext_i32_i16 s2, s24
	s_cmp_lt_i32 s2, 5
	s_mov_b64 s[0:1], -1
	s_cbranch_scc1 .LBB94_2975
; %bb.2955:
	s_cmp_lt_i32 s2, 8
	s_cbranch_scc1 .LBB94_2965
; %bb.2956:
	s_cmp_lt_i32 s2, 9
	s_cbranch_scc1 .LBB94_2962
; %bb.2957:
	s_cmp_gt_i32 s2, 9
	s_cbranch_scc0 .LBB94_2959
; %bb.2958:
	s_waitcnt vmcnt(0)
	v_cvt_f64_i32_e32 v[4:5], v1
	v_cvt_f64_u32_e32 v[6:7], v0
	s_mov_b64 s[0:1], 0
	v_ldexp_f64 v[4:5], v[4:5], 32
	v_add_f64 v[4:5], v[4:5], v[6:7]
	v_mov_b32_e32 v6, 0
	v_mov_b32_e32 v7, v6
	global_store_dwordx4 v[2:3], v[4:7], off
.LBB94_2959:
	s_andn2_b64 vcc, exec, s[0:1]
	s_cbranch_vccnz .LBB94_2961
; %bb.2960:
	s_waitcnt vmcnt(0)
	v_xor_b32_e32 v5, v0, v1
	v_ffbh_i32_e32 v4, v1
	v_ashrrev_i32_e32 v5, 31, v5
	v_add_u32_e32 v4, -1, v4
	v_add_u32_e32 v5, 32, v5
	v_min_u32_e32 v6, v4, v5
	v_lshlrev_b64 v[4:5], v6, v[0:1]
	v_min_u32_e32 v4, 1, v4
	v_or_b32_e32 v4, v5, v4
	v_cvt_f32_i32_e32 v4, v4
	v_sub_u32_e32 v5, 32, v6
	v_ldexp_f32 v4, v4, v5
	v_mov_b32_e32 v5, 0
	global_store_dwordx2 v[2:3], v[4:5], off
.LBB94_2961:
	s_mov_b64 s[0:1], 0
.LBB94_2962:
	s_andn2_b64 vcc, exec, s[0:1]
	s_cbranch_vccnz .LBB94_2964
; %bb.2963:
	s_waitcnt vmcnt(0)
	v_xor_b32_e32 v5, v0, v1
	v_ffbh_i32_e32 v4, v1
	v_ashrrev_i32_e32 v5, 31, v5
	v_add_u32_e32 v4, -1, v4
	v_add_u32_e32 v5, 32, v5
	v_min_u32_e32 v6, v4, v5
	v_lshlrev_b64 v[4:5], v6, v[0:1]
	v_min_u32_e32 v4, 1, v4
	v_or_b32_e32 v4, v5, v4
	v_cvt_f32_i32_e32 v4, v4
	v_sub_u32_e32 v5, 32, v6
	v_ldexp_f32 v4, v4, v5
	v_cvt_f16_f32_e32 v4, v4
	global_store_dword v[2:3], v4, off
.LBB94_2964:
	s_mov_b64 s[0:1], 0
.LBB94_2965:
	s_andn2_b64 vcc, exec, s[0:1]
	s_cbranch_vccnz .LBB94_2974
; %bb.2966:
	s_sext_i32_i16 s2, s24
	s_cmp_lt_i32 s2, 6
	s_mov_b64 s[0:1], -1
	s_cbranch_scc1 .LBB94_2972
; %bb.2967:
	s_cmp_gt_i32 s2, 6
	s_cbranch_scc0 .LBB94_2969
; %bb.2968:
	s_waitcnt vmcnt(0)
	v_cvt_f64_i32_e32 v[4:5], v1
	v_cvt_f64_u32_e32 v[6:7], v0
	s_mov_b64 s[0:1], 0
	v_ldexp_f64 v[4:5], v[4:5], 32
	v_add_f64 v[4:5], v[4:5], v[6:7]
	global_store_dwordx2 v[2:3], v[4:5], off
.LBB94_2969:
	s_andn2_b64 vcc, exec, s[0:1]
	s_cbranch_vccnz .LBB94_2971
; %bb.2970:
	s_waitcnt vmcnt(0)
	v_xor_b32_e32 v5, v0, v1
	v_ffbh_i32_e32 v4, v1
	v_ashrrev_i32_e32 v5, 31, v5
	v_add_u32_e32 v4, -1, v4
	v_add_u32_e32 v5, 32, v5
	v_min_u32_e32 v6, v4, v5
	v_lshlrev_b64 v[4:5], v6, v[0:1]
	v_min_u32_e32 v4, 1, v4
	v_or_b32_e32 v4, v5, v4
	v_cvt_f32_i32_e32 v4, v4
	v_sub_u32_e32 v5, 32, v6
	v_ldexp_f32 v4, v4, v5
	global_store_dword v[2:3], v4, off
.LBB94_2971:
	s_mov_b64 s[0:1], 0
.LBB94_2972:
	s_andn2_b64 vcc, exec, s[0:1]
	s_cbranch_vccnz .LBB94_2974
; %bb.2973:
	s_waitcnt vmcnt(0)
	v_xor_b32_e32 v5, v0, v1
	v_ffbh_i32_e32 v4, v1
	v_ashrrev_i32_e32 v5, 31, v5
	v_add_u32_e32 v4, -1, v4
	v_add_u32_e32 v5, 32, v5
	v_min_u32_e32 v6, v4, v5
	v_lshlrev_b64 v[4:5], v6, v[0:1]
	v_min_u32_e32 v4, 1, v4
	v_or_b32_e32 v4, v5, v4
	v_cvt_f32_i32_e32 v4, v4
	v_sub_u32_e32 v5, 32, v6
	v_ldexp_f32 v4, v4, v5
	v_cvt_f16_f32_e32 v4, v4
	global_store_short v[2:3], v4, off
.LBB94_2974:
	s_mov_b64 s[0:1], 0
.LBB94_2975:
	s_andn2_b64 vcc, exec, s[0:1]
	s_cbranch_vccnz .LBB94_2991
; %bb.2976:
	s_sext_i32_i16 s2, s24
	s_cmp_lt_i32 s2, 2
	s_mov_b64 s[0:1], -1
	s_cbranch_scc1 .LBB94_2986
; %bb.2977:
	s_cmp_lt_i32 s2, 3
	s_cbranch_scc1 .LBB94_2983
; %bb.2978:
	s_cmp_gt_i32 s2, 3
	s_cbranch_scc0 .LBB94_2980
; %bb.2979:
	s_waitcnt vmcnt(0)
	global_store_dwordx2 v[2:3], v[0:1], off
	s_mov_b64 s[0:1], 0
.LBB94_2980:
	s_andn2_b64 vcc, exec, s[0:1]
	s_cbranch_vccnz .LBB94_2982
; %bb.2981:
	s_waitcnt vmcnt(0)
	global_store_dword v[2:3], v0, off
.LBB94_2982:
	s_mov_b64 s[0:1], 0
.LBB94_2983:
	s_andn2_b64 vcc, exec, s[0:1]
	s_cbranch_vccnz .LBB94_2985
; %bb.2984:
	s_waitcnt vmcnt(0)
	global_store_short v[2:3], v0, off
.LBB94_2985:
	s_mov_b64 s[0:1], 0
.LBB94_2986:
	s_andn2_b64 vcc, exec, s[0:1]
	s_cbranch_vccnz .LBB94_2991
; %bb.2987:
	s_sext_i32_i16 s0, s24
	s_cmp_gt_i32 s0, 0
	s_mov_b64 s[0:1], -1
	s_cbranch_scc0 .LBB94_2989
; %bb.2988:
	s_waitcnt vmcnt(0)
	global_store_byte v[2:3], v0, off
	s_mov_b64 s[0:1], 0
.LBB94_2989:
	s_andn2_b64 vcc, exec, s[0:1]
	s_cbranch_vccnz .LBB94_2991
; %bb.2990:
	s_waitcnt vmcnt(0)
	global_store_byte v[2:3], v0, off
	s_endpgm
.LBB94_2991:
	s_endpgm
.LBB94_2992:
	s_mov_b64 s[2:3], 0
	s_mov_b64 s[0:1], -1
	s_branch .LBB94_2948
.LBB94_2993:
	s_trap 2
	s_or_b64 s[22:23], s[22:23], exec
	s_cbranch_execz .LBB94_2462
	s_branch .LBB94_2463
.LBB94_2994:
	s_andn2_saveexec_b64 s[18:19], s[18:19]
	s_cbranch_execz .LBB94_2542
.LBB94_2995:
	s_mov_b32 s25, 0x46000000
	v_add_f32_e64 v18, |v17|, s25
	v_and_b32_e32 v18, 0xff, v18
	v_cmp_ne_u32_e32 vcc, 0, v18
	s_andn2_b64 s[10:11], s[10:11], exec
	s_and_b64 s[26:27], vcc, exec
	s_or_b64 s[10:11], s[10:11], s[26:27]
	s_or_b64 exec, exec, s[18:19]
	v_mov_b32_e32 v19, 0
	s_and_saveexec_b64 s[18:19], s[10:11]
	s_cbranch_execnz .LBB94_2543
	s_branch .LBB94_2544
.LBB94_2996:
	s_trap 2
	s_or_b64 s[22:23], s[22:23], exec
	s_cbranch_execz .LBB94_2590
	s_branch .LBB94_2591
.LBB94_2997:
	s_andn2_saveexec_b64 s[10:11], s[10:11]
	s_cbranch_execz .LBB94_2555
.LBB94_2998:
	s_mov_b32 s18, 0x42800000
	v_add_f32_e64 v18, |v17|, s18
	v_and_b32_e32 v18, 0xff, v18
	v_cmp_ne_u32_e32 vcc, 0, v18
	s_andn2_b64 s[4:5], s[4:5], exec
	s_and_b64 s[18:19], vcc, exec
	s_or_b64 s[4:5], s[4:5], s[18:19]
	s_or_b64 exec, exec, s[10:11]
	v_mov_b32_e32 v19, 0
	s_and_saveexec_b64 s[10:11], s[4:5]
	s_cbranch_execnz .LBB94_2556
	s_branch .LBB94_2557
.LBB94_2999:
	s_andn2_saveexec_b64 s[10:11], s[10:11]
	s_cbranch_execz .LBB94_2661
.LBB94_3000:
	s_mov_b32 s25, 0x46000000
	v_add_f32_e64 v6, |v5|, s25
	v_and_b32_e32 v6, 0xff, v6
	v_cmp_ne_u32_e32 vcc, 0, v6
	s_andn2_b64 s[8:9], s[8:9], exec
	s_and_b64 s[26:27], vcc, exec
	s_or_b64 s[8:9], s[8:9], s[26:27]
	s_or_b64 exec, exec, s[10:11]
	v_mov_b32_e32 v7, 0
	s_and_saveexec_b64 s[10:11], s[8:9]
	s_cbranch_execnz .LBB94_2662
	s_branch .LBB94_2663
.LBB94_3001:
	s_trap 2
	s_or_b64 s[22:23], s[22:23], exec
	s_cbranch_execz .LBB94_2709
	s_branch .LBB94_2710
.LBB94_3002:
	s_andn2_saveexec_b64 s[8:9], s[8:9]
	s_cbranch_execz .LBB94_2674
.LBB94_3003:
	s_mov_b32 s10, 0x42800000
	v_add_f32_e64 v6, |v5|, s10
	v_and_b32_e32 v6, 0xff, v6
	v_cmp_ne_u32_e32 vcc, 0, v6
	s_andn2_b64 s[4:5], s[4:5], exec
	s_and_b64 s[10:11], vcc, exec
	s_or_b64 s[4:5], s[4:5], s[10:11]
	s_or_b64 exec, exec, s[8:9]
	v_mov_b32_e32 v7, 0
	s_and_saveexec_b64 s[8:9], s[4:5]
	s_cbranch_execnz .LBB94_2675
	s_branch .LBB94_2676
.LBB94_3004:
	s_andn2_saveexec_b64 s[10:11], s[10:11]
	s_cbranch_execz .LBB94_2780
.LBB94_3005:
	s_mov_b32 s25, 0x46000000
	v_add_f32_e64 v6, |v5|, s25
	v_and_b32_e32 v6, 0xff, v6
	v_cmp_ne_u32_e32 vcc, 0, v6
	s_andn2_b64 s[8:9], s[8:9], exec
	s_and_b64 s[26:27], vcc, exec
	s_or_b64 s[8:9], s[8:9], s[26:27]
	s_or_b64 exec, exec, s[10:11]
	v_mov_b32_e32 v7, 0
	s_and_saveexec_b64 s[10:11], s[8:9]
	s_cbranch_execnz .LBB94_2781
	s_branch .LBB94_2782
.LBB94_3006:
	s_trap 2
	s_or_b64 s[22:23], s[22:23], exec
	s_cbranch_execz .LBB94_2828
	s_branch .LBB94_2829
.LBB94_3007:
	s_andn2_saveexec_b64 s[8:9], s[8:9]
	s_cbranch_execz .LBB94_2793
.LBB94_3008:
	s_mov_b32 s10, 0x42800000
	v_add_f32_e64 v6, |v5|, s10
	v_and_b32_e32 v6, 0xff, v6
	v_cmp_ne_u32_e32 vcc, 0, v6
	s_andn2_b64 s[4:5], s[4:5], exec
	s_and_b64 s[10:11], vcc, exec
	s_or_b64 s[4:5], s[4:5], s[10:11]
	s_or_b64 exec, exec, s[8:9]
	v_mov_b32_e32 v7, 0
	s_and_saveexec_b64 s[8:9], s[4:5]
	s_cbranch_execnz .LBB94_2794
	s_branch .LBB94_2795
.LBB94_3009:
	s_andn2_saveexec_b64 s[10:11], s[10:11]
	s_cbranch_execz .LBB94_2900
.LBB94_3010:
	s_mov_b32 s13, 0x46000000
	v_add_f32_e64 v5, |v4|, s13
	v_and_b32_e32 v5, 0xff, v5
	v_cmp_ne_u32_e32 vcc, 0, v5
	s_andn2_b64 s[8:9], s[8:9], exec
	s_and_b64 s[14:15], vcc, exec
	s_or_b64 s[8:9], s[8:9], s[14:15]
	s_or_b64 exec, exec, s[10:11]
	v_mov_b32_e32 v6, 0
	s_and_saveexec_b64 s[10:11], s[8:9]
	s_cbranch_execnz .LBB94_2901
	s_branch .LBB94_2902
.LBB94_3011:
	s_mov_b64 s[2:3], 0
	s_or_b64 s[22:23], s[22:23], exec
	s_trap 2
	s_branch .LBB94_2946
.LBB94_3012:
	s_andn2_saveexec_b64 s[8:9], s[8:9]
	s_cbranch_execz .LBB94_2912
.LBB94_3013:
	s_mov_b32 s10, 0x42800000
	v_add_f32_e64 v5, |v4|, s10
	v_and_b32_e32 v5, 0xff, v5
	v_cmp_ne_u32_e32 vcc, 0, v5
	s_andn2_b64 s[4:5], s[4:5], exec
	s_and_b64 s[10:11], vcc, exec
	s_or_b64 s[4:5], s[4:5], s[10:11]
	s_or_b64 exec, exec, s[8:9]
	v_mov_b32_e32 v6, 0
	s_and_saveexec_b64 s[8:9], s[4:5]
	s_cbranch_execnz .LBB94_2913
	s_branch .LBB94_2914
	.section	.rodata,"a",@progbits
	.p2align	6, 0x0
	.amdhsa_kernel _ZN2at6native32elementwise_kernel_manual_unrollILi128ELi4EZNS0_15gpu_kernel_implINS0_13BinaryFunctorIlllZNS0_12_GLOBAL__N_121threshold_kernel_implIlEEvRNS_18TensorIteratorBaseET_S8_EUlllE_EEEEvS7_RKS8_EUlibE_EEviT1_
		.amdhsa_group_segment_fixed_size 0
		.amdhsa_private_segment_fixed_size 0
		.amdhsa_kernarg_size 72
		.amdhsa_user_sgpr_count 6
		.amdhsa_user_sgpr_private_segment_buffer 1
		.amdhsa_user_sgpr_dispatch_ptr 0
		.amdhsa_user_sgpr_queue_ptr 0
		.amdhsa_user_sgpr_kernarg_segment_ptr 1
		.amdhsa_user_sgpr_dispatch_id 0
		.amdhsa_user_sgpr_flat_scratch_init 0
		.amdhsa_user_sgpr_private_segment_size 0
		.amdhsa_uses_dynamic_stack 0
		.amdhsa_system_sgpr_private_segment_wavefront_offset 0
		.amdhsa_system_sgpr_workgroup_id_x 1
		.amdhsa_system_sgpr_workgroup_id_y 0
		.amdhsa_system_sgpr_workgroup_id_z 0
		.amdhsa_system_sgpr_workgroup_info 0
		.amdhsa_system_vgpr_workitem_id 0
		.amdhsa_next_free_vgpr 23
		.amdhsa_next_free_sgpr 60
		.amdhsa_reserve_vcc 1
		.amdhsa_reserve_flat_scratch 0
		.amdhsa_float_round_mode_32 0
		.amdhsa_float_round_mode_16_64 0
		.amdhsa_float_denorm_mode_32 3
		.amdhsa_float_denorm_mode_16_64 3
		.amdhsa_dx10_clamp 1
		.amdhsa_ieee_mode 1
		.amdhsa_fp16_overflow 0
		.amdhsa_exception_fp_ieee_invalid_op 0
		.amdhsa_exception_fp_denorm_src 0
		.amdhsa_exception_fp_ieee_div_zero 0
		.amdhsa_exception_fp_ieee_overflow 0
		.amdhsa_exception_fp_ieee_underflow 0
		.amdhsa_exception_fp_ieee_inexact 0
		.amdhsa_exception_int_div_zero 0
	.end_amdhsa_kernel
	.section	.text._ZN2at6native32elementwise_kernel_manual_unrollILi128ELi4EZNS0_15gpu_kernel_implINS0_13BinaryFunctorIlllZNS0_12_GLOBAL__N_121threshold_kernel_implIlEEvRNS_18TensorIteratorBaseET_S8_EUlllE_EEEEvS7_RKS8_EUlibE_EEviT1_,"axG",@progbits,_ZN2at6native32elementwise_kernel_manual_unrollILi128ELi4EZNS0_15gpu_kernel_implINS0_13BinaryFunctorIlllZNS0_12_GLOBAL__N_121threshold_kernel_implIlEEvRNS_18TensorIteratorBaseET_S8_EUlllE_EEEEvS7_RKS8_EUlibE_EEviT1_,comdat
.Lfunc_end94:
	.size	_ZN2at6native32elementwise_kernel_manual_unrollILi128ELi4EZNS0_15gpu_kernel_implINS0_13BinaryFunctorIlllZNS0_12_GLOBAL__N_121threshold_kernel_implIlEEvRNS_18TensorIteratorBaseET_S8_EUlllE_EEEEvS7_RKS8_EUlibE_EEviT1_, .Lfunc_end94-_ZN2at6native32elementwise_kernel_manual_unrollILi128ELi4EZNS0_15gpu_kernel_implINS0_13BinaryFunctorIlllZNS0_12_GLOBAL__N_121threshold_kernel_implIlEEvRNS_18TensorIteratorBaseET_S8_EUlllE_EEEEvS7_RKS8_EUlibE_EEviT1_
                                        ; -- End function
	.set _ZN2at6native32elementwise_kernel_manual_unrollILi128ELi4EZNS0_15gpu_kernel_implINS0_13BinaryFunctorIlllZNS0_12_GLOBAL__N_121threshold_kernel_implIlEEvRNS_18TensorIteratorBaseET_S8_EUlllE_EEEEvS7_RKS8_EUlibE_EEviT1_.num_vgpr, 23
	.set _ZN2at6native32elementwise_kernel_manual_unrollILi128ELi4EZNS0_15gpu_kernel_implINS0_13BinaryFunctorIlllZNS0_12_GLOBAL__N_121threshold_kernel_implIlEEvRNS_18TensorIteratorBaseET_S8_EUlllE_EEEEvS7_RKS8_EUlibE_EEviT1_.num_agpr, 0
	.set _ZN2at6native32elementwise_kernel_manual_unrollILi128ELi4EZNS0_15gpu_kernel_implINS0_13BinaryFunctorIlllZNS0_12_GLOBAL__N_121threshold_kernel_implIlEEvRNS_18TensorIteratorBaseET_S8_EUlllE_EEEEvS7_RKS8_EUlibE_EEviT1_.numbered_sgpr, 60
	.set _ZN2at6native32elementwise_kernel_manual_unrollILi128ELi4EZNS0_15gpu_kernel_implINS0_13BinaryFunctorIlllZNS0_12_GLOBAL__N_121threshold_kernel_implIlEEvRNS_18TensorIteratorBaseET_S8_EUlllE_EEEEvS7_RKS8_EUlibE_EEviT1_.num_named_barrier, 0
	.set _ZN2at6native32elementwise_kernel_manual_unrollILi128ELi4EZNS0_15gpu_kernel_implINS0_13BinaryFunctorIlllZNS0_12_GLOBAL__N_121threshold_kernel_implIlEEvRNS_18TensorIteratorBaseET_S8_EUlllE_EEEEvS7_RKS8_EUlibE_EEviT1_.private_seg_size, 0
	.set _ZN2at6native32elementwise_kernel_manual_unrollILi128ELi4EZNS0_15gpu_kernel_implINS0_13BinaryFunctorIlllZNS0_12_GLOBAL__N_121threshold_kernel_implIlEEvRNS_18TensorIteratorBaseET_S8_EUlllE_EEEEvS7_RKS8_EUlibE_EEviT1_.uses_vcc, 1
	.set _ZN2at6native32elementwise_kernel_manual_unrollILi128ELi4EZNS0_15gpu_kernel_implINS0_13BinaryFunctorIlllZNS0_12_GLOBAL__N_121threshold_kernel_implIlEEvRNS_18TensorIteratorBaseET_S8_EUlllE_EEEEvS7_RKS8_EUlibE_EEviT1_.uses_flat_scratch, 0
	.set _ZN2at6native32elementwise_kernel_manual_unrollILi128ELi4EZNS0_15gpu_kernel_implINS0_13BinaryFunctorIlllZNS0_12_GLOBAL__N_121threshold_kernel_implIlEEvRNS_18TensorIteratorBaseET_S8_EUlllE_EEEEvS7_RKS8_EUlibE_EEviT1_.has_dyn_sized_stack, 0
	.set _ZN2at6native32elementwise_kernel_manual_unrollILi128ELi4EZNS0_15gpu_kernel_implINS0_13BinaryFunctorIlllZNS0_12_GLOBAL__N_121threshold_kernel_implIlEEvRNS_18TensorIteratorBaseET_S8_EUlllE_EEEEvS7_RKS8_EUlibE_EEviT1_.has_recursion, 0
	.set _ZN2at6native32elementwise_kernel_manual_unrollILi128ELi4EZNS0_15gpu_kernel_implINS0_13BinaryFunctorIlllZNS0_12_GLOBAL__N_121threshold_kernel_implIlEEvRNS_18TensorIteratorBaseET_S8_EUlllE_EEEEvS7_RKS8_EUlibE_EEviT1_.has_indirect_call, 0
	.section	.AMDGPU.csdata,"",@progbits
; Kernel info:
; codeLenInByte = 60004
; TotalNumSgprs: 64
; NumVgprs: 23
; ScratchSize: 0
; MemoryBound: 1
; FloatMode: 240
; IeeeMode: 1
; LDSByteSize: 0 bytes/workgroup (compile time only)
; SGPRBlocks: 7
; VGPRBlocks: 5
; NumSGPRsForWavesPerEU: 64
; NumVGPRsForWavesPerEU: 23
; Occupancy: 10
; WaveLimiterHint : 0
; COMPUTE_PGM_RSRC2:SCRATCH_EN: 0
; COMPUTE_PGM_RSRC2:USER_SGPR: 6
; COMPUTE_PGM_RSRC2:TRAP_HANDLER: 0
; COMPUTE_PGM_RSRC2:TGID_X_EN: 1
; COMPUTE_PGM_RSRC2:TGID_Y_EN: 0
; COMPUTE_PGM_RSRC2:TGID_Z_EN: 0
; COMPUTE_PGM_RSRC2:TIDIG_COMP_CNT: 0
	.section	.text._ZN2at6native32elementwise_kernel_manual_unrollILi128ELi4EZNS0_15gpu_kernel_implINS0_13BinaryFunctorIlllZNS0_12_GLOBAL__N_121threshold_kernel_implIlEEvRNS_18TensorIteratorBaseET_S8_EUlllE_EEEEvS7_RKS8_EUlibE0_EEviT1_,"axG",@progbits,_ZN2at6native32elementwise_kernel_manual_unrollILi128ELi4EZNS0_15gpu_kernel_implINS0_13BinaryFunctorIlllZNS0_12_GLOBAL__N_121threshold_kernel_implIlEEvRNS_18TensorIteratorBaseET_S8_EUlllE_EEEEvS7_RKS8_EUlibE0_EEviT1_,comdat
	.globl	_ZN2at6native32elementwise_kernel_manual_unrollILi128ELi4EZNS0_15gpu_kernel_implINS0_13BinaryFunctorIlllZNS0_12_GLOBAL__N_121threshold_kernel_implIlEEvRNS_18TensorIteratorBaseET_S8_EUlllE_EEEEvS7_RKS8_EUlibE0_EEviT1_ ; -- Begin function _ZN2at6native32elementwise_kernel_manual_unrollILi128ELi4EZNS0_15gpu_kernel_implINS0_13BinaryFunctorIlllZNS0_12_GLOBAL__N_121threshold_kernel_implIlEEvRNS_18TensorIteratorBaseET_S8_EUlllE_EEEEvS7_RKS8_EUlibE0_EEviT1_
	.p2align	8
	.type	_ZN2at6native32elementwise_kernel_manual_unrollILi128ELi4EZNS0_15gpu_kernel_implINS0_13BinaryFunctorIlllZNS0_12_GLOBAL__N_121threshold_kernel_implIlEEvRNS_18TensorIteratorBaseET_S8_EUlllE_EEEEvS7_RKS8_EUlibE0_EEviT1_,@function
_ZN2at6native32elementwise_kernel_manual_unrollILi128ELi4EZNS0_15gpu_kernel_implINS0_13BinaryFunctorIlllZNS0_12_GLOBAL__N_121threshold_kernel_implIlEEvRNS_18TensorIteratorBaseET_S8_EUlllE_EEEEvS7_RKS8_EUlibE0_EEviT1_: ; @_ZN2at6native32elementwise_kernel_manual_unrollILi128ELi4EZNS0_15gpu_kernel_implINS0_13BinaryFunctorIlllZNS0_12_GLOBAL__N_121threshold_kernel_implIlEEvRNS_18TensorIteratorBaseET_S8_EUlllE_EEEEvS7_RKS8_EUlibE0_EEviT1_
; %bb.0:
	s_load_dword s70, s[4:5], 0x0
	s_load_dword s33, s[4:5], 0x8
	s_add_u32 s2, s4, 8
	s_addc_u32 s3, s5, 0
	v_lshl_or_b32 v10, s6, 9, v0
	v_or_b32_e32 v21, 0x180, v10
	s_waitcnt lgkmcnt(0)
	s_add_i32 s72, s33, -1
	s_cmp_gt_u32 s72, 1
	v_cmp_le_i32_e32 vcc, s70, v21
	s_cselect_b64 s[24:25], -1, 0
	s_mov_b64 s[6:7], 0
	s_mov_b64 s[12:13], 0
	s_and_saveexec_b64 s[0:1], vcc
	s_xor_b64 s[26:27], exec, s[0:1]
	s_cbranch_execz .LBB95_1557
; %bb.1:
	s_load_dwordx8 s[8:15], s[2:3], 0x188
	s_cmp_lg_u32 s33, 0
	s_load_dwordx4 s[16:19], s[2:3], 0x4
	s_load_dwordx2 s[30:31], s[2:3], 0x14
	s_load_dwordx2 s[28:29], s[2:3], 0x1a8
	s_load_dword s73, s[2:3], 0x1b0
	s_load_dwordx4 s[20:23], s[2:3], 0xc4
	s_load_dwordx2 s[34:35], s[2:3], 0xd4
	s_cselect_b64 s[38:39], -1, 0
	s_min_u32 s76, s72, 15
	s_cmp_gt_u32 s33, 1
	s_cselect_b64 s[36:37], -1, 0
	s_waitcnt lgkmcnt(0)
	s_lshr_b32 s75, s73, 8
	s_lshr_b32 s74, s73, 16
	v_cmp_gt_i32_e32 vcc, s70, v10
	s_mov_b64 s[0:1], -1
	s_mov_b64 s[50:51], 0
	s_mov_b64 s[44:45], 0
	;; [unrolled: 1-line block ×4, first 2 shown]
	s_and_saveexec_b64 s[46:47], vcc
	s_cbranch_execz .LBB95_386
; %bb.2:
	s_andn2_b64 vcc, exec, s[24:25]
	s_cbranch_vccnz .LBB95_8
; %bb.3:
	s_andn2_b64 vcc, exec, s[38:39]
	s_cbranch_vccnz .LBB95_9
; %bb.4:
	s_add_i32 s0, s76, 1
	s_and_b32 s40, s0, 30
	s_add_u32 s0, s2, 0xffffffe8
	s_addc_u32 s1, s3, -1
	v_mov_b32_e32 v3, 0
	v_mov_b32_e32 v5, 0
	;; [unrolled: 1-line block ×4, first 2 shown]
.LBB95_5:                               ; =>This Inner Loop Header: Depth=1
	s_load_dwordx4 s[52:55], s[0:1], 0x1c
	s_load_dwordx2 s[42:43], s[0:1], 0x2c
	s_load_dwordx2 s[44:45], s[0:1], 0xec
	s_load_dwordx4 s[56:59], s[0:1], 0xdc
	s_add_u32 s0, s0, 24
	s_waitcnt lgkmcnt(0)
	v_mul_hi_u32 v2, s53, v1
	s_addc_u32 s1, s1, 0
	s_add_i32 s40, s40, -2
	s_cmp_lg_u32 s40, 0
	v_add_u32_e32 v2, v1, v2
	v_lshrrev_b32_e32 v2, s54, v2
	v_mul_lo_u32 v4, v2, s52
	v_mul_hi_u32 v6, s42, v2
	v_sub_u32_e32 v4, v1, v4
	v_add_u32_e32 v1, v2, v6
	v_lshrrev_b32_e32 v1, s43, v1
	v_mul_lo_u32 v8, v1, s55
	v_mul_lo_u32 v6, v4, s56
	;; [unrolled: 1-line block ×4, first 2 shown]
	v_sub_u32_e32 v2, v2, v8
	v_mul_lo_u32 v8, v2, s59
	v_mul_lo_u32 v9, v2, s44
	;; [unrolled: 1-line block ×3, first 2 shown]
	v_add3_u32 v0, v6, v0, v8
	v_add3_u32 v5, v7, v5, v9
	v_add3_u32 v3, v4, v3, v2
	s_cbranch_scc1 .LBB95_5
; %bb.6:
	s_bitcmp1_b32 s76, 0
	s_cselect_b64 s[40:41], -1, 0
	s_and_b64 vcc, exec, s[40:41]
	s_cbranch_vccnz .LBB95_10
; %bb.7:
	s_load_dwordx2 s[40:41], s[0:1], 0x1c
	s_load_dword s44, s[0:1], 0x24
	s_load_dwordx2 s[42:43], s[0:1], 0xdc
	s_waitcnt lgkmcnt(0)
	v_mul_hi_u32 v2, s41, v1
	v_add_u32_e32 v2, v1, v2
	v_lshrrev_b32_e32 v2, s44, v2
	v_mul_lo_u32 v2, v2, s40
	s_load_dword s40, s[0:1], 0xe4
	v_sub_u32_e32 v2, v1, v2
	v_mad_u64_u32 v[0:1], s[0:1], v2, s42, v[0:1]
	v_mad_u64_u32 v[5:6], s[0:1], v2, s43, v[5:6]
	s_waitcnt lgkmcnt(0)
	v_mad_u64_u32 v[3:4], s[0:1], v2, s40, v[3:4]
	s_cbranch_execz .LBB95_11
	s_branch .LBB95_13
.LBB95_8:
                                        ; implicit-def: $vgpr0
                                        ; implicit-def: $vgpr5
                                        ; implicit-def: $vgpr3
	s_andn2_b64 vcc, exec, s[0:1]
	s_cbranch_vccz .LBB95_11
	s_branch .LBB95_13
.LBB95_9:
	v_mov_b32_e32 v0, 0
	v_mov_b32_e32 v5, 0
	;; [unrolled: 1-line block ×3, first 2 shown]
.LBB95_10:
	s_cbranch_execnz .LBB95_13
.LBB95_11:
	v_mul_hi_u32 v0, s17, v10
	s_andn2_b64 vcc, exec, s[36:37]
	v_add_u32_e32 v0, v10, v0
	v_lshrrev_b32_e32 v1, s18, v0
	v_mul_lo_u32 v0, v1, s16
	v_sub_u32_e32 v2, v10, v0
	v_mul_lo_u32 v0, v2, s20
	v_mul_lo_u32 v5, v2, s21
	;; [unrolled: 1-line block ×3, first 2 shown]
	s_cbranch_vccnz .LBB95_13
; %bb.12:
	v_mul_hi_u32 v2, s30, v1
	v_add_u32_e32 v2, v1, v2
	v_lshrrev_b32_e32 v2, s31, v2
	v_mul_lo_u32 v2, v2, s19
	v_sub_u32_e32 v2, v1, v2
	v_mad_u64_u32 v[0:1], s[0:1], v2, s23, v[0:1]
	v_mad_u64_u32 v[5:6], s[0:1], v2, s34, v[5:6]
	;; [unrolled: 1-line block ×3, first 2 shown]
.LBB95_13:
	v_mov_b32_e32 v1, s11
	s_and_b32 s42, s75, 0xff
	v_add_co_u32_e32 v4, vcc, s10, v5
	s_cmp_lt_i32 s42, 11
	v_addc_co_u32_e32 v5, vcc, 0, v1, vcc
	s_cbranch_scc1 .LBB95_20
; %bb.14:
	s_and_b32 s43, 0xffff, s42
	s_cmp_gt_i32 s43, 25
	s_cbranch_scc0 .LBB95_29
; %bb.15:
	s_cmp_gt_i32 s43, 28
	s_cbranch_scc0 .LBB95_39
; %bb.16:
	;; [unrolled: 3-line block ×4, first 2 shown]
	s_cmp_eq_u32 s43, 46
	s_mov_b64 s[40:41], 0
	s_cbranch_scc0 .LBB95_48
; %bb.19:
	global_load_dword v1, v[4:5], off
	s_mov_b32 s0, 0x2f800000
	s_mov_b32 s1, 0xcf800000
	s_mov_b64 s[44:45], 0
	s_waitcnt vmcnt(0)
	v_lshlrev_b32_e32 v1, 16, v1
	v_trunc_f32_e32 v1, v1
	v_mul_f32_e64 v2, |v1|, s0
	v_floor_f32_e32 v2, v2
	v_fma_f32 v6, v2, s1, |v1|
	v_cvt_u32_f32_e32 v6, v6
	v_cvt_u32_f32_e32 v2, v2
	v_ashrrev_i32_e32 v7, 31, v1
	s_mov_b64 s[0:1], -1
	v_xor_b32_e32 v1, v6, v7
	v_xor_b32_e32 v2, v2, v7
	v_sub_co_u32_e32 v1, vcc, v1, v7
	v_subb_co_u32_e32 v2, vcc, v2, v7, vcc
	s_branch .LBB95_50
.LBB95_20:
	s_mov_b64 s[44:45], 0
                                        ; implicit-def: $vgpr1_vgpr2
	s_mov_b64 s[0:1], 0
	s_cbranch_execnz .LBB95_112
.LBB95_21:
	s_andn2_b64 vcc, exec, s[0:1]
	s_cbranch_vccnz .LBB95_159
.LBB95_22:
	v_mov_b32_e32 v4, s13
	s_and_b32 s48, s74, 0xff
	v_add_co_u32_e32 v3, vcc, s12, v3
	s_cmp_lt_i32 s48, 11
	v_addc_co_u32_e32 v4, vcc, 0, v4, vcc
	s_cbranch_scc1 .LBB95_30
; %bb.23:
	s_and_b32 s49, 0xffff, s48
	s_cmp_gt_i32 s49, 25
	s_cbranch_scc0 .LBB95_40
; %bb.24:
	s_cmp_gt_i32 s49, 28
	s_cbranch_scc0 .LBB95_43
; %bb.25:
	;; [unrolled: 3-line block ×4, first 2 shown]
	s_cmp_eq_u32 s49, 46
	s_mov_b64 s[40:41], 0
	s_cbranch_scc0 .LBB95_160
; %bb.28:
	global_load_dword v5, v[3:4], off
	s_mov_b32 s0, 0x2f800000
	s_mov_b32 s1, 0xcf800000
	s_mov_b64 s[42:43], 0
	s_waitcnt vmcnt(0)
	v_lshlrev_b32_e32 v5, 16, v5
	v_trunc_f32_e32 v5, v5
	v_mul_f32_e64 v6, |v5|, s0
	v_floor_f32_e32 v6, v6
	v_fma_f32 v7, v6, s1, |v5|
	v_cvt_u32_f32_e32 v7, v7
	v_cvt_u32_f32_e32 v6, v6
	v_ashrrev_i32_e32 v8, 31, v5
	s_mov_b64 s[0:1], -1
	v_xor_b32_e32 v5, v7, v8
	v_xor_b32_e32 v6, v6, v8
	v_sub_co_u32_e32 v5, vcc, v5, v8
	v_subb_co_u32_e32 v6, vcc, v6, v8, vcc
	s_branch .LBB95_162
.LBB95_29:
	s_mov_b64 s[44:45], 0
	s_mov_b64 s[0:1], 0
                                        ; implicit-def: $vgpr1_vgpr2
	s_cbranch_execnz .LBB95_81
	s_branch .LBB95_111
.LBB95_30:
	s_mov_b64 s[42:43], 0
                                        ; implicit-def: $vgpr5_vgpr6
	s_mov_b64 s[0:1], 0
	s_cbranch_execnz .LBB95_335
.LBB95_31:
	s_andn2_b64 vcc, exec, s[0:1]
	s_cbranch_vccnz .LBB95_383
.LBB95_32:
	s_waitcnt vmcnt(0)
	v_cmp_lt_i64_e32 vcc, s[14:15], v[1:2]
	v_mov_b32_e32 v3, s29
	v_mov_b32_e32 v1, s28
	v_cndmask_b32_e32 v2, v3, v6, vcc
	v_cndmask_b32_e32 v1, v1, v5, vcc
	v_mov_b32_e32 v4, s9
	s_and_b32 s54, s73, 0xff
	v_add_co_u32_e32 v3, vcc, s8, v0
	s_cmp_lt_i32 s54, 11
	v_addc_co_u32_e32 v4, vcc, 0, v4, vcc
	s_cbranch_scc1 .LBB95_41
; %bb.33:
	s_and_b32 s55, 0xffff, s54
	s_cmp_gt_i32 s55, 25
	s_cbranch_scc0 .LBB95_44
; %bb.34:
	s_cmp_gt_i32 s55, 28
	s_cbranch_scc0 .LBB95_47
; %bb.35:
	;; [unrolled: 3-line block ×4, first 2 shown]
	s_mov_b64 s[48:49], 0
	s_mov_b64 s[0:1], -1
	s_cmp_eq_u32 s55, 46
	s_mov_b64 s[40:41], 0
	s_cbranch_scc0 .LBB95_166
; %bb.38:
	v_xor_b32_e32 v5, v1, v2
	v_ffbh_i32_e32 v0, v2
	v_ashrrev_i32_e32 v5, 31, v5
	v_add_u32_e32 v0, -1, v0
	v_add_u32_e32 v5, 32, v5
	v_min_u32_e32 v0, v0, v5
	v_lshlrev_b64 v[5:6], v0, v[1:2]
	v_sub_u32_e32 v0, 32, v0
	v_min_u32_e32 v5, 1, v5
	v_or_b32_e32 v5, v6, v5
	v_cvt_f32_i32_e32 v5, v5
	s_movk_i32 s0, 0x7fff
	s_mov_b64 s[40:41], -1
	v_ldexp_f32 v0, v5, v0
	v_bfe_u32 v5, v0, 16, 1
	v_add3_u32 v0, v0, v5, s0
	v_lshrrev_b32_e32 v0, 16, v0
	global_store_dword v[3:4], v0, off
	s_mov_b64 s[0:1], 0
	s_branch .LBB95_166
.LBB95_39:
	s_mov_b64 s[40:41], -1
	s_mov_b64 s[44:45], 0
	s_mov_b64 s[0:1], 0
                                        ; implicit-def: $vgpr1_vgpr2
	s_branch .LBB95_62
.LBB95_40:
	s_mov_b64 s[40:41], -1
	s_mov_b64 s[42:43], 0
	s_mov_b64 s[0:1], 0
                                        ; implicit-def: $vgpr5_vgpr6
	s_branch .LBB95_303
.LBB95_41:
	s_mov_b64 s[48:49], -1
	s_mov_b64 s[0:1], 0
	s_mov_b64 s[40:41], 0
	s_branch .LBB95_235
.LBB95_42:
	s_mov_b64 s[40:41], -1
	s_mov_b64 s[44:45], 0
	s_mov_b64 s[0:1], 0
                                        ; implicit-def: $vgpr1_vgpr2
	s_branch .LBB95_57
.LBB95_43:
	s_mov_b64 s[40:41], -1
	s_mov_b64 s[42:43], 0
	s_mov_b64 s[0:1], 0
                                        ; implicit-def: $vgpr5_vgpr6
	s_branch .LBB95_284
.LBB95_44:
	s_mov_b64 s[48:49], -1
	s_mov_b64 s[0:1], 0
	s_mov_b64 s[40:41], 0
	s_branch .LBB95_193
.LBB95_45:
	s_mov_b64 s[40:41], -1
	s_mov_b64 s[44:45], 0
	s_branch .LBB95_49
.LBB95_46:
	s_mov_b64 s[40:41], -1
	s_mov_b64 s[42:43], 0
	s_mov_b64 s[0:1], 0
                                        ; implicit-def: $vgpr5_vgpr6
	s_branch .LBB95_279
.LBB95_47:
	s_mov_b64 s[48:49], -1
	s_mov_b64 s[0:1], 0
	s_mov_b64 s[40:41], 0
	s_branch .LBB95_176
.LBB95_48:
	s_mov_b64 s[44:45], -1
.LBB95_49:
	s_mov_b64 s[0:1], 0
                                        ; implicit-def: $vgpr1_vgpr2
.LBB95_50:
	s_and_b64 vcc, exec, s[40:41]
	s_cbranch_vccz .LBB95_56
; %bb.51:
	s_cmp_eq_u32 s43, 44
	s_cbranch_scc0 .LBB95_55
; %bb.52:
	global_load_ubyte v1, v[4:5], off
	s_mov_b32 s0, 0x2f800000
	s_mov_b32 s1, 0xcf800000
	s_mov_b64 s[44:45], 0
	s_waitcnt vmcnt(0)
	v_lshlrev_b32_e32 v2, 23, v1
	v_trunc_f32_e32 v2, v2
	v_mul_f32_e64 v6, |v2|, s0
	v_floor_f32_e32 v6, v6
	v_fma_f32 v7, v6, s1, |v2|
	v_cvt_u32_f32_e32 v7, v7
	v_cvt_u32_f32_e32 v6, v6
	v_ashrrev_i32_e32 v2, 31, v2
	s_mov_b64 s[0:1], -1
	v_xor_b32_e32 v7, v7, v2
	v_xor_b32_e32 v6, v6, v2
	v_sub_co_u32_e32 v7, vcc, v7, v2
	v_subb_co_u32_e32 v2, vcc, v6, v2, vcc
	v_cmp_ne_u32_e32 vcc, 0, v1
	v_cndmask_b32_e32 v2, 0, v2, vcc
	v_cndmask_b32_e32 v1, 0, v7, vcc
	s_branch .LBB95_56
.LBB95_53:
	s_mov_b64 s[40:41], -1
	s_mov_b64 s[42:43], 0
	s_branch .LBB95_161
.LBB95_54:
	s_mov_b64 s[48:49], -1
	s_mov_b64 s[0:1], 0
	s_mov_b64 s[40:41], 0
	s_branch .LBB95_172
.LBB95_55:
	s_mov_b64 s[44:45], -1
                                        ; implicit-def: $vgpr1_vgpr2
.LBB95_56:
	s_mov_b64 s[40:41], 0
.LBB95_57:
	s_and_b64 vcc, exec, s[40:41]
	s_cbranch_vccz .LBB95_61
; %bb.58:
	s_cmp_eq_u32 s43, 29
	s_cbranch_scc0 .LBB95_60
; %bb.59:
	global_load_dwordx2 v[1:2], v[4:5], off
	s_mov_b64 s[0:1], -1
	s_mov_b64 s[44:45], 0
	s_branch .LBB95_61
.LBB95_60:
	s_mov_b64 s[44:45], -1
                                        ; implicit-def: $vgpr1_vgpr2
.LBB95_61:
	s_mov_b64 s[40:41], 0
.LBB95_62:
	s_and_b64 vcc, exec, s[40:41]
	s_cbranch_vccz .LBB95_80
; %bb.63:
	s_cmp_lt_i32 s43, 27
	s_cbranch_scc1 .LBB95_66
; %bb.64:
	s_cmp_gt_i32 s43, 27
	s_cbranch_scc0 .LBB95_67
; %bb.65:
	global_load_dword v1, v[4:5], off
	s_waitcnt vmcnt(1)
	v_mov_b32_e32 v2, 0
	s_mov_b64 s[0:1], 0
	s_branch .LBB95_68
.LBB95_66:
	s_mov_b64 s[0:1], -1
                                        ; implicit-def: $vgpr1_vgpr2
	s_branch .LBB95_71
.LBB95_67:
	s_mov_b64 s[0:1], -1
                                        ; implicit-def: $vgpr1_vgpr2
.LBB95_68:
	s_andn2_b64 vcc, exec, s[0:1]
	s_cbranch_vccnz .LBB95_70
; %bb.69:
	global_load_ushort v1, v[4:5], off
	s_mov_b32 s0, 0
	s_waitcnt vmcnt(1)
	v_mov_b32_e32 v2, s0
	s_waitcnt vmcnt(0)
	v_and_b32_e32 v1, 0xffff, v1
.LBB95_70:
	s_mov_b64 s[0:1], 0
.LBB95_71:
	s_andn2_b64 vcc, exec, s[0:1]
	s_cbranch_vccnz .LBB95_79
; %bb.72:
	global_load_ubyte v6, v[4:5], off
	s_movk_i32 s0, 0x7f
	s_mov_b64 s[40:41], 0
	s_waitcnt vmcnt(0)
	v_cmp_lt_i16_e32 vcc, s0, v6
	s_and_saveexec_b64 s[0:1], vcc
	s_xor_b64 s[0:1], exec, s[0:1]
; %bb.73:
	s_movk_i32 s40, 0x80
	v_cmp_ne_u16_e32 vcc, s40, v6
	s_and_b64 s[40:41], vcc, exec
; %bb.74:
	s_andn2_saveexec_b64 s[0:1], s[0:1]
; %bb.75:
	v_cmp_ne_u16_e32 vcc, 0, v6
	s_andn2_b64 s[40:41], s[40:41], exec
	s_and_b64 s[48:49], vcc, exec
	s_or_b64 s[40:41], s[40:41], s[48:49]
; %bb.76:
	s_or_b64 exec, exec, s[0:1]
	v_mov_b32_e32 v1, 0
	v_mov_b32_e32 v2, 0
	s_and_saveexec_b64 s[0:1], s[40:41]
	s_cbranch_execz .LBB95_78
; %bb.77:
	v_and_b32_e32 v2, 0xffff, v6
	v_lshlrev_b32_e32 v1, 24, v6
	v_and_b32_e32 v6, 7, v2
	v_ffbh_u32_e32 v8, v6
	v_min_u32_e32 v8, 32, v8
	v_subrev_u32_e32 v9, 28, v8
	v_bfe_u32 v7, v2, 3, 4
	v_lshlrev_b32_e32 v2, v9, v2
	v_sub_u32_e32 v8, 29, v8
	v_and_b32_e32 v2, 7, v2
	v_cmp_eq_u32_e32 vcc, 0, v7
	v_cndmask_b32_e32 v7, v7, v8, vcc
	v_cndmask_b32_e32 v2, v6, v2, vcc
	v_mov_b32_e32 v6, 0x3b800000
	v_lshlrev_b32_e32 v2, 20, v2
	v_and_b32_e32 v1, 0x80000000, v1
	v_lshl_add_u32 v6, v7, 23, v6
	v_or3_b32 v1, v1, v6, v2
	v_trunc_f32_e32 v1, v1
	s_mov_b32 s40, 0x2f800000
	v_mul_f32_e64 v2, |v1|, s40
	v_floor_f32_e32 v2, v2
	s_mov_b32 s40, 0xcf800000
	v_fma_f32 v6, v2, s40, |v1|
	v_cvt_u32_f32_e32 v6, v6
	v_cvt_u32_f32_e32 v2, v2
	v_ashrrev_i32_e32 v7, 31, v1
	v_xor_b32_e32 v1, v6, v7
	v_xor_b32_e32 v2, v2, v7
	v_sub_co_u32_e32 v1, vcc, v1, v7
	v_subb_co_u32_e32 v2, vcc, v2, v7, vcc
.LBB95_78:
	s_or_b64 exec, exec, s[0:1]
.LBB95_79:
	s_mov_b64 s[0:1], -1
.LBB95_80:
	s_branch .LBB95_111
.LBB95_81:
	s_cmp_gt_i32 s43, 22
	s_cbranch_scc0 .LBB95_91
; %bb.82:
	s_cmp_lt_i32 s43, 24
	s_cbranch_scc1 .LBB95_92
; %bb.83:
	s_cmp_gt_i32 s43, 24
	s_cbranch_scc0 .LBB95_93
; %bb.84:
	global_load_ubyte v6, v[4:5], off
	s_movk_i32 s0, 0x7f
	s_mov_b64 s[40:41], 0
	s_waitcnt vmcnt(0)
	v_cmp_lt_i16_e32 vcc, s0, v6
	s_and_saveexec_b64 s[0:1], vcc
	s_xor_b64 s[0:1], exec, s[0:1]
; %bb.85:
	s_movk_i32 s40, 0x80
	v_cmp_ne_u16_e32 vcc, s40, v6
	s_and_b64 s[40:41], vcc, exec
; %bb.86:
	s_andn2_saveexec_b64 s[0:1], s[0:1]
; %bb.87:
	v_cmp_ne_u16_e32 vcc, 0, v6
	s_andn2_b64 s[40:41], s[40:41], exec
	s_and_b64 s[48:49], vcc, exec
	s_or_b64 s[40:41], s[40:41], s[48:49]
; %bb.88:
	s_or_b64 exec, exec, s[0:1]
	v_mov_b32_e32 v1, 0
	v_mov_b32_e32 v2, 0
	s_and_saveexec_b64 s[0:1], s[40:41]
	s_cbranch_execz .LBB95_90
; %bb.89:
	v_and_b32_e32 v2, 0xffff, v6
	v_lshlrev_b32_e32 v1, 24, v6
	v_and_b32_e32 v6, 3, v2
	v_ffbh_u32_e32 v8, v6
	v_min_u32_e32 v8, 32, v8
	v_subrev_u32_e32 v9, 29, v8
	v_bfe_u32 v7, v2, 2, 5
	v_lshlrev_b32_e32 v2, v9, v2
	v_sub_u32_e32 v8, 30, v8
	v_and_b32_e32 v2, 3, v2
	v_cmp_eq_u32_e32 vcc, 0, v7
	v_cndmask_b32_e32 v7, v7, v8, vcc
	v_cndmask_b32_e32 v2, v6, v2, vcc
	v_mov_b32_e32 v6, 0x37800000
	v_lshlrev_b32_e32 v2, 21, v2
	v_and_b32_e32 v1, 0x80000000, v1
	v_lshl_add_u32 v6, v7, 23, v6
	v_or3_b32 v1, v1, v6, v2
	v_trunc_f32_e32 v1, v1
	s_mov_b32 s40, 0x2f800000
	v_mul_f32_e64 v2, |v1|, s40
	v_floor_f32_e32 v2, v2
	s_mov_b32 s40, 0xcf800000
	v_fma_f32 v6, v2, s40, |v1|
	v_cvt_u32_f32_e32 v6, v6
	v_cvt_u32_f32_e32 v2, v2
	v_ashrrev_i32_e32 v7, 31, v1
	v_xor_b32_e32 v1, v6, v7
	v_xor_b32_e32 v2, v2, v7
	v_sub_co_u32_e32 v1, vcc, v1, v7
	v_subb_co_u32_e32 v2, vcc, v2, v7, vcc
.LBB95_90:
	s_or_b64 exec, exec, s[0:1]
	s_mov_b64 s[0:1], 0
	s_branch .LBB95_94
.LBB95_91:
	s_mov_b64 s[40:41], -1
                                        ; implicit-def: $vgpr1_vgpr2
	s_branch .LBB95_100
.LBB95_92:
	s_mov_b64 s[0:1], -1
                                        ; implicit-def: $vgpr1_vgpr2
	s_branch .LBB95_97
.LBB95_93:
	s_mov_b64 s[0:1], -1
                                        ; implicit-def: $vgpr1_vgpr2
.LBB95_94:
	s_and_b64 vcc, exec, s[0:1]
	s_cbranch_vccz .LBB95_96
; %bb.95:
	global_load_ubyte v1, v[4:5], off
	s_mov_b32 s0, 0x7f800000
	s_brev_b32 s1, 1
	s_mov_b32 s40, 0x2f800000
	s_mov_b32 s41, 0xcf800000
	s_waitcnt vmcnt(0)
	v_lshlrev_b32_e32 v1, 24, v1
	v_and_b32_e32 v2, 0x7f000000, v1
	v_ffbh_u32_e32 v6, v2
	v_min_u32_e32 v6, 32, v6
	v_sub_u32_e64 v6, v6, 4 clamp
	v_lshlrev_b32_e32 v8, v6, v2
	v_lshlrev_b32_e32 v6, 23, v6
	v_lshrrev_b32_e32 v8, 4, v8
	v_add_u32_e32 v7, 0x1000000, v2
	v_sub_u32_e32 v6, v8, v6
	v_ashrrev_i32_e32 v7, 8, v7
	v_add_u32_e32 v6, 0x3c000000, v6
	v_and_or_b32 v6, v7, s0, v6
	v_cmp_ne_u32_e32 vcc, 0, v2
	v_cndmask_b32_e32 v2, 0, v6, vcc
	v_and_or_b32 v1, v1, s1, v2
	v_trunc_f32_e32 v1, v1
	v_mul_f32_e64 v2, |v1|, s40
	v_floor_f32_e32 v2, v2
	v_fma_f32 v6, v2, s41, |v1|
	v_cvt_u32_f32_e32 v6, v6
	v_cvt_u32_f32_e32 v2, v2
	v_ashrrev_i32_e32 v7, 31, v1
	v_xor_b32_e32 v1, v6, v7
	v_xor_b32_e32 v2, v2, v7
	v_sub_co_u32_e32 v1, vcc, v1, v7
	v_subb_co_u32_e32 v2, vcc, v2, v7, vcc
.LBB95_96:
	s_mov_b64 s[0:1], 0
.LBB95_97:
	s_andn2_b64 vcc, exec, s[0:1]
	s_cbranch_vccnz .LBB95_99
; %bb.98:
	global_load_ubyte v1, v[4:5], off
	s_movk_i32 s0, 0x7f00
	s_brev_b32 s1, 16
	s_brev_b32 s40, 1
	s_mov_b32 s41, 0x2f800000
	s_mov_b32 s48, 0xcf800000
	s_waitcnt vmcnt(0)
	v_lshlrev_b16_e32 v2, 8, v1
	v_lshlrev_b32_e32 v1, 25, v1
	v_lshrrev_b32_e32 v6, 4, v1
	v_and_or_b32 v7, v2, s0, 0.5
	v_or_b32_e32 v6, 0x70000000, v6
	v_add_f32_e32 v7, -0.5, v7
	v_mul_f32_e32 v6, 0x7800000, v6
	v_cmp_gt_u32_e32 vcc, s1, v1
	v_bfe_i32 v2, v2, 0, 16
	v_cndmask_b32_e32 v1, v6, v7, vcc
	v_and_or_b32 v1, v2, s40, v1
	v_trunc_f32_e32 v1, v1
	v_mul_f32_e64 v2, |v1|, s41
	v_floor_f32_e32 v2, v2
	v_fma_f32 v6, v2, s48, |v1|
	v_cvt_u32_f32_e32 v6, v6
	v_cvt_u32_f32_e32 v2, v2
	v_ashrrev_i32_e32 v7, 31, v1
	v_xor_b32_e32 v1, v6, v7
	v_xor_b32_e32 v2, v2, v7
	v_sub_co_u32_e32 v1, vcc, v1, v7
	v_subb_co_u32_e32 v2, vcc, v2, v7, vcc
.LBB95_99:
	s_mov_b64 s[40:41], 0
	s_mov_b64 s[0:1], -1
.LBB95_100:
	s_andn2_b64 vcc, exec, s[40:41]
	s_cbranch_vccnz .LBB95_111
; %bb.101:
	s_cmp_gt_i32 s43, 14
	s_cbranch_scc0 .LBB95_104
; %bb.102:
	s_cmp_eq_u32 s43, 15
	s_cbranch_scc0 .LBB95_105
; %bb.103:
	global_load_ushort v1, v[4:5], off
	s_mov_b32 s0, 0x2f800000
	s_mov_b32 s1, 0xcf800000
	s_mov_b64 s[44:45], 0
	s_waitcnt vmcnt(0)
	v_lshlrev_b32_e32 v1, 16, v1
	v_trunc_f32_e32 v1, v1
	v_mul_f32_e64 v2, |v1|, s0
	v_floor_f32_e32 v2, v2
	v_fma_f32 v6, v2, s1, |v1|
	v_cvt_u32_f32_e32 v6, v6
	v_cvt_u32_f32_e32 v2, v2
	v_ashrrev_i32_e32 v7, 31, v1
	s_mov_b64 s[0:1], -1
	v_xor_b32_e32 v1, v6, v7
	v_xor_b32_e32 v2, v2, v7
	v_sub_co_u32_e32 v1, vcc, v1, v7
	v_subb_co_u32_e32 v2, vcc, v2, v7, vcc
	s_branch .LBB95_106
.LBB95_104:
	s_mov_b64 s[40:41], -1
                                        ; implicit-def: $vgpr1_vgpr2
	s_branch .LBB95_107
.LBB95_105:
	s_mov_b64 s[44:45], -1
                                        ; implicit-def: $vgpr1_vgpr2
.LBB95_106:
	s_mov_b64 s[40:41], 0
.LBB95_107:
	s_and_b64 vcc, exec, s[40:41]
	s_cbranch_vccz .LBB95_111
; %bb.108:
	s_cmp_eq_u32 s43, 11
	s_cbranch_scc0 .LBB95_110
; %bb.109:
	global_load_ubyte v1, v[4:5], off
	s_mov_b32 s40, 0
	s_mov_b64 s[0:1], -1
	s_waitcnt vmcnt(1)
	v_mov_b32_e32 v2, s40
	s_mov_b64 s[44:45], 0
	s_waitcnt vmcnt(0)
	v_cmp_ne_u16_e32 vcc, 0, v1
	v_cndmask_b32_e64 v1, 0, 1, vcc
	s_branch .LBB95_111
.LBB95_110:
	s_mov_b64 s[44:45], -1
                                        ; implicit-def: $vgpr1_vgpr2
.LBB95_111:
	s_branch .LBB95_21
.LBB95_112:
	s_and_b32 s40, 0xffff, s42
	s_cmp_lt_i32 s40, 5
	s_cbranch_scc1 .LBB95_117
; %bb.113:
	s_cmp_lt_i32 s40, 8
	s_cbranch_scc1 .LBB95_118
; %bb.114:
	;; [unrolled: 3-line block ×3, first 2 shown]
	s_cmp_gt_i32 s40, 9
	s_cbranch_scc0 .LBB95_120
; %bb.116:
	global_load_dwordx2 v[1:2], v[4:5], off
	s_movk_i32 s0, 0xffe0
	s_waitcnt vmcnt(0)
	v_trunc_f64_e32 v[1:2], v[1:2]
	v_ldexp_f64 v[6:7], v[1:2], s0
	s_mov_b32 s0, 0
	s_mov_b32 s1, 0xc1f00000
	v_floor_f64_e32 v[6:7], v[6:7]
	v_fma_f64 v[8:9], v[6:7], s[0:1], v[1:2]
	v_cvt_i32_f64_e32 v2, v[6:7]
	s_mov_b64 s[0:1], 0
	v_cvt_u32_f64_e32 v1, v[8:9]
	s_branch .LBB95_121
.LBB95_117:
                                        ; implicit-def: $vgpr1_vgpr2
	s_branch .LBB95_139
.LBB95_118:
	s_mov_b64 s[0:1], -1
                                        ; implicit-def: $vgpr1_vgpr2
	s_branch .LBB95_127
.LBB95_119:
	s_mov_b64 s[0:1], -1
                                        ; implicit-def: $vgpr1_vgpr2
	s_branch .LBB95_124
.LBB95_120:
	s_mov_b64 s[0:1], -1
                                        ; implicit-def: $vgpr1_vgpr2
.LBB95_121:
	s_andn2_b64 vcc, exec, s[0:1]
	s_cbranch_vccnz .LBB95_123
; %bb.122:
	global_load_dword v1, v[4:5], off
	s_mov_b32 s0, 0x2f800000
	s_mov_b32 s1, 0xcf800000
	s_waitcnt vmcnt(0)
	v_trunc_f32_e32 v1, v1
	v_mul_f32_e64 v2, |v1|, s0
	v_floor_f32_e32 v2, v2
	v_cvt_u32_f32_e32 v6, v2
	v_fma_f32 v2, v2, s1, |v1|
	v_cvt_u32_f32_e32 v2, v2
	v_ashrrev_i32_e32 v7, 31, v1
	v_xor_b32_e32 v6, v6, v7
	v_xor_b32_e32 v1, v2, v7
	v_sub_co_u32_e32 v1, vcc, v1, v7
	v_subb_co_u32_e32 v2, vcc, v6, v7, vcc
.LBB95_123:
	s_mov_b64 s[0:1], 0
.LBB95_124:
	s_andn2_b64 vcc, exec, s[0:1]
	s_cbranch_vccnz .LBB95_126
; %bb.125:
	global_load_dword v1, v[4:5], off
	s_waitcnt vmcnt(0)
	v_cvt_f32_f16_e32 v1, v1
	v_cvt_i32_f32_e32 v1, v1
	v_ashrrev_i32_e32 v2, 31, v1
.LBB95_126:
	s_mov_b64 s[0:1], 0
.LBB95_127:
	s_andn2_b64 vcc, exec, s[0:1]
	s_cbranch_vccnz .LBB95_138
; %bb.128:
	s_cmp_lt_i32 s40, 6
	s_cbranch_scc1 .LBB95_131
; %bb.129:
	s_cmp_gt_i32 s40, 6
	s_cbranch_scc0 .LBB95_132
; %bb.130:
	global_load_dwordx2 v[1:2], v[4:5], off
	s_movk_i32 s0, 0xffe0
	s_waitcnt vmcnt(0)
	v_trunc_f64_e32 v[1:2], v[1:2]
	v_ldexp_f64 v[6:7], v[1:2], s0
	s_mov_b32 s0, 0
	s_mov_b32 s1, 0xc1f00000
	v_floor_f64_e32 v[6:7], v[6:7]
	v_fma_f64 v[8:9], v[6:7], s[0:1], v[1:2]
	v_cvt_i32_f64_e32 v2, v[6:7]
	s_mov_b64 s[0:1], 0
	v_cvt_u32_f64_e32 v1, v[8:9]
	s_branch .LBB95_133
.LBB95_131:
	s_mov_b64 s[0:1], -1
                                        ; implicit-def: $vgpr1_vgpr2
	s_branch .LBB95_136
.LBB95_132:
	s_mov_b64 s[0:1], -1
                                        ; implicit-def: $vgpr1_vgpr2
.LBB95_133:
	s_andn2_b64 vcc, exec, s[0:1]
	s_cbranch_vccnz .LBB95_135
; %bb.134:
	global_load_dword v1, v[4:5], off
	s_mov_b32 s0, 0x2f800000
	s_mov_b32 s1, 0xcf800000
	s_waitcnt vmcnt(0)
	v_trunc_f32_e32 v1, v1
	v_mul_f32_e64 v2, |v1|, s0
	v_floor_f32_e32 v2, v2
	v_cvt_u32_f32_e32 v6, v2
	v_fma_f32 v2, v2, s1, |v1|
	v_cvt_u32_f32_e32 v2, v2
	v_ashrrev_i32_e32 v7, 31, v1
	v_xor_b32_e32 v6, v6, v7
	v_xor_b32_e32 v1, v2, v7
	v_sub_co_u32_e32 v1, vcc, v1, v7
	v_subb_co_u32_e32 v2, vcc, v6, v7, vcc
.LBB95_135:
	s_mov_b64 s[0:1], 0
.LBB95_136:
	s_andn2_b64 vcc, exec, s[0:1]
	s_cbranch_vccnz .LBB95_138
; %bb.137:
	global_load_ushort v1, v[4:5], off
	s_waitcnt vmcnt(0)
	v_cvt_f32_f16_e32 v1, v1
	v_cvt_i32_f32_e32 v1, v1
	v_ashrrev_i32_e32 v2, 31, v1
.LBB95_138:
	s_cbranch_execnz .LBB95_158
.LBB95_139:
	s_cmp_lt_i32 s40, 2
	s_cbranch_scc1 .LBB95_143
; %bb.140:
	s_cmp_lt_i32 s40, 3
	s_cbranch_scc1 .LBB95_144
; %bb.141:
	s_cmp_gt_i32 s40, 3
	s_cbranch_scc0 .LBB95_145
; %bb.142:
	global_load_dwordx2 v[1:2], v[4:5], off
	s_mov_b64 s[0:1], 0
	s_branch .LBB95_146
.LBB95_143:
	s_mov_b64 s[0:1], -1
                                        ; implicit-def: $vgpr1_vgpr2
	s_branch .LBB95_152
.LBB95_144:
	s_mov_b64 s[0:1], -1
                                        ; implicit-def: $vgpr1_vgpr2
	s_branch .LBB95_149
.LBB95_145:
	s_mov_b64 s[0:1], -1
                                        ; implicit-def: $vgpr1_vgpr2
.LBB95_146:
	s_andn2_b64 vcc, exec, s[0:1]
	s_cbranch_vccnz .LBB95_148
; %bb.147:
	global_load_dword v1, v[4:5], off
	s_waitcnt vmcnt(0)
	v_ashrrev_i32_e32 v2, 31, v1
.LBB95_148:
	s_mov_b64 s[0:1], 0
.LBB95_149:
	s_andn2_b64 vcc, exec, s[0:1]
	s_cbranch_vccnz .LBB95_151
; %bb.150:
	global_load_ushort v1, v[4:5], off
	s_waitcnt vmcnt(0)
	v_bfe_i32 v1, v1, 0, 16
	v_ashrrev_i32_e32 v2, 31, v1
.LBB95_151:
	s_mov_b64 s[0:1], 0
.LBB95_152:
	s_andn2_b64 vcc, exec, s[0:1]
	s_cbranch_vccnz .LBB95_158
; %bb.153:
	s_cmp_gt_i32 s40, 0
	s_cbranch_scc0 .LBB95_155
; %bb.154:
	global_load_sbyte v1, v[4:5], off
	s_mov_b64 s[0:1], 0
	s_waitcnt vmcnt(0)
	v_bfe_i32 v1, v1, 0, 16
	v_ashrrev_i32_e32 v2, 31, v1
	s_branch .LBB95_156
.LBB95_155:
	s_mov_b64 s[0:1], -1
                                        ; implicit-def: $vgpr1_vgpr2
.LBB95_156:
	s_andn2_b64 vcc, exec, s[0:1]
	s_cbranch_vccnz .LBB95_158
; %bb.157:
	global_load_ubyte v1, v[4:5], off
	s_mov_b32 s0, 0
	s_waitcnt vmcnt(1)
	v_mov_b32_e32 v2, s0
	s_waitcnt vmcnt(0)
	v_and_b32_e32 v1, 0xffff, v1
.LBB95_158:
	s_branch .LBB95_22
.LBB95_159:
	s_mov_b64 s[0:1], 0
	s_mov_b64 s[42:43], 0
	s_branch .LBB95_384
.LBB95_160:
	s_mov_b64 s[42:43], -1
.LBB95_161:
	s_mov_b64 s[0:1], 0
                                        ; implicit-def: $vgpr5_vgpr6
.LBB95_162:
	s_and_b64 vcc, exec, s[40:41]
	s_cbranch_vccz .LBB95_278
; %bb.163:
	s_cmp_eq_u32 s49, 44
	s_cbranch_scc0 .LBB95_277
; %bb.164:
	global_load_ubyte v5, v[3:4], off
	s_mov_b32 s0, 0x2f800000
	s_mov_b32 s1, 0xcf800000
	s_mov_b64 s[42:43], 0
	s_waitcnt vmcnt(0)
	v_lshlrev_b32_e32 v6, 23, v5
	v_trunc_f32_e32 v6, v6
	v_mul_f32_e64 v7, |v6|, s0
	v_floor_f32_e32 v7, v7
	v_fma_f32 v8, v7, s1, |v6|
	v_cvt_u32_f32_e32 v8, v8
	v_cvt_u32_f32_e32 v7, v7
	v_ashrrev_i32_e32 v6, 31, v6
	s_mov_b64 s[0:1], -1
	v_xor_b32_e32 v8, v8, v6
	v_xor_b32_e32 v7, v7, v6
	v_sub_co_u32_e32 v8, vcc, v8, v6
	v_subb_co_u32_e32 v6, vcc, v7, v6, vcc
	v_cmp_ne_u32_e32 vcc, 0, v5
	v_cndmask_b32_e32 v6, 0, v6, vcc
	v_cndmask_b32_e32 v5, 0, v8, vcc
	s_branch .LBB95_278
.LBB95_165:
	s_mov_b64 s[48:49], -1
	s_mov_b64 s[0:1], 0
	s_mov_b64 s[40:41], 0
.LBB95_166:
	s_and_b64 vcc, exec, s[48:49]
	s_cbranch_vccz .LBB95_171
; %bb.167:
	s_cmp_eq_u32 s55, 44
	s_mov_b64 s[0:1], -1
	s_cbranch_scc0 .LBB95_171
; %bb.168:
	v_xor_b32_e32 v5, v1, v2
	v_ffbh_i32_e32 v0, v2
	v_ashrrev_i32_e32 v5, 31, v5
	v_add_u32_e32 v0, -1, v0
	v_add_u32_e32 v5, 32, v5
	v_min_u32_e32 v0, v0, v5
	v_lshlrev_b64 v[5:6], v0, v[1:2]
	v_sub_u32_e32 v0, 32, v0
	v_min_u32_e32 v5, 1, v5
	v_or_b32_e32 v5, v6, v5
	v_cvt_f32_i32_e32 v5, v5
	s_movk_i32 s0, 0xff
	v_mov_b32_e32 v6, 0xff
	v_ldexp_f32 v0, v5, v0
	v_bfe_u32 v5, v0, 23, 8
	v_cmp_ne_u32_e32 vcc, s0, v5
	s_and_saveexec_b64 s[40:41], vcc
; %bb.169:
	s_mov_b32 s0, 0x3fffff
	v_lshrrev_b32_e32 v6, 23, v0
	v_and_b32_e32 v7, 0x400000, v0
	v_and_or_b32 v0, v0, s0, v5
	v_cmp_ne_u32_e32 vcc, 0, v7
	v_cmp_ne_u32_e64 s[0:1], 0, v0
	s_and_b64 s[0:1], vcc, s[0:1]
	v_cndmask_b32_e64 v0, 0, 1, s[0:1]
	v_add_u32_e32 v6, v6, v0
; %bb.170:
	s_or_b64 exec, exec, s[40:41]
	s_mov_b64 s[40:41], -1
	s_mov_b64 s[0:1], 0
	global_store_byte v[3:4], v6, off
.LBB95_171:
	s_mov_b64 s[48:49], 0
.LBB95_172:
	s_and_b64 vcc, exec, s[48:49]
	s_cbranch_vccz .LBB95_175
; %bb.173:
	s_cmp_eq_u32 s55, 29
	s_mov_b64 s[0:1], -1
	s_cbranch_scc0 .LBB95_175
; %bb.174:
	global_store_dwordx2 v[3:4], v[1:2], off
	s_mov_b64 s[40:41], -1
	s_mov_b64 s[0:1], 0
.LBB95_175:
	s_mov_b64 s[48:49], 0
.LBB95_176:
	s_and_b64 vcc, exec, s[48:49]
	s_cbranch_vccz .LBB95_192
; %bb.177:
	s_cmp_lt_i32 s55, 27
	s_mov_b64 s[40:41], -1
	s_cbranch_scc1 .LBB95_183
; %bb.178:
	s_cmp_gt_i32 s55, 27
	s_cbranch_scc0 .LBB95_180
; %bb.179:
	s_mov_b64 s[40:41], 0
	global_store_dword v[3:4], v1, off
.LBB95_180:
	s_andn2_b64 vcc, exec, s[40:41]
	s_cbranch_vccnz .LBB95_182
; %bb.181:
	global_store_short v[3:4], v1, off
.LBB95_182:
	s_mov_b64 s[40:41], 0
.LBB95_183:
	s_andn2_b64 vcc, exec, s[40:41]
	s_cbranch_vccnz .LBB95_191
; %bb.184:
	v_xor_b32_e32 v5, v1, v2
	v_ffbh_i32_e32 v0, v2
	v_ashrrev_i32_e32 v5, 31, v5
	v_add_u32_e32 v0, -1, v0
	v_add_u32_e32 v5, 32, v5
	v_min_u32_e32 v0, v0, v5
	v_lshlrev_b64 v[5:6], v0, v[1:2]
	v_sub_u32_e32 v0, 32, v0
	v_min_u32_e32 v5, 1, v5
	v_or_b32_e32 v5, v6, v5
	v_cvt_f32_i32_e32 v5, v5
	s_mov_b32 s40, 0x43800000
	v_mov_b32_e32 v6, 0x80
	v_ldexp_f32 v0, v5, v0
	v_and_b32_e32 v5, 0x7fffffff, v0
	v_cmp_gt_u32_e32 vcc, s40, v5
	s_and_saveexec_b64 s[40:41], vcc
	s_cbranch_execz .LBB95_190
; %bb.185:
	s_mov_b32 s48, 0x3bffffff
	v_cmp_lt_u32_e32 vcc, s48, v5
	s_mov_b64 s[48:49], 0
                                        ; implicit-def: $vgpr5
	s_and_saveexec_b64 s[52:53], vcc
	s_xor_b64 s[52:53], exec, s[52:53]
	s_cbranch_execz .LBB95_426
; %bb.186:
	v_bfe_u32 v5, v0, 20, 1
	s_mov_b32 s56, 0x487ffff
	v_add3_u32 v5, v0, v5, s56
	s_mov_b64 s[48:49], exec
	v_lshrrev_b32_e32 v5, 20, v5
	s_andn2_saveexec_b64 s[52:53], s[52:53]
	s_cbranch_execnz .LBB95_427
.LBB95_187:
	s_or_b64 exec, exec, s[52:53]
	v_mov_b32_e32 v6, 0
	s_and_saveexec_b64 s[52:53], s[48:49]
.LBB95_188:
	v_lshrrev_b32_e32 v0, 24, v0
	s_movk_i32 s48, 0x80
	v_and_or_b32 v6, v0, s48, v5
.LBB95_189:
	s_or_b64 exec, exec, s[52:53]
.LBB95_190:
	s_or_b64 exec, exec, s[40:41]
	global_store_byte v[3:4], v6, off
.LBB95_191:
	s_mov_b64 s[40:41], -1
.LBB95_192:
	s_mov_b64 s[48:49], 0
.LBB95_193:
	s_and_b64 vcc, exec, s[48:49]
	s_cbranch_vccz .LBB95_234
; %bb.194:
	s_cmp_gt_i32 s55, 22
	s_mov_b64 s[48:49], -1
	s_cbranch_scc0 .LBB95_226
; %bb.195:
	s_cmp_lt_i32 s55, 24
	s_mov_b64 s[40:41], -1
	s_cbranch_scc1 .LBB95_215
; %bb.196:
	s_cmp_gt_i32 s55, 24
	s_cbranch_scc0 .LBB95_204
; %bb.197:
	v_xor_b32_e32 v5, v1, v2
	v_ffbh_i32_e32 v0, v2
	v_ashrrev_i32_e32 v5, 31, v5
	v_add_u32_e32 v0, -1, v0
	v_add_u32_e32 v5, 32, v5
	v_min_u32_e32 v0, v0, v5
	v_lshlrev_b64 v[5:6], v0, v[1:2]
	v_sub_u32_e32 v0, 32, v0
	v_min_u32_e32 v5, 1, v5
	v_or_b32_e32 v5, v6, v5
	v_cvt_f32_i32_e32 v5, v5
	s_mov_b32 s40, 0x47800000
	v_mov_b32_e32 v6, 0x80
	v_ldexp_f32 v0, v5, v0
	v_and_b32_e32 v5, 0x7fffffff, v0
	v_cmp_gt_u32_e32 vcc, s40, v5
	s_and_saveexec_b64 s[40:41], vcc
	s_cbranch_execz .LBB95_203
; %bb.198:
	s_mov_b32 s48, 0x37ffffff
	v_cmp_lt_u32_e32 vcc, s48, v5
	s_mov_b64 s[48:49], 0
                                        ; implicit-def: $vgpr5
	s_and_saveexec_b64 s[52:53], vcc
	s_xor_b64 s[52:53], exec, s[52:53]
	s_cbranch_execz .LBB95_541
; %bb.199:
	v_bfe_u32 v5, v0, 21, 1
	s_mov_b32 s56, 0x88fffff
	v_add3_u32 v5, v0, v5, s56
	s_mov_b64 s[48:49], exec
	v_lshrrev_b32_e32 v5, 21, v5
	s_andn2_saveexec_b64 s[52:53], s[52:53]
	s_cbranch_execnz .LBB95_542
.LBB95_200:
	s_or_b64 exec, exec, s[52:53]
	v_mov_b32_e32 v6, 0
	s_and_saveexec_b64 s[52:53], s[48:49]
.LBB95_201:
	v_lshrrev_b32_e32 v0, 24, v0
	s_movk_i32 s48, 0x80
	v_and_or_b32 v6, v0, s48, v5
.LBB95_202:
	s_or_b64 exec, exec, s[52:53]
.LBB95_203:
	s_or_b64 exec, exec, s[40:41]
	s_mov_b64 s[40:41], 0
	global_store_byte v[3:4], v6, off
.LBB95_204:
	s_and_b64 vcc, exec, s[40:41]
	s_cbranch_vccz .LBB95_214
; %bb.205:
	v_xor_b32_e32 v5, v1, v2
	v_ffbh_i32_e32 v0, v2
	v_ashrrev_i32_e32 v5, 31, v5
	v_add_u32_e32 v0, -1, v0
	v_add_u32_e32 v5, 32, v5
	v_min_u32_e32 v0, v0, v5
	v_lshlrev_b64 v[5:6], v0, v[1:2]
	v_sub_u32_e32 v0, 32, v0
	v_min_u32_e32 v5, 1, v5
	v_or_b32_e32 v5, v6, v5
	v_cvt_f32_i32_e32 v5, v5
	s_mov_b32 s40, 0x43f00000
	v_ldexp_f32 v0, v5, v0
	v_and_b32_e32 v6, 0x7fffffff, v0
	v_cmp_gt_u32_e32 vcc, s40, v6
                                        ; implicit-def: $vgpr5
	s_and_saveexec_b64 s[40:41], vcc
	s_xor_b64 s[40:41], exec, s[40:41]
	s_cbranch_execz .LBB95_211
; %bb.206:
	s_mov_b32 s48, 0x3c7fffff
	v_cmp_lt_u32_e32 vcc, s48, v6
                                        ; implicit-def: $vgpr5
	s_and_saveexec_b64 s[48:49], vcc
	s_xor_b64 s[48:49], exec, s[48:49]
; %bb.207:
	v_bfe_u32 v5, v0, 20, 1
	s_mov_b32 s52, 0x407ffff
	v_add3_u32 v5, v0, v5, s52
	v_lshrrev_b32_e32 v6, 20, v5
	v_and_b32_e32 v5, 0xff00000, v5
	s_mov_b32 s52, 0x7f00000
	v_mov_b32_e32 v7, 0x7e
	v_cmp_ne_u32_e32 vcc, s52, v5
	v_cndmask_b32_e32 v5, v7, v6, vcc
; %bb.208:
	s_andn2_saveexec_b64 s[48:49], s[48:49]
; %bb.209:
	s_mov_b32 s52, 0x46800000
	v_add_f32_e64 v5, |v0|, s52
; %bb.210:
	s_or_b64 exec, exec, s[48:49]
                                        ; implicit-def: $vgpr6
.LBB95_211:
	s_andn2_saveexec_b64 s[40:41], s[40:41]
; %bb.212:
	s_mov_b32 s48, 0x7f800000
	v_mov_b32_e32 v5, 0x7e
	v_mov_b32_e32 v7, 0x7f
	v_cmp_lt_u32_e32 vcc, s48, v6
	v_cndmask_b32_e32 v5, v5, v7, vcc
; %bb.213:
	s_or_b64 exec, exec, s[40:41]
	v_lshrrev_b32_e32 v0, 24, v0
	s_movk_i32 s40, 0x80
	v_and_or_b32 v0, v0, s40, v5
	global_store_byte v[3:4], v0, off
.LBB95_214:
	s_mov_b64 s[40:41], 0
.LBB95_215:
	s_andn2_b64 vcc, exec, s[40:41]
	s_cbranch_vccnz .LBB95_225
; %bb.216:
	v_xor_b32_e32 v5, v1, v2
	v_ffbh_i32_e32 v0, v2
	v_ashrrev_i32_e32 v5, 31, v5
	v_add_u32_e32 v0, -1, v0
	v_add_u32_e32 v5, 32, v5
	v_min_u32_e32 v0, v0, v5
	v_lshlrev_b64 v[5:6], v0, v[1:2]
	v_sub_u32_e32 v0, 32, v0
	v_min_u32_e32 v5, 1, v5
	v_or_b32_e32 v5, v6, v5
	v_cvt_f32_i32_e32 v5, v5
	s_mov_b32 s40, 0x47800000
	v_ldexp_f32 v0, v5, v0
	v_and_b32_e32 v6, 0x7fffffff, v0
	v_cmp_gt_u32_e32 vcc, s40, v6
                                        ; implicit-def: $vgpr5
	s_and_saveexec_b64 s[40:41], vcc
	s_xor_b64 s[40:41], exec, s[40:41]
	s_cbranch_execz .LBB95_222
; %bb.217:
	s_mov_b32 s48, 0x387fffff
	v_cmp_lt_u32_e32 vcc, s48, v6
                                        ; implicit-def: $vgpr5
	s_and_saveexec_b64 s[48:49], vcc
	s_xor_b64 s[48:49], exec, s[48:49]
; %bb.218:
	v_bfe_u32 v5, v0, 21, 1
	s_mov_b32 s52, 0x80fffff
	v_add3_u32 v5, v0, v5, s52
	v_lshrrev_b32_e32 v5, 21, v5
; %bb.219:
	s_andn2_saveexec_b64 s[48:49], s[48:49]
; %bb.220:
	s_mov_b32 s52, 0x43000000
	v_add_f32_e64 v5, |v0|, s52
; %bb.221:
	s_or_b64 exec, exec, s[48:49]
                                        ; implicit-def: $vgpr6
.LBB95_222:
	s_andn2_saveexec_b64 s[40:41], s[40:41]
; %bb.223:
	s_mov_b32 s48, 0x7f800000
	v_mov_b32_e32 v5, 0x7c
	v_mov_b32_e32 v7, 0x7f
	v_cmp_lt_u32_e32 vcc, s48, v6
	v_cndmask_b32_e32 v5, v5, v7, vcc
; %bb.224:
	s_or_b64 exec, exec, s[40:41]
	v_lshrrev_b32_e32 v0, 24, v0
	s_movk_i32 s40, 0x80
	v_and_or_b32 v0, v0, s40, v5
	global_store_byte v[3:4], v0, off
.LBB95_225:
	s_mov_b64 s[48:49], 0
	s_mov_b64 s[40:41], -1
.LBB95_226:
	s_andn2_b64 vcc, exec, s[48:49]
	s_cbranch_vccnz .LBB95_234
; %bb.227:
	s_cmp_gt_i32 s55, 14
	s_mov_b64 s[48:49], -1
	s_cbranch_scc0 .LBB95_231
; %bb.228:
	s_cmp_eq_u32 s55, 15
	s_mov_b64 s[0:1], -1
	s_cbranch_scc0 .LBB95_230
; %bb.229:
	v_xor_b32_e32 v5, v1, v2
	v_ffbh_i32_e32 v0, v2
	v_ashrrev_i32_e32 v5, 31, v5
	v_add_u32_e32 v0, -1, v0
	v_add_u32_e32 v5, 32, v5
	v_min_u32_e32 v0, v0, v5
	v_lshlrev_b64 v[5:6], v0, v[1:2]
	v_sub_u32_e32 v0, 32, v0
	v_min_u32_e32 v5, 1, v5
	v_or_b32_e32 v5, v6, v5
	v_cvt_f32_i32_e32 v5, v5
	s_movk_i32 s0, 0x7fff
	s_mov_b64 s[40:41], -1
	v_ldexp_f32 v0, v5, v0
	v_bfe_u32 v5, v0, 16, 1
	v_add3_u32 v0, v0, v5, s0
	global_store_short_d16_hi v[3:4], v0, off
	s_mov_b64 s[0:1], 0
.LBB95_230:
	s_mov_b64 s[48:49], 0
.LBB95_231:
	s_and_b64 vcc, exec, s[48:49]
	s_cbranch_vccz .LBB95_234
; %bb.232:
	s_cmp_eq_u32 s55, 11
	s_mov_b64 s[0:1], -1
	s_cbranch_scc0 .LBB95_234
; %bb.233:
	v_cmp_ne_u64_e32 vcc, 0, v[1:2]
	s_mov_b64 s[0:1], 0
	v_cndmask_b32_e64 v0, 0, 1, vcc
	s_mov_b64 s[40:41], -1
	global_store_byte v[3:4], v0, off
.LBB95_234:
	s_mov_b64 s[48:49], 0
.LBB95_235:
	s_and_b64 vcc, exec, s[48:49]
	s_cbranch_vccz .LBB95_274
; %bb.236:
	s_and_b32 s48, 0xffff, s54
	s_cmp_lt_i32 s48, 5
	s_mov_b64 s[40:41], -1
	s_cbranch_scc1 .LBB95_257
; %bb.237:
	s_cmp_lt_i32 s48, 8
	s_cbranch_scc1 .LBB95_247
; %bb.238:
	s_cmp_lt_i32 s48, 9
	s_cbranch_scc1 .LBB95_244
; %bb.239:
	s_cmp_gt_i32 s48, 9
	s_cbranch_scc0 .LBB95_241
; %bb.240:
	v_cvt_f64_i32_e32 v[5:6], v2
	v_cvt_f64_u32_e32 v[7:8], v1
	s_mov_b64 s[40:41], 0
	v_ldexp_f64 v[5:6], v[5:6], 32
	v_add_f64 v[5:6], v[5:6], v[7:8]
	v_mov_b32_e32 v7, 0
	v_mov_b32_e32 v8, v7
	global_store_dwordx4 v[3:4], v[5:8], off
.LBB95_241:
	s_andn2_b64 vcc, exec, s[40:41]
	s_cbranch_vccnz .LBB95_243
; %bb.242:
	v_xor_b32_e32 v5, v1, v2
	v_ffbh_i32_e32 v0, v2
	v_ashrrev_i32_e32 v5, 31, v5
	v_add_u32_e32 v0, -1, v0
	v_add_u32_e32 v5, 32, v5
	v_min_u32_e32 v0, v0, v5
	v_lshlrev_b64 v[5:6], v0, v[1:2]
	v_sub_u32_e32 v0, 32, v0
	v_min_u32_e32 v5, 1, v5
	v_or_b32_e32 v5, v6, v5
	v_cvt_f32_i32_e32 v5, v5
	v_mov_b32_e32 v6, 0
	v_ldexp_f32 v5, v5, v0
	global_store_dwordx2 v[3:4], v[5:6], off
.LBB95_243:
	s_mov_b64 s[40:41], 0
.LBB95_244:
	s_andn2_b64 vcc, exec, s[40:41]
	s_cbranch_vccnz .LBB95_246
; %bb.245:
	v_xor_b32_e32 v5, v1, v2
	v_ffbh_i32_e32 v0, v2
	v_ashrrev_i32_e32 v5, 31, v5
	v_add_u32_e32 v0, -1, v0
	v_add_u32_e32 v5, 32, v5
	v_min_u32_e32 v0, v0, v5
	v_lshlrev_b64 v[5:6], v0, v[1:2]
	v_sub_u32_e32 v0, 32, v0
	v_min_u32_e32 v5, 1, v5
	v_or_b32_e32 v5, v6, v5
	v_cvt_f32_i32_e32 v5, v5
	v_ldexp_f32 v0, v5, v0
	v_cvt_f16_f32_e32 v0, v0
	global_store_dword v[3:4], v0, off
.LBB95_246:
	s_mov_b64 s[40:41], 0
.LBB95_247:
	s_andn2_b64 vcc, exec, s[40:41]
	s_cbranch_vccnz .LBB95_256
; %bb.248:
	s_cmp_lt_i32 s48, 6
	s_mov_b64 s[40:41], -1
	s_cbranch_scc1 .LBB95_254
; %bb.249:
	s_cmp_gt_i32 s48, 6
	s_cbranch_scc0 .LBB95_251
; %bb.250:
	v_cvt_f64_i32_e32 v[5:6], v2
	v_cvt_f64_u32_e32 v[7:8], v1
	s_mov_b64 s[40:41], 0
	v_ldexp_f64 v[5:6], v[5:6], 32
	v_add_f64 v[5:6], v[5:6], v[7:8]
	global_store_dwordx2 v[3:4], v[5:6], off
.LBB95_251:
	s_andn2_b64 vcc, exec, s[40:41]
	s_cbranch_vccnz .LBB95_253
; %bb.252:
	v_xor_b32_e32 v5, v1, v2
	v_ffbh_i32_e32 v0, v2
	v_ashrrev_i32_e32 v5, 31, v5
	v_add_u32_e32 v0, -1, v0
	v_add_u32_e32 v5, 32, v5
	v_min_u32_e32 v0, v0, v5
	v_lshlrev_b64 v[5:6], v0, v[1:2]
	v_sub_u32_e32 v0, 32, v0
	v_min_u32_e32 v5, 1, v5
	v_or_b32_e32 v5, v6, v5
	v_cvt_f32_i32_e32 v5, v5
	v_ldexp_f32 v0, v5, v0
	global_store_dword v[3:4], v0, off
.LBB95_253:
	s_mov_b64 s[40:41], 0
.LBB95_254:
	s_andn2_b64 vcc, exec, s[40:41]
	s_cbranch_vccnz .LBB95_256
; %bb.255:
	v_xor_b32_e32 v5, v1, v2
	v_ffbh_i32_e32 v0, v2
	v_ashrrev_i32_e32 v5, 31, v5
	v_add_u32_e32 v0, -1, v0
	v_add_u32_e32 v5, 32, v5
	v_min_u32_e32 v0, v0, v5
	v_lshlrev_b64 v[5:6], v0, v[1:2]
	v_sub_u32_e32 v0, 32, v0
	v_min_u32_e32 v5, 1, v5
	v_or_b32_e32 v5, v6, v5
	v_cvt_f32_i32_e32 v5, v5
	v_ldexp_f32 v0, v5, v0
	v_cvt_f16_f32_e32 v0, v0
	global_store_short v[3:4], v0, off
.LBB95_256:
	s_mov_b64 s[40:41], 0
.LBB95_257:
	s_andn2_b64 vcc, exec, s[40:41]
	s_cbranch_vccnz .LBB95_273
; %bb.258:
	s_cmp_lt_i32 s48, 2
	s_mov_b64 s[40:41], -1
	s_cbranch_scc1 .LBB95_268
; %bb.259:
	s_cmp_lt_i32 s48, 3
	s_cbranch_scc1 .LBB95_265
; %bb.260:
	s_cmp_gt_i32 s48, 3
	s_cbranch_scc0 .LBB95_262
; %bb.261:
	global_store_dwordx2 v[3:4], v[1:2], off
	s_mov_b64 s[40:41], 0
.LBB95_262:
	s_andn2_b64 vcc, exec, s[40:41]
	s_cbranch_vccnz .LBB95_264
; %bb.263:
	global_store_dword v[3:4], v1, off
.LBB95_264:
	s_mov_b64 s[40:41], 0
.LBB95_265:
	s_andn2_b64 vcc, exec, s[40:41]
	s_cbranch_vccnz .LBB95_267
; %bb.266:
	global_store_short v[3:4], v1, off
.LBB95_267:
	s_mov_b64 s[40:41], 0
.LBB95_268:
	s_andn2_b64 vcc, exec, s[40:41]
	s_cbranch_vccnz .LBB95_273
; %bb.269:
	s_cmp_gt_i32 s48, 0
	s_mov_b64 s[40:41], -1
	s_cbranch_scc0 .LBB95_271
; %bb.270:
	global_store_byte v[3:4], v1, off
	s_mov_b64 s[40:41], 0
.LBB95_271:
	s_andn2_b64 vcc, exec, s[40:41]
	s_cbranch_vccnz .LBB95_273
; %bb.272:
	global_store_byte v[3:4], v1, off
.LBB95_273:
	s_mov_b64 s[40:41], -1
.LBB95_274:
	s_andn2_b64 vcc, exec, s[40:41]
	s_cbranch_vccnz .LBB95_276
; %bb.275:
	v_add_u32_e32 v10, 0x80, v10
	s_mov_b64 s[48:49], -1
	s_branch .LBB95_385
.LBB95_276:
	s_mov_b64 s[48:49], 0
                                        ; implicit-def: $vgpr10
	s_branch .LBB95_385
.LBB95_277:
	s_mov_b64 s[42:43], -1
                                        ; implicit-def: $vgpr5_vgpr6
.LBB95_278:
	s_mov_b64 s[40:41], 0
.LBB95_279:
	s_and_b64 vcc, exec, s[40:41]
	s_cbranch_vccz .LBB95_283
; %bb.280:
	s_cmp_eq_u32 s49, 29
	s_cbranch_scc0 .LBB95_282
; %bb.281:
	global_load_dwordx2 v[5:6], v[3:4], off
	s_mov_b64 s[0:1], -1
	s_mov_b64 s[42:43], 0
	s_branch .LBB95_283
.LBB95_282:
	s_mov_b64 s[42:43], -1
                                        ; implicit-def: $vgpr5_vgpr6
.LBB95_283:
	s_mov_b64 s[40:41], 0
.LBB95_284:
	s_and_b64 vcc, exec, s[40:41]
	s_cbranch_vccz .LBB95_302
; %bb.285:
	s_cmp_lt_i32 s49, 27
	s_cbranch_scc1 .LBB95_288
; %bb.286:
	s_cmp_gt_i32 s49, 27
	s_cbranch_scc0 .LBB95_289
; %bb.287:
	global_load_dword v5, v[3:4], off
	s_waitcnt vmcnt(1)
	v_mov_b32_e32 v6, 0
	s_mov_b64 s[0:1], 0
	s_branch .LBB95_290
.LBB95_288:
	s_mov_b64 s[0:1], -1
                                        ; implicit-def: $vgpr5_vgpr6
	s_branch .LBB95_293
.LBB95_289:
	s_mov_b64 s[0:1], -1
                                        ; implicit-def: $vgpr5_vgpr6
.LBB95_290:
	s_andn2_b64 vcc, exec, s[0:1]
	s_cbranch_vccnz .LBB95_292
; %bb.291:
	global_load_ushort v5, v[3:4], off
	s_mov_b32 s0, 0
	s_waitcnt vmcnt(1)
	v_mov_b32_e32 v6, s0
	s_waitcnt vmcnt(0)
	v_and_b32_e32 v5, 0xffff, v5
.LBB95_292:
	s_mov_b64 s[0:1], 0
.LBB95_293:
	s_andn2_b64 vcc, exec, s[0:1]
	s_cbranch_vccnz .LBB95_301
; %bb.294:
	global_load_ubyte v7, v[3:4], off
	s_movk_i32 s0, 0x7f
	s_mov_b64 s[40:41], 0
	s_waitcnt vmcnt(0)
	v_cmp_lt_i16_e32 vcc, s0, v7
	s_and_saveexec_b64 s[0:1], vcc
	s_xor_b64 s[0:1], exec, s[0:1]
; %bb.295:
	s_movk_i32 s40, 0x80
	v_cmp_ne_u16_e32 vcc, s40, v7
	s_and_b64 s[40:41], vcc, exec
; %bb.296:
	s_andn2_saveexec_b64 s[0:1], s[0:1]
; %bb.297:
	v_cmp_ne_u16_e32 vcc, 0, v7
	s_andn2_b64 s[40:41], s[40:41], exec
	s_and_b64 s[52:53], vcc, exec
	s_or_b64 s[40:41], s[40:41], s[52:53]
; %bb.298:
	s_or_b64 exec, exec, s[0:1]
	v_mov_b32_e32 v5, 0
	v_mov_b32_e32 v6, 0
	s_and_saveexec_b64 s[0:1], s[40:41]
	s_cbranch_execz .LBB95_300
; %bb.299:
	v_and_b32_e32 v6, 0xffff, v7
	v_lshlrev_b32_e32 v5, 24, v7
	v_and_b32_e32 v7, 7, v6
	v_ffbh_u32_e32 v9, v7
	v_min_u32_e32 v9, 32, v9
	v_subrev_u32_e32 v11, 28, v9
	v_bfe_u32 v8, v6, 3, 4
	v_lshlrev_b32_e32 v6, v11, v6
	v_sub_u32_e32 v9, 29, v9
	v_and_b32_e32 v6, 7, v6
	v_cmp_eq_u32_e32 vcc, 0, v8
	v_cndmask_b32_e32 v8, v8, v9, vcc
	v_cndmask_b32_e32 v6, v7, v6, vcc
	v_mov_b32_e32 v7, 0x3b800000
	v_lshlrev_b32_e32 v6, 20, v6
	v_and_b32_e32 v5, 0x80000000, v5
	v_lshl_add_u32 v7, v8, 23, v7
	v_or3_b32 v5, v5, v7, v6
	v_trunc_f32_e32 v5, v5
	s_mov_b32 s40, 0x2f800000
	v_mul_f32_e64 v6, |v5|, s40
	v_floor_f32_e32 v6, v6
	s_mov_b32 s40, 0xcf800000
	v_fma_f32 v7, v6, s40, |v5|
	v_cvt_u32_f32_e32 v7, v7
	v_cvt_u32_f32_e32 v6, v6
	v_ashrrev_i32_e32 v8, 31, v5
	v_xor_b32_e32 v5, v7, v8
	v_xor_b32_e32 v6, v6, v8
	v_sub_co_u32_e32 v5, vcc, v5, v8
	v_subb_co_u32_e32 v6, vcc, v6, v8, vcc
.LBB95_300:
	s_or_b64 exec, exec, s[0:1]
.LBB95_301:
	s_mov_b64 s[0:1], -1
.LBB95_302:
	s_mov_b64 s[40:41], 0
.LBB95_303:
	s_and_b64 vcc, exec, s[40:41]
	s_cbranch_vccz .LBB95_334
; %bb.304:
	s_cmp_gt_i32 s49, 22
	s_cbranch_scc0 .LBB95_314
; %bb.305:
	s_cmp_lt_i32 s49, 24
	s_cbranch_scc1 .LBB95_315
; %bb.306:
	s_cmp_gt_i32 s49, 24
	s_cbranch_scc0 .LBB95_316
; %bb.307:
	global_load_ubyte v7, v[3:4], off
	s_movk_i32 s0, 0x7f
	s_mov_b64 s[40:41], 0
	s_waitcnt vmcnt(0)
	v_cmp_lt_i16_e32 vcc, s0, v7
	s_and_saveexec_b64 s[0:1], vcc
	s_xor_b64 s[0:1], exec, s[0:1]
; %bb.308:
	s_movk_i32 s40, 0x80
	v_cmp_ne_u16_e32 vcc, s40, v7
	s_and_b64 s[40:41], vcc, exec
; %bb.309:
	s_andn2_saveexec_b64 s[0:1], s[0:1]
; %bb.310:
	v_cmp_ne_u16_e32 vcc, 0, v7
	s_andn2_b64 s[40:41], s[40:41], exec
	s_and_b64 s[52:53], vcc, exec
	s_or_b64 s[40:41], s[40:41], s[52:53]
; %bb.311:
	s_or_b64 exec, exec, s[0:1]
	v_mov_b32_e32 v5, 0
	v_mov_b32_e32 v6, 0
	s_and_saveexec_b64 s[0:1], s[40:41]
	s_cbranch_execz .LBB95_313
; %bb.312:
	v_and_b32_e32 v6, 0xffff, v7
	v_lshlrev_b32_e32 v5, 24, v7
	v_and_b32_e32 v7, 3, v6
	v_ffbh_u32_e32 v9, v7
	v_min_u32_e32 v9, 32, v9
	v_subrev_u32_e32 v11, 29, v9
	v_bfe_u32 v8, v6, 2, 5
	v_lshlrev_b32_e32 v6, v11, v6
	v_sub_u32_e32 v9, 30, v9
	v_and_b32_e32 v6, 3, v6
	v_cmp_eq_u32_e32 vcc, 0, v8
	v_cndmask_b32_e32 v8, v8, v9, vcc
	v_cndmask_b32_e32 v6, v7, v6, vcc
	v_mov_b32_e32 v7, 0x37800000
	v_lshlrev_b32_e32 v6, 21, v6
	v_and_b32_e32 v5, 0x80000000, v5
	v_lshl_add_u32 v7, v8, 23, v7
	v_or3_b32 v5, v5, v7, v6
	v_trunc_f32_e32 v5, v5
	s_mov_b32 s40, 0x2f800000
	v_mul_f32_e64 v6, |v5|, s40
	v_floor_f32_e32 v6, v6
	s_mov_b32 s40, 0xcf800000
	v_fma_f32 v7, v6, s40, |v5|
	v_cvt_u32_f32_e32 v7, v7
	v_cvt_u32_f32_e32 v6, v6
	v_ashrrev_i32_e32 v8, 31, v5
	v_xor_b32_e32 v5, v7, v8
	v_xor_b32_e32 v6, v6, v8
	v_sub_co_u32_e32 v5, vcc, v5, v8
	v_subb_co_u32_e32 v6, vcc, v6, v8, vcc
.LBB95_313:
	s_or_b64 exec, exec, s[0:1]
	s_mov_b64 s[0:1], 0
	s_branch .LBB95_317
.LBB95_314:
	s_mov_b64 s[40:41], -1
                                        ; implicit-def: $vgpr5_vgpr6
	s_branch .LBB95_323
.LBB95_315:
	s_mov_b64 s[0:1], -1
                                        ; implicit-def: $vgpr5_vgpr6
	s_branch .LBB95_320
.LBB95_316:
	s_mov_b64 s[0:1], -1
                                        ; implicit-def: $vgpr5_vgpr6
.LBB95_317:
	s_and_b64 vcc, exec, s[0:1]
	s_cbranch_vccz .LBB95_319
; %bb.318:
	global_load_ubyte v5, v[3:4], off
	s_mov_b32 s0, 0x7f800000
	s_brev_b32 s1, 1
	s_mov_b32 s40, 0x2f800000
	s_mov_b32 s41, 0xcf800000
	s_waitcnt vmcnt(0)
	v_lshlrev_b32_e32 v5, 24, v5
	v_and_b32_e32 v6, 0x7f000000, v5
	v_ffbh_u32_e32 v7, v6
	v_min_u32_e32 v7, 32, v7
	v_sub_u32_e64 v7, v7, 4 clamp
	v_lshlrev_b32_e32 v9, v7, v6
	v_lshlrev_b32_e32 v7, 23, v7
	v_lshrrev_b32_e32 v9, 4, v9
	v_add_u32_e32 v8, 0x1000000, v6
	v_sub_u32_e32 v7, v9, v7
	v_ashrrev_i32_e32 v8, 8, v8
	v_add_u32_e32 v7, 0x3c000000, v7
	v_and_or_b32 v7, v8, s0, v7
	v_cmp_ne_u32_e32 vcc, 0, v6
	v_cndmask_b32_e32 v6, 0, v7, vcc
	v_and_or_b32 v5, v5, s1, v6
	v_trunc_f32_e32 v5, v5
	v_mul_f32_e64 v6, |v5|, s40
	v_floor_f32_e32 v6, v6
	v_fma_f32 v7, v6, s41, |v5|
	v_cvt_u32_f32_e32 v7, v7
	v_cvt_u32_f32_e32 v6, v6
	v_ashrrev_i32_e32 v8, 31, v5
	v_xor_b32_e32 v5, v7, v8
	v_xor_b32_e32 v6, v6, v8
	v_sub_co_u32_e32 v5, vcc, v5, v8
	v_subb_co_u32_e32 v6, vcc, v6, v8, vcc
.LBB95_319:
	s_mov_b64 s[0:1], 0
.LBB95_320:
	s_andn2_b64 vcc, exec, s[0:1]
	s_cbranch_vccnz .LBB95_322
; %bb.321:
	global_load_ubyte v5, v[3:4], off
	s_movk_i32 s0, 0x7f00
	s_brev_b32 s1, 16
	s_brev_b32 s40, 1
	s_mov_b32 s41, 0x2f800000
	s_mov_b32 s52, 0xcf800000
	s_waitcnt vmcnt(0)
	v_lshlrev_b16_e32 v6, 8, v5
	v_lshlrev_b32_e32 v5, 25, v5
	v_lshrrev_b32_e32 v7, 4, v5
	v_and_or_b32 v8, v6, s0, 0.5
	v_or_b32_e32 v7, 0x70000000, v7
	v_add_f32_e32 v8, -0.5, v8
	v_mul_f32_e32 v7, 0x7800000, v7
	v_cmp_gt_u32_e32 vcc, s1, v5
	v_bfe_i32 v6, v6, 0, 16
	v_cndmask_b32_e32 v5, v7, v8, vcc
	v_and_or_b32 v5, v6, s40, v5
	v_trunc_f32_e32 v5, v5
	v_mul_f32_e64 v6, |v5|, s41
	v_floor_f32_e32 v6, v6
	v_fma_f32 v7, v6, s52, |v5|
	v_cvt_u32_f32_e32 v7, v7
	v_cvt_u32_f32_e32 v6, v6
	v_ashrrev_i32_e32 v8, 31, v5
	v_xor_b32_e32 v5, v7, v8
	v_xor_b32_e32 v6, v6, v8
	v_sub_co_u32_e32 v5, vcc, v5, v8
	v_subb_co_u32_e32 v6, vcc, v6, v8, vcc
.LBB95_322:
	s_mov_b64 s[40:41], 0
	s_mov_b64 s[0:1], -1
.LBB95_323:
	s_andn2_b64 vcc, exec, s[40:41]
	s_cbranch_vccnz .LBB95_334
; %bb.324:
	s_cmp_gt_i32 s49, 14
	s_cbranch_scc0 .LBB95_327
; %bb.325:
	s_cmp_eq_u32 s49, 15
	s_cbranch_scc0 .LBB95_328
; %bb.326:
	global_load_ushort v5, v[3:4], off
	s_mov_b32 s0, 0x2f800000
	s_mov_b32 s1, 0xcf800000
	s_mov_b64 s[42:43], 0
	s_waitcnt vmcnt(0)
	v_lshlrev_b32_e32 v5, 16, v5
	v_trunc_f32_e32 v5, v5
	v_mul_f32_e64 v6, |v5|, s0
	v_floor_f32_e32 v6, v6
	v_fma_f32 v7, v6, s1, |v5|
	v_cvt_u32_f32_e32 v7, v7
	v_cvt_u32_f32_e32 v6, v6
	v_ashrrev_i32_e32 v8, 31, v5
	s_mov_b64 s[0:1], -1
	v_xor_b32_e32 v5, v7, v8
	v_xor_b32_e32 v6, v6, v8
	v_sub_co_u32_e32 v5, vcc, v5, v8
	v_subb_co_u32_e32 v6, vcc, v6, v8, vcc
	s_branch .LBB95_329
.LBB95_327:
	s_mov_b64 s[40:41], -1
                                        ; implicit-def: $vgpr5_vgpr6
	s_branch .LBB95_330
.LBB95_328:
	s_mov_b64 s[42:43], -1
                                        ; implicit-def: $vgpr5_vgpr6
.LBB95_329:
	s_mov_b64 s[40:41], 0
.LBB95_330:
	s_and_b64 vcc, exec, s[40:41]
	s_cbranch_vccz .LBB95_334
; %bb.331:
	s_cmp_eq_u32 s49, 11
	s_cbranch_scc0 .LBB95_333
; %bb.332:
	global_load_ubyte v5, v[3:4], off
	s_mov_b32 s40, 0
	s_mov_b64 s[0:1], -1
	s_waitcnt vmcnt(1)
	v_mov_b32_e32 v6, s40
	s_mov_b64 s[42:43], 0
	s_waitcnt vmcnt(0)
	v_cmp_ne_u16_e32 vcc, 0, v5
	v_cndmask_b32_e64 v5, 0, 1, vcc
	s_branch .LBB95_334
.LBB95_333:
	s_mov_b64 s[42:43], -1
                                        ; implicit-def: $vgpr5_vgpr6
.LBB95_334:
	s_branch .LBB95_31
.LBB95_335:
	s_and_b32 s40, 0xffff, s48
	s_cmp_lt_i32 s40, 5
	s_cbranch_scc1 .LBB95_340
; %bb.336:
	s_cmp_lt_i32 s40, 8
	s_cbranch_scc1 .LBB95_341
; %bb.337:
	;; [unrolled: 3-line block ×3, first 2 shown]
	s_cmp_gt_i32 s40, 9
	s_cbranch_scc0 .LBB95_343
; %bb.339:
	global_load_dwordx2 v[5:6], v[3:4], off
	s_movk_i32 s0, 0xffe0
	s_waitcnt vmcnt(0)
	v_trunc_f64_e32 v[5:6], v[5:6]
	v_ldexp_f64 v[7:8], v[5:6], s0
	s_mov_b32 s0, 0
	s_mov_b32 s1, 0xc1f00000
	v_floor_f64_e32 v[7:8], v[7:8]
	v_fma_f64 v[11:12], v[7:8], s[0:1], v[5:6]
	v_cvt_i32_f64_e32 v6, v[7:8]
	s_mov_b64 s[0:1], 0
	v_cvt_u32_f64_e32 v5, v[11:12]
	s_branch .LBB95_344
.LBB95_340:
	s_mov_b64 s[0:1], -1
                                        ; implicit-def: $vgpr5_vgpr6
	s_branch .LBB95_362
.LBB95_341:
	s_mov_b64 s[0:1], -1
                                        ; implicit-def: $vgpr5_vgpr6
	s_branch .LBB95_350
.LBB95_342:
	s_mov_b64 s[0:1], -1
                                        ; implicit-def: $vgpr5_vgpr6
	s_branch .LBB95_347
.LBB95_343:
	s_mov_b64 s[0:1], -1
                                        ; implicit-def: $vgpr5_vgpr6
.LBB95_344:
	s_andn2_b64 vcc, exec, s[0:1]
	s_cbranch_vccnz .LBB95_346
; %bb.345:
	global_load_dword v5, v[3:4], off
	s_mov_b32 s0, 0x2f800000
	s_mov_b32 s1, 0xcf800000
	s_waitcnt vmcnt(0)
	v_trunc_f32_e32 v5, v5
	v_mul_f32_e64 v6, |v5|, s0
	v_floor_f32_e32 v6, v6
	v_cvt_u32_f32_e32 v7, v6
	v_fma_f32 v6, v6, s1, |v5|
	v_cvt_u32_f32_e32 v6, v6
	v_ashrrev_i32_e32 v8, 31, v5
	v_xor_b32_e32 v7, v7, v8
	v_xor_b32_e32 v5, v6, v8
	v_sub_co_u32_e32 v5, vcc, v5, v8
	v_subb_co_u32_e32 v6, vcc, v7, v8, vcc
.LBB95_346:
	s_mov_b64 s[0:1], 0
.LBB95_347:
	s_andn2_b64 vcc, exec, s[0:1]
	s_cbranch_vccnz .LBB95_349
; %bb.348:
	global_load_dword v5, v[3:4], off
	s_waitcnt vmcnt(0)
	v_cvt_f32_f16_e32 v5, v5
	v_cvt_i32_f32_e32 v5, v5
	v_ashrrev_i32_e32 v6, 31, v5
.LBB95_349:
	s_mov_b64 s[0:1], 0
.LBB95_350:
	s_andn2_b64 vcc, exec, s[0:1]
	s_cbranch_vccnz .LBB95_361
; %bb.351:
	s_cmp_lt_i32 s40, 6
	s_cbranch_scc1 .LBB95_354
; %bb.352:
	s_cmp_gt_i32 s40, 6
	s_cbranch_scc0 .LBB95_355
; %bb.353:
	global_load_dwordx2 v[5:6], v[3:4], off
	s_movk_i32 s0, 0xffe0
	s_waitcnt vmcnt(0)
	v_trunc_f64_e32 v[5:6], v[5:6]
	v_ldexp_f64 v[7:8], v[5:6], s0
	s_mov_b32 s0, 0
	s_mov_b32 s1, 0xc1f00000
	v_floor_f64_e32 v[7:8], v[7:8]
	v_fma_f64 v[11:12], v[7:8], s[0:1], v[5:6]
	v_cvt_i32_f64_e32 v6, v[7:8]
	s_mov_b64 s[0:1], 0
	v_cvt_u32_f64_e32 v5, v[11:12]
	s_branch .LBB95_356
.LBB95_354:
	s_mov_b64 s[0:1], -1
                                        ; implicit-def: $vgpr5_vgpr6
	s_branch .LBB95_359
.LBB95_355:
	s_mov_b64 s[0:1], -1
                                        ; implicit-def: $vgpr5_vgpr6
.LBB95_356:
	s_andn2_b64 vcc, exec, s[0:1]
	s_cbranch_vccnz .LBB95_358
; %bb.357:
	global_load_dword v5, v[3:4], off
	s_mov_b32 s0, 0x2f800000
	s_mov_b32 s1, 0xcf800000
	s_waitcnt vmcnt(0)
	v_trunc_f32_e32 v5, v5
	v_mul_f32_e64 v6, |v5|, s0
	v_floor_f32_e32 v6, v6
	v_cvt_u32_f32_e32 v7, v6
	v_fma_f32 v6, v6, s1, |v5|
	v_cvt_u32_f32_e32 v6, v6
	v_ashrrev_i32_e32 v8, 31, v5
	v_xor_b32_e32 v7, v7, v8
	v_xor_b32_e32 v5, v6, v8
	v_sub_co_u32_e32 v5, vcc, v5, v8
	v_subb_co_u32_e32 v6, vcc, v7, v8, vcc
.LBB95_358:
	s_mov_b64 s[0:1], 0
.LBB95_359:
	s_andn2_b64 vcc, exec, s[0:1]
	s_cbranch_vccnz .LBB95_361
; %bb.360:
	global_load_ushort v5, v[3:4], off
	s_waitcnt vmcnt(0)
	v_cvt_f32_f16_e32 v5, v5
	v_cvt_i32_f32_e32 v5, v5
	v_ashrrev_i32_e32 v6, 31, v5
.LBB95_361:
	s_mov_b64 s[0:1], 0
.LBB95_362:
	s_andn2_b64 vcc, exec, s[0:1]
	s_cbranch_vccnz .LBB95_382
; %bb.363:
	s_cmp_lt_i32 s40, 2
	s_cbranch_scc1 .LBB95_367
; %bb.364:
	s_cmp_lt_i32 s40, 3
	s_cbranch_scc1 .LBB95_368
; %bb.365:
	s_cmp_gt_i32 s40, 3
	s_cbranch_scc0 .LBB95_369
; %bb.366:
	global_load_dwordx2 v[5:6], v[3:4], off
	s_mov_b64 s[0:1], 0
	s_branch .LBB95_370
.LBB95_367:
	s_mov_b64 s[0:1], -1
                                        ; implicit-def: $vgpr5_vgpr6
	s_branch .LBB95_376
.LBB95_368:
	s_mov_b64 s[0:1], -1
                                        ; implicit-def: $vgpr5_vgpr6
	s_branch .LBB95_373
.LBB95_369:
	s_mov_b64 s[0:1], -1
                                        ; implicit-def: $vgpr5_vgpr6
.LBB95_370:
	s_andn2_b64 vcc, exec, s[0:1]
	s_cbranch_vccnz .LBB95_372
; %bb.371:
	global_load_dword v5, v[3:4], off
	s_waitcnt vmcnt(0)
	v_ashrrev_i32_e32 v6, 31, v5
.LBB95_372:
	s_mov_b64 s[0:1], 0
.LBB95_373:
	s_andn2_b64 vcc, exec, s[0:1]
	s_cbranch_vccnz .LBB95_375
; %bb.374:
	global_load_ushort v5, v[3:4], off
	s_waitcnt vmcnt(0)
	v_bfe_i32 v5, v5, 0, 16
	v_ashrrev_i32_e32 v6, 31, v5
.LBB95_375:
	s_mov_b64 s[0:1], 0
.LBB95_376:
	s_andn2_b64 vcc, exec, s[0:1]
	s_cbranch_vccnz .LBB95_382
; %bb.377:
	s_cmp_gt_i32 s40, 0
	s_cbranch_scc0 .LBB95_379
; %bb.378:
	global_load_sbyte v5, v[3:4], off
	s_mov_b64 s[0:1], 0
	s_waitcnt vmcnt(0)
	v_bfe_i32 v5, v5, 0, 16
	v_ashrrev_i32_e32 v6, 31, v5
	s_branch .LBB95_380
.LBB95_379:
	s_mov_b64 s[0:1], -1
                                        ; implicit-def: $vgpr5_vgpr6
.LBB95_380:
	s_andn2_b64 vcc, exec, s[0:1]
	s_cbranch_vccnz .LBB95_382
; %bb.381:
	global_load_ubyte v3, v[3:4], off
	s_mov_b32 s0, 0
	s_waitcnt vmcnt(1)
	v_mov_b32_e32 v6, s0
	s_waitcnt vmcnt(0)
	v_and_b32_e32 v5, 0xffff, v3
.LBB95_382:
	s_branch .LBB95_32
.LBB95_383:
	s_mov_b64 s[0:1], 0
.LBB95_384:
                                        ; implicit-def: $vgpr10
	s_mov_b64 s[48:49], 0
.LBB95_385:
	s_and_b64 s[40:41], s[0:1], exec
	s_and_b64 s[42:43], s[42:43], exec
	;; [unrolled: 1-line block ×3, first 2 shown]
	s_orn2_b64 s[0:1], s[48:49], exec
.LBB95_386:
	s_or_b64 exec, exec, s[46:47]
	s_mov_b64 s[54:55], 0
	s_mov_b64 s[52:53], 0
                                        ; implicit-def: $sgpr77
                                        ; implicit-def: $vgpr4_vgpr5
                                        ; implicit-def: $vgpr0
                                        ; implicit-def: $vgpr3
                                        ; implicit-def: $vgpr1_vgpr2
	s_and_saveexec_b64 s[46:47], s[0:1]
	s_cbranch_execz .LBB95_394
; %bb.387:
	v_cmp_gt_i32_e32 vcc, s70, v10
	s_mov_b64 s[0:1], -1
	s_mov_b64 s[48:49], s[44:45]
	s_mov_b64 s[50:51], s[42:43]
	;; [unrolled: 1-line block ×3, first 2 shown]
	s_and_saveexec_b64 s[54:55], vcc
	s_cbranch_execz .LBB95_779
; %bb.388:
	s_andn2_b64 vcc, exec, s[24:25]
	s_cbranch_vccnz .LBB95_397
; %bb.389:
	s_andn2_b64 vcc, exec, s[38:39]
	s_cbranch_vccnz .LBB95_398
; %bb.390:
	s_add_i32 s0, s76, 1
	s_and_b32 s48, s0, 30
	s_add_u32 s0, s2, 0xffffffe8
	s_addc_u32 s1, s3, -1
	v_mov_b32_e32 v3, 0
	s_waitcnt vmcnt(0)
	v_mov_b32_e32 v5, 0
	v_mov_b32_e32 v0, 0
	;; [unrolled: 1-line block ×3, first 2 shown]
.LBB95_391:                             ; =>This Inner Loop Header: Depth=1
	s_load_dwordx4 s[56:59], s[0:1], 0x1c
	s_load_dwordx2 s[50:51], s[0:1], 0x2c
	s_load_dwordx2 s[52:53], s[0:1], 0xec
	s_load_dwordx4 s[60:63], s[0:1], 0xdc
	s_add_u32 s0, s0, 24
	s_waitcnt lgkmcnt(0)
	v_mul_hi_u32 v2, s57, v1
	s_addc_u32 s1, s1, 0
	s_add_i32 s48, s48, -2
	s_cmp_eq_u32 s48, 0
	v_add_u32_e32 v2, v1, v2
	v_lshrrev_b32_e32 v2, s58, v2
	v_mul_lo_u32 v4, v2, s56
	v_mul_hi_u32 v6, s50, v2
	v_sub_u32_e32 v4, v1, v4
	v_add_u32_e32 v1, v2, v6
	v_lshrrev_b32_e32 v1, s51, v1
	v_mul_lo_u32 v8, v1, s59
	v_mul_lo_u32 v6, v4, s60
	;; [unrolled: 1-line block ×4, first 2 shown]
	v_sub_u32_e32 v2, v2, v8
	v_mul_lo_u32 v8, v2, s63
	v_mul_lo_u32 v9, v2, s52
	v_mul_lo_u32 v2, v2, s53
	v_add3_u32 v0, v6, v0, v8
	v_add3_u32 v5, v7, v5, v9
	v_add3_u32 v3, v4, v3, v2
	s_cbranch_scc0 .LBB95_391
; %bb.392:
	s_bitcmp1_b32 s76, 0
	s_cselect_b64 s[48:49], -1, 0
	s_and_b64 vcc, exec, s[48:49]
	s_cbranch_vccnz .LBB95_399
; %bb.393:
	s_load_dwordx2 s[48:49], s[0:1], 0x1c
	s_load_dword s52, s[0:1], 0x24
	s_load_dwordx2 s[50:51], s[0:1], 0xdc
	s_waitcnt lgkmcnt(0)
	v_mul_hi_u32 v2, s49, v1
	v_add_u32_e32 v2, v1, v2
	v_lshrrev_b32_e32 v2, s52, v2
	v_mul_lo_u32 v2, v2, s48
	s_load_dword s48, s[0:1], 0xe4
	v_sub_u32_e32 v2, v1, v2
	v_mad_u64_u32 v[0:1], s[0:1], v2, s50, v[0:1]
	v_mad_u64_u32 v[5:6], s[0:1], v2, s51, v[5:6]
	s_waitcnt lgkmcnt(0)
	v_mad_u64_u32 v[3:4], s[0:1], v2, s48, v[3:4]
	s_branch .LBB95_399
.LBB95_394:
	s_or_b64 exec, exec, s[46:47]
	s_mov_b64 s[10:11], 0
	s_and_saveexec_b64 s[0:1], s[44:45]
	s_cbranch_execnz .LBB95_1265
.LBB95_395:
	s_or_b64 exec, exec, s[0:1]
	s_and_saveexec_b64 s[0:1], s[50:51]
	s_xor_b64 s[0:1], exec, s[0:1]
	s_cbranch_execz .LBB95_1266
.LBB95_396:
	s_waitcnt vmcnt(0)
	global_load_ubyte v1, v[4:5], off
	s_mov_b32 s16, 0
	v_mov_b32_e32 v2, s16
	s_or_b64 s[52:53], s[52:53], exec
	s_waitcnt vmcnt(0)
	v_cmp_ne_u16_e32 vcc, 0, v1
	v_cndmask_b32_e64 v1, 0, 1, vcc
	s_or_b64 exec, exec, s[0:1]
	s_and_saveexec_b64 s[0:1], s[54:55]
	s_cbranch_execz .LBB95_1312
	s_branch .LBB95_1267
.LBB95_397:
                                        ; implicit-def: $vgpr0
                                        ; implicit-def: $vgpr5
                                        ; implicit-def: $vgpr3
	s_andn2_b64 vcc, exec, s[0:1]
	s_cbranch_vccz .LBB95_400
	s_branch .LBB95_402
.LBB95_398:
	v_mov_b32_e32 v0, 0
	s_waitcnt vmcnt(0)
	v_mov_b32_e32 v5, 0
	v_mov_b32_e32 v3, 0
.LBB95_399:
	s_cbranch_execnz .LBB95_402
.LBB95_400:
	v_mul_hi_u32 v0, s17, v10
	s_andn2_b64 vcc, exec, s[36:37]
	v_add_u32_e32 v0, v10, v0
	s_waitcnt vmcnt(0)
	v_lshrrev_b32_e32 v1, s18, v0
	v_mul_lo_u32 v0, v1, s16
	v_sub_u32_e32 v2, v10, v0
	v_mul_lo_u32 v0, v2, s20
	v_mul_lo_u32 v5, v2, s21
	;; [unrolled: 1-line block ×3, first 2 shown]
	s_cbranch_vccnz .LBB95_402
; %bb.401:
	v_mul_hi_u32 v2, s30, v1
	v_add_u32_e32 v2, v1, v2
	v_lshrrev_b32_e32 v2, s31, v2
	v_mul_lo_u32 v2, v2, s19
	v_sub_u32_e32 v2, v1, v2
	v_mad_u64_u32 v[0:1], s[0:1], v2, s23, v[0:1]
	v_mad_u64_u32 v[5:6], s[0:1], v2, s34, v[5:6]
	;; [unrolled: 1-line block ×3, first 2 shown]
.LBB95_402:
	s_waitcnt vmcnt(0)
	v_mov_b32_e32 v1, s11
	s_and_b32 s52, s75, 0xff
	v_add_co_u32_e32 v4, vcc, s10, v5
	s_cmp_lt_i32 s52, 11
	v_addc_co_u32_e32 v5, vcc, 0, v1, vcc
	s_cbranch_scc1 .LBB95_409
; %bb.403:
	s_and_b32 s53, 0xffff, s52
	s_cmp_gt_i32 s53, 25
	s_cbranch_scc0 .LBB95_418
; %bb.404:
	s_cmp_gt_i32 s53, 28
	s_cbranch_scc0 .LBB95_420
; %bb.405:
	;; [unrolled: 3-line block ×4, first 2 shown]
	s_cmp_eq_u32 s53, 46
	s_mov_b64 s[50:51], 0
	s_cbranch_scc0 .LBB95_428
; %bb.408:
	global_load_dword v1, v[4:5], off
	s_mov_b32 s0, 0x2f800000
	s_mov_b32 s1, 0xcf800000
	s_mov_b64 s[48:49], 0
	s_waitcnt vmcnt(0)
	v_lshlrev_b32_e32 v1, 16, v1
	v_trunc_f32_e32 v1, v1
	v_mul_f32_e64 v2, |v1|, s0
	v_floor_f32_e32 v2, v2
	v_fma_f32 v6, v2, s1, |v1|
	v_cvt_u32_f32_e32 v6, v6
	v_cvt_u32_f32_e32 v2, v2
	v_ashrrev_i32_e32 v7, 31, v1
	s_mov_b64 s[0:1], -1
	v_xor_b32_e32 v1, v6, v7
	v_xor_b32_e32 v2, v2, v7
	v_sub_co_u32_e32 v1, vcc, v1, v7
	v_subb_co_u32_e32 v2, vcc, v2, v7, vcc
	s_branch .LBB95_429
.LBB95_409:
	s_mov_b64 s[0:1], 0
                                        ; implicit-def: $vgpr1_vgpr2
	s_mov_b64 s[48:49], s[44:45]
	s_cbranch_execnz .LBB95_491
.LBB95_410:
	s_andn2_b64 vcc, exec, s[0:1]
	s_cbranch_vccnz .LBB95_539
.LBB95_411:
	v_mov_b32_e32 v4, s13
	s_and_b32 s56, s74, 0xff
	v_add_co_u32_e32 v3, vcc, s12, v3
	s_cmp_lt_i32 s56, 11
	v_addc_co_u32_e32 v4, vcc, 0, v4, vcc
	s_cbranch_scc1 .LBB95_419
; %bb.412:
	s_and_b32 s57, 0xffff, s56
	s_cmp_gt_i32 s57, 25
	s_cbranch_scc0 .LBB95_421
; %bb.413:
	s_cmp_gt_i32 s57, 28
	s_cbranch_scc0 .LBB95_423
; %bb.414:
	;; [unrolled: 3-line block ×4, first 2 shown]
	s_cmp_eq_u32 s57, 46
	s_mov_b64 s[52:53], 0
	s_cbranch_scc0 .LBB95_543
; %bb.417:
	global_load_dword v5, v[3:4], off
	s_mov_b32 s0, 0x2f800000
	s_mov_b32 s1, 0xcf800000
	s_mov_b64 s[50:51], 0
	s_waitcnt vmcnt(0)
	v_lshlrev_b32_e32 v5, 16, v5
	v_trunc_f32_e32 v5, v5
	v_mul_f32_e64 v6, |v5|, s0
	v_floor_f32_e32 v6, v6
	v_fma_f32 v7, v6, s1, |v5|
	v_cvt_u32_f32_e32 v7, v7
	v_cvt_u32_f32_e32 v6, v6
	v_ashrrev_i32_e32 v8, 31, v5
	s_mov_b64 s[0:1], -1
	v_xor_b32_e32 v5, v7, v8
	v_xor_b32_e32 v6, v6, v8
	v_sub_co_u32_e32 v5, vcc, v5, v8
	v_subb_co_u32_e32 v6, vcc, v6, v8, vcc
	s_branch .LBB95_544
.LBB95_418:
	s_mov_b64 s[50:51], -1
	s_mov_b64 s[0:1], 0
	s_mov_b64 s[48:49], s[44:45]
                                        ; implicit-def: $vgpr1_vgpr2
	s_branch .LBB95_459
.LBB95_419:
	s_mov_b64 s[52:53], -1
	s_mov_b64 s[0:1], 0
                                        ; implicit-def: $vgpr5_vgpr6
	s_mov_b64 s[50:51], s[42:43]
	s_branch .LBB95_605
.LBB95_420:
	s_mov_b64 s[50:51], -1
	s_mov_b64 s[0:1], 0
	s_mov_b64 s[48:49], s[44:45]
                                        ; implicit-def: $vgpr1_vgpr2
	s_branch .LBB95_440
.LBB95_421:
	s_mov_b64 s[52:53], -1
	s_mov_b64 s[0:1], 0
	s_mov_b64 s[50:51], s[42:43]
                                        ; implicit-def: $vgpr5_vgpr6
	s_branch .LBB95_573
.LBB95_422:
	s_mov_b64 s[50:51], -1
	s_mov_b64 s[0:1], 0
	s_mov_b64 s[48:49], s[44:45]
                                        ; implicit-def: $vgpr1_vgpr2
	s_branch .LBB95_435
.LBB95_423:
	s_mov_b64 s[52:53], -1
	s_mov_b64 s[0:1], 0
	s_mov_b64 s[50:51], s[42:43]
                                        ; implicit-def: $vgpr5_vgpr6
	s_branch .LBB95_554
.LBB95_424:
	s_mov_b64 s[50:51], -1
	s_mov_b64 s[0:1], 0
	s_mov_b64 s[48:49], s[44:45]
                                        ; implicit-def: $vgpr1_vgpr2
	s_branch .LBB95_429
.LBB95_425:
	s_mov_b64 s[52:53], -1
	s_mov_b64 s[0:1], 0
	s_mov_b64 s[50:51], s[42:43]
                                        ; implicit-def: $vgpr5_vgpr6
	s_branch .LBB95_549
.LBB95_426:
	s_andn2_saveexec_b64 s[52:53], s[52:53]
	s_cbranch_execz .LBB95_187
.LBB95_427:
	s_mov_b32 s56, 0x46000000
	v_add_f32_e64 v5, |v0|, s56
	v_and_b32_e32 v5, 0xff, v5
	v_cmp_ne_u32_e32 vcc, 0, v5
	s_andn2_b64 s[48:49], s[48:49], exec
	s_and_b64 s[56:57], vcc, exec
	s_or_b64 s[48:49], s[48:49], s[56:57]
	s_or_b64 exec, exec, s[52:53]
	v_mov_b32_e32 v6, 0
	s_and_saveexec_b64 s[52:53], s[48:49]
	s_cbranch_execnz .LBB95_188
	s_branch .LBB95_189
.LBB95_428:
	s_mov_b64 s[48:49], -1
                                        ; implicit-def: $vgpr1_vgpr2
	s_mov_b64 s[0:1], 0
.LBB95_429:
	s_and_b64 vcc, exec, s[50:51]
	s_cbranch_vccz .LBB95_434
; %bb.430:
	s_cmp_eq_u32 s53, 44
	s_cbranch_scc0 .LBB95_433
; %bb.431:
	global_load_ubyte v1, v[4:5], off
	s_mov_b32 s0, 0x2f800000
	s_mov_b32 s1, 0xcf800000
	s_mov_b64 s[48:49], 0
	s_waitcnt vmcnt(0)
	v_lshlrev_b32_e32 v2, 23, v1
	v_trunc_f32_e32 v2, v2
	v_mul_f32_e64 v6, |v2|, s0
	v_floor_f32_e32 v6, v6
	v_fma_f32 v7, v6, s1, |v2|
	v_cvt_u32_f32_e32 v7, v7
	v_cvt_u32_f32_e32 v6, v6
	v_ashrrev_i32_e32 v2, 31, v2
	s_mov_b64 s[0:1], -1
	v_xor_b32_e32 v7, v7, v2
	v_xor_b32_e32 v6, v6, v2
	v_sub_co_u32_e32 v7, vcc, v7, v2
	v_subb_co_u32_e32 v2, vcc, v6, v2, vcc
	v_cmp_ne_u32_e32 vcc, 0, v1
	v_cndmask_b32_e32 v2, 0, v2, vcc
	v_cndmask_b32_e32 v1, 0, v7, vcc
	s_branch .LBB95_434
.LBB95_432:
	s_mov_b64 s[52:53], -1
	s_mov_b64 s[0:1], 0
	s_mov_b64 s[50:51], s[42:43]
                                        ; implicit-def: $vgpr5_vgpr6
	s_branch .LBB95_544
.LBB95_433:
	s_mov_b64 s[48:49], -1
                                        ; implicit-def: $vgpr1_vgpr2
.LBB95_434:
	s_mov_b64 s[50:51], 0
.LBB95_435:
	s_and_b64 vcc, exec, s[50:51]
	s_cbranch_vccz .LBB95_439
; %bb.436:
	s_cmp_eq_u32 s53, 29
	s_cbranch_scc0 .LBB95_438
; %bb.437:
	global_load_dwordx2 v[1:2], v[4:5], off
	s_mov_b64 s[0:1], -1
	s_mov_b64 s[48:49], 0
	s_branch .LBB95_439
.LBB95_438:
	s_mov_b64 s[48:49], -1
                                        ; implicit-def: $vgpr1_vgpr2
.LBB95_439:
	s_mov_b64 s[50:51], 0
.LBB95_440:
	s_and_b64 vcc, exec, s[50:51]
	s_cbranch_vccz .LBB95_458
; %bb.441:
	s_cmp_lt_i32 s53, 27
	s_cbranch_scc1 .LBB95_444
; %bb.442:
	s_cmp_gt_i32 s53, 27
	s_cbranch_scc0 .LBB95_445
; %bb.443:
	global_load_dword v1, v[4:5], off
	s_waitcnt vmcnt(1)
	v_mov_b32_e32 v2, 0
	s_mov_b64 s[0:1], 0
	s_branch .LBB95_446
.LBB95_444:
	s_mov_b64 s[0:1], -1
                                        ; implicit-def: $vgpr1_vgpr2
	s_branch .LBB95_449
.LBB95_445:
	s_mov_b64 s[0:1], -1
                                        ; implicit-def: $vgpr1_vgpr2
.LBB95_446:
	s_andn2_b64 vcc, exec, s[0:1]
	s_cbranch_vccnz .LBB95_448
; %bb.447:
	global_load_ushort v1, v[4:5], off
	s_mov_b32 s0, 0
	s_waitcnt vmcnt(1)
	v_mov_b32_e32 v2, s0
	s_waitcnt vmcnt(0)
	v_and_b32_e32 v1, 0xffff, v1
.LBB95_448:
	s_mov_b64 s[0:1], 0
.LBB95_449:
	s_andn2_b64 vcc, exec, s[0:1]
	s_cbranch_vccnz .LBB95_457
; %bb.450:
	global_load_ubyte v6, v[4:5], off
	s_movk_i32 s0, 0x7f
	s_mov_b64 s[50:51], 0
	s_waitcnt vmcnt(0)
	v_cmp_lt_i16_e32 vcc, s0, v6
	s_and_saveexec_b64 s[0:1], vcc
	s_xor_b64 s[0:1], exec, s[0:1]
; %bb.451:
	s_movk_i32 s50, 0x80
	v_cmp_ne_u16_e32 vcc, s50, v6
	s_and_b64 s[50:51], vcc, exec
; %bb.452:
	s_andn2_saveexec_b64 s[0:1], s[0:1]
; %bb.453:
	v_cmp_ne_u16_e32 vcc, 0, v6
	s_andn2_b64 s[50:51], s[50:51], exec
	s_and_b64 s[56:57], vcc, exec
	s_or_b64 s[50:51], s[50:51], s[56:57]
; %bb.454:
	s_or_b64 exec, exec, s[0:1]
	v_mov_b32_e32 v1, 0
	v_mov_b32_e32 v2, 0
	s_and_saveexec_b64 s[0:1], s[50:51]
	s_cbranch_execz .LBB95_456
; %bb.455:
	v_and_b32_e32 v2, 0xffff, v6
	v_lshlrev_b32_e32 v1, 24, v6
	v_and_b32_e32 v6, 7, v2
	v_ffbh_u32_e32 v8, v6
	v_min_u32_e32 v8, 32, v8
	v_subrev_u32_e32 v9, 28, v8
	v_bfe_u32 v7, v2, 3, 4
	v_lshlrev_b32_e32 v2, v9, v2
	v_sub_u32_e32 v8, 29, v8
	v_and_b32_e32 v2, 7, v2
	v_cmp_eq_u32_e32 vcc, 0, v7
	v_cndmask_b32_e32 v7, v7, v8, vcc
	v_cndmask_b32_e32 v2, v6, v2, vcc
	v_mov_b32_e32 v6, 0x3b800000
	v_lshlrev_b32_e32 v2, 20, v2
	v_and_b32_e32 v1, 0x80000000, v1
	v_lshl_add_u32 v6, v7, 23, v6
	v_or3_b32 v1, v1, v6, v2
	v_trunc_f32_e32 v1, v1
	s_mov_b32 s50, 0x2f800000
	v_mul_f32_e64 v2, |v1|, s50
	v_floor_f32_e32 v2, v2
	s_mov_b32 s50, 0xcf800000
	v_fma_f32 v6, v2, s50, |v1|
	v_cvt_u32_f32_e32 v6, v6
	v_cvt_u32_f32_e32 v2, v2
	v_ashrrev_i32_e32 v7, 31, v1
	v_xor_b32_e32 v1, v6, v7
	v_xor_b32_e32 v2, v2, v7
	v_sub_co_u32_e32 v1, vcc, v1, v7
	v_subb_co_u32_e32 v2, vcc, v2, v7, vcc
.LBB95_456:
	s_or_b64 exec, exec, s[0:1]
.LBB95_457:
	s_mov_b64 s[0:1], -1
.LBB95_458:
	s_mov_b64 s[50:51], 0
.LBB95_459:
	s_and_b64 vcc, exec, s[50:51]
	s_cbranch_vccz .LBB95_490
; %bb.460:
	s_cmp_gt_i32 s53, 22
	s_cbranch_scc0 .LBB95_470
; %bb.461:
	s_cmp_lt_i32 s53, 24
	s_cbranch_scc1 .LBB95_471
; %bb.462:
	s_cmp_gt_i32 s53, 24
	s_cbranch_scc0 .LBB95_472
; %bb.463:
	global_load_ubyte v6, v[4:5], off
	s_movk_i32 s0, 0x7f
	s_mov_b64 s[50:51], 0
	s_waitcnt vmcnt(0)
	v_cmp_lt_i16_e32 vcc, s0, v6
	s_and_saveexec_b64 s[0:1], vcc
	s_xor_b64 s[0:1], exec, s[0:1]
; %bb.464:
	s_movk_i32 s50, 0x80
	v_cmp_ne_u16_e32 vcc, s50, v6
	s_and_b64 s[50:51], vcc, exec
; %bb.465:
	s_andn2_saveexec_b64 s[0:1], s[0:1]
; %bb.466:
	v_cmp_ne_u16_e32 vcc, 0, v6
	s_andn2_b64 s[50:51], s[50:51], exec
	s_and_b64 s[56:57], vcc, exec
	s_or_b64 s[50:51], s[50:51], s[56:57]
; %bb.467:
	s_or_b64 exec, exec, s[0:1]
	v_mov_b32_e32 v1, 0
	v_mov_b32_e32 v2, 0
	s_and_saveexec_b64 s[0:1], s[50:51]
	s_cbranch_execz .LBB95_469
; %bb.468:
	v_and_b32_e32 v2, 0xffff, v6
	v_lshlrev_b32_e32 v1, 24, v6
	v_and_b32_e32 v6, 3, v2
	v_ffbh_u32_e32 v8, v6
	v_min_u32_e32 v8, 32, v8
	v_subrev_u32_e32 v9, 29, v8
	v_bfe_u32 v7, v2, 2, 5
	v_lshlrev_b32_e32 v2, v9, v2
	v_sub_u32_e32 v8, 30, v8
	v_and_b32_e32 v2, 3, v2
	v_cmp_eq_u32_e32 vcc, 0, v7
	v_cndmask_b32_e32 v7, v7, v8, vcc
	v_cndmask_b32_e32 v2, v6, v2, vcc
	v_mov_b32_e32 v6, 0x37800000
	v_lshlrev_b32_e32 v2, 21, v2
	v_and_b32_e32 v1, 0x80000000, v1
	v_lshl_add_u32 v6, v7, 23, v6
	v_or3_b32 v1, v1, v6, v2
	v_trunc_f32_e32 v1, v1
	s_mov_b32 s50, 0x2f800000
	v_mul_f32_e64 v2, |v1|, s50
	v_floor_f32_e32 v2, v2
	s_mov_b32 s50, 0xcf800000
	v_fma_f32 v6, v2, s50, |v1|
	v_cvt_u32_f32_e32 v6, v6
	v_cvt_u32_f32_e32 v2, v2
	v_ashrrev_i32_e32 v7, 31, v1
	v_xor_b32_e32 v1, v6, v7
	v_xor_b32_e32 v2, v2, v7
	v_sub_co_u32_e32 v1, vcc, v1, v7
	v_subb_co_u32_e32 v2, vcc, v2, v7, vcc
.LBB95_469:
	s_or_b64 exec, exec, s[0:1]
	s_mov_b64 s[0:1], 0
	s_branch .LBB95_473
.LBB95_470:
	s_mov_b64 s[50:51], -1
                                        ; implicit-def: $vgpr1_vgpr2
	s_branch .LBB95_479
.LBB95_471:
	s_mov_b64 s[0:1], -1
                                        ; implicit-def: $vgpr1_vgpr2
	s_branch .LBB95_476
.LBB95_472:
	s_mov_b64 s[0:1], -1
                                        ; implicit-def: $vgpr1_vgpr2
.LBB95_473:
	s_and_b64 vcc, exec, s[0:1]
	s_cbranch_vccz .LBB95_475
; %bb.474:
	global_load_ubyte v1, v[4:5], off
	s_mov_b32 s0, 0x7f800000
	s_brev_b32 s1, 1
	s_mov_b32 s50, 0x2f800000
	s_mov_b32 s51, 0xcf800000
	s_waitcnt vmcnt(0)
	v_lshlrev_b32_e32 v1, 24, v1
	v_and_b32_e32 v2, 0x7f000000, v1
	v_ffbh_u32_e32 v6, v2
	v_min_u32_e32 v6, 32, v6
	v_sub_u32_e64 v6, v6, 4 clamp
	v_lshlrev_b32_e32 v8, v6, v2
	v_lshlrev_b32_e32 v6, 23, v6
	v_lshrrev_b32_e32 v8, 4, v8
	v_add_u32_e32 v7, 0x1000000, v2
	v_sub_u32_e32 v6, v8, v6
	v_ashrrev_i32_e32 v7, 8, v7
	v_add_u32_e32 v6, 0x3c000000, v6
	v_and_or_b32 v6, v7, s0, v6
	v_cmp_ne_u32_e32 vcc, 0, v2
	v_cndmask_b32_e32 v2, 0, v6, vcc
	v_and_or_b32 v1, v1, s1, v2
	v_trunc_f32_e32 v1, v1
	v_mul_f32_e64 v2, |v1|, s50
	v_floor_f32_e32 v2, v2
	v_fma_f32 v6, v2, s51, |v1|
	v_cvt_u32_f32_e32 v6, v6
	v_cvt_u32_f32_e32 v2, v2
	v_ashrrev_i32_e32 v7, 31, v1
	v_xor_b32_e32 v1, v6, v7
	v_xor_b32_e32 v2, v2, v7
	v_sub_co_u32_e32 v1, vcc, v1, v7
	v_subb_co_u32_e32 v2, vcc, v2, v7, vcc
.LBB95_475:
	s_mov_b64 s[0:1], 0
.LBB95_476:
	s_andn2_b64 vcc, exec, s[0:1]
	s_cbranch_vccnz .LBB95_478
; %bb.477:
	global_load_ubyte v1, v[4:5], off
	s_movk_i32 s0, 0x7f00
	s_brev_b32 s1, 16
	s_brev_b32 s50, 1
	s_mov_b32 s51, 0x2f800000
	s_mov_b32 s56, 0xcf800000
	s_waitcnt vmcnt(0)
	v_lshlrev_b16_e32 v2, 8, v1
	v_lshlrev_b32_e32 v1, 25, v1
	v_lshrrev_b32_e32 v6, 4, v1
	v_and_or_b32 v7, v2, s0, 0.5
	v_or_b32_e32 v6, 0x70000000, v6
	v_add_f32_e32 v7, -0.5, v7
	v_mul_f32_e32 v6, 0x7800000, v6
	v_cmp_gt_u32_e32 vcc, s1, v1
	v_bfe_i32 v2, v2, 0, 16
	v_cndmask_b32_e32 v1, v6, v7, vcc
	v_and_or_b32 v1, v2, s50, v1
	v_trunc_f32_e32 v1, v1
	v_mul_f32_e64 v2, |v1|, s51
	v_floor_f32_e32 v2, v2
	v_fma_f32 v6, v2, s56, |v1|
	v_cvt_u32_f32_e32 v6, v6
	v_cvt_u32_f32_e32 v2, v2
	v_ashrrev_i32_e32 v7, 31, v1
	v_xor_b32_e32 v1, v6, v7
	v_xor_b32_e32 v2, v2, v7
	v_sub_co_u32_e32 v1, vcc, v1, v7
	v_subb_co_u32_e32 v2, vcc, v2, v7, vcc
.LBB95_478:
	s_mov_b64 s[50:51], 0
	s_mov_b64 s[0:1], -1
.LBB95_479:
	s_andn2_b64 vcc, exec, s[50:51]
	s_cbranch_vccnz .LBB95_490
; %bb.480:
	s_cmp_gt_i32 s53, 14
	s_cbranch_scc0 .LBB95_483
; %bb.481:
	s_cmp_eq_u32 s53, 15
	s_cbranch_scc0 .LBB95_484
; %bb.482:
	global_load_ushort v1, v[4:5], off
	s_mov_b32 s0, 0x2f800000
	s_mov_b32 s1, 0xcf800000
	s_mov_b64 s[48:49], 0
	s_waitcnt vmcnt(0)
	v_lshlrev_b32_e32 v1, 16, v1
	v_trunc_f32_e32 v1, v1
	v_mul_f32_e64 v2, |v1|, s0
	v_floor_f32_e32 v2, v2
	v_fma_f32 v6, v2, s1, |v1|
	v_cvt_u32_f32_e32 v6, v6
	v_cvt_u32_f32_e32 v2, v2
	v_ashrrev_i32_e32 v7, 31, v1
	s_mov_b64 s[0:1], -1
	v_xor_b32_e32 v1, v6, v7
	v_xor_b32_e32 v2, v2, v7
	v_sub_co_u32_e32 v1, vcc, v1, v7
	v_subb_co_u32_e32 v2, vcc, v2, v7, vcc
	s_branch .LBB95_485
.LBB95_483:
	s_mov_b64 s[50:51], -1
                                        ; implicit-def: $vgpr1_vgpr2
	s_branch .LBB95_486
.LBB95_484:
	s_mov_b64 s[48:49], -1
                                        ; implicit-def: $vgpr1_vgpr2
.LBB95_485:
	s_mov_b64 s[50:51], 0
.LBB95_486:
	s_and_b64 vcc, exec, s[50:51]
	s_cbranch_vccz .LBB95_490
; %bb.487:
	s_cmp_eq_u32 s53, 11
	s_cbranch_scc0 .LBB95_489
; %bb.488:
	global_load_ubyte v1, v[4:5], off
	s_mov_b32 s48, 0
	s_mov_b64 s[0:1], -1
	s_waitcnt vmcnt(1)
	v_mov_b32_e32 v2, s48
	s_mov_b64 s[48:49], 0
	s_waitcnt vmcnt(0)
	v_cmp_ne_u16_e32 vcc, 0, v1
	v_cndmask_b32_e64 v1, 0, 1, vcc
	s_branch .LBB95_490
.LBB95_489:
	s_mov_b64 s[48:49], -1
                                        ; implicit-def: $vgpr1_vgpr2
.LBB95_490:
	s_branch .LBB95_410
.LBB95_491:
	s_and_b32 s50, 0xffff, s52
	s_cmp_lt_i32 s50, 5
	s_cbranch_scc1 .LBB95_496
; %bb.492:
	s_cmp_lt_i32 s50, 8
	s_cbranch_scc1 .LBB95_497
; %bb.493:
	;; [unrolled: 3-line block ×3, first 2 shown]
	s_cmp_gt_i32 s50, 9
	s_cbranch_scc0 .LBB95_499
; %bb.495:
	global_load_dwordx2 v[1:2], v[4:5], off
	s_movk_i32 s0, 0xffe0
	s_waitcnt vmcnt(0)
	v_trunc_f64_e32 v[1:2], v[1:2]
	v_ldexp_f64 v[6:7], v[1:2], s0
	s_mov_b32 s0, 0
	s_mov_b32 s1, 0xc1f00000
	v_floor_f64_e32 v[6:7], v[6:7]
	v_fma_f64 v[8:9], v[6:7], s[0:1], v[1:2]
	v_cvt_i32_f64_e32 v2, v[6:7]
	s_mov_b64 s[0:1], 0
	v_cvt_u32_f64_e32 v1, v[8:9]
	s_branch .LBB95_500
.LBB95_496:
	s_mov_b64 s[0:1], -1
                                        ; implicit-def: $vgpr1_vgpr2
	s_branch .LBB95_518
.LBB95_497:
	s_mov_b64 s[0:1], -1
                                        ; implicit-def: $vgpr1_vgpr2
	s_branch .LBB95_506
.LBB95_498:
	s_mov_b64 s[0:1], -1
                                        ; implicit-def: $vgpr1_vgpr2
	s_branch .LBB95_503
.LBB95_499:
	s_mov_b64 s[0:1], -1
                                        ; implicit-def: $vgpr1_vgpr2
.LBB95_500:
	s_andn2_b64 vcc, exec, s[0:1]
	s_cbranch_vccnz .LBB95_502
; %bb.501:
	global_load_dword v1, v[4:5], off
	s_mov_b32 s0, 0x2f800000
	s_mov_b32 s1, 0xcf800000
	s_waitcnt vmcnt(0)
	v_trunc_f32_e32 v1, v1
	v_mul_f32_e64 v2, |v1|, s0
	v_floor_f32_e32 v2, v2
	v_cvt_u32_f32_e32 v6, v2
	v_fma_f32 v2, v2, s1, |v1|
	v_cvt_u32_f32_e32 v2, v2
	v_ashrrev_i32_e32 v7, 31, v1
	v_xor_b32_e32 v6, v6, v7
	v_xor_b32_e32 v1, v2, v7
	v_sub_co_u32_e32 v1, vcc, v1, v7
	v_subb_co_u32_e32 v2, vcc, v6, v7, vcc
.LBB95_502:
	s_mov_b64 s[0:1], 0
.LBB95_503:
	s_andn2_b64 vcc, exec, s[0:1]
	s_cbranch_vccnz .LBB95_505
; %bb.504:
	global_load_dword v1, v[4:5], off
	s_waitcnt vmcnt(0)
	v_cvt_f32_f16_e32 v1, v1
	v_cvt_i32_f32_e32 v1, v1
	v_ashrrev_i32_e32 v2, 31, v1
.LBB95_505:
	s_mov_b64 s[0:1], 0
.LBB95_506:
	s_andn2_b64 vcc, exec, s[0:1]
	s_cbranch_vccnz .LBB95_517
; %bb.507:
	s_cmp_lt_i32 s50, 6
	s_cbranch_scc1 .LBB95_510
; %bb.508:
	s_cmp_gt_i32 s50, 6
	s_cbranch_scc0 .LBB95_511
; %bb.509:
	global_load_dwordx2 v[1:2], v[4:5], off
	s_movk_i32 s0, 0xffe0
	s_waitcnt vmcnt(0)
	v_trunc_f64_e32 v[1:2], v[1:2]
	v_ldexp_f64 v[6:7], v[1:2], s0
	s_mov_b32 s0, 0
	s_mov_b32 s1, 0xc1f00000
	v_floor_f64_e32 v[6:7], v[6:7]
	v_fma_f64 v[8:9], v[6:7], s[0:1], v[1:2]
	v_cvt_i32_f64_e32 v2, v[6:7]
	s_mov_b64 s[0:1], 0
	v_cvt_u32_f64_e32 v1, v[8:9]
	s_branch .LBB95_512
.LBB95_510:
	s_mov_b64 s[0:1], -1
                                        ; implicit-def: $vgpr1_vgpr2
	s_branch .LBB95_515
.LBB95_511:
	s_mov_b64 s[0:1], -1
                                        ; implicit-def: $vgpr1_vgpr2
.LBB95_512:
	s_andn2_b64 vcc, exec, s[0:1]
	s_cbranch_vccnz .LBB95_514
; %bb.513:
	global_load_dword v1, v[4:5], off
	s_mov_b32 s0, 0x2f800000
	s_mov_b32 s1, 0xcf800000
	s_waitcnt vmcnt(0)
	v_trunc_f32_e32 v1, v1
	v_mul_f32_e64 v2, |v1|, s0
	v_floor_f32_e32 v2, v2
	v_cvt_u32_f32_e32 v6, v2
	v_fma_f32 v2, v2, s1, |v1|
	v_cvt_u32_f32_e32 v2, v2
	v_ashrrev_i32_e32 v7, 31, v1
	v_xor_b32_e32 v6, v6, v7
	v_xor_b32_e32 v1, v2, v7
	v_sub_co_u32_e32 v1, vcc, v1, v7
	v_subb_co_u32_e32 v2, vcc, v6, v7, vcc
.LBB95_514:
	s_mov_b64 s[0:1], 0
.LBB95_515:
	s_andn2_b64 vcc, exec, s[0:1]
	s_cbranch_vccnz .LBB95_517
; %bb.516:
	global_load_ushort v1, v[4:5], off
	s_waitcnt vmcnt(0)
	v_cvt_f32_f16_e32 v1, v1
	v_cvt_i32_f32_e32 v1, v1
	v_ashrrev_i32_e32 v2, 31, v1
.LBB95_517:
	s_mov_b64 s[0:1], 0
.LBB95_518:
	s_andn2_b64 vcc, exec, s[0:1]
	s_cbranch_vccnz .LBB95_538
; %bb.519:
	s_cmp_lt_i32 s50, 2
	s_cbranch_scc1 .LBB95_523
; %bb.520:
	s_cmp_lt_i32 s50, 3
	s_cbranch_scc1 .LBB95_524
; %bb.521:
	s_cmp_gt_i32 s50, 3
	s_cbranch_scc0 .LBB95_525
; %bb.522:
	global_load_dwordx2 v[1:2], v[4:5], off
	s_mov_b64 s[0:1], 0
	s_branch .LBB95_526
.LBB95_523:
	s_mov_b64 s[0:1], -1
                                        ; implicit-def: $vgpr1_vgpr2
	s_branch .LBB95_532
.LBB95_524:
	s_mov_b64 s[0:1], -1
                                        ; implicit-def: $vgpr1_vgpr2
	s_branch .LBB95_529
.LBB95_525:
	s_mov_b64 s[0:1], -1
                                        ; implicit-def: $vgpr1_vgpr2
.LBB95_526:
	s_andn2_b64 vcc, exec, s[0:1]
	s_cbranch_vccnz .LBB95_528
; %bb.527:
	global_load_dword v1, v[4:5], off
	s_waitcnt vmcnt(0)
	v_ashrrev_i32_e32 v2, 31, v1
.LBB95_528:
	s_mov_b64 s[0:1], 0
.LBB95_529:
	s_andn2_b64 vcc, exec, s[0:1]
	s_cbranch_vccnz .LBB95_531
; %bb.530:
	global_load_ushort v1, v[4:5], off
	s_waitcnt vmcnt(0)
	v_bfe_i32 v1, v1, 0, 16
	v_ashrrev_i32_e32 v2, 31, v1
.LBB95_531:
	s_mov_b64 s[0:1], 0
.LBB95_532:
	s_andn2_b64 vcc, exec, s[0:1]
	s_cbranch_vccnz .LBB95_538
; %bb.533:
	s_cmp_gt_i32 s50, 0
	s_cbranch_scc0 .LBB95_535
; %bb.534:
	global_load_sbyte v1, v[4:5], off
	s_mov_b64 s[0:1], 0
	s_waitcnt vmcnt(0)
	v_bfe_i32 v1, v1, 0, 16
	v_ashrrev_i32_e32 v2, 31, v1
	s_branch .LBB95_536
.LBB95_535:
	s_mov_b64 s[0:1], -1
                                        ; implicit-def: $vgpr1_vgpr2
.LBB95_536:
	s_andn2_b64 vcc, exec, s[0:1]
	s_cbranch_vccnz .LBB95_538
; %bb.537:
	global_load_ubyte v1, v[4:5], off
	s_mov_b32 s0, 0
	s_waitcnt vmcnt(1)
	v_mov_b32_e32 v2, s0
	s_waitcnt vmcnt(0)
	v_and_b32_e32 v1, 0xffff, v1
.LBB95_538:
	s_branch .LBB95_411
.LBB95_539:
	s_mov_b64 s[56:57], 0
	s_mov_b64 s[0:1], s[40:41]
	s_mov_b64 s[50:51], s[42:43]
.LBB95_540:
                                        ; implicit-def: $vgpr10
	s_branch .LBB95_778
.LBB95_541:
	s_andn2_saveexec_b64 s[52:53], s[52:53]
	s_cbranch_execz .LBB95_200
.LBB95_542:
	s_mov_b32 s56, 0x42800000
	v_add_f32_e64 v5, |v0|, s56
	v_and_b32_e32 v5, 0xff, v5
	v_cmp_ne_u32_e32 vcc, 0, v5
	s_andn2_b64 s[48:49], s[48:49], exec
	s_and_b64 s[56:57], vcc, exec
	s_or_b64 s[48:49], s[48:49], s[56:57]
	s_or_b64 exec, exec, s[52:53]
	v_mov_b32_e32 v6, 0
	s_and_saveexec_b64 s[52:53], s[48:49]
	s_cbranch_execnz .LBB95_201
	s_branch .LBB95_202
.LBB95_543:
	s_mov_b64 s[50:51], -1
                                        ; implicit-def: $vgpr5_vgpr6
	s_mov_b64 s[0:1], 0
.LBB95_544:
	s_and_b64 vcc, exec, s[52:53]
	s_cbranch_vccz .LBB95_548
; %bb.545:
	s_cmp_eq_u32 s57, 44
	s_cbranch_scc0 .LBB95_547
; %bb.546:
	global_load_ubyte v5, v[3:4], off
	s_mov_b32 s0, 0x2f800000
	s_mov_b32 s1, 0xcf800000
	s_mov_b64 s[50:51], 0
	s_waitcnt vmcnt(0)
	v_lshlrev_b32_e32 v6, 23, v5
	v_trunc_f32_e32 v6, v6
	v_mul_f32_e64 v7, |v6|, s0
	v_floor_f32_e32 v7, v7
	v_fma_f32 v8, v7, s1, |v6|
	v_cvt_u32_f32_e32 v8, v8
	v_cvt_u32_f32_e32 v7, v7
	v_ashrrev_i32_e32 v6, 31, v6
	s_mov_b64 s[0:1], -1
	v_xor_b32_e32 v8, v8, v6
	v_xor_b32_e32 v7, v7, v6
	v_sub_co_u32_e32 v8, vcc, v8, v6
	v_subb_co_u32_e32 v6, vcc, v7, v6, vcc
	v_cmp_ne_u32_e32 vcc, 0, v5
	v_cndmask_b32_e32 v6, 0, v6, vcc
	v_cndmask_b32_e32 v5, 0, v8, vcc
	s_branch .LBB95_548
.LBB95_547:
	s_mov_b64 s[50:51], -1
                                        ; implicit-def: $vgpr5_vgpr6
.LBB95_548:
	s_mov_b64 s[52:53], 0
.LBB95_549:
	s_and_b64 vcc, exec, s[52:53]
	s_cbranch_vccz .LBB95_553
; %bb.550:
	s_cmp_eq_u32 s57, 29
	s_cbranch_scc0 .LBB95_552
; %bb.551:
	global_load_dwordx2 v[5:6], v[3:4], off
	s_mov_b64 s[0:1], -1
	s_mov_b64 s[50:51], 0
	s_branch .LBB95_553
.LBB95_552:
	s_mov_b64 s[50:51], -1
                                        ; implicit-def: $vgpr5_vgpr6
.LBB95_553:
	s_mov_b64 s[52:53], 0
.LBB95_554:
	s_and_b64 vcc, exec, s[52:53]
	s_cbranch_vccz .LBB95_572
; %bb.555:
	s_cmp_lt_i32 s57, 27
	s_cbranch_scc1 .LBB95_558
; %bb.556:
	s_cmp_gt_i32 s57, 27
	s_cbranch_scc0 .LBB95_559
; %bb.557:
	global_load_dword v5, v[3:4], off
	s_waitcnt vmcnt(1)
	v_mov_b32_e32 v6, 0
	s_mov_b64 s[0:1], 0
	s_branch .LBB95_560
.LBB95_558:
	s_mov_b64 s[0:1], -1
                                        ; implicit-def: $vgpr5_vgpr6
	s_branch .LBB95_563
.LBB95_559:
	s_mov_b64 s[0:1], -1
                                        ; implicit-def: $vgpr5_vgpr6
.LBB95_560:
	s_andn2_b64 vcc, exec, s[0:1]
	s_cbranch_vccnz .LBB95_562
; %bb.561:
	global_load_ushort v5, v[3:4], off
	s_mov_b32 s0, 0
	s_waitcnt vmcnt(1)
	v_mov_b32_e32 v6, s0
	s_waitcnt vmcnt(0)
	v_and_b32_e32 v5, 0xffff, v5
.LBB95_562:
	s_mov_b64 s[0:1], 0
.LBB95_563:
	s_andn2_b64 vcc, exec, s[0:1]
	s_cbranch_vccnz .LBB95_571
; %bb.564:
	global_load_ubyte v7, v[3:4], off
	s_movk_i32 s0, 0x7f
	s_mov_b64 s[52:53], 0
	s_waitcnt vmcnt(0)
	v_cmp_lt_i16_e32 vcc, s0, v7
	s_and_saveexec_b64 s[0:1], vcc
	s_xor_b64 s[0:1], exec, s[0:1]
; %bb.565:
	s_movk_i32 s52, 0x80
	v_cmp_ne_u16_e32 vcc, s52, v7
	s_and_b64 s[52:53], vcc, exec
; %bb.566:
	s_andn2_saveexec_b64 s[0:1], s[0:1]
; %bb.567:
	v_cmp_ne_u16_e32 vcc, 0, v7
	s_andn2_b64 s[52:53], s[52:53], exec
	s_and_b64 s[58:59], vcc, exec
	s_or_b64 s[52:53], s[52:53], s[58:59]
; %bb.568:
	s_or_b64 exec, exec, s[0:1]
	v_mov_b32_e32 v5, 0
	v_mov_b32_e32 v6, 0
	s_and_saveexec_b64 s[0:1], s[52:53]
	s_cbranch_execz .LBB95_570
; %bb.569:
	v_and_b32_e32 v6, 0xffff, v7
	v_lshlrev_b32_e32 v5, 24, v7
	v_and_b32_e32 v7, 7, v6
	v_ffbh_u32_e32 v9, v7
	v_min_u32_e32 v9, 32, v9
	v_subrev_u32_e32 v11, 28, v9
	v_bfe_u32 v8, v6, 3, 4
	v_lshlrev_b32_e32 v6, v11, v6
	v_sub_u32_e32 v9, 29, v9
	v_and_b32_e32 v6, 7, v6
	v_cmp_eq_u32_e32 vcc, 0, v8
	v_cndmask_b32_e32 v8, v8, v9, vcc
	v_cndmask_b32_e32 v6, v7, v6, vcc
	v_mov_b32_e32 v7, 0x3b800000
	v_lshlrev_b32_e32 v6, 20, v6
	v_and_b32_e32 v5, 0x80000000, v5
	v_lshl_add_u32 v7, v8, 23, v7
	v_or3_b32 v5, v5, v7, v6
	v_trunc_f32_e32 v5, v5
	s_mov_b32 s52, 0x2f800000
	v_mul_f32_e64 v6, |v5|, s52
	v_floor_f32_e32 v6, v6
	s_mov_b32 s52, 0xcf800000
	v_fma_f32 v7, v6, s52, |v5|
	v_cvt_u32_f32_e32 v7, v7
	v_cvt_u32_f32_e32 v6, v6
	v_ashrrev_i32_e32 v8, 31, v5
	v_xor_b32_e32 v5, v7, v8
	v_xor_b32_e32 v6, v6, v8
	v_sub_co_u32_e32 v5, vcc, v5, v8
	v_subb_co_u32_e32 v6, vcc, v6, v8, vcc
.LBB95_570:
	s_or_b64 exec, exec, s[0:1]
.LBB95_571:
	s_mov_b64 s[0:1], -1
.LBB95_572:
	s_mov_b64 s[52:53], 0
.LBB95_573:
	s_and_b64 vcc, exec, s[52:53]
	s_cbranch_vccz .LBB95_604
; %bb.574:
	s_cmp_gt_i32 s57, 22
	s_cbranch_scc0 .LBB95_584
; %bb.575:
	s_cmp_lt_i32 s57, 24
	s_cbranch_scc1 .LBB95_585
; %bb.576:
	s_cmp_gt_i32 s57, 24
	s_cbranch_scc0 .LBB95_586
; %bb.577:
	global_load_ubyte v7, v[3:4], off
	s_movk_i32 s0, 0x7f
	s_mov_b64 s[52:53], 0
	s_waitcnt vmcnt(0)
	v_cmp_lt_i16_e32 vcc, s0, v7
	s_and_saveexec_b64 s[0:1], vcc
	s_xor_b64 s[0:1], exec, s[0:1]
; %bb.578:
	s_movk_i32 s52, 0x80
	v_cmp_ne_u16_e32 vcc, s52, v7
	s_and_b64 s[52:53], vcc, exec
; %bb.579:
	s_andn2_saveexec_b64 s[0:1], s[0:1]
; %bb.580:
	v_cmp_ne_u16_e32 vcc, 0, v7
	s_andn2_b64 s[52:53], s[52:53], exec
	s_and_b64 s[58:59], vcc, exec
	s_or_b64 s[52:53], s[52:53], s[58:59]
; %bb.581:
	s_or_b64 exec, exec, s[0:1]
	v_mov_b32_e32 v5, 0
	v_mov_b32_e32 v6, 0
	s_and_saveexec_b64 s[0:1], s[52:53]
	s_cbranch_execz .LBB95_583
; %bb.582:
	v_and_b32_e32 v6, 0xffff, v7
	v_lshlrev_b32_e32 v5, 24, v7
	v_and_b32_e32 v7, 3, v6
	v_ffbh_u32_e32 v9, v7
	v_min_u32_e32 v9, 32, v9
	v_subrev_u32_e32 v11, 29, v9
	v_bfe_u32 v8, v6, 2, 5
	v_lshlrev_b32_e32 v6, v11, v6
	v_sub_u32_e32 v9, 30, v9
	v_and_b32_e32 v6, 3, v6
	v_cmp_eq_u32_e32 vcc, 0, v8
	v_cndmask_b32_e32 v8, v8, v9, vcc
	v_cndmask_b32_e32 v6, v7, v6, vcc
	v_mov_b32_e32 v7, 0x37800000
	v_lshlrev_b32_e32 v6, 21, v6
	v_and_b32_e32 v5, 0x80000000, v5
	v_lshl_add_u32 v7, v8, 23, v7
	v_or3_b32 v5, v5, v7, v6
	v_trunc_f32_e32 v5, v5
	s_mov_b32 s52, 0x2f800000
	v_mul_f32_e64 v6, |v5|, s52
	v_floor_f32_e32 v6, v6
	s_mov_b32 s52, 0xcf800000
	v_fma_f32 v7, v6, s52, |v5|
	v_cvt_u32_f32_e32 v7, v7
	v_cvt_u32_f32_e32 v6, v6
	v_ashrrev_i32_e32 v8, 31, v5
	v_xor_b32_e32 v5, v7, v8
	v_xor_b32_e32 v6, v6, v8
	v_sub_co_u32_e32 v5, vcc, v5, v8
	v_subb_co_u32_e32 v6, vcc, v6, v8, vcc
.LBB95_583:
	s_or_b64 exec, exec, s[0:1]
	s_mov_b64 s[0:1], 0
	s_branch .LBB95_587
.LBB95_584:
	s_mov_b64 s[52:53], -1
                                        ; implicit-def: $vgpr5_vgpr6
	s_branch .LBB95_593
.LBB95_585:
	s_mov_b64 s[0:1], -1
                                        ; implicit-def: $vgpr5_vgpr6
	s_branch .LBB95_590
.LBB95_586:
	s_mov_b64 s[0:1], -1
                                        ; implicit-def: $vgpr5_vgpr6
.LBB95_587:
	s_and_b64 vcc, exec, s[0:1]
	s_cbranch_vccz .LBB95_589
; %bb.588:
	global_load_ubyte v5, v[3:4], off
	s_mov_b32 s0, 0x7f800000
	s_brev_b32 s1, 1
	s_mov_b32 s52, 0x2f800000
	s_mov_b32 s53, 0xcf800000
	s_waitcnt vmcnt(0)
	v_lshlrev_b32_e32 v5, 24, v5
	v_and_b32_e32 v6, 0x7f000000, v5
	v_ffbh_u32_e32 v7, v6
	v_min_u32_e32 v7, 32, v7
	v_sub_u32_e64 v7, v7, 4 clamp
	v_lshlrev_b32_e32 v9, v7, v6
	v_lshlrev_b32_e32 v7, 23, v7
	v_lshrrev_b32_e32 v9, 4, v9
	v_add_u32_e32 v8, 0x1000000, v6
	v_sub_u32_e32 v7, v9, v7
	v_ashrrev_i32_e32 v8, 8, v8
	v_add_u32_e32 v7, 0x3c000000, v7
	v_and_or_b32 v7, v8, s0, v7
	v_cmp_ne_u32_e32 vcc, 0, v6
	v_cndmask_b32_e32 v6, 0, v7, vcc
	v_and_or_b32 v5, v5, s1, v6
	v_trunc_f32_e32 v5, v5
	v_mul_f32_e64 v6, |v5|, s52
	v_floor_f32_e32 v6, v6
	v_fma_f32 v7, v6, s53, |v5|
	v_cvt_u32_f32_e32 v7, v7
	v_cvt_u32_f32_e32 v6, v6
	v_ashrrev_i32_e32 v8, 31, v5
	v_xor_b32_e32 v5, v7, v8
	v_xor_b32_e32 v6, v6, v8
	v_sub_co_u32_e32 v5, vcc, v5, v8
	v_subb_co_u32_e32 v6, vcc, v6, v8, vcc
.LBB95_589:
	s_mov_b64 s[0:1], 0
.LBB95_590:
	s_andn2_b64 vcc, exec, s[0:1]
	s_cbranch_vccnz .LBB95_592
; %bb.591:
	global_load_ubyte v5, v[3:4], off
	s_movk_i32 s0, 0x7f00
	s_brev_b32 s1, 16
	s_brev_b32 s52, 1
	s_mov_b32 s53, 0x2f800000
	s_mov_b32 s58, 0xcf800000
	s_waitcnt vmcnt(0)
	v_lshlrev_b16_e32 v6, 8, v5
	v_lshlrev_b32_e32 v5, 25, v5
	v_lshrrev_b32_e32 v7, 4, v5
	v_and_or_b32 v8, v6, s0, 0.5
	v_or_b32_e32 v7, 0x70000000, v7
	v_add_f32_e32 v8, -0.5, v8
	v_mul_f32_e32 v7, 0x7800000, v7
	v_cmp_gt_u32_e32 vcc, s1, v5
	v_bfe_i32 v6, v6, 0, 16
	v_cndmask_b32_e32 v5, v7, v8, vcc
	v_and_or_b32 v5, v6, s52, v5
	v_trunc_f32_e32 v5, v5
	v_mul_f32_e64 v6, |v5|, s53
	v_floor_f32_e32 v6, v6
	v_fma_f32 v7, v6, s58, |v5|
	v_cvt_u32_f32_e32 v7, v7
	v_cvt_u32_f32_e32 v6, v6
	v_ashrrev_i32_e32 v8, 31, v5
	v_xor_b32_e32 v5, v7, v8
	v_xor_b32_e32 v6, v6, v8
	v_sub_co_u32_e32 v5, vcc, v5, v8
	v_subb_co_u32_e32 v6, vcc, v6, v8, vcc
.LBB95_592:
	s_mov_b64 s[52:53], 0
	s_mov_b64 s[0:1], -1
.LBB95_593:
	s_andn2_b64 vcc, exec, s[52:53]
	s_cbranch_vccnz .LBB95_604
; %bb.594:
	s_cmp_gt_i32 s57, 14
	s_cbranch_scc0 .LBB95_597
; %bb.595:
	s_cmp_eq_u32 s57, 15
	s_cbranch_scc0 .LBB95_598
; %bb.596:
	global_load_ushort v5, v[3:4], off
	s_mov_b32 s0, 0x2f800000
	s_mov_b32 s1, 0xcf800000
	s_mov_b64 s[50:51], 0
	s_waitcnt vmcnt(0)
	v_lshlrev_b32_e32 v5, 16, v5
	v_trunc_f32_e32 v5, v5
	v_mul_f32_e64 v6, |v5|, s0
	v_floor_f32_e32 v6, v6
	v_fma_f32 v7, v6, s1, |v5|
	v_cvt_u32_f32_e32 v7, v7
	v_cvt_u32_f32_e32 v6, v6
	v_ashrrev_i32_e32 v8, 31, v5
	s_mov_b64 s[0:1], -1
	v_xor_b32_e32 v5, v7, v8
	v_xor_b32_e32 v6, v6, v8
	v_sub_co_u32_e32 v5, vcc, v5, v8
	v_subb_co_u32_e32 v6, vcc, v6, v8, vcc
	s_branch .LBB95_599
.LBB95_597:
	s_mov_b64 s[52:53], -1
                                        ; implicit-def: $vgpr5_vgpr6
	s_branch .LBB95_600
.LBB95_598:
	s_mov_b64 s[50:51], -1
                                        ; implicit-def: $vgpr5_vgpr6
.LBB95_599:
	s_mov_b64 s[52:53], 0
.LBB95_600:
	s_and_b64 vcc, exec, s[52:53]
	s_cbranch_vccz .LBB95_604
; %bb.601:
	s_cmp_eq_u32 s57, 11
	s_cbranch_scc0 .LBB95_603
; %bb.602:
	global_load_ubyte v5, v[3:4], off
	s_mov_b32 s50, 0
	s_mov_b64 s[0:1], -1
	s_waitcnt vmcnt(1)
	v_mov_b32_e32 v6, s50
	s_mov_b64 s[50:51], 0
	s_waitcnt vmcnt(0)
	v_cmp_ne_u16_e32 vcc, 0, v5
	v_cndmask_b32_e64 v5, 0, 1, vcc
	s_branch .LBB95_604
.LBB95_603:
	s_mov_b64 s[50:51], -1
                                        ; implicit-def: $vgpr5_vgpr6
.LBB95_604:
	s_mov_b64 s[52:53], 0
.LBB95_605:
	s_and_b64 vcc, exec, s[52:53]
	s_cbranch_vccz .LBB95_654
; %bb.606:
	s_and_b32 s52, 0xffff, s56
	s_cmp_lt_i32 s52, 5
	s_cbranch_scc1 .LBB95_611
; %bb.607:
	s_cmp_lt_i32 s52, 8
	s_cbranch_scc1 .LBB95_612
; %bb.608:
	;; [unrolled: 3-line block ×3, first 2 shown]
	s_cmp_gt_i32 s52, 9
	s_cbranch_scc0 .LBB95_614
; %bb.610:
	global_load_dwordx2 v[5:6], v[3:4], off
	s_movk_i32 s0, 0xffe0
	s_waitcnt vmcnt(0)
	v_trunc_f64_e32 v[5:6], v[5:6]
	v_ldexp_f64 v[7:8], v[5:6], s0
	s_mov_b32 s0, 0
	s_mov_b32 s1, 0xc1f00000
	v_floor_f64_e32 v[7:8], v[7:8]
	v_fma_f64 v[11:12], v[7:8], s[0:1], v[5:6]
	v_cvt_i32_f64_e32 v6, v[7:8]
	s_mov_b64 s[0:1], 0
	v_cvt_u32_f64_e32 v5, v[11:12]
	s_branch .LBB95_615
.LBB95_611:
	s_mov_b64 s[0:1], -1
                                        ; implicit-def: $vgpr5_vgpr6
	s_branch .LBB95_633
.LBB95_612:
	s_mov_b64 s[0:1], -1
                                        ; implicit-def: $vgpr5_vgpr6
	s_branch .LBB95_621
.LBB95_613:
	s_mov_b64 s[0:1], -1
                                        ; implicit-def: $vgpr5_vgpr6
	s_branch .LBB95_618
.LBB95_614:
	s_mov_b64 s[0:1], -1
                                        ; implicit-def: $vgpr5_vgpr6
.LBB95_615:
	s_andn2_b64 vcc, exec, s[0:1]
	s_cbranch_vccnz .LBB95_617
; %bb.616:
	global_load_dword v5, v[3:4], off
	s_mov_b32 s0, 0x2f800000
	s_mov_b32 s1, 0xcf800000
	s_waitcnt vmcnt(0)
	v_trunc_f32_e32 v5, v5
	v_mul_f32_e64 v6, |v5|, s0
	v_floor_f32_e32 v6, v6
	v_cvt_u32_f32_e32 v7, v6
	v_fma_f32 v6, v6, s1, |v5|
	v_cvt_u32_f32_e32 v6, v6
	v_ashrrev_i32_e32 v8, 31, v5
	v_xor_b32_e32 v7, v7, v8
	v_xor_b32_e32 v5, v6, v8
	v_sub_co_u32_e32 v5, vcc, v5, v8
	v_subb_co_u32_e32 v6, vcc, v7, v8, vcc
.LBB95_617:
	s_mov_b64 s[0:1], 0
.LBB95_618:
	s_andn2_b64 vcc, exec, s[0:1]
	s_cbranch_vccnz .LBB95_620
; %bb.619:
	global_load_dword v5, v[3:4], off
	s_waitcnt vmcnt(0)
	v_cvt_f32_f16_e32 v5, v5
	v_cvt_i32_f32_e32 v5, v5
	v_ashrrev_i32_e32 v6, 31, v5
.LBB95_620:
	s_mov_b64 s[0:1], 0
.LBB95_621:
	s_andn2_b64 vcc, exec, s[0:1]
	s_cbranch_vccnz .LBB95_632
; %bb.622:
	s_cmp_lt_i32 s52, 6
	s_cbranch_scc1 .LBB95_625
; %bb.623:
	s_cmp_gt_i32 s52, 6
	s_cbranch_scc0 .LBB95_626
; %bb.624:
	global_load_dwordx2 v[5:6], v[3:4], off
	s_movk_i32 s0, 0xffe0
	s_waitcnt vmcnt(0)
	v_trunc_f64_e32 v[5:6], v[5:6]
	v_ldexp_f64 v[7:8], v[5:6], s0
	s_mov_b32 s0, 0
	s_mov_b32 s1, 0xc1f00000
	v_floor_f64_e32 v[7:8], v[7:8]
	v_fma_f64 v[11:12], v[7:8], s[0:1], v[5:6]
	v_cvt_i32_f64_e32 v6, v[7:8]
	s_mov_b64 s[0:1], 0
	v_cvt_u32_f64_e32 v5, v[11:12]
	s_branch .LBB95_627
.LBB95_625:
	s_mov_b64 s[0:1], -1
                                        ; implicit-def: $vgpr5_vgpr6
	s_branch .LBB95_630
.LBB95_626:
	s_mov_b64 s[0:1], -1
                                        ; implicit-def: $vgpr5_vgpr6
.LBB95_627:
	s_andn2_b64 vcc, exec, s[0:1]
	s_cbranch_vccnz .LBB95_629
; %bb.628:
	global_load_dword v5, v[3:4], off
	s_mov_b32 s0, 0x2f800000
	s_mov_b32 s1, 0xcf800000
	s_waitcnt vmcnt(0)
	v_trunc_f32_e32 v5, v5
	v_mul_f32_e64 v6, |v5|, s0
	v_floor_f32_e32 v6, v6
	v_cvt_u32_f32_e32 v7, v6
	v_fma_f32 v6, v6, s1, |v5|
	v_cvt_u32_f32_e32 v6, v6
	v_ashrrev_i32_e32 v8, 31, v5
	v_xor_b32_e32 v7, v7, v8
	v_xor_b32_e32 v5, v6, v8
	v_sub_co_u32_e32 v5, vcc, v5, v8
	v_subb_co_u32_e32 v6, vcc, v7, v8, vcc
.LBB95_629:
	s_mov_b64 s[0:1], 0
.LBB95_630:
	s_andn2_b64 vcc, exec, s[0:1]
	s_cbranch_vccnz .LBB95_632
; %bb.631:
	global_load_ushort v5, v[3:4], off
	s_waitcnt vmcnt(0)
	v_cvt_f32_f16_e32 v5, v5
	v_cvt_i32_f32_e32 v5, v5
	v_ashrrev_i32_e32 v6, 31, v5
.LBB95_632:
	s_mov_b64 s[0:1], 0
.LBB95_633:
	s_andn2_b64 vcc, exec, s[0:1]
	s_cbranch_vccnz .LBB95_653
; %bb.634:
	s_cmp_lt_i32 s52, 2
	s_cbranch_scc1 .LBB95_638
; %bb.635:
	s_cmp_lt_i32 s52, 3
	s_cbranch_scc1 .LBB95_639
; %bb.636:
	s_cmp_gt_i32 s52, 3
	s_cbranch_scc0 .LBB95_640
; %bb.637:
	global_load_dwordx2 v[5:6], v[3:4], off
	s_mov_b64 s[0:1], 0
	s_branch .LBB95_641
.LBB95_638:
	s_mov_b64 s[0:1], -1
                                        ; implicit-def: $vgpr5_vgpr6
	s_branch .LBB95_647
.LBB95_639:
	s_mov_b64 s[0:1], -1
                                        ; implicit-def: $vgpr5_vgpr6
	s_branch .LBB95_644
.LBB95_640:
	s_mov_b64 s[0:1], -1
                                        ; implicit-def: $vgpr5_vgpr6
.LBB95_641:
	s_andn2_b64 vcc, exec, s[0:1]
	s_cbranch_vccnz .LBB95_643
; %bb.642:
	global_load_dword v5, v[3:4], off
	s_waitcnt vmcnt(0)
	v_ashrrev_i32_e32 v6, 31, v5
.LBB95_643:
	s_mov_b64 s[0:1], 0
.LBB95_644:
	s_andn2_b64 vcc, exec, s[0:1]
	s_cbranch_vccnz .LBB95_646
; %bb.645:
	global_load_ushort v5, v[3:4], off
	s_waitcnt vmcnt(0)
	v_bfe_i32 v5, v5, 0, 16
	v_ashrrev_i32_e32 v6, 31, v5
.LBB95_646:
	s_mov_b64 s[0:1], 0
.LBB95_647:
	s_andn2_b64 vcc, exec, s[0:1]
	s_cbranch_vccnz .LBB95_653
; %bb.648:
	s_cmp_gt_i32 s52, 0
	s_cbranch_scc0 .LBB95_650
; %bb.649:
	global_load_sbyte v5, v[3:4], off
	s_mov_b64 s[0:1], 0
	s_waitcnt vmcnt(0)
	v_bfe_i32 v5, v5, 0, 16
	v_ashrrev_i32_e32 v6, 31, v5
	s_branch .LBB95_651
.LBB95_650:
	s_mov_b64 s[0:1], -1
                                        ; implicit-def: $vgpr5_vgpr6
.LBB95_651:
	s_andn2_b64 vcc, exec, s[0:1]
	s_cbranch_vccnz .LBB95_653
; %bb.652:
	global_load_ubyte v3, v[3:4], off
	s_mov_b32 s0, 0
	s_waitcnt vmcnt(1)
	v_mov_b32_e32 v6, s0
	s_waitcnt vmcnt(0)
	v_and_b32_e32 v5, 0xffff, v3
.LBB95_653:
	s_mov_b64 s[0:1], -1
.LBB95_654:
	s_andn2_b64 vcc, exec, s[0:1]
	s_cbranch_vccnz .LBB95_662
; %bb.655:
	s_waitcnt vmcnt(0)
	v_cmp_lt_i64_e32 vcc, s[14:15], v[1:2]
	v_mov_b32_e32 v3, s29
	v_mov_b32_e32 v1, s28
	v_cndmask_b32_e32 v2, v3, v6, vcc
	v_cndmask_b32_e32 v1, v1, v5, vcc
	v_mov_b32_e32 v4, s9
	s_and_b32 s60, s73, 0xff
	v_add_co_u32_e32 v3, vcc, s8, v0
	s_cmp_lt_i32 s60, 11
	v_addc_co_u32_e32 v4, vcc, 0, v4, vcc
	s_cbranch_scc1 .LBB95_663
; %bb.656:
	s_and_b32 s61, 0xffff, s60
	s_cmp_gt_i32 s61, 25
	s_cbranch_scc0 .LBB95_664
; %bb.657:
	s_cmp_gt_i32 s61, 28
	s_cbranch_scc0 .LBB95_665
; %bb.658:
	;; [unrolled: 3-line block ×4, first 2 shown]
	s_mov_b64 s[56:57], 0
	s_mov_b64 s[0:1], -1
	s_cmp_eq_u32 s61, 46
	s_mov_b64 s[52:53], 0
	s_cbranch_scc0 .LBB95_668
; %bb.661:
	v_xor_b32_e32 v5, v1, v2
	v_ffbh_i32_e32 v0, v2
	v_ashrrev_i32_e32 v5, 31, v5
	v_add_u32_e32 v0, -1, v0
	v_add_u32_e32 v5, 32, v5
	v_min_u32_e32 v0, v0, v5
	v_lshlrev_b64 v[5:6], v0, v[1:2]
	v_sub_u32_e32 v0, 32, v0
	v_min_u32_e32 v5, 1, v5
	v_or_b32_e32 v5, v6, v5
	v_cvt_f32_i32_e32 v5, v5
	s_movk_i32 s0, 0x7fff
	s_mov_b64 s[52:53], -1
	v_ldexp_f32 v0, v5, v0
	v_bfe_u32 v5, v0, 16, 1
	v_add3_u32 v0, v0, v5, s0
	v_lshrrev_b32_e32 v0, 16, v0
	global_store_dword v[3:4], v0, off
	s_mov_b64 s[0:1], 0
	s_branch .LBB95_668
.LBB95_662:
	s_mov_b64 s[56:57], 0
                                        ; implicit-def: $vgpr10
	s_mov_b64 s[0:1], s[40:41]
	s_branch .LBB95_778
.LBB95_663:
	s_mov_b64 s[56:57], -1
	s_mov_b64 s[52:53], 0
	s_mov_b64 s[0:1], s[40:41]
	s_branch .LBB95_737
.LBB95_664:
	s_mov_b64 s[56:57], -1
	s_mov_b64 s[52:53], 0
	s_mov_b64 s[0:1], s[40:41]
	s_branch .LBB95_695
.LBB95_665:
	s_mov_b64 s[56:57], -1
	s_mov_b64 s[52:53], 0
	s_mov_b64 s[0:1], s[40:41]
	s_branch .LBB95_678
.LBB95_666:
	s_mov_b64 s[56:57], -1
	s_mov_b64 s[52:53], 0
	s_mov_b64 s[0:1], s[40:41]
	s_branch .LBB95_674
.LBB95_667:
	s_mov_b64 s[56:57], -1
	s_mov_b64 s[52:53], 0
	s_mov_b64 s[0:1], s[40:41]
.LBB95_668:
	s_and_b64 vcc, exec, s[56:57]
	s_cbranch_vccz .LBB95_673
; %bb.669:
	s_cmp_eq_u32 s61, 44
	s_mov_b64 s[0:1], -1
	s_cbranch_scc0 .LBB95_673
; %bb.670:
	v_xor_b32_e32 v5, v1, v2
	v_ffbh_i32_e32 v0, v2
	v_ashrrev_i32_e32 v5, 31, v5
	v_add_u32_e32 v0, -1, v0
	v_add_u32_e32 v5, 32, v5
	v_min_u32_e32 v0, v0, v5
	v_lshlrev_b64 v[5:6], v0, v[1:2]
	v_sub_u32_e32 v0, 32, v0
	v_min_u32_e32 v5, 1, v5
	v_or_b32_e32 v5, v6, v5
	v_cvt_f32_i32_e32 v5, v5
	s_movk_i32 s0, 0xff
	v_mov_b32_e32 v6, 0xff
	v_ldexp_f32 v0, v5, v0
	v_bfe_u32 v5, v0, 23, 8
	v_cmp_ne_u32_e32 vcc, s0, v5
	s_and_saveexec_b64 s[52:53], vcc
; %bb.671:
	s_mov_b32 s0, 0x3fffff
	v_lshrrev_b32_e32 v6, 23, v0
	v_and_b32_e32 v7, 0x400000, v0
	v_and_or_b32 v0, v0, s0, v5
	v_cmp_ne_u32_e32 vcc, 0, v7
	v_cmp_ne_u32_e64 s[0:1], 0, v0
	s_and_b64 s[0:1], vcc, s[0:1]
	v_cndmask_b32_e64 v0, 0, 1, s[0:1]
	v_add_u32_e32 v6, v6, v0
; %bb.672:
	s_or_b64 exec, exec, s[52:53]
	s_mov_b64 s[52:53], -1
	s_mov_b64 s[0:1], 0
	global_store_byte v[3:4], v6, off
.LBB95_673:
	s_mov_b64 s[56:57], 0
.LBB95_674:
	s_and_b64 vcc, exec, s[56:57]
	s_cbranch_vccz .LBB95_677
; %bb.675:
	s_cmp_eq_u32 s61, 29
	s_mov_b64 s[0:1], -1
	s_cbranch_scc0 .LBB95_677
; %bb.676:
	global_store_dwordx2 v[3:4], v[1:2], off
	s_mov_b64 s[52:53], -1
	s_mov_b64 s[0:1], 0
.LBB95_677:
	s_mov_b64 s[56:57], 0
.LBB95_678:
	s_and_b64 vcc, exec, s[56:57]
	s_cbranch_vccz .LBB95_694
; %bb.679:
	s_cmp_lt_i32 s61, 27
	s_mov_b64 s[52:53], -1
	s_cbranch_scc1 .LBB95_685
; %bb.680:
	s_cmp_gt_i32 s61, 27
	s_cbranch_scc0 .LBB95_682
; %bb.681:
	s_mov_b64 s[52:53], 0
	global_store_dword v[3:4], v1, off
.LBB95_682:
	s_andn2_b64 vcc, exec, s[52:53]
	s_cbranch_vccnz .LBB95_684
; %bb.683:
	global_store_short v[3:4], v1, off
.LBB95_684:
	s_mov_b64 s[52:53], 0
.LBB95_685:
	s_andn2_b64 vcc, exec, s[52:53]
	s_cbranch_vccnz .LBB95_693
; %bb.686:
	v_xor_b32_e32 v5, v1, v2
	v_ffbh_i32_e32 v0, v2
	v_ashrrev_i32_e32 v5, 31, v5
	v_add_u32_e32 v0, -1, v0
	v_add_u32_e32 v5, 32, v5
	v_min_u32_e32 v0, v0, v5
	v_lshlrev_b64 v[5:6], v0, v[1:2]
	v_sub_u32_e32 v0, 32, v0
	v_min_u32_e32 v5, 1, v5
	v_or_b32_e32 v5, v6, v5
	v_cvt_f32_i32_e32 v5, v5
	s_mov_b32 s52, 0x43800000
	v_mov_b32_e32 v6, 0x80
	v_ldexp_f32 v0, v5, v0
	v_and_b32_e32 v5, 0x7fffffff, v0
	v_cmp_gt_u32_e32 vcc, s52, v5
	s_and_saveexec_b64 s[52:53], vcc
	s_cbranch_execz .LBB95_692
; %bb.687:
	s_mov_b32 s56, 0x3bffffff
	v_cmp_lt_u32_e32 vcc, s56, v5
	s_mov_b64 s[56:57], 0
                                        ; implicit-def: $vgpr5
	s_and_saveexec_b64 s[58:59], vcc
	s_xor_b64 s[58:59], exec, s[58:59]
	s_cbranch_execz .LBB95_806
; %bb.688:
	v_bfe_u32 v5, v0, 20, 1
	s_mov_b32 s62, 0x487ffff
	v_add3_u32 v5, v0, v5, s62
	s_mov_b64 s[56:57], exec
	v_lshrrev_b32_e32 v5, 20, v5
	s_andn2_saveexec_b64 s[58:59], s[58:59]
	s_cbranch_execnz .LBB95_807
.LBB95_689:
	s_or_b64 exec, exec, s[58:59]
	v_mov_b32_e32 v6, 0
	s_and_saveexec_b64 s[58:59], s[56:57]
.LBB95_690:
	v_lshrrev_b32_e32 v0, 24, v0
	s_movk_i32 s56, 0x80
	v_and_or_b32 v6, v0, s56, v5
.LBB95_691:
	s_or_b64 exec, exec, s[58:59]
.LBB95_692:
	s_or_b64 exec, exec, s[52:53]
	global_store_byte v[3:4], v6, off
.LBB95_693:
	s_mov_b64 s[52:53], -1
.LBB95_694:
	s_mov_b64 s[56:57], 0
.LBB95_695:
	s_and_b64 vcc, exec, s[56:57]
	s_cbranch_vccz .LBB95_736
; %bb.696:
	s_cmp_gt_i32 s61, 22
	s_mov_b64 s[56:57], -1
	s_cbranch_scc0 .LBB95_728
; %bb.697:
	s_cmp_lt_i32 s61, 24
	s_mov_b64 s[52:53], -1
	s_cbranch_scc1 .LBB95_717
; %bb.698:
	s_cmp_gt_i32 s61, 24
	s_cbranch_scc0 .LBB95_706
; %bb.699:
	v_xor_b32_e32 v5, v1, v2
	v_ffbh_i32_e32 v0, v2
	v_ashrrev_i32_e32 v5, 31, v5
	v_add_u32_e32 v0, -1, v0
	v_add_u32_e32 v5, 32, v5
	v_min_u32_e32 v0, v0, v5
	v_lshlrev_b64 v[5:6], v0, v[1:2]
	v_sub_u32_e32 v0, 32, v0
	v_min_u32_e32 v5, 1, v5
	v_or_b32_e32 v5, v6, v5
	v_cvt_f32_i32_e32 v5, v5
	s_mov_b32 s52, 0x47800000
	v_mov_b32_e32 v6, 0x80
	v_ldexp_f32 v0, v5, v0
	v_and_b32_e32 v5, 0x7fffffff, v0
	v_cmp_gt_u32_e32 vcc, s52, v5
	s_and_saveexec_b64 s[52:53], vcc
	s_cbranch_execz .LBB95_705
; %bb.700:
	s_mov_b32 s56, 0x37ffffff
	v_cmp_lt_u32_e32 vcc, s56, v5
	s_mov_b64 s[56:57], 0
                                        ; implicit-def: $vgpr5
	s_and_saveexec_b64 s[58:59], vcc
	s_xor_b64 s[58:59], exec, s[58:59]
	s_cbranch_execz .LBB95_934
; %bb.701:
	v_bfe_u32 v5, v0, 21, 1
	s_mov_b32 s62, 0x88fffff
	v_add3_u32 v5, v0, v5, s62
	s_mov_b64 s[56:57], exec
	v_lshrrev_b32_e32 v5, 21, v5
	s_andn2_saveexec_b64 s[58:59], s[58:59]
	s_cbranch_execnz .LBB95_935
.LBB95_702:
	s_or_b64 exec, exec, s[58:59]
	v_mov_b32_e32 v6, 0
	s_and_saveexec_b64 s[58:59], s[56:57]
.LBB95_703:
	v_lshrrev_b32_e32 v0, 24, v0
	s_movk_i32 s56, 0x80
	v_and_or_b32 v6, v0, s56, v5
.LBB95_704:
	s_or_b64 exec, exec, s[58:59]
.LBB95_705:
	s_or_b64 exec, exec, s[52:53]
	s_mov_b64 s[52:53], 0
	global_store_byte v[3:4], v6, off
.LBB95_706:
	s_and_b64 vcc, exec, s[52:53]
	s_cbranch_vccz .LBB95_716
; %bb.707:
	v_xor_b32_e32 v5, v1, v2
	v_ffbh_i32_e32 v0, v2
	v_ashrrev_i32_e32 v5, 31, v5
	v_add_u32_e32 v0, -1, v0
	v_add_u32_e32 v5, 32, v5
	v_min_u32_e32 v0, v0, v5
	v_lshlrev_b64 v[5:6], v0, v[1:2]
	v_sub_u32_e32 v0, 32, v0
	v_min_u32_e32 v5, 1, v5
	v_or_b32_e32 v5, v6, v5
	v_cvt_f32_i32_e32 v5, v5
	s_mov_b32 s52, 0x43f00000
	v_ldexp_f32 v0, v5, v0
	v_and_b32_e32 v6, 0x7fffffff, v0
	v_cmp_gt_u32_e32 vcc, s52, v6
                                        ; implicit-def: $vgpr5
	s_and_saveexec_b64 s[52:53], vcc
	s_xor_b64 s[52:53], exec, s[52:53]
	s_cbranch_execz .LBB95_713
; %bb.708:
	s_mov_b32 s56, 0x3c7fffff
	v_cmp_lt_u32_e32 vcc, s56, v6
                                        ; implicit-def: $vgpr5
	s_and_saveexec_b64 s[56:57], vcc
	s_xor_b64 s[56:57], exec, s[56:57]
; %bb.709:
	v_bfe_u32 v5, v0, 20, 1
	s_mov_b32 s58, 0x407ffff
	v_add3_u32 v5, v0, v5, s58
	v_lshrrev_b32_e32 v6, 20, v5
	v_and_b32_e32 v5, 0xff00000, v5
	s_mov_b32 s58, 0x7f00000
	v_mov_b32_e32 v7, 0x7e
	v_cmp_ne_u32_e32 vcc, s58, v5
	v_cndmask_b32_e32 v5, v7, v6, vcc
; %bb.710:
	s_andn2_saveexec_b64 s[56:57], s[56:57]
; %bb.711:
	s_mov_b32 s58, 0x46800000
	v_add_f32_e64 v5, |v0|, s58
; %bb.712:
	s_or_b64 exec, exec, s[56:57]
                                        ; implicit-def: $vgpr6
.LBB95_713:
	s_andn2_saveexec_b64 s[52:53], s[52:53]
; %bb.714:
	s_mov_b32 s56, 0x7f800000
	v_mov_b32_e32 v5, 0x7e
	v_mov_b32_e32 v7, 0x7f
	v_cmp_lt_u32_e32 vcc, s56, v6
	v_cndmask_b32_e32 v5, v5, v7, vcc
; %bb.715:
	s_or_b64 exec, exec, s[52:53]
	v_lshrrev_b32_e32 v0, 24, v0
	s_movk_i32 s52, 0x80
	v_and_or_b32 v0, v0, s52, v5
	global_store_byte v[3:4], v0, off
.LBB95_716:
	s_mov_b64 s[52:53], 0
.LBB95_717:
	s_andn2_b64 vcc, exec, s[52:53]
	s_cbranch_vccnz .LBB95_727
; %bb.718:
	v_xor_b32_e32 v5, v1, v2
	v_ffbh_i32_e32 v0, v2
	v_ashrrev_i32_e32 v5, 31, v5
	v_add_u32_e32 v0, -1, v0
	v_add_u32_e32 v5, 32, v5
	v_min_u32_e32 v0, v0, v5
	v_lshlrev_b64 v[5:6], v0, v[1:2]
	v_sub_u32_e32 v0, 32, v0
	v_min_u32_e32 v5, 1, v5
	v_or_b32_e32 v5, v6, v5
	v_cvt_f32_i32_e32 v5, v5
	s_mov_b32 s52, 0x47800000
	v_ldexp_f32 v0, v5, v0
	v_and_b32_e32 v6, 0x7fffffff, v0
	v_cmp_gt_u32_e32 vcc, s52, v6
                                        ; implicit-def: $vgpr5
	s_and_saveexec_b64 s[52:53], vcc
	s_xor_b64 s[52:53], exec, s[52:53]
	s_cbranch_execz .LBB95_724
; %bb.719:
	s_mov_b32 s56, 0x387fffff
	v_cmp_lt_u32_e32 vcc, s56, v6
                                        ; implicit-def: $vgpr5
	s_and_saveexec_b64 s[56:57], vcc
	s_xor_b64 s[56:57], exec, s[56:57]
; %bb.720:
	v_bfe_u32 v5, v0, 21, 1
	s_mov_b32 s58, 0x80fffff
	v_add3_u32 v5, v0, v5, s58
	v_lshrrev_b32_e32 v5, 21, v5
; %bb.721:
	s_andn2_saveexec_b64 s[56:57], s[56:57]
; %bb.722:
	s_mov_b32 s58, 0x43000000
	v_add_f32_e64 v5, |v0|, s58
; %bb.723:
	s_or_b64 exec, exec, s[56:57]
                                        ; implicit-def: $vgpr6
.LBB95_724:
	s_andn2_saveexec_b64 s[52:53], s[52:53]
; %bb.725:
	s_mov_b32 s56, 0x7f800000
	v_mov_b32_e32 v5, 0x7c
	v_mov_b32_e32 v7, 0x7f
	v_cmp_lt_u32_e32 vcc, s56, v6
	v_cndmask_b32_e32 v5, v5, v7, vcc
; %bb.726:
	s_or_b64 exec, exec, s[52:53]
	v_lshrrev_b32_e32 v0, 24, v0
	s_movk_i32 s52, 0x80
	v_and_or_b32 v0, v0, s52, v5
	global_store_byte v[3:4], v0, off
.LBB95_727:
	s_mov_b64 s[56:57], 0
	s_mov_b64 s[52:53], -1
.LBB95_728:
	s_andn2_b64 vcc, exec, s[56:57]
	s_cbranch_vccnz .LBB95_736
; %bb.729:
	s_cmp_gt_i32 s61, 14
	s_mov_b64 s[56:57], -1
	s_cbranch_scc0 .LBB95_733
; %bb.730:
	s_cmp_eq_u32 s61, 15
	s_mov_b64 s[0:1], -1
	s_cbranch_scc0 .LBB95_732
; %bb.731:
	v_xor_b32_e32 v5, v1, v2
	v_ffbh_i32_e32 v0, v2
	v_ashrrev_i32_e32 v5, 31, v5
	v_add_u32_e32 v0, -1, v0
	v_add_u32_e32 v5, 32, v5
	v_min_u32_e32 v0, v0, v5
	v_lshlrev_b64 v[5:6], v0, v[1:2]
	v_sub_u32_e32 v0, 32, v0
	v_min_u32_e32 v5, 1, v5
	v_or_b32_e32 v5, v6, v5
	v_cvt_f32_i32_e32 v5, v5
	s_movk_i32 s0, 0x7fff
	s_mov_b64 s[52:53], -1
	v_ldexp_f32 v0, v5, v0
	v_bfe_u32 v5, v0, 16, 1
	v_add3_u32 v0, v0, v5, s0
	global_store_short_d16_hi v[3:4], v0, off
	s_mov_b64 s[0:1], 0
.LBB95_732:
	s_mov_b64 s[56:57], 0
.LBB95_733:
	s_and_b64 vcc, exec, s[56:57]
	s_cbranch_vccz .LBB95_736
; %bb.734:
	s_cmp_eq_u32 s61, 11
	s_mov_b64 s[0:1], -1
	s_cbranch_scc0 .LBB95_736
; %bb.735:
	v_cmp_ne_u64_e32 vcc, 0, v[1:2]
	s_mov_b64 s[0:1], 0
	v_cndmask_b32_e64 v0, 0, 1, vcc
	s_mov_b64 s[52:53], -1
	global_store_byte v[3:4], v0, off
.LBB95_736:
	s_mov_b64 s[56:57], 0
.LBB95_737:
	s_and_b64 vcc, exec, s[56:57]
	s_cbranch_vccz .LBB95_776
; %bb.738:
	s_and_b32 s56, 0xffff, s60
	s_cmp_lt_i32 s56, 5
	s_mov_b64 s[52:53], -1
	s_cbranch_scc1 .LBB95_759
; %bb.739:
	s_cmp_lt_i32 s56, 8
	s_cbranch_scc1 .LBB95_749
; %bb.740:
	s_cmp_lt_i32 s56, 9
	s_cbranch_scc1 .LBB95_746
; %bb.741:
	s_cmp_gt_i32 s56, 9
	s_cbranch_scc0 .LBB95_743
; %bb.742:
	v_cvt_f64_i32_e32 v[5:6], v2
	v_cvt_f64_u32_e32 v[7:8], v1
	s_mov_b64 s[52:53], 0
	v_ldexp_f64 v[5:6], v[5:6], 32
	v_add_f64 v[5:6], v[5:6], v[7:8]
	v_mov_b32_e32 v7, 0
	v_mov_b32_e32 v8, v7
	global_store_dwordx4 v[3:4], v[5:8], off
.LBB95_743:
	s_andn2_b64 vcc, exec, s[52:53]
	s_cbranch_vccnz .LBB95_745
; %bb.744:
	v_xor_b32_e32 v5, v1, v2
	v_ffbh_i32_e32 v0, v2
	v_ashrrev_i32_e32 v5, 31, v5
	v_add_u32_e32 v0, -1, v0
	v_add_u32_e32 v5, 32, v5
	v_min_u32_e32 v0, v0, v5
	v_lshlrev_b64 v[5:6], v0, v[1:2]
	v_sub_u32_e32 v0, 32, v0
	v_min_u32_e32 v5, 1, v5
	v_or_b32_e32 v5, v6, v5
	v_cvt_f32_i32_e32 v5, v5
	v_mov_b32_e32 v6, 0
	v_ldexp_f32 v5, v5, v0
	global_store_dwordx2 v[3:4], v[5:6], off
.LBB95_745:
	s_mov_b64 s[52:53], 0
.LBB95_746:
	s_andn2_b64 vcc, exec, s[52:53]
	s_cbranch_vccnz .LBB95_748
; %bb.747:
	v_xor_b32_e32 v5, v1, v2
	v_ffbh_i32_e32 v0, v2
	v_ashrrev_i32_e32 v5, 31, v5
	v_add_u32_e32 v0, -1, v0
	v_add_u32_e32 v5, 32, v5
	v_min_u32_e32 v0, v0, v5
	v_lshlrev_b64 v[5:6], v0, v[1:2]
	v_sub_u32_e32 v0, 32, v0
	v_min_u32_e32 v5, 1, v5
	v_or_b32_e32 v5, v6, v5
	v_cvt_f32_i32_e32 v5, v5
	v_ldexp_f32 v0, v5, v0
	v_cvt_f16_f32_e32 v0, v0
	global_store_dword v[3:4], v0, off
.LBB95_748:
	s_mov_b64 s[52:53], 0
.LBB95_749:
	s_andn2_b64 vcc, exec, s[52:53]
	s_cbranch_vccnz .LBB95_758
; %bb.750:
	s_cmp_lt_i32 s56, 6
	s_mov_b64 s[52:53], -1
	s_cbranch_scc1 .LBB95_756
; %bb.751:
	s_cmp_gt_i32 s56, 6
	s_cbranch_scc0 .LBB95_753
; %bb.752:
	v_cvt_f64_i32_e32 v[5:6], v2
	v_cvt_f64_u32_e32 v[7:8], v1
	s_mov_b64 s[52:53], 0
	v_ldexp_f64 v[5:6], v[5:6], 32
	v_add_f64 v[5:6], v[5:6], v[7:8]
	global_store_dwordx2 v[3:4], v[5:6], off
.LBB95_753:
	s_andn2_b64 vcc, exec, s[52:53]
	s_cbranch_vccnz .LBB95_755
; %bb.754:
	v_xor_b32_e32 v5, v1, v2
	v_ffbh_i32_e32 v0, v2
	v_ashrrev_i32_e32 v5, 31, v5
	v_add_u32_e32 v0, -1, v0
	v_add_u32_e32 v5, 32, v5
	v_min_u32_e32 v0, v0, v5
	v_lshlrev_b64 v[5:6], v0, v[1:2]
	v_sub_u32_e32 v0, 32, v0
	v_min_u32_e32 v5, 1, v5
	v_or_b32_e32 v5, v6, v5
	v_cvt_f32_i32_e32 v5, v5
	v_ldexp_f32 v0, v5, v0
	global_store_dword v[3:4], v0, off
.LBB95_755:
	s_mov_b64 s[52:53], 0
.LBB95_756:
	s_andn2_b64 vcc, exec, s[52:53]
	s_cbranch_vccnz .LBB95_758
; %bb.757:
	v_xor_b32_e32 v5, v1, v2
	v_ffbh_i32_e32 v0, v2
	v_ashrrev_i32_e32 v5, 31, v5
	v_add_u32_e32 v0, -1, v0
	v_add_u32_e32 v5, 32, v5
	v_min_u32_e32 v0, v0, v5
	v_lshlrev_b64 v[5:6], v0, v[1:2]
	v_sub_u32_e32 v0, 32, v0
	v_min_u32_e32 v5, 1, v5
	v_or_b32_e32 v5, v6, v5
	v_cvt_f32_i32_e32 v5, v5
	v_ldexp_f32 v0, v5, v0
	v_cvt_f16_f32_e32 v0, v0
	global_store_short v[3:4], v0, off
.LBB95_758:
	s_mov_b64 s[52:53], 0
.LBB95_759:
	s_andn2_b64 vcc, exec, s[52:53]
	s_cbranch_vccnz .LBB95_775
; %bb.760:
	s_cmp_lt_i32 s56, 2
	s_mov_b64 s[52:53], -1
	s_cbranch_scc1 .LBB95_770
; %bb.761:
	s_cmp_lt_i32 s56, 3
	s_cbranch_scc1 .LBB95_767
; %bb.762:
	s_cmp_gt_i32 s56, 3
	s_cbranch_scc0 .LBB95_764
; %bb.763:
	s_mov_b64 s[52:53], 0
	global_store_dwordx2 v[3:4], v[1:2], off
.LBB95_764:
	s_andn2_b64 vcc, exec, s[52:53]
	s_cbranch_vccnz .LBB95_766
; %bb.765:
	global_store_dword v[3:4], v1, off
.LBB95_766:
	s_mov_b64 s[52:53], 0
.LBB95_767:
	s_andn2_b64 vcc, exec, s[52:53]
	s_cbranch_vccnz .LBB95_769
; %bb.768:
	global_store_short v[3:4], v1, off
.LBB95_769:
	s_mov_b64 s[52:53], 0
.LBB95_770:
	s_andn2_b64 vcc, exec, s[52:53]
	s_cbranch_vccnz .LBB95_775
; %bb.771:
	s_cmp_gt_i32 s56, 0
	s_mov_b64 s[52:53], -1
	s_cbranch_scc0 .LBB95_773
; %bb.772:
	s_mov_b64 s[52:53], 0
	global_store_byte v[3:4], v1, off
.LBB95_773:
	s_andn2_b64 vcc, exec, s[52:53]
	s_cbranch_vccnz .LBB95_775
; %bb.774:
	global_store_byte v[3:4], v1, off
.LBB95_775:
	s_mov_b64 s[52:53], -1
.LBB95_776:
	s_andn2_b64 vcc, exec, s[52:53]
	s_cbranch_vccnz .LBB95_788
; %bb.777:
	v_add_u32_e32 v10, 0x80, v10
	s_mov_b64 s[56:57], -1
.LBB95_778:
	s_andn2_b64 s[52:53], s[40:41], exec
	s_and_b64 s[0:1], s[0:1], exec
	s_or_b64 s[52:53], s[52:53], s[0:1]
	s_andn2_b64 s[0:1], s[42:43], exec
	s_and_b64 s[50:51], s[50:51], exec
	s_or_b64 s[50:51], s[0:1], s[50:51]
	;; [unrolled: 3-line block ×3, first 2 shown]
	s_orn2_b64 s[0:1], s[56:57], exec
.LBB95_779:
	s_or_b64 exec, exec, s[54:55]
	s_mov_b64 s[56:57], 0
	s_mov_b64 s[58:59], 0
	;; [unrolled: 1-line block ×3, first 2 shown]
                                        ; implicit-def: $sgpr77
                                        ; implicit-def: $vgpr4_vgpr5
                                        ; implicit-def: $vgpr0
                                        ; implicit-def: $vgpr3
                                        ; implicit-def: $vgpr1_vgpr2
	s_and_saveexec_b64 s[54:55], s[0:1]
	s_cbranch_execz .LBB95_1264
; %bb.780:
	v_cmp_gt_i32_e32 vcc, s70, v10
	s_mov_b64 s[68:69], -1
	s_mov_b64 s[0:1], s[48:49]
	s_mov_b64 s[60:61], s[50:51]
	;; [unrolled: 1-line block ×3, first 2 shown]
	s_and_saveexec_b64 s[56:57], vcc
	s_cbranch_execz .LBB95_1172
; %bb.781:
	s_andn2_b64 vcc, exec, s[24:25]
	s_cbranch_vccnz .LBB95_787
; %bb.782:
	s_andn2_b64 vcc, exec, s[38:39]
	s_cbranch_vccnz .LBB95_789
; %bb.783:
	s_add_i32 s0, s76, 1
	s_and_b32 s58, s0, 30
	s_add_u32 s0, s2, 0xffffffe8
	s_addc_u32 s1, s3, -1
	v_mov_b32_e32 v3, 0
	s_waitcnt vmcnt(0)
	v_mov_b32_e32 v5, 0
	v_mov_b32_e32 v0, 0
	;; [unrolled: 1-line block ×3, first 2 shown]
.LBB95_784:                             ; =>This Inner Loop Header: Depth=1
	s_load_dwordx4 s[60:63], s[0:1], 0x1c
	s_load_dwordx2 s[68:69], s[0:1], 0x2c
	s_load_dwordx2 s[78:79], s[0:1], 0xec
	s_load_dwordx4 s[64:67], s[0:1], 0xdc
	s_add_u32 s0, s0, 24
	s_waitcnt lgkmcnt(0)
	v_mul_hi_u32 v2, s61, v1
	s_addc_u32 s1, s1, 0
	s_add_i32 s58, s58, -2
	s_cmp_eq_u32 s58, 0
	v_add_u32_e32 v2, v1, v2
	v_lshrrev_b32_e32 v2, s62, v2
	v_mul_lo_u32 v4, v2, s60
	v_mul_hi_u32 v6, s68, v2
	v_sub_u32_e32 v4, v1, v4
	v_add_u32_e32 v1, v2, v6
	v_lshrrev_b32_e32 v1, s69, v1
	v_mul_lo_u32 v8, v1, s63
	v_mul_lo_u32 v6, v4, s64
	;; [unrolled: 1-line block ×4, first 2 shown]
	v_sub_u32_e32 v2, v2, v8
	v_mul_lo_u32 v8, v2, s67
	v_mul_lo_u32 v9, v2, s78
	;; [unrolled: 1-line block ×3, first 2 shown]
	v_add3_u32 v0, v6, v0, v8
	v_add3_u32 v5, v7, v5, v9
	;; [unrolled: 1-line block ×3, first 2 shown]
	s_cbranch_scc0 .LBB95_784
; %bb.785:
	s_bitcmp1_b32 s76, 0
	s_cselect_b64 s[58:59], -1, 0
	s_and_b64 vcc, exec, s[58:59]
	s_cbranch_vccnz .LBB95_790
; %bb.786:
	s_load_dwordx2 s[58:59], s[0:1], 0x1c
	s_load_dword s62, s[0:1], 0x24
	s_load_dwordx2 s[60:61], s[0:1], 0xdc
	s_waitcnt lgkmcnt(0)
	v_mul_hi_u32 v2, s59, v1
	v_add_u32_e32 v2, v1, v2
	v_lshrrev_b32_e32 v2, s62, v2
	v_mul_lo_u32 v2, v2, s58
	s_load_dword s58, s[0:1], 0xe4
	v_sub_u32_e32 v2, v1, v2
	v_mad_u64_u32 v[0:1], s[0:1], v2, s60, v[0:1]
	v_mad_u64_u32 v[5:6], s[0:1], v2, s61, v[5:6]
	s_waitcnt lgkmcnt(0)
	v_mad_u64_u32 v[3:4], s[0:1], v2, s58, v[3:4]
	s_branch .LBB95_790
.LBB95_787:
	s_mov_b64 s[0:1], -1
                                        ; implicit-def: $vgpr0
                                        ; implicit-def: $vgpr5
                                        ; implicit-def: $vgpr3
	s_branch .LBB95_791
.LBB95_788:
	s_mov_b64 s[56:57], 0
	s_branch .LBB95_540
.LBB95_789:
	v_mov_b32_e32 v0, 0
	s_waitcnt vmcnt(0)
	v_mov_b32_e32 v5, 0
	v_mov_b32_e32 v3, 0
.LBB95_790:
	s_mov_b64 s[0:1], 0
.LBB95_791:
	s_andn2_b64 vcc, exec, s[0:1]
	s_cbranch_vccnz .LBB95_794
; %bb.792:
	v_mul_hi_u32 v0, s17, v10
	s_andn2_b64 vcc, exec, s[36:37]
	v_add_u32_e32 v0, v10, v0
	s_waitcnt vmcnt(0)
	v_lshrrev_b32_e32 v1, s18, v0
	v_mul_lo_u32 v0, v1, s16
	v_sub_u32_e32 v2, v10, v0
	v_mul_lo_u32 v0, v2, s20
	v_mul_lo_u32 v5, v2, s21
	;; [unrolled: 1-line block ×3, first 2 shown]
	s_cbranch_vccnz .LBB95_794
; %bb.793:
	v_mul_hi_u32 v2, s30, v1
	v_add_u32_e32 v2, v1, v2
	v_lshrrev_b32_e32 v2, s31, v2
	v_mul_lo_u32 v2, v2, s19
	v_sub_u32_e32 v2, v1, v2
	v_mad_u64_u32 v[0:1], s[0:1], v2, s23, v[0:1]
	v_mad_u64_u32 v[5:6], s[0:1], v2, s34, v[5:6]
	;; [unrolled: 1-line block ×3, first 2 shown]
.LBB95_794:
	s_waitcnt vmcnt(0)
	v_mov_b32_e32 v1, s11
	s_and_b32 s62, s75, 0xff
	v_add_co_u32_e32 v4, vcc, s10, v5
	s_cmp_lt_i32 s62, 11
	v_addc_co_u32_e32 v5, vcc, 0, v1, vcc
	s_cbranch_scc1 .LBB95_801
; %bb.795:
	s_and_b32 s63, 0xffff, s62
	s_cmp_gt_i32 s63, 25
	s_cbranch_scc0 .LBB95_802
; %bb.796:
	s_cmp_gt_i32 s63, 28
	s_cbranch_scc0 .LBB95_803
; %bb.797:
	s_cmp_gt_i32 s63, 43
	s_cbranch_scc0 .LBB95_804
; %bb.798:
	s_cmp_gt_i32 s63, 45
	s_cbranch_scc0 .LBB95_805
; %bb.799:
	s_cmp_eq_u32 s63, 46
	s_mov_b64 s[60:61], 0
	s_cbranch_scc0 .LBB95_808
; %bb.800:
	global_load_dword v1, v[4:5], off
	s_mov_b32 s0, 0x2f800000
	s_mov_b32 s1, 0xcf800000
	s_mov_b64 s[58:59], 0
	s_waitcnt vmcnt(0)
	v_lshlrev_b32_e32 v1, 16, v1
	v_trunc_f32_e32 v1, v1
	v_mul_f32_e64 v2, |v1|, s0
	v_floor_f32_e32 v2, v2
	v_fma_f32 v6, v2, s1, |v1|
	v_cvt_u32_f32_e32 v6, v6
	v_cvt_u32_f32_e32 v2, v2
	v_ashrrev_i32_e32 v7, 31, v1
	s_mov_b64 s[0:1], -1
	v_xor_b32_e32 v1, v6, v7
	v_xor_b32_e32 v2, v2, v7
	v_sub_co_u32_e32 v1, vcc, v1, v7
	v_subb_co_u32_e32 v2, vcc, v2, v7, vcc
	s_branch .LBB95_809
.LBB95_801:
	s_mov_b64 s[60:61], -1
	s_mov_b64 s[0:1], 0
                                        ; implicit-def: $vgpr1_vgpr2
	s_mov_b64 s[58:59], s[48:49]
	s_branch .LBB95_870
.LBB95_802:
	s_mov_b64 s[60:61], -1
	s_mov_b64 s[0:1], 0
	s_mov_b64 s[58:59], s[48:49]
                                        ; implicit-def: $vgpr1_vgpr2
	s_branch .LBB95_838
.LBB95_803:
	s_mov_b64 s[60:61], -1
	s_mov_b64 s[0:1], 0
	s_mov_b64 s[58:59], s[48:49]
                                        ; implicit-def: $vgpr1_vgpr2
	s_branch .LBB95_819
.LBB95_804:
	s_mov_b64 s[60:61], -1
	s_mov_b64 s[0:1], 0
	s_mov_b64 s[58:59], s[48:49]
                                        ; implicit-def: $vgpr1_vgpr2
	s_branch .LBB95_814
.LBB95_805:
	s_mov_b64 s[60:61], -1
	s_mov_b64 s[0:1], 0
	s_mov_b64 s[58:59], s[48:49]
                                        ; implicit-def: $vgpr1_vgpr2
	s_branch .LBB95_809
.LBB95_806:
	s_andn2_saveexec_b64 s[58:59], s[58:59]
	s_cbranch_execz .LBB95_689
.LBB95_807:
	s_mov_b32 s62, 0x46000000
	v_add_f32_e64 v5, |v0|, s62
	v_and_b32_e32 v5, 0xff, v5
	v_cmp_ne_u32_e32 vcc, 0, v5
	s_andn2_b64 s[56:57], s[56:57], exec
	s_and_b64 s[62:63], vcc, exec
	s_or_b64 s[56:57], s[56:57], s[62:63]
	s_or_b64 exec, exec, s[58:59]
	v_mov_b32_e32 v6, 0
	s_and_saveexec_b64 s[58:59], s[56:57]
	s_cbranch_execnz .LBB95_690
	s_branch .LBB95_691
.LBB95_808:
	s_mov_b64 s[58:59], -1
                                        ; implicit-def: $vgpr1_vgpr2
	s_mov_b64 s[0:1], 0
.LBB95_809:
	s_and_b64 vcc, exec, s[60:61]
	s_cbranch_vccz .LBB95_813
; %bb.810:
	s_cmp_eq_u32 s63, 44
	s_cbranch_scc0 .LBB95_812
; %bb.811:
	global_load_ubyte v1, v[4:5], off
	s_mov_b32 s0, 0x2f800000
	s_mov_b32 s1, 0xcf800000
	s_mov_b64 s[58:59], 0
	s_waitcnt vmcnt(0)
	v_lshlrev_b32_e32 v2, 23, v1
	v_trunc_f32_e32 v2, v2
	v_mul_f32_e64 v6, |v2|, s0
	v_floor_f32_e32 v6, v6
	v_fma_f32 v7, v6, s1, |v2|
	v_cvt_u32_f32_e32 v7, v7
	v_cvt_u32_f32_e32 v6, v6
	v_ashrrev_i32_e32 v2, 31, v2
	s_mov_b64 s[0:1], -1
	v_xor_b32_e32 v7, v7, v2
	v_xor_b32_e32 v6, v6, v2
	v_sub_co_u32_e32 v7, vcc, v7, v2
	v_subb_co_u32_e32 v2, vcc, v6, v2, vcc
	v_cmp_ne_u32_e32 vcc, 0, v1
	v_cndmask_b32_e32 v2, 0, v2, vcc
	v_cndmask_b32_e32 v1, 0, v7, vcc
	s_branch .LBB95_813
.LBB95_812:
	s_mov_b64 s[58:59], -1
                                        ; implicit-def: $vgpr1_vgpr2
.LBB95_813:
	s_mov_b64 s[60:61], 0
.LBB95_814:
	s_and_b64 vcc, exec, s[60:61]
	s_cbranch_vccz .LBB95_818
; %bb.815:
	s_cmp_eq_u32 s63, 29
	s_cbranch_scc0 .LBB95_817
; %bb.816:
	global_load_dwordx2 v[1:2], v[4:5], off
	s_mov_b64 s[0:1], -1
	s_mov_b64 s[58:59], 0
	s_branch .LBB95_818
.LBB95_817:
	s_mov_b64 s[58:59], -1
                                        ; implicit-def: $vgpr1_vgpr2
.LBB95_818:
	s_mov_b64 s[60:61], 0
.LBB95_819:
	s_and_b64 vcc, exec, s[60:61]
	s_cbranch_vccz .LBB95_837
; %bb.820:
	s_cmp_lt_i32 s63, 27
	s_cbranch_scc1 .LBB95_823
; %bb.821:
	s_cmp_gt_i32 s63, 27
	s_cbranch_scc0 .LBB95_824
; %bb.822:
	global_load_dword v1, v[4:5], off
	s_waitcnt vmcnt(1)
	v_mov_b32_e32 v2, 0
	s_mov_b64 s[0:1], 0
	s_branch .LBB95_825
.LBB95_823:
	s_mov_b64 s[0:1], -1
                                        ; implicit-def: $vgpr1_vgpr2
	s_branch .LBB95_828
.LBB95_824:
	s_mov_b64 s[0:1], -1
                                        ; implicit-def: $vgpr1_vgpr2
.LBB95_825:
	s_andn2_b64 vcc, exec, s[0:1]
	s_cbranch_vccnz .LBB95_827
; %bb.826:
	global_load_ushort v1, v[4:5], off
	s_mov_b32 s0, 0
	s_waitcnt vmcnt(1)
	v_mov_b32_e32 v2, s0
	s_waitcnt vmcnt(0)
	v_and_b32_e32 v1, 0xffff, v1
.LBB95_827:
	s_mov_b64 s[0:1], 0
.LBB95_828:
	s_andn2_b64 vcc, exec, s[0:1]
	s_cbranch_vccnz .LBB95_836
; %bb.829:
	global_load_ubyte v6, v[4:5], off
	s_movk_i32 s0, 0x7f
	s_mov_b64 s[60:61], 0
	s_waitcnt vmcnt(0)
	v_cmp_lt_i16_e32 vcc, s0, v6
	s_and_saveexec_b64 s[0:1], vcc
	s_xor_b64 s[0:1], exec, s[0:1]
; %bb.830:
	s_movk_i32 s60, 0x80
	v_cmp_ne_u16_e32 vcc, s60, v6
	s_and_b64 s[60:61], vcc, exec
; %bb.831:
	s_andn2_saveexec_b64 s[0:1], s[0:1]
; %bb.832:
	v_cmp_ne_u16_e32 vcc, 0, v6
	s_andn2_b64 s[60:61], s[60:61], exec
	s_and_b64 s[64:65], vcc, exec
	s_or_b64 s[60:61], s[60:61], s[64:65]
; %bb.833:
	s_or_b64 exec, exec, s[0:1]
	v_mov_b32_e32 v1, 0
	v_mov_b32_e32 v2, 0
	s_and_saveexec_b64 s[0:1], s[60:61]
	s_cbranch_execz .LBB95_835
; %bb.834:
	v_and_b32_e32 v2, 0xffff, v6
	v_lshlrev_b32_e32 v1, 24, v6
	v_and_b32_e32 v6, 7, v2
	v_ffbh_u32_e32 v8, v6
	v_min_u32_e32 v8, 32, v8
	v_subrev_u32_e32 v9, 28, v8
	v_bfe_u32 v7, v2, 3, 4
	v_lshlrev_b32_e32 v2, v9, v2
	v_sub_u32_e32 v8, 29, v8
	v_and_b32_e32 v2, 7, v2
	v_cmp_eq_u32_e32 vcc, 0, v7
	v_cndmask_b32_e32 v7, v7, v8, vcc
	v_cndmask_b32_e32 v2, v6, v2, vcc
	v_mov_b32_e32 v6, 0x3b800000
	v_lshlrev_b32_e32 v2, 20, v2
	v_and_b32_e32 v1, 0x80000000, v1
	v_lshl_add_u32 v6, v7, 23, v6
	v_or3_b32 v1, v1, v6, v2
	v_trunc_f32_e32 v1, v1
	s_mov_b32 s60, 0x2f800000
	v_mul_f32_e64 v2, |v1|, s60
	v_floor_f32_e32 v2, v2
	s_mov_b32 s60, 0xcf800000
	v_fma_f32 v6, v2, s60, |v1|
	v_cvt_u32_f32_e32 v6, v6
	v_cvt_u32_f32_e32 v2, v2
	v_ashrrev_i32_e32 v7, 31, v1
	v_xor_b32_e32 v1, v6, v7
	v_xor_b32_e32 v2, v2, v7
	v_sub_co_u32_e32 v1, vcc, v1, v7
	v_subb_co_u32_e32 v2, vcc, v2, v7, vcc
.LBB95_835:
	s_or_b64 exec, exec, s[0:1]
.LBB95_836:
	s_mov_b64 s[0:1], -1
.LBB95_837:
	s_mov_b64 s[60:61], 0
.LBB95_838:
	s_and_b64 vcc, exec, s[60:61]
	s_cbranch_vccz .LBB95_869
; %bb.839:
	s_cmp_gt_i32 s63, 22
	s_cbranch_scc0 .LBB95_849
; %bb.840:
	s_cmp_lt_i32 s63, 24
	s_cbranch_scc1 .LBB95_850
; %bb.841:
	s_cmp_gt_i32 s63, 24
	s_cbranch_scc0 .LBB95_851
; %bb.842:
	global_load_ubyte v6, v[4:5], off
	s_movk_i32 s0, 0x7f
	s_mov_b64 s[60:61], 0
	s_waitcnt vmcnt(0)
	v_cmp_lt_i16_e32 vcc, s0, v6
	s_and_saveexec_b64 s[0:1], vcc
	s_xor_b64 s[0:1], exec, s[0:1]
; %bb.843:
	s_movk_i32 s60, 0x80
	v_cmp_ne_u16_e32 vcc, s60, v6
	s_and_b64 s[60:61], vcc, exec
; %bb.844:
	s_andn2_saveexec_b64 s[0:1], s[0:1]
; %bb.845:
	v_cmp_ne_u16_e32 vcc, 0, v6
	s_andn2_b64 s[60:61], s[60:61], exec
	s_and_b64 s[64:65], vcc, exec
	s_or_b64 s[60:61], s[60:61], s[64:65]
; %bb.846:
	s_or_b64 exec, exec, s[0:1]
	v_mov_b32_e32 v1, 0
	v_mov_b32_e32 v2, 0
	s_and_saveexec_b64 s[0:1], s[60:61]
	s_cbranch_execz .LBB95_848
; %bb.847:
	v_and_b32_e32 v2, 0xffff, v6
	v_lshlrev_b32_e32 v1, 24, v6
	v_and_b32_e32 v6, 3, v2
	v_ffbh_u32_e32 v8, v6
	v_min_u32_e32 v8, 32, v8
	v_subrev_u32_e32 v9, 29, v8
	v_bfe_u32 v7, v2, 2, 5
	v_lshlrev_b32_e32 v2, v9, v2
	v_sub_u32_e32 v8, 30, v8
	v_and_b32_e32 v2, 3, v2
	v_cmp_eq_u32_e32 vcc, 0, v7
	v_cndmask_b32_e32 v7, v7, v8, vcc
	v_cndmask_b32_e32 v2, v6, v2, vcc
	v_mov_b32_e32 v6, 0x37800000
	v_lshlrev_b32_e32 v2, 21, v2
	v_and_b32_e32 v1, 0x80000000, v1
	v_lshl_add_u32 v6, v7, 23, v6
	v_or3_b32 v1, v1, v6, v2
	v_trunc_f32_e32 v1, v1
	s_mov_b32 s60, 0x2f800000
	v_mul_f32_e64 v2, |v1|, s60
	v_floor_f32_e32 v2, v2
	s_mov_b32 s60, 0xcf800000
	v_fma_f32 v6, v2, s60, |v1|
	v_cvt_u32_f32_e32 v6, v6
	v_cvt_u32_f32_e32 v2, v2
	v_ashrrev_i32_e32 v7, 31, v1
	v_xor_b32_e32 v1, v6, v7
	v_xor_b32_e32 v2, v2, v7
	v_sub_co_u32_e32 v1, vcc, v1, v7
	v_subb_co_u32_e32 v2, vcc, v2, v7, vcc
.LBB95_848:
	s_or_b64 exec, exec, s[0:1]
	s_mov_b64 s[0:1], 0
	s_branch .LBB95_852
.LBB95_849:
	s_mov_b64 s[60:61], -1
                                        ; implicit-def: $vgpr1_vgpr2
	s_branch .LBB95_858
.LBB95_850:
	s_mov_b64 s[0:1], -1
                                        ; implicit-def: $vgpr1_vgpr2
	s_branch .LBB95_855
.LBB95_851:
	s_mov_b64 s[0:1], -1
                                        ; implicit-def: $vgpr1_vgpr2
.LBB95_852:
	s_and_b64 vcc, exec, s[0:1]
	s_cbranch_vccz .LBB95_854
; %bb.853:
	global_load_ubyte v1, v[4:5], off
	s_mov_b32 s0, 0x7f800000
	s_brev_b32 s1, 1
	s_mov_b32 s60, 0x2f800000
	s_mov_b32 s61, 0xcf800000
	s_waitcnt vmcnt(0)
	v_lshlrev_b32_e32 v1, 24, v1
	v_and_b32_e32 v2, 0x7f000000, v1
	v_ffbh_u32_e32 v6, v2
	v_min_u32_e32 v6, 32, v6
	v_sub_u32_e64 v6, v6, 4 clamp
	v_lshlrev_b32_e32 v8, v6, v2
	v_lshlrev_b32_e32 v6, 23, v6
	v_lshrrev_b32_e32 v8, 4, v8
	v_add_u32_e32 v7, 0x1000000, v2
	v_sub_u32_e32 v6, v8, v6
	v_ashrrev_i32_e32 v7, 8, v7
	v_add_u32_e32 v6, 0x3c000000, v6
	v_and_or_b32 v6, v7, s0, v6
	v_cmp_ne_u32_e32 vcc, 0, v2
	v_cndmask_b32_e32 v2, 0, v6, vcc
	v_and_or_b32 v1, v1, s1, v2
	v_trunc_f32_e32 v1, v1
	v_mul_f32_e64 v2, |v1|, s60
	v_floor_f32_e32 v2, v2
	v_fma_f32 v6, v2, s61, |v1|
	v_cvt_u32_f32_e32 v6, v6
	v_cvt_u32_f32_e32 v2, v2
	v_ashrrev_i32_e32 v7, 31, v1
	v_xor_b32_e32 v1, v6, v7
	v_xor_b32_e32 v2, v2, v7
	v_sub_co_u32_e32 v1, vcc, v1, v7
	v_subb_co_u32_e32 v2, vcc, v2, v7, vcc
.LBB95_854:
	s_mov_b64 s[0:1], 0
.LBB95_855:
	s_andn2_b64 vcc, exec, s[0:1]
	s_cbranch_vccnz .LBB95_857
; %bb.856:
	global_load_ubyte v1, v[4:5], off
	s_movk_i32 s0, 0x7f00
	s_brev_b32 s1, 16
	s_brev_b32 s60, 1
	s_mov_b32 s61, 0x2f800000
	s_mov_b32 s64, 0xcf800000
	s_waitcnt vmcnt(0)
	v_lshlrev_b16_e32 v2, 8, v1
	v_lshlrev_b32_e32 v1, 25, v1
	v_lshrrev_b32_e32 v6, 4, v1
	v_and_or_b32 v7, v2, s0, 0.5
	v_or_b32_e32 v6, 0x70000000, v6
	v_add_f32_e32 v7, -0.5, v7
	v_mul_f32_e32 v6, 0x7800000, v6
	v_cmp_gt_u32_e32 vcc, s1, v1
	v_bfe_i32 v2, v2, 0, 16
	v_cndmask_b32_e32 v1, v6, v7, vcc
	v_and_or_b32 v1, v2, s60, v1
	v_trunc_f32_e32 v1, v1
	v_mul_f32_e64 v2, |v1|, s61
	v_floor_f32_e32 v2, v2
	v_fma_f32 v6, v2, s64, |v1|
	v_cvt_u32_f32_e32 v6, v6
	v_cvt_u32_f32_e32 v2, v2
	v_ashrrev_i32_e32 v7, 31, v1
	v_xor_b32_e32 v1, v6, v7
	v_xor_b32_e32 v2, v2, v7
	v_sub_co_u32_e32 v1, vcc, v1, v7
	v_subb_co_u32_e32 v2, vcc, v2, v7, vcc
.LBB95_857:
	s_mov_b64 s[60:61], 0
	s_mov_b64 s[0:1], -1
.LBB95_858:
	s_andn2_b64 vcc, exec, s[60:61]
	s_cbranch_vccnz .LBB95_869
; %bb.859:
	s_cmp_gt_i32 s63, 14
	s_cbranch_scc0 .LBB95_862
; %bb.860:
	s_cmp_eq_u32 s63, 15
	s_cbranch_scc0 .LBB95_863
; %bb.861:
	global_load_ushort v1, v[4:5], off
	s_mov_b32 s0, 0x2f800000
	s_mov_b32 s1, 0xcf800000
	s_mov_b64 s[58:59], 0
	s_waitcnt vmcnt(0)
	v_lshlrev_b32_e32 v1, 16, v1
	v_trunc_f32_e32 v1, v1
	v_mul_f32_e64 v2, |v1|, s0
	v_floor_f32_e32 v2, v2
	v_fma_f32 v6, v2, s1, |v1|
	v_cvt_u32_f32_e32 v6, v6
	v_cvt_u32_f32_e32 v2, v2
	v_ashrrev_i32_e32 v7, 31, v1
	s_mov_b64 s[0:1], -1
	v_xor_b32_e32 v1, v6, v7
	v_xor_b32_e32 v2, v2, v7
	v_sub_co_u32_e32 v1, vcc, v1, v7
	v_subb_co_u32_e32 v2, vcc, v2, v7, vcc
	s_branch .LBB95_864
.LBB95_862:
	s_mov_b64 s[60:61], -1
                                        ; implicit-def: $vgpr1_vgpr2
	s_branch .LBB95_865
.LBB95_863:
	s_mov_b64 s[58:59], -1
                                        ; implicit-def: $vgpr1_vgpr2
.LBB95_864:
	s_mov_b64 s[60:61], 0
.LBB95_865:
	s_and_b64 vcc, exec, s[60:61]
	s_cbranch_vccz .LBB95_869
; %bb.866:
	s_cmp_eq_u32 s63, 11
	s_cbranch_scc0 .LBB95_868
; %bb.867:
	global_load_ubyte v1, v[4:5], off
	s_mov_b32 s58, 0
	s_mov_b64 s[0:1], -1
	s_waitcnt vmcnt(1)
	v_mov_b32_e32 v2, s58
	s_mov_b64 s[58:59], 0
	s_waitcnt vmcnt(0)
	v_cmp_ne_u16_e32 vcc, 0, v1
	v_cndmask_b32_e64 v1, 0, 1, vcc
	s_branch .LBB95_869
.LBB95_868:
	s_mov_b64 s[58:59], -1
                                        ; implicit-def: $vgpr1_vgpr2
.LBB95_869:
	s_mov_b64 s[60:61], 0
.LBB95_870:
	s_and_b64 vcc, exec, s[60:61]
	s_cbranch_vccz .LBB95_919
; %bb.871:
	s_and_b32 s60, 0xffff, s62
	s_cmp_lt_i32 s60, 5
	s_cbranch_scc1 .LBB95_876
; %bb.872:
	s_cmp_lt_i32 s60, 8
	s_cbranch_scc1 .LBB95_877
; %bb.873:
	;; [unrolled: 3-line block ×3, first 2 shown]
	s_cmp_gt_i32 s60, 9
	s_cbranch_scc0 .LBB95_879
; %bb.875:
	global_load_dwordx2 v[1:2], v[4:5], off
	s_movk_i32 s0, 0xffe0
	s_waitcnt vmcnt(0)
	v_trunc_f64_e32 v[1:2], v[1:2]
	v_ldexp_f64 v[6:7], v[1:2], s0
	s_mov_b32 s0, 0
	s_mov_b32 s1, 0xc1f00000
	v_floor_f64_e32 v[6:7], v[6:7]
	v_fma_f64 v[8:9], v[6:7], s[0:1], v[1:2]
	v_cvt_i32_f64_e32 v2, v[6:7]
	s_mov_b64 s[0:1], 0
	v_cvt_u32_f64_e32 v1, v[8:9]
	s_branch .LBB95_880
.LBB95_876:
	s_mov_b64 s[0:1], -1
                                        ; implicit-def: $vgpr1_vgpr2
	s_branch .LBB95_898
.LBB95_877:
	s_mov_b64 s[0:1], -1
                                        ; implicit-def: $vgpr1_vgpr2
	s_branch .LBB95_886
.LBB95_878:
	s_mov_b64 s[0:1], -1
                                        ; implicit-def: $vgpr1_vgpr2
	s_branch .LBB95_883
.LBB95_879:
	s_mov_b64 s[0:1], -1
                                        ; implicit-def: $vgpr1_vgpr2
.LBB95_880:
	s_andn2_b64 vcc, exec, s[0:1]
	s_cbranch_vccnz .LBB95_882
; %bb.881:
	global_load_dword v1, v[4:5], off
	s_mov_b32 s0, 0x2f800000
	s_mov_b32 s1, 0xcf800000
	s_waitcnt vmcnt(0)
	v_trunc_f32_e32 v1, v1
	v_mul_f32_e64 v2, |v1|, s0
	v_floor_f32_e32 v2, v2
	v_cvt_u32_f32_e32 v6, v2
	v_fma_f32 v2, v2, s1, |v1|
	v_cvt_u32_f32_e32 v2, v2
	v_ashrrev_i32_e32 v7, 31, v1
	v_xor_b32_e32 v6, v6, v7
	v_xor_b32_e32 v1, v2, v7
	v_sub_co_u32_e32 v1, vcc, v1, v7
	v_subb_co_u32_e32 v2, vcc, v6, v7, vcc
.LBB95_882:
	s_mov_b64 s[0:1], 0
.LBB95_883:
	s_andn2_b64 vcc, exec, s[0:1]
	s_cbranch_vccnz .LBB95_885
; %bb.884:
	global_load_dword v1, v[4:5], off
	s_waitcnt vmcnt(0)
	v_cvt_f32_f16_e32 v1, v1
	v_cvt_i32_f32_e32 v1, v1
	v_ashrrev_i32_e32 v2, 31, v1
.LBB95_885:
	s_mov_b64 s[0:1], 0
.LBB95_886:
	s_andn2_b64 vcc, exec, s[0:1]
	s_cbranch_vccnz .LBB95_897
; %bb.887:
	s_cmp_lt_i32 s60, 6
	s_cbranch_scc1 .LBB95_890
; %bb.888:
	s_cmp_gt_i32 s60, 6
	s_cbranch_scc0 .LBB95_891
; %bb.889:
	global_load_dwordx2 v[1:2], v[4:5], off
	s_movk_i32 s0, 0xffe0
	s_waitcnt vmcnt(0)
	v_trunc_f64_e32 v[1:2], v[1:2]
	v_ldexp_f64 v[6:7], v[1:2], s0
	s_mov_b32 s0, 0
	s_mov_b32 s1, 0xc1f00000
	v_floor_f64_e32 v[6:7], v[6:7]
	v_fma_f64 v[8:9], v[6:7], s[0:1], v[1:2]
	v_cvt_i32_f64_e32 v2, v[6:7]
	s_mov_b64 s[0:1], 0
	v_cvt_u32_f64_e32 v1, v[8:9]
	s_branch .LBB95_892
.LBB95_890:
	s_mov_b64 s[0:1], -1
                                        ; implicit-def: $vgpr1_vgpr2
	s_branch .LBB95_895
.LBB95_891:
	s_mov_b64 s[0:1], -1
                                        ; implicit-def: $vgpr1_vgpr2
.LBB95_892:
	s_andn2_b64 vcc, exec, s[0:1]
	s_cbranch_vccnz .LBB95_894
; %bb.893:
	global_load_dword v1, v[4:5], off
	s_mov_b32 s0, 0x2f800000
	s_mov_b32 s1, 0xcf800000
	s_waitcnt vmcnt(0)
	v_trunc_f32_e32 v1, v1
	v_mul_f32_e64 v2, |v1|, s0
	v_floor_f32_e32 v2, v2
	v_cvt_u32_f32_e32 v6, v2
	v_fma_f32 v2, v2, s1, |v1|
	v_cvt_u32_f32_e32 v2, v2
	v_ashrrev_i32_e32 v7, 31, v1
	v_xor_b32_e32 v6, v6, v7
	v_xor_b32_e32 v1, v2, v7
	v_sub_co_u32_e32 v1, vcc, v1, v7
	v_subb_co_u32_e32 v2, vcc, v6, v7, vcc
.LBB95_894:
	s_mov_b64 s[0:1], 0
.LBB95_895:
	s_andn2_b64 vcc, exec, s[0:1]
	s_cbranch_vccnz .LBB95_897
; %bb.896:
	global_load_ushort v1, v[4:5], off
	s_waitcnt vmcnt(0)
	v_cvt_f32_f16_e32 v1, v1
	v_cvt_i32_f32_e32 v1, v1
	v_ashrrev_i32_e32 v2, 31, v1
.LBB95_897:
	s_mov_b64 s[0:1], 0
.LBB95_898:
	s_andn2_b64 vcc, exec, s[0:1]
	s_cbranch_vccnz .LBB95_918
; %bb.899:
	s_cmp_lt_i32 s60, 2
	s_cbranch_scc1 .LBB95_903
; %bb.900:
	s_cmp_lt_i32 s60, 3
	s_cbranch_scc1 .LBB95_904
; %bb.901:
	s_cmp_gt_i32 s60, 3
	s_cbranch_scc0 .LBB95_905
; %bb.902:
	global_load_dwordx2 v[1:2], v[4:5], off
	s_mov_b64 s[0:1], 0
	s_branch .LBB95_906
.LBB95_903:
	s_mov_b64 s[0:1], -1
                                        ; implicit-def: $vgpr1_vgpr2
	s_branch .LBB95_912
.LBB95_904:
	s_mov_b64 s[0:1], -1
                                        ; implicit-def: $vgpr1_vgpr2
	s_branch .LBB95_909
.LBB95_905:
	s_mov_b64 s[0:1], -1
                                        ; implicit-def: $vgpr1_vgpr2
.LBB95_906:
	s_andn2_b64 vcc, exec, s[0:1]
	s_cbranch_vccnz .LBB95_908
; %bb.907:
	global_load_dword v1, v[4:5], off
	s_waitcnt vmcnt(0)
	v_ashrrev_i32_e32 v2, 31, v1
.LBB95_908:
	s_mov_b64 s[0:1], 0
.LBB95_909:
	s_andn2_b64 vcc, exec, s[0:1]
	s_cbranch_vccnz .LBB95_911
; %bb.910:
	global_load_ushort v1, v[4:5], off
	s_waitcnt vmcnt(0)
	v_bfe_i32 v1, v1, 0, 16
	v_ashrrev_i32_e32 v2, 31, v1
.LBB95_911:
	s_mov_b64 s[0:1], 0
.LBB95_912:
	s_andn2_b64 vcc, exec, s[0:1]
	s_cbranch_vccnz .LBB95_918
; %bb.913:
	s_cmp_gt_i32 s60, 0
	s_cbranch_scc0 .LBB95_915
; %bb.914:
	global_load_sbyte v1, v[4:5], off
	s_mov_b64 s[0:1], 0
	s_waitcnt vmcnt(0)
	v_bfe_i32 v1, v1, 0, 16
	v_ashrrev_i32_e32 v2, 31, v1
	s_branch .LBB95_916
.LBB95_915:
	s_mov_b64 s[0:1], -1
                                        ; implicit-def: $vgpr1_vgpr2
.LBB95_916:
	s_andn2_b64 vcc, exec, s[0:1]
	s_cbranch_vccnz .LBB95_918
; %bb.917:
	global_load_ubyte v1, v[4:5], off
	s_mov_b32 s0, 0
	s_waitcnt vmcnt(1)
	v_mov_b32_e32 v2, s0
	s_waitcnt vmcnt(0)
	v_and_b32_e32 v1, 0xffff, v1
.LBB95_918:
	s_mov_b64 s[0:1], -1
.LBB95_919:
	s_andn2_b64 vcc, exec, s[0:1]
	s_cbranch_vccnz .LBB95_927
; %bb.920:
	v_mov_b32_e32 v4, s13
	s_and_b32 s64, s74, 0xff
	v_add_co_u32_e32 v3, vcc, s12, v3
	s_cmp_lt_i32 s64, 11
	v_addc_co_u32_e32 v4, vcc, 0, v4, vcc
	s_cbranch_scc1 .LBB95_929
; %bb.921:
	s_and_b32 s65, 0xffff, s64
	s_cmp_gt_i32 s65, 25
	s_cbranch_scc0 .LBB95_930
; %bb.922:
	s_cmp_gt_i32 s65, 28
	s_cbranch_scc0 .LBB95_931
; %bb.923:
	;; [unrolled: 3-line block ×4, first 2 shown]
	s_cmp_eq_u32 s65, 46
	s_mov_b64 s[62:63], 0
	s_cbranch_scc0 .LBB95_936
; %bb.926:
	global_load_dword v5, v[3:4], off
	s_mov_b32 s0, 0x2f800000
	s_mov_b32 s1, 0xcf800000
	s_mov_b64 s[60:61], 0
	s_waitcnt vmcnt(0)
	v_lshlrev_b32_e32 v5, 16, v5
	v_trunc_f32_e32 v5, v5
	v_mul_f32_e64 v6, |v5|, s0
	v_floor_f32_e32 v6, v6
	v_fma_f32 v7, v6, s1, |v5|
	v_cvt_u32_f32_e32 v7, v7
	v_cvt_u32_f32_e32 v6, v6
	v_ashrrev_i32_e32 v8, 31, v5
	s_mov_b64 s[0:1], -1
	v_xor_b32_e32 v5, v7, v8
	v_xor_b32_e32 v6, v6, v8
	v_sub_co_u32_e32 v5, vcc, v5, v8
	v_subb_co_u32_e32 v6, vcc, v6, v8, vcc
	s_branch .LBB95_937
.LBB95_927:
	s_mov_b64 s[64:65], 0
	s_mov_b64 s[0:1], s[52:53]
	;; [unrolled: 1-line block ×3, first 2 shown]
.LBB95_928:
                                        ; implicit-def: $vgpr10
	s_branch .LBB95_1171
.LBB95_929:
	s_mov_b64 s[62:63], -1
	s_mov_b64 s[0:1], 0
                                        ; implicit-def: $vgpr5_vgpr6
	s_mov_b64 s[60:61], s[50:51]
	s_branch .LBB95_998
.LBB95_930:
	s_mov_b64 s[62:63], -1
	s_mov_b64 s[0:1], 0
	s_mov_b64 s[60:61], s[50:51]
                                        ; implicit-def: $vgpr5_vgpr6
	s_branch .LBB95_966
.LBB95_931:
	s_mov_b64 s[62:63], -1
	s_mov_b64 s[0:1], 0
	s_mov_b64 s[60:61], s[50:51]
                                        ; implicit-def: $vgpr5_vgpr6
	s_branch .LBB95_947
.LBB95_932:
	s_mov_b64 s[62:63], -1
	s_mov_b64 s[0:1], 0
	s_mov_b64 s[60:61], s[50:51]
                                        ; implicit-def: $vgpr5_vgpr6
	s_branch .LBB95_942
.LBB95_933:
	s_mov_b64 s[62:63], -1
	s_mov_b64 s[0:1], 0
	s_mov_b64 s[60:61], s[50:51]
                                        ; implicit-def: $vgpr5_vgpr6
	s_branch .LBB95_937
.LBB95_934:
	s_andn2_saveexec_b64 s[58:59], s[58:59]
	s_cbranch_execz .LBB95_702
.LBB95_935:
	s_mov_b32 s62, 0x42800000
	v_add_f32_e64 v5, |v0|, s62
	v_and_b32_e32 v5, 0xff, v5
	v_cmp_ne_u32_e32 vcc, 0, v5
	s_andn2_b64 s[56:57], s[56:57], exec
	s_and_b64 s[62:63], vcc, exec
	s_or_b64 s[56:57], s[56:57], s[62:63]
	s_or_b64 exec, exec, s[58:59]
	v_mov_b32_e32 v6, 0
	s_and_saveexec_b64 s[58:59], s[56:57]
	s_cbranch_execnz .LBB95_703
	s_branch .LBB95_704
.LBB95_936:
	s_mov_b64 s[60:61], -1
                                        ; implicit-def: $vgpr5_vgpr6
	s_mov_b64 s[0:1], 0
.LBB95_937:
	s_and_b64 vcc, exec, s[62:63]
	s_cbranch_vccz .LBB95_941
; %bb.938:
	s_cmp_eq_u32 s65, 44
	s_cbranch_scc0 .LBB95_940
; %bb.939:
	global_load_ubyte v5, v[3:4], off
	s_mov_b32 s0, 0x2f800000
	s_mov_b32 s1, 0xcf800000
	s_mov_b64 s[60:61], 0
	s_waitcnt vmcnt(0)
	v_lshlrev_b32_e32 v6, 23, v5
	v_trunc_f32_e32 v6, v6
	v_mul_f32_e64 v7, |v6|, s0
	v_floor_f32_e32 v7, v7
	v_fma_f32 v8, v7, s1, |v6|
	v_cvt_u32_f32_e32 v8, v8
	v_cvt_u32_f32_e32 v7, v7
	v_ashrrev_i32_e32 v6, 31, v6
	s_mov_b64 s[0:1], -1
	v_xor_b32_e32 v8, v8, v6
	v_xor_b32_e32 v7, v7, v6
	v_sub_co_u32_e32 v8, vcc, v8, v6
	v_subb_co_u32_e32 v6, vcc, v7, v6, vcc
	v_cmp_ne_u32_e32 vcc, 0, v5
	v_cndmask_b32_e32 v6, 0, v6, vcc
	v_cndmask_b32_e32 v5, 0, v8, vcc
	s_branch .LBB95_941
.LBB95_940:
	s_mov_b64 s[60:61], -1
                                        ; implicit-def: $vgpr5_vgpr6
.LBB95_941:
	s_mov_b64 s[62:63], 0
.LBB95_942:
	s_and_b64 vcc, exec, s[62:63]
	s_cbranch_vccz .LBB95_946
; %bb.943:
	s_cmp_eq_u32 s65, 29
	s_cbranch_scc0 .LBB95_945
; %bb.944:
	global_load_dwordx2 v[5:6], v[3:4], off
	s_mov_b64 s[0:1], -1
	s_mov_b64 s[60:61], 0
	s_branch .LBB95_946
.LBB95_945:
	s_mov_b64 s[60:61], -1
                                        ; implicit-def: $vgpr5_vgpr6
.LBB95_946:
	s_mov_b64 s[62:63], 0
.LBB95_947:
	s_and_b64 vcc, exec, s[62:63]
	s_cbranch_vccz .LBB95_965
; %bb.948:
	s_cmp_lt_i32 s65, 27
	s_cbranch_scc1 .LBB95_951
; %bb.949:
	s_cmp_gt_i32 s65, 27
	s_cbranch_scc0 .LBB95_952
; %bb.950:
	global_load_dword v5, v[3:4], off
	s_waitcnt vmcnt(1)
	v_mov_b32_e32 v6, 0
	s_mov_b64 s[0:1], 0
	s_branch .LBB95_953
.LBB95_951:
	s_mov_b64 s[0:1], -1
                                        ; implicit-def: $vgpr5_vgpr6
	s_branch .LBB95_956
.LBB95_952:
	s_mov_b64 s[0:1], -1
                                        ; implicit-def: $vgpr5_vgpr6
.LBB95_953:
	s_andn2_b64 vcc, exec, s[0:1]
	s_cbranch_vccnz .LBB95_955
; %bb.954:
	global_load_ushort v5, v[3:4], off
	s_mov_b32 s0, 0
	s_waitcnt vmcnt(1)
	v_mov_b32_e32 v6, s0
	s_waitcnt vmcnt(0)
	v_and_b32_e32 v5, 0xffff, v5
.LBB95_955:
	s_mov_b64 s[0:1], 0
.LBB95_956:
	s_andn2_b64 vcc, exec, s[0:1]
	s_cbranch_vccnz .LBB95_964
; %bb.957:
	global_load_ubyte v7, v[3:4], off
	s_movk_i32 s0, 0x7f
	s_mov_b64 s[62:63], 0
	s_waitcnt vmcnt(0)
	v_cmp_lt_i16_e32 vcc, s0, v7
	s_and_saveexec_b64 s[0:1], vcc
	s_xor_b64 s[0:1], exec, s[0:1]
; %bb.958:
	s_movk_i32 s62, 0x80
	v_cmp_ne_u16_e32 vcc, s62, v7
	s_and_b64 s[62:63], vcc, exec
; %bb.959:
	s_andn2_saveexec_b64 s[0:1], s[0:1]
; %bb.960:
	v_cmp_ne_u16_e32 vcc, 0, v7
	s_andn2_b64 s[62:63], s[62:63], exec
	s_and_b64 s[66:67], vcc, exec
	s_or_b64 s[62:63], s[62:63], s[66:67]
; %bb.961:
	s_or_b64 exec, exec, s[0:1]
	v_mov_b32_e32 v5, 0
	v_mov_b32_e32 v6, 0
	s_and_saveexec_b64 s[0:1], s[62:63]
	s_cbranch_execz .LBB95_963
; %bb.962:
	v_and_b32_e32 v6, 0xffff, v7
	v_lshlrev_b32_e32 v5, 24, v7
	v_and_b32_e32 v7, 7, v6
	v_ffbh_u32_e32 v9, v7
	v_min_u32_e32 v9, 32, v9
	v_subrev_u32_e32 v11, 28, v9
	v_bfe_u32 v8, v6, 3, 4
	v_lshlrev_b32_e32 v6, v11, v6
	v_sub_u32_e32 v9, 29, v9
	v_and_b32_e32 v6, 7, v6
	v_cmp_eq_u32_e32 vcc, 0, v8
	v_cndmask_b32_e32 v8, v8, v9, vcc
	v_cndmask_b32_e32 v6, v7, v6, vcc
	v_mov_b32_e32 v7, 0x3b800000
	v_lshlrev_b32_e32 v6, 20, v6
	v_and_b32_e32 v5, 0x80000000, v5
	v_lshl_add_u32 v7, v8, 23, v7
	v_or3_b32 v5, v5, v7, v6
	v_trunc_f32_e32 v5, v5
	s_mov_b32 s62, 0x2f800000
	v_mul_f32_e64 v6, |v5|, s62
	v_floor_f32_e32 v6, v6
	s_mov_b32 s62, 0xcf800000
	v_fma_f32 v7, v6, s62, |v5|
	v_cvt_u32_f32_e32 v7, v7
	v_cvt_u32_f32_e32 v6, v6
	v_ashrrev_i32_e32 v8, 31, v5
	v_xor_b32_e32 v5, v7, v8
	v_xor_b32_e32 v6, v6, v8
	v_sub_co_u32_e32 v5, vcc, v5, v8
	v_subb_co_u32_e32 v6, vcc, v6, v8, vcc
.LBB95_963:
	s_or_b64 exec, exec, s[0:1]
.LBB95_964:
	s_mov_b64 s[0:1], -1
.LBB95_965:
	s_mov_b64 s[62:63], 0
.LBB95_966:
	s_and_b64 vcc, exec, s[62:63]
	s_cbranch_vccz .LBB95_997
; %bb.967:
	s_cmp_gt_i32 s65, 22
	s_cbranch_scc0 .LBB95_977
; %bb.968:
	s_cmp_lt_i32 s65, 24
	s_cbranch_scc1 .LBB95_978
; %bb.969:
	s_cmp_gt_i32 s65, 24
	s_cbranch_scc0 .LBB95_979
; %bb.970:
	global_load_ubyte v7, v[3:4], off
	s_movk_i32 s0, 0x7f
	s_mov_b64 s[62:63], 0
	s_waitcnt vmcnt(0)
	v_cmp_lt_i16_e32 vcc, s0, v7
	s_and_saveexec_b64 s[0:1], vcc
	s_xor_b64 s[0:1], exec, s[0:1]
; %bb.971:
	s_movk_i32 s62, 0x80
	v_cmp_ne_u16_e32 vcc, s62, v7
	s_and_b64 s[62:63], vcc, exec
; %bb.972:
	s_andn2_saveexec_b64 s[0:1], s[0:1]
; %bb.973:
	v_cmp_ne_u16_e32 vcc, 0, v7
	s_andn2_b64 s[62:63], s[62:63], exec
	s_and_b64 s[66:67], vcc, exec
	s_or_b64 s[62:63], s[62:63], s[66:67]
; %bb.974:
	s_or_b64 exec, exec, s[0:1]
	v_mov_b32_e32 v5, 0
	v_mov_b32_e32 v6, 0
	s_and_saveexec_b64 s[0:1], s[62:63]
	s_cbranch_execz .LBB95_976
; %bb.975:
	v_and_b32_e32 v6, 0xffff, v7
	v_lshlrev_b32_e32 v5, 24, v7
	v_and_b32_e32 v7, 3, v6
	v_ffbh_u32_e32 v9, v7
	v_min_u32_e32 v9, 32, v9
	v_subrev_u32_e32 v11, 29, v9
	v_bfe_u32 v8, v6, 2, 5
	v_lshlrev_b32_e32 v6, v11, v6
	v_sub_u32_e32 v9, 30, v9
	v_and_b32_e32 v6, 3, v6
	v_cmp_eq_u32_e32 vcc, 0, v8
	v_cndmask_b32_e32 v8, v8, v9, vcc
	v_cndmask_b32_e32 v6, v7, v6, vcc
	v_mov_b32_e32 v7, 0x37800000
	v_lshlrev_b32_e32 v6, 21, v6
	v_and_b32_e32 v5, 0x80000000, v5
	v_lshl_add_u32 v7, v8, 23, v7
	v_or3_b32 v5, v5, v7, v6
	v_trunc_f32_e32 v5, v5
	s_mov_b32 s62, 0x2f800000
	v_mul_f32_e64 v6, |v5|, s62
	v_floor_f32_e32 v6, v6
	s_mov_b32 s62, 0xcf800000
	v_fma_f32 v7, v6, s62, |v5|
	v_cvt_u32_f32_e32 v7, v7
	v_cvt_u32_f32_e32 v6, v6
	v_ashrrev_i32_e32 v8, 31, v5
	v_xor_b32_e32 v5, v7, v8
	v_xor_b32_e32 v6, v6, v8
	v_sub_co_u32_e32 v5, vcc, v5, v8
	v_subb_co_u32_e32 v6, vcc, v6, v8, vcc
.LBB95_976:
	s_or_b64 exec, exec, s[0:1]
	s_mov_b64 s[0:1], 0
	s_branch .LBB95_980
.LBB95_977:
	s_mov_b64 s[62:63], -1
                                        ; implicit-def: $vgpr5_vgpr6
	s_branch .LBB95_986
.LBB95_978:
	s_mov_b64 s[0:1], -1
                                        ; implicit-def: $vgpr5_vgpr6
	s_branch .LBB95_983
.LBB95_979:
	s_mov_b64 s[0:1], -1
                                        ; implicit-def: $vgpr5_vgpr6
.LBB95_980:
	s_and_b64 vcc, exec, s[0:1]
	s_cbranch_vccz .LBB95_982
; %bb.981:
	global_load_ubyte v5, v[3:4], off
	s_mov_b32 s0, 0x7f800000
	s_brev_b32 s1, 1
	s_mov_b32 s62, 0x2f800000
	s_mov_b32 s63, 0xcf800000
	s_waitcnt vmcnt(0)
	v_lshlrev_b32_e32 v5, 24, v5
	v_and_b32_e32 v6, 0x7f000000, v5
	v_ffbh_u32_e32 v7, v6
	v_min_u32_e32 v7, 32, v7
	v_sub_u32_e64 v7, v7, 4 clamp
	v_lshlrev_b32_e32 v9, v7, v6
	v_lshlrev_b32_e32 v7, 23, v7
	v_lshrrev_b32_e32 v9, 4, v9
	v_add_u32_e32 v8, 0x1000000, v6
	v_sub_u32_e32 v7, v9, v7
	v_ashrrev_i32_e32 v8, 8, v8
	v_add_u32_e32 v7, 0x3c000000, v7
	v_and_or_b32 v7, v8, s0, v7
	v_cmp_ne_u32_e32 vcc, 0, v6
	v_cndmask_b32_e32 v6, 0, v7, vcc
	v_and_or_b32 v5, v5, s1, v6
	v_trunc_f32_e32 v5, v5
	v_mul_f32_e64 v6, |v5|, s62
	v_floor_f32_e32 v6, v6
	v_fma_f32 v7, v6, s63, |v5|
	v_cvt_u32_f32_e32 v7, v7
	v_cvt_u32_f32_e32 v6, v6
	v_ashrrev_i32_e32 v8, 31, v5
	v_xor_b32_e32 v5, v7, v8
	v_xor_b32_e32 v6, v6, v8
	v_sub_co_u32_e32 v5, vcc, v5, v8
	v_subb_co_u32_e32 v6, vcc, v6, v8, vcc
.LBB95_982:
	s_mov_b64 s[0:1], 0
.LBB95_983:
	s_andn2_b64 vcc, exec, s[0:1]
	s_cbranch_vccnz .LBB95_985
; %bb.984:
	global_load_ubyte v5, v[3:4], off
	s_movk_i32 s0, 0x7f00
	s_brev_b32 s1, 16
	s_brev_b32 s62, 1
	s_mov_b32 s63, 0x2f800000
	s_mov_b32 s66, 0xcf800000
	s_waitcnt vmcnt(0)
	v_lshlrev_b16_e32 v6, 8, v5
	v_lshlrev_b32_e32 v5, 25, v5
	v_lshrrev_b32_e32 v7, 4, v5
	v_and_or_b32 v8, v6, s0, 0.5
	v_or_b32_e32 v7, 0x70000000, v7
	v_add_f32_e32 v8, -0.5, v8
	v_mul_f32_e32 v7, 0x7800000, v7
	v_cmp_gt_u32_e32 vcc, s1, v5
	v_bfe_i32 v6, v6, 0, 16
	v_cndmask_b32_e32 v5, v7, v8, vcc
	v_and_or_b32 v5, v6, s62, v5
	v_trunc_f32_e32 v5, v5
	v_mul_f32_e64 v6, |v5|, s63
	v_floor_f32_e32 v6, v6
	v_fma_f32 v7, v6, s66, |v5|
	v_cvt_u32_f32_e32 v7, v7
	v_cvt_u32_f32_e32 v6, v6
	v_ashrrev_i32_e32 v8, 31, v5
	v_xor_b32_e32 v5, v7, v8
	v_xor_b32_e32 v6, v6, v8
	v_sub_co_u32_e32 v5, vcc, v5, v8
	v_subb_co_u32_e32 v6, vcc, v6, v8, vcc
.LBB95_985:
	s_mov_b64 s[62:63], 0
	s_mov_b64 s[0:1], -1
.LBB95_986:
	s_andn2_b64 vcc, exec, s[62:63]
	s_cbranch_vccnz .LBB95_997
; %bb.987:
	s_cmp_gt_i32 s65, 14
	s_cbranch_scc0 .LBB95_990
; %bb.988:
	s_cmp_eq_u32 s65, 15
	s_cbranch_scc0 .LBB95_991
; %bb.989:
	global_load_ushort v5, v[3:4], off
	s_mov_b32 s0, 0x2f800000
	s_mov_b32 s1, 0xcf800000
	s_mov_b64 s[60:61], 0
	s_waitcnt vmcnt(0)
	v_lshlrev_b32_e32 v5, 16, v5
	v_trunc_f32_e32 v5, v5
	v_mul_f32_e64 v6, |v5|, s0
	v_floor_f32_e32 v6, v6
	v_fma_f32 v7, v6, s1, |v5|
	v_cvt_u32_f32_e32 v7, v7
	v_cvt_u32_f32_e32 v6, v6
	v_ashrrev_i32_e32 v8, 31, v5
	s_mov_b64 s[0:1], -1
	v_xor_b32_e32 v5, v7, v8
	v_xor_b32_e32 v6, v6, v8
	v_sub_co_u32_e32 v5, vcc, v5, v8
	v_subb_co_u32_e32 v6, vcc, v6, v8, vcc
	s_branch .LBB95_992
.LBB95_990:
	s_mov_b64 s[62:63], -1
                                        ; implicit-def: $vgpr5_vgpr6
	s_branch .LBB95_993
.LBB95_991:
	s_mov_b64 s[60:61], -1
                                        ; implicit-def: $vgpr5_vgpr6
.LBB95_992:
	s_mov_b64 s[62:63], 0
.LBB95_993:
	s_and_b64 vcc, exec, s[62:63]
	s_cbranch_vccz .LBB95_997
; %bb.994:
	s_cmp_eq_u32 s65, 11
	s_cbranch_scc0 .LBB95_996
; %bb.995:
	global_load_ubyte v5, v[3:4], off
	s_mov_b32 s60, 0
	s_mov_b64 s[0:1], -1
	s_waitcnt vmcnt(1)
	v_mov_b32_e32 v6, s60
	s_mov_b64 s[60:61], 0
	s_waitcnt vmcnt(0)
	v_cmp_ne_u16_e32 vcc, 0, v5
	v_cndmask_b32_e64 v5, 0, 1, vcc
	s_branch .LBB95_997
.LBB95_996:
	s_mov_b64 s[60:61], -1
                                        ; implicit-def: $vgpr5_vgpr6
.LBB95_997:
	s_mov_b64 s[62:63], 0
.LBB95_998:
	s_and_b64 vcc, exec, s[62:63]
	s_cbranch_vccz .LBB95_1047
; %bb.999:
	s_and_b32 s62, 0xffff, s64
	s_cmp_lt_i32 s62, 5
	s_cbranch_scc1 .LBB95_1004
; %bb.1000:
	s_cmp_lt_i32 s62, 8
	s_cbranch_scc1 .LBB95_1005
; %bb.1001:
	s_cmp_lt_i32 s62, 9
	s_cbranch_scc1 .LBB95_1006
; %bb.1002:
	s_cmp_gt_i32 s62, 9
	s_cbranch_scc0 .LBB95_1007
; %bb.1003:
	global_load_dwordx2 v[5:6], v[3:4], off
	s_movk_i32 s0, 0xffe0
	s_waitcnt vmcnt(0)
	v_trunc_f64_e32 v[5:6], v[5:6]
	v_ldexp_f64 v[7:8], v[5:6], s0
	s_mov_b32 s0, 0
	s_mov_b32 s1, 0xc1f00000
	v_floor_f64_e32 v[7:8], v[7:8]
	v_fma_f64 v[11:12], v[7:8], s[0:1], v[5:6]
	v_cvt_i32_f64_e32 v6, v[7:8]
	s_mov_b64 s[0:1], 0
	v_cvt_u32_f64_e32 v5, v[11:12]
	s_branch .LBB95_1008
.LBB95_1004:
	s_mov_b64 s[0:1], -1
                                        ; implicit-def: $vgpr5_vgpr6
	s_branch .LBB95_1026
.LBB95_1005:
	s_mov_b64 s[0:1], -1
                                        ; implicit-def: $vgpr5_vgpr6
	s_branch .LBB95_1014
.LBB95_1006:
	s_mov_b64 s[0:1], -1
                                        ; implicit-def: $vgpr5_vgpr6
	s_branch .LBB95_1011
.LBB95_1007:
	s_mov_b64 s[0:1], -1
                                        ; implicit-def: $vgpr5_vgpr6
.LBB95_1008:
	s_andn2_b64 vcc, exec, s[0:1]
	s_cbranch_vccnz .LBB95_1010
; %bb.1009:
	global_load_dword v5, v[3:4], off
	s_mov_b32 s0, 0x2f800000
	s_mov_b32 s1, 0xcf800000
	s_waitcnt vmcnt(0)
	v_trunc_f32_e32 v5, v5
	v_mul_f32_e64 v6, |v5|, s0
	v_floor_f32_e32 v6, v6
	v_cvt_u32_f32_e32 v7, v6
	v_fma_f32 v6, v6, s1, |v5|
	v_cvt_u32_f32_e32 v6, v6
	v_ashrrev_i32_e32 v8, 31, v5
	v_xor_b32_e32 v7, v7, v8
	v_xor_b32_e32 v5, v6, v8
	v_sub_co_u32_e32 v5, vcc, v5, v8
	v_subb_co_u32_e32 v6, vcc, v7, v8, vcc
.LBB95_1010:
	s_mov_b64 s[0:1], 0
.LBB95_1011:
	s_andn2_b64 vcc, exec, s[0:1]
	s_cbranch_vccnz .LBB95_1013
; %bb.1012:
	global_load_dword v5, v[3:4], off
	s_waitcnt vmcnt(0)
	v_cvt_f32_f16_e32 v5, v5
	v_cvt_i32_f32_e32 v5, v5
	v_ashrrev_i32_e32 v6, 31, v5
.LBB95_1013:
	s_mov_b64 s[0:1], 0
.LBB95_1014:
	s_andn2_b64 vcc, exec, s[0:1]
	s_cbranch_vccnz .LBB95_1025
; %bb.1015:
	s_cmp_lt_i32 s62, 6
	s_cbranch_scc1 .LBB95_1018
; %bb.1016:
	s_cmp_gt_i32 s62, 6
	s_cbranch_scc0 .LBB95_1019
; %bb.1017:
	global_load_dwordx2 v[5:6], v[3:4], off
	s_movk_i32 s0, 0xffe0
	s_waitcnt vmcnt(0)
	v_trunc_f64_e32 v[5:6], v[5:6]
	v_ldexp_f64 v[7:8], v[5:6], s0
	s_mov_b32 s0, 0
	s_mov_b32 s1, 0xc1f00000
	v_floor_f64_e32 v[7:8], v[7:8]
	v_fma_f64 v[11:12], v[7:8], s[0:1], v[5:6]
	v_cvt_i32_f64_e32 v6, v[7:8]
	s_mov_b64 s[0:1], 0
	v_cvt_u32_f64_e32 v5, v[11:12]
	s_branch .LBB95_1020
.LBB95_1018:
	s_mov_b64 s[0:1], -1
                                        ; implicit-def: $vgpr5_vgpr6
	s_branch .LBB95_1023
.LBB95_1019:
	s_mov_b64 s[0:1], -1
                                        ; implicit-def: $vgpr5_vgpr6
.LBB95_1020:
	s_andn2_b64 vcc, exec, s[0:1]
	s_cbranch_vccnz .LBB95_1022
; %bb.1021:
	global_load_dword v5, v[3:4], off
	s_mov_b32 s0, 0x2f800000
	s_mov_b32 s1, 0xcf800000
	s_waitcnt vmcnt(0)
	v_trunc_f32_e32 v5, v5
	v_mul_f32_e64 v6, |v5|, s0
	v_floor_f32_e32 v6, v6
	v_cvt_u32_f32_e32 v7, v6
	v_fma_f32 v6, v6, s1, |v5|
	v_cvt_u32_f32_e32 v6, v6
	v_ashrrev_i32_e32 v8, 31, v5
	v_xor_b32_e32 v7, v7, v8
	v_xor_b32_e32 v5, v6, v8
	v_sub_co_u32_e32 v5, vcc, v5, v8
	v_subb_co_u32_e32 v6, vcc, v7, v8, vcc
.LBB95_1022:
	s_mov_b64 s[0:1], 0
.LBB95_1023:
	s_andn2_b64 vcc, exec, s[0:1]
	s_cbranch_vccnz .LBB95_1025
; %bb.1024:
	global_load_ushort v5, v[3:4], off
	s_waitcnt vmcnt(0)
	v_cvt_f32_f16_e32 v5, v5
	v_cvt_i32_f32_e32 v5, v5
	v_ashrrev_i32_e32 v6, 31, v5
.LBB95_1025:
	s_mov_b64 s[0:1], 0
.LBB95_1026:
	s_andn2_b64 vcc, exec, s[0:1]
	s_cbranch_vccnz .LBB95_1046
; %bb.1027:
	s_cmp_lt_i32 s62, 2
	s_cbranch_scc1 .LBB95_1031
; %bb.1028:
	s_cmp_lt_i32 s62, 3
	s_cbranch_scc1 .LBB95_1032
; %bb.1029:
	s_cmp_gt_i32 s62, 3
	s_cbranch_scc0 .LBB95_1033
; %bb.1030:
	global_load_dwordx2 v[5:6], v[3:4], off
	s_mov_b64 s[0:1], 0
	s_branch .LBB95_1034
.LBB95_1031:
	s_mov_b64 s[0:1], -1
                                        ; implicit-def: $vgpr5_vgpr6
	s_branch .LBB95_1040
.LBB95_1032:
	s_mov_b64 s[0:1], -1
                                        ; implicit-def: $vgpr5_vgpr6
	s_branch .LBB95_1037
.LBB95_1033:
	s_mov_b64 s[0:1], -1
                                        ; implicit-def: $vgpr5_vgpr6
.LBB95_1034:
	s_andn2_b64 vcc, exec, s[0:1]
	s_cbranch_vccnz .LBB95_1036
; %bb.1035:
	global_load_dword v5, v[3:4], off
	s_waitcnt vmcnt(0)
	v_ashrrev_i32_e32 v6, 31, v5
.LBB95_1036:
	s_mov_b64 s[0:1], 0
.LBB95_1037:
	s_andn2_b64 vcc, exec, s[0:1]
	s_cbranch_vccnz .LBB95_1039
; %bb.1038:
	global_load_ushort v5, v[3:4], off
	s_waitcnt vmcnt(0)
	v_bfe_i32 v5, v5, 0, 16
	v_ashrrev_i32_e32 v6, 31, v5
.LBB95_1039:
	s_mov_b64 s[0:1], 0
.LBB95_1040:
	s_andn2_b64 vcc, exec, s[0:1]
	s_cbranch_vccnz .LBB95_1046
; %bb.1041:
	s_cmp_gt_i32 s62, 0
	s_cbranch_scc0 .LBB95_1043
; %bb.1042:
	global_load_sbyte v5, v[3:4], off
	s_mov_b64 s[0:1], 0
	s_waitcnt vmcnt(0)
	v_bfe_i32 v5, v5, 0, 16
	v_ashrrev_i32_e32 v6, 31, v5
	s_branch .LBB95_1044
.LBB95_1043:
	s_mov_b64 s[0:1], -1
                                        ; implicit-def: $vgpr5_vgpr6
.LBB95_1044:
	s_andn2_b64 vcc, exec, s[0:1]
	s_cbranch_vccnz .LBB95_1046
; %bb.1045:
	global_load_ubyte v3, v[3:4], off
	s_mov_b32 s0, 0
	s_waitcnt vmcnt(1)
	v_mov_b32_e32 v6, s0
	s_waitcnt vmcnt(0)
	v_and_b32_e32 v5, 0xffff, v3
.LBB95_1046:
	s_mov_b64 s[0:1], -1
.LBB95_1047:
	s_andn2_b64 vcc, exec, s[0:1]
	s_cbranch_vccnz .LBB95_1055
; %bb.1048:
	s_waitcnt vmcnt(0)
	v_cmp_lt_i64_e32 vcc, s[14:15], v[1:2]
	v_mov_b32_e32 v3, s29
	v_mov_b32_e32 v1, s28
	v_cndmask_b32_e32 v2, v3, v6, vcc
	v_cndmask_b32_e32 v1, v1, v5, vcc
	v_mov_b32_e32 v4, s9
	s_and_b32 s68, s73, 0xff
	v_add_co_u32_e32 v3, vcc, s8, v0
	s_cmp_lt_i32 s68, 11
	v_addc_co_u32_e32 v4, vcc, 0, v4, vcc
	s_cbranch_scc1 .LBB95_1056
; %bb.1049:
	s_and_b32 s69, 0xffff, s68
	s_cmp_gt_i32 s69, 25
	s_cbranch_scc0 .LBB95_1057
; %bb.1050:
	s_cmp_gt_i32 s69, 28
	s_cbranch_scc0 .LBB95_1058
; %bb.1051:
	s_cmp_gt_i32 s69, 43
	s_cbranch_scc0 .LBB95_1059
; %bb.1052:
	s_cmp_gt_i32 s69, 45
	s_cbranch_scc0 .LBB95_1060
; %bb.1053:
	s_mov_b64 s[64:65], 0
	s_mov_b64 s[0:1], -1
	s_cmp_eq_u32 s69, 46
	s_mov_b64 s[62:63], 0
	s_cbranch_scc0 .LBB95_1061
; %bb.1054:
	v_xor_b32_e32 v5, v1, v2
	v_ffbh_i32_e32 v0, v2
	v_ashrrev_i32_e32 v5, 31, v5
	v_add_u32_e32 v0, -1, v0
	v_add_u32_e32 v5, 32, v5
	v_min_u32_e32 v0, v0, v5
	v_lshlrev_b64 v[5:6], v0, v[1:2]
	v_sub_u32_e32 v0, 32, v0
	v_min_u32_e32 v5, 1, v5
	v_or_b32_e32 v5, v6, v5
	v_cvt_f32_i32_e32 v5, v5
	s_movk_i32 s0, 0x7fff
	s_mov_b64 s[62:63], -1
	v_ldexp_f32 v0, v5, v0
	v_bfe_u32 v5, v0, 16, 1
	v_add3_u32 v0, v0, v5, s0
	v_lshrrev_b32_e32 v0, 16, v0
	global_store_dword v[3:4], v0, off
	s_mov_b64 s[0:1], 0
	s_branch .LBB95_1061
.LBB95_1055:
	s_mov_b64 s[64:65], 0
                                        ; implicit-def: $vgpr10
	s_mov_b64 s[0:1], s[52:53]
	s_branch .LBB95_1171
.LBB95_1056:
	s_mov_b64 s[64:65], -1
	s_mov_b64 s[62:63], 0
	s_mov_b64 s[0:1], s[52:53]
	s_branch .LBB95_1130
.LBB95_1057:
	s_mov_b64 s[64:65], -1
	s_mov_b64 s[62:63], 0
	s_mov_b64 s[0:1], s[52:53]
	s_branch .LBB95_1088
.LBB95_1058:
	s_mov_b64 s[64:65], -1
	s_mov_b64 s[62:63], 0
	s_mov_b64 s[0:1], s[52:53]
	s_branch .LBB95_1071
.LBB95_1059:
	s_mov_b64 s[64:65], -1
	s_mov_b64 s[62:63], 0
	s_mov_b64 s[0:1], s[52:53]
	s_branch .LBB95_1067
.LBB95_1060:
	s_mov_b64 s[64:65], -1
	s_mov_b64 s[62:63], 0
	s_mov_b64 s[0:1], s[52:53]
.LBB95_1061:
	s_and_b64 vcc, exec, s[64:65]
	s_cbranch_vccz .LBB95_1066
; %bb.1062:
	s_cmp_eq_u32 s69, 44
	s_mov_b64 s[0:1], -1
	s_cbranch_scc0 .LBB95_1066
; %bb.1063:
	v_xor_b32_e32 v5, v1, v2
	v_ffbh_i32_e32 v0, v2
	v_ashrrev_i32_e32 v5, 31, v5
	v_add_u32_e32 v0, -1, v0
	v_add_u32_e32 v5, 32, v5
	v_min_u32_e32 v0, v0, v5
	v_lshlrev_b64 v[5:6], v0, v[1:2]
	v_sub_u32_e32 v0, 32, v0
	v_min_u32_e32 v5, 1, v5
	v_or_b32_e32 v5, v6, v5
	v_cvt_f32_i32_e32 v5, v5
	s_movk_i32 s0, 0xff
	v_mov_b32_e32 v6, 0xff
	v_ldexp_f32 v0, v5, v0
	v_bfe_u32 v5, v0, 23, 8
	v_cmp_ne_u32_e32 vcc, s0, v5
	s_and_saveexec_b64 s[62:63], vcc
; %bb.1064:
	s_mov_b32 s0, 0x3fffff
	v_lshrrev_b32_e32 v6, 23, v0
	v_and_b32_e32 v7, 0x400000, v0
	v_and_or_b32 v0, v0, s0, v5
	v_cmp_ne_u32_e32 vcc, 0, v7
	v_cmp_ne_u32_e64 s[0:1], 0, v0
	s_and_b64 s[0:1], vcc, s[0:1]
	v_cndmask_b32_e64 v0, 0, 1, s[0:1]
	v_add_u32_e32 v6, v6, v0
; %bb.1065:
	s_or_b64 exec, exec, s[62:63]
	s_mov_b64 s[62:63], -1
	s_mov_b64 s[0:1], 0
	global_store_byte v[3:4], v6, off
.LBB95_1066:
	s_mov_b64 s[64:65], 0
.LBB95_1067:
	s_and_b64 vcc, exec, s[64:65]
	s_cbranch_vccz .LBB95_1070
; %bb.1068:
	s_cmp_eq_u32 s69, 29
	s_mov_b64 s[0:1], -1
	s_cbranch_scc0 .LBB95_1070
; %bb.1069:
	global_store_dwordx2 v[3:4], v[1:2], off
	s_mov_b64 s[62:63], -1
	s_mov_b64 s[0:1], 0
.LBB95_1070:
	s_mov_b64 s[64:65], 0
.LBB95_1071:
	s_and_b64 vcc, exec, s[64:65]
	s_cbranch_vccz .LBB95_1087
; %bb.1072:
	s_cmp_lt_i32 s69, 27
	s_mov_b64 s[62:63], -1
	s_cbranch_scc1 .LBB95_1078
; %bb.1073:
	s_cmp_gt_i32 s69, 27
	s_cbranch_scc0 .LBB95_1075
; %bb.1074:
	s_mov_b64 s[62:63], 0
	global_store_dword v[3:4], v1, off
.LBB95_1075:
	s_andn2_b64 vcc, exec, s[62:63]
	s_cbranch_vccnz .LBB95_1077
; %bb.1076:
	global_store_short v[3:4], v1, off
.LBB95_1077:
	s_mov_b64 s[62:63], 0
.LBB95_1078:
	s_andn2_b64 vcc, exec, s[62:63]
	s_cbranch_vccnz .LBB95_1086
; %bb.1079:
	v_xor_b32_e32 v5, v1, v2
	v_ffbh_i32_e32 v0, v2
	v_ashrrev_i32_e32 v5, 31, v5
	v_add_u32_e32 v0, -1, v0
	v_add_u32_e32 v5, 32, v5
	v_min_u32_e32 v0, v0, v5
	v_lshlrev_b64 v[5:6], v0, v[1:2]
	v_sub_u32_e32 v0, 32, v0
	v_min_u32_e32 v5, 1, v5
	v_or_b32_e32 v5, v6, v5
	v_cvt_f32_i32_e32 v5, v5
	s_mov_b32 s62, 0x43800000
	v_mov_b32_e32 v6, 0x80
	v_ldexp_f32 v0, v5, v0
	v_and_b32_e32 v5, 0x7fffffff, v0
	v_cmp_gt_u32_e32 vcc, s62, v5
	s_and_saveexec_b64 s[62:63], vcc
	s_cbranch_execz .LBB95_1085
; %bb.1080:
	s_mov_b32 s64, 0x3bffffff
	v_cmp_lt_u32_e32 vcc, s64, v5
	s_mov_b64 s[64:65], 0
                                        ; implicit-def: $vgpr5
	s_and_saveexec_b64 s[66:67], vcc
	s_xor_b64 s[66:67], exec, s[66:67]
	s_cbranch_execz .LBB95_1199
; %bb.1081:
	v_bfe_u32 v5, v0, 20, 1
	s_mov_b32 s71, 0x487ffff
	v_add3_u32 v5, v0, v5, s71
	s_mov_b64 s[64:65], exec
	v_lshrrev_b32_e32 v5, 20, v5
	s_andn2_saveexec_b64 s[66:67], s[66:67]
	s_cbranch_execnz .LBB95_1200
.LBB95_1082:
	s_or_b64 exec, exec, s[66:67]
	v_mov_b32_e32 v6, 0
	s_and_saveexec_b64 s[66:67], s[64:65]
.LBB95_1083:
	v_lshrrev_b32_e32 v0, 24, v0
	s_movk_i32 s64, 0x80
	v_and_or_b32 v6, v0, s64, v5
.LBB95_1084:
	s_or_b64 exec, exec, s[66:67]
.LBB95_1085:
	s_or_b64 exec, exec, s[62:63]
	global_store_byte v[3:4], v6, off
.LBB95_1086:
	s_mov_b64 s[62:63], -1
.LBB95_1087:
	s_mov_b64 s[64:65], 0
.LBB95_1088:
	s_and_b64 vcc, exec, s[64:65]
	s_cbranch_vccz .LBB95_1129
; %bb.1089:
	s_cmp_gt_i32 s69, 22
	s_mov_b64 s[64:65], -1
	s_cbranch_scc0 .LBB95_1121
; %bb.1090:
	s_cmp_lt_i32 s69, 24
	s_mov_b64 s[62:63], -1
	s_cbranch_scc1 .LBB95_1110
; %bb.1091:
	s_cmp_gt_i32 s69, 24
	s_cbranch_scc0 .LBB95_1099
; %bb.1092:
	v_xor_b32_e32 v5, v1, v2
	v_ffbh_i32_e32 v0, v2
	v_ashrrev_i32_e32 v5, 31, v5
	v_add_u32_e32 v0, -1, v0
	v_add_u32_e32 v5, 32, v5
	v_min_u32_e32 v0, v0, v5
	v_lshlrev_b64 v[5:6], v0, v[1:2]
	v_sub_u32_e32 v0, 32, v0
	v_min_u32_e32 v5, 1, v5
	v_or_b32_e32 v5, v6, v5
	v_cvt_f32_i32_e32 v5, v5
	s_mov_b32 s62, 0x47800000
	v_mov_b32_e32 v6, 0x80
	v_ldexp_f32 v0, v5, v0
	v_and_b32_e32 v5, 0x7fffffff, v0
	v_cmp_gt_u32_e32 vcc, s62, v5
	s_and_saveexec_b64 s[62:63], vcc
	s_cbranch_execz .LBB95_1098
; %bb.1093:
	s_mov_b32 s64, 0x37ffffff
	v_cmp_lt_u32_e32 vcc, s64, v5
	s_mov_b64 s[64:65], 0
                                        ; implicit-def: $vgpr5
	s_and_saveexec_b64 s[66:67], vcc
	s_xor_b64 s[66:67], exec, s[66:67]
	s_cbranch_execz .LBB95_2236
; %bb.1094:
	v_bfe_u32 v5, v0, 21, 1
	s_mov_b32 s71, 0x88fffff
	v_add3_u32 v5, v0, v5, s71
	s_mov_b64 s[64:65], exec
	v_lshrrev_b32_e32 v5, 21, v5
	s_andn2_saveexec_b64 s[66:67], s[66:67]
	s_cbranch_execnz .LBB95_2237
.LBB95_1095:
	s_or_b64 exec, exec, s[66:67]
	v_mov_b32_e32 v6, 0
	s_and_saveexec_b64 s[66:67], s[64:65]
.LBB95_1096:
	v_lshrrev_b32_e32 v0, 24, v0
	s_movk_i32 s64, 0x80
	v_and_or_b32 v6, v0, s64, v5
.LBB95_1097:
	s_or_b64 exec, exec, s[66:67]
.LBB95_1098:
	s_or_b64 exec, exec, s[62:63]
	s_mov_b64 s[62:63], 0
	global_store_byte v[3:4], v6, off
.LBB95_1099:
	s_and_b64 vcc, exec, s[62:63]
	s_cbranch_vccz .LBB95_1109
; %bb.1100:
	v_xor_b32_e32 v5, v1, v2
	v_ffbh_i32_e32 v0, v2
	v_ashrrev_i32_e32 v5, 31, v5
	v_add_u32_e32 v0, -1, v0
	v_add_u32_e32 v5, 32, v5
	v_min_u32_e32 v0, v0, v5
	v_lshlrev_b64 v[5:6], v0, v[1:2]
	v_sub_u32_e32 v0, 32, v0
	v_min_u32_e32 v5, 1, v5
	v_or_b32_e32 v5, v6, v5
	v_cvt_f32_i32_e32 v5, v5
	s_mov_b32 s62, 0x43f00000
	v_ldexp_f32 v0, v5, v0
	v_and_b32_e32 v6, 0x7fffffff, v0
	v_cmp_gt_u32_e32 vcc, s62, v6
                                        ; implicit-def: $vgpr5
	s_and_saveexec_b64 s[62:63], vcc
	s_xor_b64 s[62:63], exec, s[62:63]
	s_cbranch_execz .LBB95_1106
; %bb.1101:
	s_mov_b32 s64, 0x3c7fffff
	v_cmp_lt_u32_e32 vcc, s64, v6
                                        ; implicit-def: $vgpr5
	s_and_saveexec_b64 s[64:65], vcc
	s_xor_b64 s[64:65], exec, s[64:65]
; %bb.1102:
	v_bfe_u32 v5, v0, 20, 1
	s_mov_b32 s66, 0x407ffff
	v_add3_u32 v5, v0, v5, s66
	v_lshrrev_b32_e32 v6, 20, v5
	v_and_b32_e32 v5, 0xff00000, v5
	s_mov_b32 s66, 0x7f00000
	v_mov_b32_e32 v7, 0x7e
	v_cmp_ne_u32_e32 vcc, s66, v5
	v_cndmask_b32_e32 v5, v7, v6, vcc
; %bb.1103:
	s_andn2_saveexec_b64 s[64:65], s[64:65]
; %bb.1104:
	s_mov_b32 s66, 0x46800000
	v_add_f32_e64 v5, |v0|, s66
; %bb.1105:
	s_or_b64 exec, exec, s[64:65]
                                        ; implicit-def: $vgpr6
.LBB95_1106:
	s_andn2_saveexec_b64 s[62:63], s[62:63]
; %bb.1107:
	s_mov_b32 s64, 0x7f800000
	v_mov_b32_e32 v5, 0x7e
	v_mov_b32_e32 v7, 0x7f
	v_cmp_lt_u32_e32 vcc, s64, v6
	v_cndmask_b32_e32 v5, v5, v7, vcc
; %bb.1108:
	s_or_b64 exec, exec, s[62:63]
	v_lshrrev_b32_e32 v0, 24, v0
	s_movk_i32 s62, 0x80
	v_and_or_b32 v0, v0, s62, v5
	global_store_byte v[3:4], v0, off
.LBB95_1109:
	s_mov_b64 s[62:63], 0
.LBB95_1110:
	s_andn2_b64 vcc, exec, s[62:63]
	s_cbranch_vccnz .LBB95_1120
; %bb.1111:
	v_xor_b32_e32 v5, v1, v2
	v_ffbh_i32_e32 v0, v2
	v_ashrrev_i32_e32 v5, 31, v5
	v_add_u32_e32 v0, -1, v0
	v_add_u32_e32 v5, 32, v5
	v_min_u32_e32 v0, v0, v5
	v_lshlrev_b64 v[5:6], v0, v[1:2]
	v_sub_u32_e32 v0, 32, v0
	v_min_u32_e32 v5, 1, v5
	v_or_b32_e32 v5, v6, v5
	v_cvt_f32_i32_e32 v5, v5
	s_mov_b32 s62, 0x47800000
	v_ldexp_f32 v0, v5, v0
	v_and_b32_e32 v6, 0x7fffffff, v0
	v_cmp_gt_u32_e32 vcc, s62, v6
                                        ; implicit-def: $vgpr5
	s_and_saveexec_b64 s[62:63], vcc
	s_xor_b64 s[62:63], exec, s[62:63]
	s_cbranch_execz .LBB95_1117
; %bb.1112:
	s_mov_b32 s64, 0x387fffff
	v_cmp_lt_u32_e32 vcc, s64, v6
                                        ; implicit-def: $vgpr5
	s_and_saveexec_b64 s[64:65], vcc
	s_xor_b64 s[64:65], exec, s[64:65]
; %bb.1113:
	v_bfe_u32 v5, v0, 21, 1
	s_mov_b32 s66, 0x80fffff
	v_add3_u32 v5, v0, v5, s66
	v_lshrrev_b32_e32 v5, 21, v5
; %bb.1114:
	s_andn2_saveexec_b64 s[64:65], s[64:65]
; %bb.1115:
	s_mov_b32 s66, 0x43000000
	v_add_f32_e64 v5, |v0|, s66
; %bb.1116:
	s_or_b64 exec, exec, s[64:65]
                                        ; implicit-def: $vgpr6
.LBB95_1117:
	s_andn2_saveexec_b64 s[62:63], s[62:63]
; %bb.1118:
	s_mov_b32 s64, 0x7f800000
	v_mov_b32_e32 v5, 0x7c
	v_mov_b32_e32 v7, 0x7f
	v_cmp_lt_u32_e32 vcc, s64, v6
	v_cndmask_b32_e32 v5, v5, v7, vcc
; %bb.1119:
	s_or_b64 exec, exec, s[62:63]
	v_lshrrev_b32_e32 v0, 24, v0
	s_movk_i32 s62, 0x80
	v_and_or_b32 v0, v0, s62, v5
	global_store_byte v[3:4], v0, off
.LBB95_1120:
	s_mov_b64 s[64:65], 0
	s_mov_b64 s[62:63], -1
.LBB95_1121:
	s_andn2_b64 vcc, exec, s[64:65]
	s_cbranch_vccnz .LBB95_1129
; %bb.1122:
	s_cmp_gt_i32 s69, 14
	s_mov_b64 s[64:65], -1
	s_cbranch_scc0 .LBB95_1126
; %bb.1123:
	s_cmp_eq_u32 s69, 15
	s_mov_b64 s[0:1], -1
	s_cbranch_scc0 .LBB95_1125
; %bb.1124:
	v_xor_b32_e32 v5, v1, v2
	v_ffbh_i32_e32 v0, v2
	v_ashrrev_i32_e32 v5, 31, v5
	v_add_u32_e32 v0, -1, v0
	v_add_u32_e32 v5, 32, v5
	v_min_u32_e32 v0, v0, v5
	v_lshlrev_b64 v[5:6], v0, v[1:2]
	v_sub_u32_e32 v0, 32, v0
	v_min_u32_e32 v5, 1, v5
	v_or_b32_e32 v5, v6, v5
	v_cvt_f32_i32_e32 v5, v5
	s_movk_i32 s0, 0x7fff
	s_mov_b64 s[62:63], -1
	v_ldexp_f32 v0, v5, v0
	v_bfe_u32 v5, v0, 16, 1
	v_add3_u32 v0, v0, v5, s0
	global_store_short_d16_hi v[3:4], v0, off
	s_mov_b64 s[0:1], 0
.LBB95_1125:
	s_mov_b64 s[64:65], 0
.LBB95_1126:
	s_and_b64 vcc, exec, s[64:65]
	s_cbranch_vccz .LBB95_1129
; %bb.1127:
	s_cmp_eq_u32 s69, 11
	s_mov_b64 s[0:1], -1
	s_cbranch_scc0 .LBB95_1129
; %bb.1128:
	v_cmp_ne_u64_e32 vcc, 0, v[1:2]
	s_mov_b64 s[0:1], 0
	v_cndmask_b32_e64 v0, 0, 1, vcc
	s_mov_b64 s[62:63], -1
	global_store_byte v[3:4], v0, off
.LBB95_1129:
	s_mov_b64 s[64:65], 0
.LBB95_1130:
	s_and_b64 vcc, exec, s[64:65]
	s_cbranch_vccz .LBB95_1169
; %bb.1131:
	s_and_b32 s64, 0xffff, s68
	s_cmp_lt_i32 s64, 5
	s_mov_b64 s[62:63], -1
	s_cbranch_scc1 .LBB95_1152
; %bb.1132:
	s_cmp_lt_i32 s64, 8
	s_cbranch_scc1 .LBB95_1142
; %bb.1133:
	s_cmp_lt_i32 s64, 9
	s_cbranch_scc1 .LBB95_1139
; %bb.1134:
	s_cmp_gt_i32 s64, 9
	s_cbranch_scc0 .LBB95_1136
; %bb.1135:
	v_cvt_f64_i32_e32 v[5:6], v2
	v_cvt_f64_u32_e32 v[7:8], v1
	s_mov_b64 s[62:63], 0
	v_ldexp_f64 v[5:6], v[5:6], 32
	v_add_f64 v[5:6], v[5:6], v[7:8]
	v_mov_b32_e32 v7, 0
	v_mov_b32_e32 v8, v7
	global_store_dwordx4 v[3:4], v[5:8], off
.LBB95_1136:
	s_andn2_b64 vcc, exec, s[62:63]
	s_cbranch_vccnz .LBB95_1138
; %bb.1137:
	v_xor_b32_e32 v5, v1, v2
	v_ffbh_i32_e32 v0, v2
	v_ashrrev_i32_e32 v5, 31, v5
	v_add_u32_e32 v0, -1, v0
	v_add_u32_e32 v5, 32, v5
	v_min_u32_e32 v0, v0, v5
	v_lshlrev_b64 v[5:6], v0, v[1:2]
	v_sub_u32_e32 v0, 32, v0
	v_min_u32_e32 v5, 1, v5
	v_or_b32_e32 v5, v6, v5
	v_cvt_f32_i32_e32 v5, v5
	v_mov_b32_e32 v6, 0
	v_ldexp_f32 v5, v5, v0
	global_store_dwordx2 v[3:4], v[5:6], off
.LBB95_1138:
	s_mov_b64 s[62:63], 0
.LBB95_1139:
	s_andn2_b64 vcc, exec, s[62:63]
	s_cbranch_vccnz .LBB95_1141
; %bb.1140:
	v_xor_b32_e32 v5, v1, v2
	v_ffbh_i32_e32 v0, v2
	v_ashrrev_i32_e32 v5, 31, v5
	v_add_u32_e32 v0, -1, v0
	v_add_u32_e32 v5, 32, v5
	v_min_u32_e32 v0, v0, v5
	v_lshlrev_b64 v[5:6], v0, v[1:2]
	v_sub_u32_e32 v0, 32, v0
	v_min_u32_e32 v5, 1, v5
	v_or_b32_e32 v5, v6, v5
	v_cvt_f32_i32_e32 v5, v5
	v_ldexp_f32 v0, v5, v0
	v_cvt_f16_f32_e32 v0, v0
	global_store_dword v[3:4], v0, off
.LBB95_1141:
	s_mov_b64 s[62:63], 0
.LBB95_1142:
	s_andn2_b64 vcc, exec, s[62:63]
	s_cbranch_vccnz .LBB95_1151
; %bb.1143:
	s_cmp_lt_i32 s64, 6
	s_mov_b64 s[62:63], -1
	s_cbranch_scc1 .LBB95_1149
; %bb.1144:
	s_cmp_gt_i32 s64, 6
	s_cbranch_scc0 .LBB95_1146
; %bb.1145:
	v_cvt_f64_i32_e32 v[5:6], v2
	v_cvt_f64_u32_e32 v[7:8], v1
	s_mov_b64 s[62:63], 0
	v_ldexp_f64 v[5:6], v[5:6], 32
	v_add_f64 v[5:6], v[5:6], v[7:8]
	global_store_dwordx2 v[3:4], v[5:6], off
.LBB95_1146:
	s_andn2_b64 vcc, exec, s[62:63]
	s_cbranch_vccnz .LBB95_1148
; %bb.1147:
	v_xor_b32_e32 v5, v1, v2
	v_ffbh_i32_e32 v0, v2
	v_ashrrev_i32_e32 v5, 31, v5
	v_add_u32_e32 v0, -1, v0
	v_add_u32_e32 v5, 32, v5
	v_min_u32_e32 v0, v0, v5
	v_lshlrev_b64 v[5:6], v0, v[1:2]
	v_sub_u32_e32 v0, 32, v0
	v_min_u32_e32 v5, 1, v5
	v_or_b32_e32 v5, v6, v5
	v_cvt_f32_i32_e32 v5, v5
	v_ldexp_f32 v0, v5, v0
	global_store_dword v[3:4], v0, off
.LBB95_1148:
	s_mov_b64 s[62:63], 0
.LBB95_1149:
	s_andn2_b64 vcc, exec, s[62:63]
	s_cbranch_vccnz .LBB95_1151
; %bb.1150:
	v_xor_b32_e32 v5, v1, v2
	v_ffbh_i32_e32 v0, v2
	v_ashrrev_i32_e32 v5, 31, v5
	v_add_u32_e32 v0, -1, v0
	v_add_u32_e32 v5, 32, v5
	v_min_u32_e32 v0, v0, v5
	v_lshlrev_b64 v[5:6], v0, v[1:2]
	v_sub_u32_e32 v0, 32, v0
	v_min_u32_e32 v5, 1, v5
	v_or_b32_e32 v5, v6, v5
	v_cvt_f32_i32_e32 v5, v5
	v_ldexp_f32 v0, v5, v0
	v_cvt_f16_f32_e32 v0, v0
	global_store_short v[3:4], v0, off
.LBB95_1151:
	s_mov_b64 s[62:63], 0
.LBB95_1152:
	s_andn2_b64 vcc, exec, s[62:63]
	s_cbranch_vccnz .LBB95_1168
; %bb.1153:
	s_cmp_lt_i32 s64, 2
	s_mov_b64 s[62:63], -1
	s_cbranch_scc1 .LBB95_1163
; %bb.1154:
	s_cmp_lt_i32 s64, 3
	s_cbranch_scc1 .LBB95_1160
; %bb.1155:
	s_cmp_gt_i32 s64, 3
	s_cbranch_scc0 .LBB95_1157
; %bb.1156:
	s_mov_b64 s[62:63], 0
	global_store_dwordx2 v[3:4], v[1:2], off
.LBB95_1157:
	s_andn2_b64 vcc, exec, s[62:63]
	s_cbranch_vccnz .LBB95_1159
; %bb.1158:
	global_store_dword v[3:4], v1, off
.LBB95_1159:
	s_mov_b64 s[62:63], 0
.LBB95_1160:
	s_andn2_b64 vcc, exec, s[62:63]
	s_cbranch_vccnz .LBB95_1162
; %bb.1161:
	global_store_short v[3:4], v1, off
.LBB95_1162:
	s_mov_b64 s[62:63], 0
.LBB95_1163:
	s_andn2_b64 vcc, exec, s[62:63]
	s_cbranch_vccnz .LBB95_1168
; %bb.1164:
	s_cmp_gt_i32 s64, 0
	s_mov_b64 s[62:63], -1
	s_cbranch_scc0 .LBB95_1166
; %bb.1165:
	s_mov_b64 s[62:63], 0
	global_store_byte v[3:4], v1, off
.LBB95_1166:
	s_andn2_b64 vcc, exec, s[62:63]
	s_cbranch_vccnz .LBB95_1168
; %bb.1167:
	global_store_byte v[3:4], v1, off
.LBB95_1168:
	s_mov_b64 s[62:63], -1
.LBB95_1169:
	s_andn2_b64 vcc, exec, s[62:63]
	s_cbranch_vccnz .LBB95_1181
; %bb.1170:
	v_add_u32_e32 v10, 0x80, v10
	s_mov_b64 s[64:65], -1
.LBB95_1171:
	s_andn2_b64 s[62:63], s[52:53], exec
	s_and_b64 s[0:1], s[0:1], exec
	s_or_b64 s[62:63], s[62:63], s[0:1]
	s_andn2_b64 s[0:1], s[50:51], exec
	s_and_b64 s[60:61], s[60:61], exec
	s_or_b64 s[60:61], s[0:1], s[60:61]
	;; [unrolled: 3-line block ×3, first 2 shown]
	s_orn2_b64 s[68:69], s[64:65], exec
.LBB95_1172:
	s_or_b64 exec, exec, s[56:57]
	s_mov_b64 s[64:65], 0
	s_mov_b64 s[58:59], 0
	;; [unrolled: 1-line block ×3, first 2 shown]
                                        ; implicit-def: $sgpr77
                                        ; implicit-def: $vgpr4_vgpr5
                                        ; implicit-def: $vgpr0
                                        ; implicit-def: $vgpr3
                                        ; implicit-def: $vgpr1_vgpr2
	s_and_saveexec_b64 s[56:57], s[68:69]
	s_cbranch_execz .LBB95_1263
; %bb.1173:
	v_cmp_gt_i32_e32 vcc, s70, v10
	s_mov_b64 s[68:69], s[0:1]
	s_mov_b64 s[70:71], 0
                                        ; implicit-def: $sgpr77
                                        ; implicit-def: $vgpr4_vgpr5
                                        ; implicit-def: $vgpr0
                                        ; implicit-def: $vgpr3
                                        ; implicit-def: $vgpr1_vgpr2
	s_and_saveexec_b64 s[58:59], vcc
	s_cbranch_execz .LBB95_1262
; %bb.1174:
	s_andn2_b64 vcc, exec, s[24:25]
	s_cbranch_vccnz .LBB95_1180
; %bb.1175:
	s_andn2_b64 vcc, exec, s[38:39]
	s_cbranch_vccnz .LBB95_1182
; %bb.1176:
	s_add_i32 s38, s76, 1
	s_and_b32 s64, s38, 30
	s_add_u32 s38, s2, 0xffffffe8
	s_addc_u32 s39, s3, -1
	v_mov_b32_e32 v3, 0
	s_waitcnt vmcnt(0)
	v_mov_b32_e32 v5, 0
	v_mov_b32_e32 v0, 0
	;; [unrolled: 1-line block ×3, first 2 shown]
.LBB95_1177:                            ; =>This Inner Loop Header: Depth=1
	s_load_dwordx4 s[68:71], s[38:39], 0x1c
	s_load_dwordx2 s[66:67], s[38:39], 0x2c
	s_load_dwordx2 s[78:79], s[38:39], 0xec
	s_load_dwordx4 s[80:83], s[38:39], 0xdc
	s_add_u32 s38, s38, 24
	s_waitcnt lgkmcnt(0)
	v_mul_hi_u32 v2, s69, v1
	s_addc_u32 s39, s39, 0
	s_add_i32 s64, s64, -2
	s_cmp_eq_u32 s64, 0
	v_add_u32_e32 v2, v1, v2
	v_lshrrev_b32_e32 v2, s70, v2
	v_mul_lo_u32 v4, v2, s68
	v_mul_hi_u32 v6, s66, v2
	v_sub_u32_e32 v4, v1, v4
	v_add_u32_e32 v1, v2, v6
	v_lshrrev_b32_e32 v1, s67, v1
	v_mul_lo_u32 v8, v1, s71
	v_mul_lo_u32 v6, v4, s80
	;; [unrolled: 1-line block ×4, first 2 shown]
	v_sub_u32_e32 v2, v2, v8
	v_mul_lo_u32 v8, v2, s83
	v_mul_lo_u32 v9, v2, s78
	;; [unrolled: 1-line block ×3, first 2 shown]
	v_add3_u32 v0, v6, v0, v8
	v_add3_u32 v5, v7, v5, v9
	;; [unrolled: 1-line block ×3, first 2 shown]
	s_cbranch_scc0 .LBB95_1177
; %bb.1178:
	s_bitcmp1_b32 s76, 0
	s_cselect_b64 s[64:65], -1, 0
	s_and_b64 vcc, exec, s[64:65]
	s_cbranch_vccnz .LBB95_1183
; %bb.1179:
	s_load_dwordx2 s[64:65], s[38:39], 0x1c
	s_load_dword s68, s[38:39], 0x24
	s_load_dwordx2 s[66:67], s[38:39], 0xdc
	s_waitcnt lgkmcnt(0)
	v_mul_hi_u32 v2, s65, v1
	v_add_u32_e32 v2, v1, v2
	v_lshrrev_b32_e32 v2, s68, v2
	v_mul_lo_u32 v2, v2, s64
	s_load_dword s64, s[38:39], 0xe4
	v_sub_u32_e32 v2, v1, v2
	v_mad_u64_u32 v[0:1], s[38:39], v2, s66, v[0:1]
	v_mad_u64_u32 v[5:6], s[38:39], v2, s67, v[5:6]
	s_waitcnt lgkmcnt(0)
	v_mad_u64_u32 v[3:4], s[38:39], v2, s64, v[3:4]
	s_branch .LBB95_1183
.LBB95_1180:
	s_mov_b64 s[38:39], -1
                                        ; implicit-def: $vgpr0
                                        ; implicit-def: $vgpr5
                                        ; implicit-def: $vgpr3
	s_branch .LBB95_1184
.LBB95_1181:
	s_mov_b64 s[64:65], 0
	s_branch .LBB95_928
.LBB95_1182:
	v_mov_b32_e32 v0, 0
	s_waitcnt vmcnt(0)
	v_mov_b32_e32 v5, 0
	v_mov_b32_e32 v3, 0
.LBB95_1183:
	s_mov_b64 s[38:39], 0
.LBB95_1184:
	s_andn2_b64 vcc, exec, s[38:39]
	s_cbranch_vccnz .LBB95_1187
; %bb.1185:
	v_mul_hi_u32 v0, s17, v10
	s_andn2_b64 vcc, exec, s[36:37]
	v_add_u32_e32 v0, v10, v0
	s_waitcnt vmcnt(0)
	v_lshrrev_b32_e32 v1, s18, v0
	v_mul_lo_u32 v0, v1, s16
	v_sub_u32_e32 v2, v10, v0
	v_mul_lo_u32 v0, v2, s20
	v_mul_lo_u32 v5, v2, s21
	;; [unrolled: 1-line block ×3, first 2 shown]
	s_cbranch_vccnz .LBB95_1187
; %bb.1186:
	v_mul_hi_u32 v2, s30, v1
	v_add_u32_e32 v2, v1, v2
	v_lshrrev_b32_e32 v2, s31, v2
	v_mul_lo_u32 v2, v2, s19
	v_sub_u32_e32 v2, v1, v2
	v_mad_u64_u32 v[0:1], s[16:17], v2, s23, v[0:1]
	v_mad_u64_u32 v[5:6], s[16:17], v2, s34, v[5:6]
	v_mad_u64_u32 v[3:4], s[16:17], v2, s35, v[3:4]
.LBB95_1187:
	s_waitcnt vmcnt(0)
	v_mov_b32_e32 v1, s11
	s_and_b32 s77, s75, 0xff
	v_add_co_u32_e32 v4, vcc, s10, v5
	s_cmp_lt_i32 s77, 11
	v_addc_co_u32_e32 v5, vcc, 0, v1, vcc
	s_cbranch_scc1 .LBB95_1194
; %bb.1188:
	s_and_b32 s22, 0xffff, s77
	s_cmp_gt_i32 s22, 25
	s_mov_b64 s[16:17], 0
	s_cbranch_scc0 .LBB95_1195
; %bb.1189:
	s_cmp_gt_i32 s22, 28
	s_cbranch_scc0 .LBB95_1196
; %bb.1190:
	s_cmp_gt_i32 s22, 43
	;; [unrolled: 3-line block ×3, first 2 shown]
	s_cbranch_scc0 .LBB95_1198
; %bb.1192:
	s_cmp_eq_u32 s22, 46
	s_mov_b64 s[20:21], 0
	s_cbranch_scc0 .LBB95_1201
; %bb.1193:
	global_load_dword v1, v[4:5], off
	s_mov_b32 s10, 0x2f800000
	s_mov_b32 s11, 0xcf800000
	s_mov_b64 s[18:19], -1
	s_waitcnt vmcnt(0)
	v_lshlrev_b32_e32 v1, 16, v1
	v_trunc_f32_e32 v1, v1
	v_mul_f32_e64 v2, |v1|, s10
	v_floor_f32_e32 v2, v2
	v_fma_f32 v6, v2, s11, |v1|
	v_cvt_u32_f32_e32 v6, v6
	v_cvt_u32_f32_e32 v2, v2
	v_ashrrev_i32_e32 v7, 31, v1
	s_mov_b64 s[10:11], 0
	v_xor_b32_e32 v1, v6, v7
	v_xor_b32_e32 v2, v2, v7
	v_sub_co_u32_e32 v1, vcc, v1, v7
	v_subb_co_u32_e32 v2, vcc, v2, v7, vcc
	s_branch .LBB95_1202
.LBB95_1194:
	s_mov_b64 s[20:21], -1
	s_mov_b64 s[18:19], 0
	s_mov_b64 s[16:17], 0
	;; [unrolled: 1-line block ×3, first 2 shown]
                                        ; implicit-def: $vgpr1_vgpr2
	s_branch .LBB95_1261
.LBB95_1195:
	s_mov_b64 s[20:21], -1
	s_mov_b64 s[18:19], 0
	s_mov_b64 s[10:11], s[0:1]
                                        ; implicit-def: $vgpr1_vgpr2
	s_branch .LBB95_1231
.LBB95_1196:
	s_mov_b64 s[20:21], -1
	s_mov_b64 s[18:19], 0
	s_mov_b64 s[10:11], s[0:1]
                                        ; implicit-def: $vgpr1_vgpr2
	s_branch .LBB95_1212
.LBB95_1197:
	s_mov_b64 s[20:21], -1
	s_mov_b64 s[18:19], 0
	s_mov_b64 s[10:11], s[0:1]
                                        ; implicit-def: $vgpr1_vgpr2
	s_branch .LBB95_1207
.LBB95_1198:
	s_mov_b64 s[20:21], -1
	s_mov_b64 s[18:19], 0
	s_mov_b64 s[10:11], s[0:1]
                                        ; implicit-def: $vgpr1_vgpr2
	s_branch .LBB95_1202
.LBB95_1199:
	s_andn2_saveexec_b64 s[66:67], s[66:67]
	s_cbranch_execz .LBB95_1082
.LBB95_1200:
	s_mov_b32 s71, 0x46000000
	v_add_f32_e64 v5, |v0|, s71
	v_and_b32_e32 v5, 0xff, v5
	v_cmp_ne_u32_e32 vcc, 0, v5
	s_andn2_b64 s[64:65], s[64:65], exec
	s_and_b64 s[78:79], vcc, exec
	s_or_b64 s[64:65], s[64:65], s[78:79]
	s_or_b64 exec, exec, s[66:67]
	v_mov_b32_e32 v6, 0
	s_and_saveexec_b64 s[66:67], s[64:65]
	s_cbranch_execnz .LBB95_1083
	s_branch .LBB95_1084
.LBB95_1201:
	s_mov_b64 s[10:11], -1
                                        ; implicit-def: $vgpr1_vgpr2
	s_mov_b64 s[18:19], 0
.LBB95_1202:
	s_and_b64 vcc, exec, s[20:21]
	s_cbranch_vccz .LBB95_1206
; %bb.1203:
	s_cmp_eq_u32 s22, 44
	s_cbranch_scc0 .LBB95_1205
; %bb.1204:
	global_load_ubyte v1, v[4:5], off
	s_mov_b32 s10, 0x2f800000
	s_mov_b32 s11, 0xcf800000
	s_mov_b64 s[18:19], -1
	s_waitcnt vmcnt(0)
	v_lshlrev_b32_e32 v2, 23, v1
	v_trunc_f32_e32 v2, v2
	v_mul_f32_e64 v6, |v2|, s10
	v_floor_f32_e32 v6, v6
	v_fma_f32 v7, v6, s11, |v2|
	v_cvt_u32_f32_e32 v7, v7
	v_cvt_u32_f32_e32 v6, v6
	v_ashrrev_i32_e32 v2, 31, v2
	s_mov_b64 s[10:11], 0
	v_xor_b32_e32 v7, v7, v2
	v_xor_b32_e32 v6, v6, v2
	v_sub_co_u32_e32 v7, vcc, v7, v2
	v_subb_co_u32_e32 v2, vcc, v6, v2, vcc
	v_cmp_ne_u32_e32 vcc, 0, v1
	v_cndmask_b32_e32 v2, 0, v2, vcc
	v_cndmask_b32_e32 v1, 0, v7, vcc
	s_branch .LBB95_1206
.LBB95_1205:
	s_mov_b64 s[10:11], -1
                                        ; implicit-def: $vgpr1_vgpr2
.LBB95_1206:
	s_mov_b64 s[20:21], 0
.LBB95_1207:
	s_and_b64 vcc, exec, s[20:21]
	s_cbranch_vccz .LBB95_1211
; %bb.1208:
	s_cmp_eq_u32 s22, 29
	s_cbranch_scc0 .LBB95_1210
; %bb.1209:
	global_load_dwordx2 v[1:2], v[4:5], off
	s_mov_b64 s[10:11], 0
	s_mov_b64 s[18:19], -1
	s_branch .LBB95_1211
.LBB95_1210:
	s_mov_b64 s[10:11], -1
                                        ; implicit-def: $vgpr1_vgpr2
.LBB95_1211:
	s_mov_b64 s[20:21], 0
.LBB95_1212:
	s_and_b64 vcc, exec, s[20:21]
	s_cbranch_vccz .LBB95_1230
; %bb.1213:
	s_cmp_lt_i32 s22, 27
	s_cbranch_scc1 .LBB95_1216
; %bb.1214:
	s_cmp_gt_i32 s22, 27
	s_cbranch_scc0 .LBB95_1217
; %bb.1215:
	global_load_dword v1, v[4:5], off
	s_waitcnt vmcnt(1)
	v_mov_b32_e32 v2, 0
	s_mov_b64 s[18:19], 0
	s_branch .LBB95_1218
.LBB95_1216:
	s_mov_b64 s[18:19], -1
                                        ; implicit-def: $vgpr1_vgpr2
	s_branch .LBB95_1221
.LBB95_1217:
	s_mov_b64 s[18:19], -1
                                        ; implicit-def: $vgpr1_vgpr2
.LBB95_1218:
	s_andn2_b64 vcc, exec, s[18:19]
	s_cbranch_vccnz .LBB95_1220
; %bb.1219:
	global_load_ushort v1, v[4:5], off
	s_mov_b32 s18, 0
	s_waitcnt vmcnt(1)
	v_mov_b32_e32 v2, s18
	s_waitcnt vmcnt(0)
	v_and_b32_e32 v1, 0xffff, v1
.LBB95_1220:
	s_mov_b64 s[18:19], 0
.LBB95_1221:
	s_andn2_b64 vcc, exec, s[18:19]
	s_cbranch_vccnz .LBB95_1229
; %bb.1222:
	global_load_ubyte v6, v[4:5], off
	s_movk_i32 s18, 0x7f
	s_mov_b64 s[20:21], 0
	s_waitcnt vmcnt(0)
	v_cmp_lt_i16_e32 vcc, s18, v6
	s_and_saveexec_b64 s[18:19], vcc
	s_xor_b64 s[18:19], exec, s[18:19]
; %bb.1223:
	s_movk_i32 s20, 0x80
	v_cmp_ne_u16_e32 vcc, s20, v6
	s_and_b64 s[20:21], vcc, exec
; %bb.1224:
	s_andn2_saveexec_b64 s[18:19], s[18:19]
; %bb.1225:
	v_cmp_ne_u16_e32 vcc, 0, v6
	s_andn2_b64 s[20:21], s[20:21], exec
	s_and_b64 s[30:31], vcc, exec
	s_or_b64 s[20:21], s[20:21], s[30:31]
; %bb.1226:
	s_or_b64 exec, exec, s[18:19]
	v_mov_b32_e32 v1, 0
	v_mov_b32_e32 v2, 0
	s_and_saveexec_b64 s[18:19], s[20:21]
	s_cbranch_execz .LBB95_1228
; %bb.1227:
	v_and_b32_e32 v2, 0xffff, v6
	v_lshlrev_b32_e32 v1, 24, v6
	v_and_b32_e32 v6, 7, v2
	v_ffbh_u32_e32 v8, v6
	v_min_u32_e32 v8, 32, v8
	v_subrev_u32_e32 v9, 28, v8
	v_bfe_u32 v7, v2, 3, 4
	v_lshlrev_b32_e32 v2, v9, v2
	v_sub_u32_e32 v8, 29, v8
	v_and_b32_e32 v2, 7, v2
	v_cmp_eq_u32_e32 vcc, 0, v7
	v_cndmask_b32_e32 v7, v7, v8, vcc
	v_cndmask_b32_e32 v2, v6, v2, vcc
	v_mov_b32_e32 v6, 0x3b800000
	v_lshlrev_b32_e32 v2, 20, v2
	v_and_b32_e32 v1, 0x80000000, v1
	v_lshl_add_u32 v6, v7, 23, v6
	v_or3_b32 v1, v1, v6, v2
	v_trunc_f32_e32 v1, v1
	s_mov_b32 s20, 0x2f800000
	v_mul_f32_e64 v2, |v1|, s20
	v_floor_f32_e32 v2, v2
	s_mov_b32 s20, 0xcf800000
	v_fma_f32 v6, v2, s20, |v1|
	v_cvt_u32_f32_e32 v6, v6
	v_cvt_u32_f32_e32 v2, v2
	v_ashrrev_i32_e32 v7, 31, v1
	v_xor_b32_e32 v1, v6, v7
	v_xor_b32_e32 v2, v2, v7
	v_sub_co_u32_e32 v1, vcc, v1, v7
	v_subb_co_u32_e32 v2, vcc, v2, v7, vcc
.LBB95_1228:
	s_or_b64 exec, exec, s[18:19]
.LBB95_1229:
	s_mov_b64 s[18:19], -1
.LBB95_1230:
	s_mov_b64 s[20:21], 0
.LBB95_1231:
	s_and_b64 vcc, exec, s[20:21]
	s_cbranch_vccz .LBB95_1260
; %bb.1232:
	s_cmp_gt_i32 s22, 22
	s_cbranch_scc0 .LBB95_1242
; %bb.1233:
	s_cmp_lt_i32 s22, 24
	s_cbranch_scc1 .LBB95_1243
; %bb.1234:
	s_cmp_gt_i32 s22, 24
	s_cbranch_scc0 .LBB95_1244
; %bb.1235:
	global_load_ubyte v6, v[4:5], off
	s_movk_i32 s16, 0x7f
	s_mov_b64 s[18:19], 0
	s_waitcnt vmcnt(0)
	v_cmp_lt_i16_e32 vcc, s16, v6
	s_and_saveexec_b64 s[16:17], vcc
	s_xor_b64 s[16:17], exec, s[16:17]
; %bb.1236:
	s_movk_i32 s18, 0x80
	v_cmp_ne_u16_e32 vcc, s18, v6
	s_and_b64 s[18:19], vcc, exec
; %bb.1237:
	s_andn2_saveexec_b64 s[16:17], s[16:17]
; %bb.1238:
	v_cmp_ne_u16_e32 vcc, 0, v6
	s_andn2_b64 s[18:19], s[18:19], exec
	s_and_b64 s[20:21], vcc, exec
	s_or_b64 s[18:19], s[18:19], s[20:21]
; %bb.1239:
	s_or_b64 exec, exec, s[16:17]
	v_mov_b32_e32 v1, 0
	v_mov_b32_e32 v2, 0
	s_and_saveexec_b64 s[16:17], s[18:19]
	s_cbranch_execz .LBB95_1241
; %bb.1240:
	v_and_b32_e32 v2, 0xffff, v6
	v_lshlrev_b32_e32 v1, 24, v6
	v_and_b32_e32 v6, 3, v2
	v_ffbh_u32_e32 v8, v6
	v_min_u32_e32 v8, 32, v8
	v_subrev_u32_e32 v9, 29, v8
	v_bfe_u32 v7, v2, 2, 5
	v_lshlrev_b32_e32 v2, v9, v2
	v_sub_u32_e32 v8, 30, v8
	v_and_b32_e32 v2, 3, v2
	v_cmp_eq_u32_e32 vcc, 0, v7
	v_cndmask_b32_e32 v7, v7, v8, vcc
	v_cndmask_b32_e32 v2, v6, v2, vcc
	v_mov_b32_e32 v6, 0x37800000
	v_lshlrev_b32_e32 v2, 21, v2
	v_and_b32_e32 v1, 0x80000000, v1
	v_lshl_add_u32 v6, v7, 23, v6
	v_or3_b32 v1, v1, v6, v2
	v_trunc_f32_e32 v1, v1
	s_mov_b32 s18, 0x2f800000
	v_mul_f32_e64 v2, |v1|, s18
	v_floor_f32_e32 v2, v2
	s_mov_b32 s18, 0xcf800000
	v_fma_f32 v6, v2, s18, |v1|
	v_cvt_u32_f32_e32 v6, v6
	v_cvt_u32_f32_e32 v2, v2
	v_ashrrev_i32_e32 v7, 31, v1
	v_xor_b32_e32 v1, v6, v7
	v_xor_b32_e32 v2, v2, v7
	v_sub_co_u32_e32 v1, vcc, v1, v7
	v_subb_co_u32_e32 v2, vcc, v2, v7, vcc
.LBB95_1241:
	s_or_b64 exec, exec, s[16:17]
	s_mov_b64 s[16:17], 0
	s_branch .LBB95_1245
.LBB95_1242:
	s_mov_b64 s[16:17], -1
                                        ; implicit-def: $vgpr1_vgpr2
	s_branch .LBB95_1251
.LBB95_1243:
	s_mov_b64 s[16:17], -1
                                        ; implicit-def: $vgpr1_vgpr2
	s_branch .LBB95_1248
.LBB95_1244:
	s_mov_b64 s[16:17], -1
                                        ; implicit-def: $vgpr1_vgpr2
.LBB95_1245:
	s_and_b64 vcc, exec, s[16:17]
	s_cbranch_vccz .LBB95_1247
; %bb.1246:
	global_load_ubyte v1, v[4:5], off
	s_mov_b32 s16, 0x7f800000
	s_brev_b32 s17, 1
	s_mov_b32 s18, 0x2f800000
	s_mov_b32 s19, 0xcf800000
	s_waitcnt vmcnt(0)
	v_lshlrev_b32_e32 v1, 24, v1
	v_and_b32_e32 v2, 0x7f000000, v1
	v_ffbh_u32_e32 v6, v2
	v_min_u32_e32 v6, 32, v6
	v_sub_u32_e64 v6, v6, 4 clamp
	v_lshlrev_b32_e32 v8, v6, v2
	v_lshlrev_b32_e32 v6, 23, v6
	v_lshrrev_b32_e32 v8, 4, v8
	v_add_u32_e32 v7, 0x1000000, v2
	v_sub_u32_e32 v6, v8, v6
	v_ashrrev_i32_e32 v7, 8, v7
	v_add_u32_e32 v6, 0x3c000000, v6
	v_and_or_b32 v6, v7, s16, v6
	v_cmp_ne_u32_e32 vcc, 0, v2
	v_cndmask_b32_e32 v2, 0, v6, vcc
	v_and_or_b32 v1, v1, s17, v2
	v_trunc_f32_e32 v1, v1
	v_mul_f32_e64 v2, |v1|, s18
	v_floor_f32_e32 v2, v2
	v_fma_f32 v6, v2, s19, |v1|
	v_cvt_u32_f32_e32 v6, v6
	v_cvt_u32_f32_e32 v2, v2
	v_ashrrev_i32_e32 v7, 31, v1
	v_xor_b32_e32 v1, v6, v7
	v_xor_b32_e32 v2, v2, v7
	v_sub_co_u32_e32 v1, vcc, v1, v7
	v_subb_co_u32_e32 v2, vcc, v2, v7, vcc
.LBB95_1247:
	s_mov_b64 s[16:17], 0
.LBB95_1248:
	s_andn2_b64 vcc, exec, s[16:17]
	s_cbranch_vccnz .LBB95_1250
; %bb.1249:
	global_load_ubyte v1, v[4:5], off
	s_movk_i32 s16, 0x7f00
	s_brev_b32 s17, 16
	s_brev_b32 s18, 1
	s_mov_b32 s19, 0x2f800000
	s_mov_b32 s20, 0xcf800000
	s_waitcnt vmcnt(0)
	v_lshlrev_b16_e32 v2, 8, v1
	v_lshlrev_b32_e32 v1, 25, v1
	v_lshrrev_b32_e32 v6, 4, v1
	v_and_or_b32 v7, v2, s16, 0.5
	v_or_b32_e32 v6, 0x70000000, v6
	v_add_f32_e32 v7, -0.5, v7
	v_mul_f32_e32 v6, 0x7800000, v6
	v_cmp_gt_u32_e32 vcc, s17, v1
	v_bfe_i32 v2, v2, 0, 16
	v_cndmask_b32_e32 v1, v6, v7, vcc
	v_and_or_b32 v1, v2, s18, v1
	v_trunc_f32_e32 v1, v1
	v_mul_f32_e64 v2, |v1|, s19
	v_floor_f32_e32 v2, v2
	v_fma_f32 v6, v2, s20, |v1|
	v_cvt_u32_f32_e32 v6, v6
	v_cvt_u32_f32_e32 v2, v2
	v_ashrrev_i32_e32 v7, 31, v1
	v_xor_b32_e32 v1, v6, v7
	v_xor_b32_e32 v2, v2, v7
	v_sub_co_u32_e32 v1, vcc, v1, v7
	v_subb_co_u32_e32 v2, vcc, v2, v7, vcc
.LBB95_1250:
	s_mov_b64 s[16:17], 0
	s_mov_b64 s[18:19], -1
.LBB95_1251:
	s_andn2_b64 vcc, exec, s[16:17]
	s_mov_b64 s[16:17], 0
	s_cbranch_vccnz .LBB95_1260
; %bb.1252:
	s_cmp_gt_i32 s22, 14
	s_cbranch_scc0 .LBB95_1255
; %bb.1253:
	s_cmp_eq_u32 s22, 15
	s_cbranch_scc0 .LBB95_1256
; %bb.1254:
	global_load_ushort v1, v[4:5], off
	s_mov_b32 s10, 0x2f800000
	s_mov_b32 s11, 0xcf800000
	s_mov_b64 s[18:19], -1
	s_waitcnt vmcnt(0)
	v_lshlrev_b32_e32 v1, 16, v1
	v_trunc_f32_e32 v1, v1
	v_mul_f32_e64 v2, |v1|, s10
	v_floor_f32_e32 v2, v2
	v_fma_f32 v6, v2, s11, |v1|
	v_cvt_u32_f32_e32 v6, v6
	v_cvt_u32_f32_e32 v2, v2
	v_ashrrev_i32_e32 v7, 31, v1
	s_mov_b64 s[10:11], 0
	v_xor_b32_e32 v1, v6, v7
	v_xor_b32_e32 v2, v2, v7
	v_sub_co_u32_e32 v1, vcc, v1, v7
	v_subb_co_u32_e32 v2, vcc, v2, v7, vcc
	s_branch .LBB95_1257
.LBB95_1255:
	s_mov_b64 s[20:21], -1
                                        ; implicit-def: $vgpr1_vgpr2
	s_branch .LBB95_1258
.LBB95_1256:
	s_mov_b64 s[10:11], -1
                                        ; implicit-def: $vgpr1_vgpr2
.LBB95_1257:
	s_mov_b64 s[20:21], 0
.LBB95_1258:
	s_and_b64 vcc, exec, s[20:21]
	s_cbranch_vccz .LBB95_1260
; %bb.1259:
	s_cmp_lg_u32 s22, 11
	s_cselect_b64 s[20:21], -1, 0
	s_andn2_b64 s[10:11], s[10:11], exec
	s_and_b64 s[20:21], s[20:21], exec
	s_mov_b64 s[16:17], -1
	s_or_b64 s[10:11], s[10:11], s[20:21]
.LBB95_1260:
	s_mov_b64 s[20:21], 0
.LBB95_1261:
	s_and_b64 s[64:65], s[16:17], exec
	s_andn2_b64 s[16:17], s[0:1], exec
	s_and_b64 s[10:11], s[10:11], exec
	s_and_b64 s[66:67], s[18:19], exec
	s_and_b64 s[70:71], s[20:21], exec
	s_or_b64 s[68:69], s[16:17], s[10:11]
.LBB95_1262:
	s_or_b64 exec, exec, s[58:59]
	s_andn2_b64 s[0:1], s[0:1], exec
	s_and_b64 s[10:11], s[68:69], exec
	s_and_b64 s[66:67], s[66:67], exec
	;; [unrolled: 1-line block ×4, first 2 shown]
	s_or_b64 s[0:1], s[0:1], s[10:11]
.LBB95_1263:
	s_or_b64 exec, exec, s[56:57]
	s_andn2_b64 s[10:11], s[52:53], exec
	s_and_b64 s[16:17], s[62:63], exec
	s_or_b64 s[52:53], s[10:11], s[16:17]
	s_andn2_b64 s[10:11], s[50:51], exec
	s_and_b64 s[16:17], s[60:61], exec
	s_or_b64 s[50:51], s[10:11], s[16:17]
	s_andn2_b64 s[10:11], s[48:49], exec
	s_and_b64 s[0:1], s[0:1], exec
	s_and_b64 s[60:61], s[66:67], exec
	;; [unrolled: 1-line block ×4, first 2 shown]
	s_or_b64 s[48:49], s[10:11], s[0:1]
.LBB95_1264:
	s_or_b64 exec, exec, s[54:55]
	s_andn2_b64 s[0:1], s[40:41], exec
	s_and_b64 s[10:11], s[52:53], exec
	s_or_b64 s[40:41], s[0:1], s[10:11]
	s_andn2_b64 s[0:1], s[42:43], exec
	s_and_b64 s[10:11], s[50:51], exec
	s_or_b64 s[42:43], s[0:1], s[10:11]
	s_andn2_b64 s[0:1], s[44:45], exec
	s_and_b64 s[10:11], s[48:49], exec
	s_and_b64 s[52:53], s[60:61], exec
	;; [unrolled: 1-line block ×4, first 2 shown]
	s_or_b64 s[44:45], s[0:1], s[10:11]
	s_or_b64 exec, exec, s[46:47]
	s_mov_b64 s[10:11], 0
	s_and_saveexec_b64 s[0:1], s[44:45]
	s_cbranch_execz .LBB95_395
.LBB95_1265:
	s_mov_b64 s[10:11], exec
	s_andn2_b64 s[50:51], s[50:51], exec
	s_trap 2
	s_or_b64 exec, exec, s[0:1]
	s_and_saveexec_b64 s[0:1], s[50:51]
	s_xor_b64 s[0:1], exec, s[0:1]
	s_cbranch_execnz .LBB95_396
.LBB95_1266:
	s_or_b64 exec, exec, s[0:1]
	s_and_saveexec_b64 s[0:1], s[54:55]
	s_cbranch_execz .LBB95_1312
.LBB95_1267:
	s_sext_i32_i16 s16, s77
	s_cmp_lt_i32 s16, 5
	s_cbranch_scc1 .LBB95_1272
; %bb.1268:
	s_cmp_lt_i32 s16, 8
	s_cbranch_scc1 .LBB95_1273
; %bb.1269:
	;; [unrolled: 3-line block ×3, first 2 shown]
	s_cmp_gt_i32 s16, 9
	s_cbranch_scc0 .LBB95_1275
; %bb.1271:
	s_waitcnt vmcnt(0)
	global_load_dwordx2 v[1:2], v[4:5], off
	s_movk_i32 s16, 0xffe0
	s_waitcnt vmcnt(0)
	v_trunc_f64_e32 v[1:2], v[1:2]
	v_ldexp_f64 v[6:7], v[1:2], s16
	s_mov_b32 s16, 0
	s_mov_b32 s17, 0xc1f00000
	v_floor_f64_e32 v[6:7], v[6:7]
	v_fma_f64 v[8:9], v[6:7], s[16:17], v[1:2]
	v_cvt_i32_f64_e32 v2, v[6:7]
	s_mov_b64 s[16:17], 0
	v_cvt_u32_f64_e32 v1, v[8:9]
	s_branch .LBB95_1276
.LBB95_1272:
                                        ; implicit-def: $vgpr1_vgpr2
	s_branch .LBB95_1293
.LBB95_1273:
                                        ; implicit-def: $vgpr1_vgpr2
	s_branch .LBB95_1282
.LBB95_1274:
	s_mov_b64 s[16:17], -1
                                        ; implicit-def: $vgpr1_vgpr2
	s_branch .LBB95_1279
.LBB95_1275:
	s_mov_b64 s[16:17], -1
                                        ; implicit-def: $vgpr1_vgpr2
.LBB95_1276:
	s_andn2_b64 vcc, exec, s[16:17]
	s_cbranch_vccnz .LBB95_1278
; %bb.1277:
	s_waitcnt vmcnt(0)
	global_load_dword v1, v[4:5], off
	s_mov_b32 s16, 0x2f800000
	s_mov_b32 s17, 0xcf800000
	s_waitcnt vmcnt(0)
	v_trunc_f32_e32 v1, v1
	v_mul_f32_e64 v2, |v1|, s16
	v_floor_f32_e32 v2, v2
	v_cvt_u32_f32_e32 v6, v2
	v_fma_f32 v2, v2, s17, |v1|
	v_cvt_u32_f32_e32 v2, v2
	v_ashrrev_i32_e32 v7, 31, v1
	v_xor_b32_e32 v6, v6, v7
	v_xor_b32_e32 v1, v2, v7
	v_sub_co_u32_e32 v1, vcc, v1, v7
	v_subb_co_u32_e32 v2, vcc, v6, v7, vcc
.LBB95_1278:
	s_mov_b64 s[16:17], 0
.LBB95_1279:
	s_andn2_b64 vcc, exec, s[16:17]
	s_cbranch_vccnz .LBB95_1281
; %bb.1280:
	s_waitcnt vmcnt(0)
	global_load_dword v1, v[4:5], off
	s_waitcnt vmcnt(0)
	v_cvt_f32_f16_e32 v1, v1
	v_cvt_i32_f32_e32 v1, v1
	v_ashrrev_i32_e32 v2, 31, v1
.LBB95_1281:
	s_cbranch_execnz .LBB95_1292
.LBB95_1282:
	s_sext_i32_i16 s16, s77
	s_cmp_lt_i32 s16, 6
	s_cbranch_scc1 .LBB95_1285
; %bb.1283:
	s_cmp_gt_i32 s16, 6
	s_cbranch_scc0 .LBB95_1286
; %bb.1284:
	s_waitcnt vmcnt(0)
	global_load_dwordx2 v[1:2], v[4:5], off
	s_movk_i32 s16, 0xffe0
	s_waitcnt vmcnt(0)
	v_trunc_f64_e32 v[1:2], v[1:2]
	v_ldexp_f64 v[6:7], v[1:2], s16
	s_mov_b32 s16, 0
	s_mov_b32 s17, 0xc1f00000
	v_floor_f64_e32 v[6:7], v[6:7]
	v_fma_f64 v[8:9], v[6:7], s[16:17], v[1:2]
	v_cvt_i32_f64_e32 v2, v[6:7]
	s_mov_b64 s[16:17], 0
	v_cvt_u32_f64_e32 v1, v[8:9]
	s_branch .LBB95_1287
.LBB95_1285:
	s_mov_b64 s[16:17], -1
                                        ; implicit-def: $vgpr1_vgpr2
	s_branch .LBB95_1290
.LBB95_1286:
	s_mov_b64 s[16:17], -1
                                        ; implicit-def: $vgpr1_vgpr2
.LBB95_1287:
	s_andn2_b64 vcc, exec, s[16:17]
	s_cbranch_vccnz .LBB95_1289
; %bb.1288:
	s_waitcnt vmcnt(0)
	global_load_dword v1, v[4:5], off
	s_mov_b32 s16, 0x2f800000
	s_mov_b32 s17, 0xcf800000
	s_waitcnt vmcnt(0)
	v_trunc_f32_e32 v1, v1
	v_mul_f32_e64 v2, |v1|, s16
	v_floor_f32_e32 v2, v2
	v_cvt_u32_f32_e32 v6, v2
	v_fma_f32 v2, v2, s17, |v1|
	v_cvt_u32_f32_e32 v2, v2
	v_ashrrev_i32_e32 v7, 31, v1
	v_xor_b32_e32 v6, v6, v7
	v_xor_b32_e32 v1, v2, v7
	v_sub_co_u32_e32 v1, vcc, v1, v7
	v_subb_co_u32_e32 v2, vcc, v6, v7, vcc
.LBB95_1289:
	s_mov_b64 s[16:17], 0
.LBB95_1290:
	s_andn2_b64 vcc, exec, s[16:17]
	s_cbranch_vccnz .LBB95_1292
; %bb.1291:
	s_waitcnt vmcnt(0)
	global_load_ushort v1, v[4:5], off
	s_waitcnt vmcnt(0)
	v_cvt_f32_f16_e32 v1, v1
	v_cvt_i32_f32_e32 v1, v1
	v_ashrrev_i32_e32 v2, 31, v1
.LBB95_1292:
	s_cbranch_execnz .LBB95_1311
.LBB95_1293:
	s_sext_i32_i16 s16, s77
	s_cmp_lt_i32 s16, 2
	s_cbranch_scc1 .LBB95_1297
; %bb.1294:
	s_cmp_lt_i32 s16, 3
	s_cbranch_scc1 .LBB95_1298
; %bb.1295:
	s_cmp_gt_i32 s16, 3
	s_cbranch_scc0 .LBB95_1299
; %bb.1296:
	s_waitcnt vmcnt(0)
	global_load_dwordx2 v[1:2], v[4:5], off
	s_mov_b64 s[16:17], 0
	s_branch .LBB95_1300
.LBB95_1297:
                                        ; implicit-def: $vgpr1_vgpr2
	s_branch .LBB95_1306
.LBB95_1298:
	s_mov_b64 s[16:17], -1
                                        ; implicit-def: $vgpr1_vgpr2
	s_branch .LBB95_1303
.LBB95_1299:
	s_mov_b64 s[16:17], -1
                                        ; implicit-def: $vgpr1_vgpr2
.LBB95_1300:
	s_andn2_b64 vcc, exec, s[16:17]
	s_cbranch_vccnz .LBB95_1302
; %bb.1301:
	s_waitcnt vmcnt(0)
	global_load_dword v1, v[4:5], off
	s_waitcnt vmcnt(0)
	v_ashrrev_i32_e32 v2, 31, v1
.LBB95_1302:
	s_mov_b64 s[16:17], 0
.LBB95_1303:
	s_andn2_b64 vcc, exec, s[16:17]
	s_cbranch_vccnz .LBB95_1305
; %bb.1304:
	s_waitcnt vmcnt(0)
	global_load_ushort v1, v[4:5], off
	s_waitcnt vmcnt(0)
	v_bfe_i32 v1, v1, 0, 16
	v_ashrrev_i32_e32 v2, 31, v1
.LBB95_1305:
	s_cbranch_execnz .LBB95_1311
.LBB95_1306:
	s_sext_i32_i16 s16, s77
	s_cmp_gt_i32 s16, 0
	s_cbranch_scc0 .LBB95_1308
; %bb.1307:
	s_waitcnt vmcnt(0)
	global_load_sbyte v1, v[4:5], off
	s_mov_b64 s[16:17], 0
	s_waitcnt vmcnt(0)
	v_bfe_i32 v1, v1, 0, 16
	v_ashrrev_i32_e32 v2, 31, v1
	s_branch .LBB95_1309
.LBB95_1308:
	s_mov_b64 s[16:17], -1
                                        ; implicit-def: $vgpr1_vgpr2
.LBB95_1309:
	s_andn2_b64 vcc, exec, s[16:17]
	s_cbranch_vccnz .LBB95_1311
; %bb.1310:
	s_waitcnt vmcnt(0)
	global_load_ubyte v1, v[4:5], off
	s_mov_b32 s16, 0
	v_mov_b32_e32 v2, s16
	s_waitcnt vmcnt(0)
	v_and_b32_e32 v1, 0xffff, v1
.LBB95_1311:
	s_or_b64 s[52:53], s[52:53], exec
.LBB95_1312:
	s_or_b64 exec, exec, s[0:1]
	s_mov_b64 s[18:19], 0
	s_mov_b64 s[20:21], 0
	;; [unrolled: 1-line block ×3, first 2 shown]
                                        ; implicit-def: $sgpr22
                                        ; implicit-def: $vgpr4_vgpr5
                                        ; implicit-def: $vgpr7_vgpr8
	s_and_saveexec_b64 s[0:1], s[52:53]
	s_cbranch_execz .LBB95_1320
; %bb.1313:
	s_waitcnt vmcnt(0)
	v_mov_b32_e32 v5, s13
	s_and_b32 s22, s74, 0xff
	v_add_co_u32_e32 v4, vcc, s12, v3
	s_cmp_lt_i32 s22, 11
	v_addc_co_u32_e32 v5, vcc, 0, v5, vcc
	s_cbranch_scc1 .LBB95_1323
; %bb.1314:
	s_and_b32 s23, 0xffff, s22
	s_cmp_gt_i32 s23, 25
	s_cbranch_scc0 .LBB95_1324
; %bb.1315:
	s_cmp_gt_i32 s23, 28
	s_cbranch_scc0 .LBB95_1325
; %bb.1316:
	;; [unrolled: 3-line block ×4, first 2 shown]
	s_cmp_eq_u32 s23, 46
	s_cbranch_scc0 .LBB95_1328
; %bb.1319:
	global_load_dword v3, v[4:5], off
	s_mov_b32 s12, 0x2f800000
	s_mov_b32 s13, 0xcf800000
	s_mov_b64 s[16:17], -1
	s_waitcnt vmcnt(0)
	v_lshlrev_b32_e32 v3, 16, v3
	v_trunc_f32_e32 v3, v3
	v_mul_f32_e64 v6, |v3|, s12
	v_floor_f32_e32 v6, v6
	v_fma_f32 v7, v6, s13, |v3|
	v_cvt_u32_f32_e32 v7, v7
	v_cvt_u32_f32_e32 v6, v6
	v_ashrrev_i32_e32 v3, 31, v3
	s_mov_b64 s[12:13], 0
	v_xor_b32_e32 v7, v7, v3
	v_xor_b32_e32 v6, v6, v3
	v_sub_co_u32_e32 v7, vcc, v7, v3
	v_subb_co_u32_e32 v8, vcc, v6, v3, vcc
	s_branch .LBB95_1330
.LBB95_1320:
	s_or_b64 exec, exec, s[0:1]
	s_and_saveexec_b64 s[0:1], s[42:43]
	s_cbranch_execnz .LBB95_1389
.LBB95_1321:
	s_or_b64 exec, exec, s[0:1]
	s_and_saveexec_b64 s[0:1], s[18:19]
	s_xor_b64 s[0:1], exec, s[0:1]
	s_cbranch_execz .LBB95_1390
.LBB95_1322:
	s_waitcnt vmcnt(0)
	global_load_ubyte v3, v[4:5], off
	s_mov_b32 s12, 0
	v_mov_b32_e32 v8, s12
	s_or_b64 s[16:17], s[16:17], exec
	s_waitcnt vmcnt(0)
	v_cmp_ne_u16_e32 vcc, 0, v3
	v_cndmask_b32_e64 v7, 0, 1, vcc
	s_or_b64 exec, exec, s[0:1]
	s_and_saveexec_b64 s[0:1], s[20:21]
	s_cbranch_execz .LBB95_1436
	s_branch .LBB95_1391
.LBB95_1323:
	s_mov_b64 s[20:21], -1
                                        ; implicit-def: $vgpr7_vgpr8
	s_mov_b64 s[12:13], s[42:43]
	s_branch .LBB95_1388
.LBB95_1324:
	s_mov_b64 s[12:13], s[42:43]
                                        ; implicit-def: $vgpr7_vgpr8
	s_cbranch_execnz .LBB95_1359
	s_branch .LBB95_1387
.LBB95_1325:
	s_mov_b64 s[20:21], -1
	s_mov_b64 s[12:13], s[42:43]
                                        ; implicit-def: $vgpr7_vgpr8
	s_branch .LBB95_1340
.LBB95_1326:
	s_mov_b64 s[20:21], -1
	s_mov_b64 s[12:13], s[42:43]
                                        ; implicit-def: $vgpr7_vgpr8
	s_branch .LBB95_1335
.LBB95_1327:
	s_mov_b64 s[20:21], -1
	s_mov_b64 s[12:13], s[42:43]
	s_branch .LBB95_1329
.LBB95_1328:
	s_mov_b64 s[12:13], -1
.LBB95_1329:
                                        ; implicit-def: $vgpr7_vgpr8
.LBB95_1330:
	s_and_b64 vcc, exec, s[20:21]
	s_cbranch_vccz .LBB95_1334
; %bb.1331:
	s_cmp_eq_u32 s23, 44
	s_cbranch_scc0 .LBB95_1333
; %bb.1332:
	global_load_ubyte v3, v[4:5], off
	s_mov_b32 s12, 0x2f800000
	s_mov_b32 s13, 0xcf800000
	s_mov_b64 s[16:17], -1
	s_waitcnt vmcnt(0)
	v_lshlrev_b32_e32 v6, 23, v3
	v_trunc_f32_e32 v6, v6
	v_mul_f32_e64 v7, |v6|, s12
	v_floor_f32_e32 v7, v7
	v_fma_f32 v8, v7, s13, |v6|
	v_cvt_u32_f32_e32 v8, v8
	v_cvt_u32_f32_e32 v7, v7
	v_ashrrev_i32_e32 v6, 31, v6
	s_mov_b64 s[12:13], 0
	v_xor_b32_e32 v8, v8, v6
	v_xor_b32_e32 v7, v7, v6
	v_sub_co_u32_e32 v9, vcc, v8, v6
	v_subb_co_u32_e32 v6, vcc, v7, v6, vcc
	v_cmp_ne_u32_e32 vcc, 0, v3
	v_cndmask_b32_e32 v8, 0, v6, vcc
	v_cndmask_b32_e32 v7, 0, v9, vcc
	s_branch .LBB95_1334
.LBB95_1333:
	s_mov_b64 s[12:13], -1
                                        ; implicit-def: $vgpr7_vgpr8
.LBB95_1334:
	s_mov_b64 s[20:21], 0
.LBB95_1335:
	s_and_b64 vcc, exec, s[20:21]
	s_cbranch_vccz .LBB95_1339
; %bb.1336:
	s_cmp_eq_u32 s23, 29
	s_cbranch_scc0 .LBB95_1338
; %bb.1337:
	global_load_dwordx2 v[7:8], v[4:5], off
	s_mov_b64 s[12:13], 0
	s_mov_b64 s[16:17], -1
	s_branch .LBB95_1339
.LBB95_1338:
	s_mov_b64 s[12:13], -1
                                        ; implicit-def: $vgpr7_vgpr8
.LBB95_1339:
	s_mov_b64 s[20:21], 0
.LBB95_1340:
	s_and_b64 vcc, exec, s[20:21]
	s_cbranch_vccz .LBB95_1358
; %bb.1341:
	s_cmp_lt_i32 s23, 27
	s_cbranch_scc1 .LBB95_1344
; %bb.1342:
	s_cmp_gt_i32 s23, 27
	s_cbranch_scc0 .LBB95_1345
; %bb.1343:
	global_load_dword v7, v[4:5], off
	s_waitcnt vmcnt(1)
	v_mov_b32_e32 v8, 0
	s_mov_b64 s[16:17], 0
	s_branch .LBB95_1346
.LBB95_1344:
	s_mov_b64 s[16:17], -1
                                        ; implicit-def: $vgpr7_vgpr8
	s_branch .LBB95_1349
.LBB95_1345:
	s_mov_b64 s[16:17], -1
                                        ; implicit-def: $vgpr7_vgpr8
.LBB95_1346:
	s_andn2_b64 vcc, exec, s[16:17]
	s_cbranch_vccnz .LBB95_1348
; %bb.1347:
	global_load_ushort v3, v[4:5], off
	s_mov_b32 s16, 0
	s_waitcnt vmcnt(1)
	v_mov_b32_e32 v8, s16
	s_waitcnt vmcnt(0)
	v_and_b32_e32 v7, 0xffff, v3
.LBB95_1348:
	s_mov_b64 s[16:17], 0
.LBB95_1349:
	s_andn2_b64 vcc, exec, s[16:17]
	s_cbranch_vccnz .LBB95_1357
; %bb.1350:
	global_load_ubyte v3, v[4:5], off
	s_movk_i32 s16, 0x7f
	s_mov_b64 s[20:21], 0
	s_waitcnt vmcnt(0)
	v_cmp_lt_i16_e32 vcc, s16, v3
	s_and_saveexec_b64 s[16:17], vcc
	s_xor_b64 s[16:17], exec, s[16:17]
; %bb.1351:
	s_movk_i32 s20, 0x80
	v_cmp_ne_u16_e32 vcc, s20, v3
	s_and_b64 s[20:21], vcc, exec
; %bb.1352:
	s_andn2_saveexec_b64 s[16:17], s[16:17]
; %bb.1353:
	v_cmp_ne_u16_e32 vcc, 0, v3
	s_andn2_b64 s[20:21], s[20:21], exec
	s_and_b64 s[30:31], vcc, exec
	s_or_b64 s[20:21], s[20:21], s[30:31]
; %bb.1354:
	s_or_b64 exec, exec, s[16:17]
	v_mov_b32_e32 v7, 0
	v_mov_b32_e32 v8, 0
	s_and_saveexec_b64 s[16:17], s[20:21]
	s_cbranch_execz .LBB95_1356
; %bb.1355:
	v_lshlrev_b32_e32 v6, 24, v3
	v_and_b32_e32 v3, 0xffff, v3
	v_and_b32_e32 v7, 7, v3
	v_ffbh_u32_e32 v9, v7
	v_min_u32_e32 v9, 32, v9
	v_subrev_u32_e32 v10, 28, v9
	v_bfe_u32 v8, v3, 3, 4
	v_lshlrev_b32_e32 v3, v10, v3
	v_sub_u32_e32 v9, 29, v9
	v_and_b32_e32 v3, 7, v3
	v_cmp_eq_u32_e32 vcc, 0, v8
	v_cndmask_b32_e32 v8, v8, v9, vcc
	v_cndmask_b32_e32 v3, v7, v3, vcc
	v_mov_b32_e32 v7, 0x3b800000
	v_lshlrev_b32_e32 v3, 20, v3
	v_and_b32_e32 v6, 0x80000000, v6
	v_lshl_add_u32 v7, v8, 23, v7
	v_or3_b32 v3, v6, v7, v3
	v_trunc_f32_e32 v3, v3
	s_mov_b32 s20, 0x2f800000
	v_mul_f32_e64 v6, |v3|, s20
	v_floor_f32_e32 v6, v6
	s_mov_b32 s20, 0xcf800000
	v_fma_f32 v7, v6, s20, |v3|
	v_cvt_u32_f32_e32 v7, v7
	v_cvt_u32_f32_e32 v6, v6
	v_ashrrev_i32_e32 v3, 31, v3
	v_xor_b32_e32 v7, v7, v3
	v_xor_b32_e32 v6, v6, v3
	v_sub_co_u32_e32 v7, vcc, v7, v3
	v_subb_co_u32_e32 v8, vcc, v6, v3, vcc
.LBB95_1356:
	s_or_b64 exec, exec, s[16:17]
.LBB95_1357:
	s_mov_b64 s[16:17], -1
.LBB95_1358:
	s_branch .LBB95_1387
.LBB95_1359:
	s_cmp_gt_i32 s23, 22
	s_cbranch_scc0 .LBB95_1369
; %bb.1360:
	s_cmp_lt_i32 s23, 24
	s_cbranch_scc1 .LBB95_1370
; %bb.1361:
	s_cmp_gt_i32 s23, 24
	s_cbranch_scc0 .LBB95_1371
; %bb.1362:
	global_load_ubyte v3, v[4:5], off
	s_movk_i32 s16, 0x7f
	s_waitcnt vmcnt(0)
	v_cmp_lt_i16_e32 vcc, s16, v3
	s_and_saveexec_b64 s[16:17], vcc
	s_xor_b64 s[16:17], exec, s[16:17]
; %bb.1363:
	s_movk_i32 s18, 0x80
	v_cmp_ne_u16_e32 vcc, s18, v3
	s_and_b64 s[18:19], vcc, exec
; %bb.1364:
	s_andn2_saveexec_b64 s[16:17], s[16:17]
; %bb.1365:
	v_cmp_ne_u16_e32 vcc, 0, v3
	s_andn2_b64 s[18:19], s[18:19], exec
	s_and_b64 s[20:21], vcc, exec
	s_or_b64 s[18:19], s[18:19], s[20:21]
; %bb.1366:
	s_or_b64 exec, exec, s[16:17]
	v_mov_b32_e32 v7, 0
	v_mov_b32_e32 v8, 0
	s_and_saveexec_b64 s[16:17], s[18:19]
	s_cbranch_execz .LBB95_1368
; %bb.1367:
	v_lshlrev_b32_e32 v6, 24, v3
	v_and_b32_e32 v3, 0xffff, v3
	v_and_b32_e32 v7, 3, v3
	v_ffbh_u32_e32 v9, v7
	v_min_u32_e32 v9, 32, v9
	v_subrev_u32_e32 v10, 29, v9
	v_bfe_u32 v8, v3, 2, 5
	v_lshlrev_b32_e32 v3, v10, v3
	v_sub_u32_e32 v9, 30, v9
	v_and_b32_e32 v3, 3, v3
	v_cmp_eq_u32_e32 vcc, 0, v8
	v_cndmask_b32_e32 v8, v8, v9, vcc
	v_cndmask_b32_e32 v3, v7, v3, vcc
	v_mov_b32_e32 v7, 0x37800000
	v_lshlrev_b32_e32 v3, 21, v3
	v_and_b32_e32 v6, 0x80000000, v6
	v_lshl_add_u32 v7, v8, 23, v7
	v_or3_b32 v3, v6, v7, v3
	v_trunc_f32_e32 v3, v3
	s_mov_b32 s18, 0x2f800000
	v_mul_f32_e64 v6, |v3|, s18
	v_floor_f32_e32 v6, v6
	s_mov_b32 s18, 0xcf800000
	v_fma_f32 v7, v6, s18, |v3|
	v_cvt_u32_f32_e32 v7, v7
	v_cvt_u32_f32_e32 v6, v6
	v_ashrrev_i32_e32 v3, 31, v3
	v_xor_b32_e32 v7, v7, v3
	v_xor_b32_e32 v6, v6, v3
	v_sub_co_u32_e32 v7, vcc, v7, v3
	v_subb_co_u32_e32 v8, vcc, v6, v3, vcc
.LBB95_1368:
	s_or_b64 exec, exec, s[16:17]
	s_mov_b64 s[16:17], 0
	s_branch .LBB95_1372
.LBB95_1369:
	s_mov_b64 s[18:19], -1
                                        ; implicit-def: $vgpr7_vgpr8
	s_branch .LBB95_1378
.LBB95_1370:
	s_mov_b64 s[16:17], -1
                                        ; implicit-def: $vgpr7_vgpr8
	s_branch .LBB95_1375
.LBB95_1371:
	s_mov_b64 s[16:17], -1
                                        ; implicit-def: $vgpr7_vgpr8
.LBB95_1372:
	s_and_b64 vcc, exec, s[16:17]
	s_cbranch_vccz .LBB95_1374
; %bb.1373:
	global_load_ubyte v3, v[4:5], off
	s_mov_b32 s16, 0x7f800000
	s_brev_b32 s17, 1
	s_mov_b32 s18, 0x2f800000
	s_mov_b32 s19, 0xcf800000
	s_waitcnt vmcnt(0)
	v_lshlrev_b32_e32 v3, 24, v3
	v_and_b32_e32 v6, 0x7f000000, v3
	v_ffbh_u32_e32 v7, v6
	v_min_u32_e32 v7, 32, v7
	v_sub_u32_e64 v7, v7, 4 clamp
	v_lshlrev_b32_e32 v9, v7, v6
	v_lshlrev_b32_e32 v7, 23, v7
	v_lshrrev_b32_e32 v9, 4, v9
	v_add_u32_e32 v8, 0x1000000, v6
	v_sub_u32_e32 v7, v9, v7
	v_ashrrev_i32_e32 v8, 8, v8
	v_add_u32_e32 v7, 0x3c000000, v7
	v_and_or_b32 v7, v8, s16, v7
	v_cmp_ne_u32_e32 vcc, 0, v6
	v_cndmask_b32_e32 v6, 0, v7, vcc
	v_and_or_b32 v3, v3, s17, v6
	v_trunc_f32_e32 v3, v3
	v_mul_f32_e64 v6, |v3|, s18
	v_floor_f32_e32 v6, v6
	v_fma_f32 v7, v6, s19, |v3|
	v_cvt_u32_f32_e32 v7, v7
	v_cvt_u32_f32_e32 v6, v6
	v_ashrrev_i32_e32 v3, 31, v3
	v_xor_b32_e32 v7, v7, v3
	v_xor_b32_e32 v6, v6, v3
	v_sub_co_u32_e32 v7, vcc, v7, v3
	v_subb_co_u32_e32 v8, vcc, v6, v3, vcc
.LBB95_1374:
	s_mov_b64 s[16:17], 0
.LBB95_1375:
	s_andn2_b64 vcc, exec, s[16:17]
	s_cbranch_vccnz .LBB95_1377
; %bb.1376:
	global_load_ubyte v3, v[4:5], off
	s_movk_i32 s16, 0x7f00
	s_brev_b32 s17, 16
	s_brev_b32 s18, 1
	s_mov_b32 s19, 0x2f800000
	s_mov_b32 s20, 0xcf800000
	s_waitcnt vmcnt(0)
	v_lshlrev_b16_e32 v6, 8, v3
	v_lshlrev_b32_e32 v3, 25, v3
	v_lshrrev_b32_e32 v7, 4, v3
	v_and_or_b32 v8, v6, s16, 0.5
	v_or_b32_e32 v7, 0x70000000, v7
	v_add_f32_e32 v8, -0.5, v8
	v_mul_f32_e32 v7, 0x7800000, v7
	v_cmp_gt_u32_e32 vcc, s17, v3
	v_bfe_i32 v6, v6, 0, 16
	v_cndmask_b32_e32 v3, v7, v8, vcc
	v_and_or_b32 v3, v6, s18, v3
	v_trunc_f32_e32 v3, v3
	v_mul_f32_e64 v6, |v3|, s19
	v_floor_f32_e32 v6, v6
	v_fma_f32 v7, v6, s20, |v3|
	v_cvt_u32_f32_e32 v7, v7
	v_cvt_u32_f32_e32 v6, v6
	v_ashrrev_i32_e32 v3, 31, v3
	v_xor_b32_e32 v7, v7, v3
	v_xor_b32_e32 v6, v6, v3
	v_sub_co_u32_e32 v7, vcc, v7, v3
	v_subb_co_u32_e32 v8, vcc, v6, v3, vcc
.LBB95_1377:
	s_mov_b64 s[18:19], 0
	s_mov_b64 s[16:17], -1
.LBB95_1378:
	s_andn2_b64 vcc, exec, s[18:19]
	s_mov_b64 s[18:19], 0
	s_cbranch_vccnz .LBB95_1387
; %bb.1379:
	s_cmp_gt_i32 s23, 14
	s_cbranch_scc0 .LBB95_1382
; %bb.1380:
	s_cmp_eq_u32 s23, 15
	s_cbranch_scc0 .LBB95_1383
; %bb.1381:
	global_load_ushort v3, v[4:5], off
	s_mov_b32 s12, 0x2f800000
	s_mov_b32 s13, 0xcf800000
	s_mov_b64 s[16:17], -1
	s_waitcnt vmcnt(0)
	v_lshlrev_b32_e32 v3, 16, v3
	v_trunc_f32_e32 v3, v3
	v_mul_f32_e64 v6, |v3|, s12
	v_floor_f32_e32 v6, v6
	v_fma_f32 v7, v6, s13, |v3|
	v_cvt_u32_f32_e32 v7, v7
	v_cvt_u32_f32_e32 v6, v6
	v_ashrrev_i32_e32 v3, 31, v3
	s_mov_b64 s[12:13], 0
	v_xor_b32_e32 v7, v7, v3
	v_xor_b32_e32 v6, v6, v3
	v_sub_co_u32_e32 v7, vcc, v7, v3
	v_subb_co_u32_e32 v8, vcc, v6, v3, vcc
	s_branch .LBB95_1384
.LBB95_1382:
	s_mov_b64 s[20:21], -1
                                        ; implicit-def: $vgpr7_vgpr8
	s_branch .LBB95_1385
.LBB95_1383:
	s_mov_b64 s[12:13], -1
                                        ; implicit-def: $vgpr7_vgpr8
.LBB95_1384:
	s_mov_b64 s[20:21], 0
.LBB95_1385:
	s_and_b64 vcc, exec, s[20:21]
	s_cbranch_vccz .LBB95_1387
; %bb.1386:
	s_cmp_lg_u32 s23, 11
	s_cselect_b64 s[20:21], -1, 0
	s_andn2_b64 s[12:13], s[12:13], exec
	s_and_b64 s[20:21], s[20:21], exec
	s_mov_b64 s[18:19], -1
	s_or_b64 s[12:13], s[12:13], s[20:21]
.LBB95_1387:
	s_mov_b64 s[20:21], 0
.LBB95_1388:
	s_andn2_b64 s[30:31], s[42:43], exec
	s_and_b64 s[12:13], s[12:13], exec
	s_and_b64 s[16:17], s[16:17], exec
	;; [unrolled: 1-line block ×4, first 2 shown]
	s_or_b64 s[42:43], s[30:31], s[12:13]
	s_or_b64 exec, exec, s[0:1]
	s_and_saveexec_b64 s[0:1], s[42:43]
	s_cbranch_execz .LBB95_1321
.LBB95_1389:
	s_or_b64 s[10:11], s[10:11], exec
	s_andn2_b64 s[18:19], s[18:19], exec
	s_trap 2
	s_or_b64 exec, exec, s[0:1]
	s_and_saveexec_b64 s[0:1], s[18:19]
	s_xor_b64 s[0:1], exec, s[0:1]
	s_cbranch_execnz .LBB95_1322
.LBB95_1390:
	s_or_b64 exec, exec, s[0:1]
	s_and_saveexec_b64 s[0:1], s[20:21]
	s_cbranch_execz .LBB95_1436
.LBB95_1391:
	s_sext_i32_i16 s12, s22
	s_cmp_lt_i32 s12, 5
	s_cbranch_scc1 .LBB95_1396
; %bb.1392:
	s_cmp_lt_i32 s12, 8
	s_cbranch_scc1 .LBB95_1397
; %bb.1393:
	;; [unrolled: 3-line block ×3, first 2 shown]
	s_cmp_gt_i32 s12, 9
	s_cbranch_scc0 .LBB95_1399
; %bb.1395:
	s_waitcnt vmcnt(0)
	global_load_dwordx2 v[6:7], v[4:5], off
	s_movk_i32 s12, 0xffe0
	s_waitcnt vmcnt(0)
	v_trunc_f64_e32 v[6:7], v[6:7]
	v_ldexp_f64 v[8:9], v[6:7], s12
	s_mov_b32 s12, 0
	s_mov_b32 s13, 0xc1f00000
	v_floor_f64_e32 v[8:9], v[8:9]
	v_fma_f64 v[6:7], v[8:9], s[12:13], v[6:7]
	v_cvt_i32_f64_e32 v8, v[8:9]
	s_mov_b64 s[12:13], 0
	v_cvt_u32_f64_e32 v7, v[6:7]
	s_branch .LBB95_1400
.LBB95_1396:
                                        ; implicit-def: $vgpr7_vgpr8
	s_branch .LBB95_1417
.LBB95_1397:
                                        ; implicit-def: $vgpr7_vgpr8
	s_branch .LBB95_1406
.LBB95_1398:
	s_mov_b64 s[12:13], -1
                                        ; implicit-def: $vgpr7_vgpr8
	s_branch .LBB95_1403
.LBB95_1399:
	s_mov_b64 s[12:13], -1
                                        ; implicit-def: $vgpr7_vgpr8
.LBB95_1400:
	s_andn2_b64 vcc, exec, s[12:13]
	s_cbranch_vccnz .LBB95_1402
; %bb.1401:
	s_waitcnt vmcnt(0)
	global_load_dword v3, v[4:5], off
	s_mov_b32 s12, 0x2f800000
	s_mov_b32 s13, 0xcf800000
	s_waitcnt vmcnt(0)
	v_trunc_f32_e32 v3, v3
	v_mul_f32_e64 v6, |v3|, s12
	v_floor_f32_e32 v6, v6
	v_cvt_u32_f32_e32 v7, v6
	v_fma_f32 v6, v6, s13, |v3|
	v_cvt_u32_f32_e32 v6, v6
	v_ashrrev_i32_e32 v3, 31, v3
	v_xor_b32_e32 v8, v7, v3
	v_xor_b32_e32 v6, v6, v3
	v_sub_co_u32_e32 v7, vcc, v6, v3
	v_subb_co_u32_e32 v8, vcc, v8, v3, vcc
.LBB95_1402:
	s_mov_b64 s[12:13], 0
.LBB95_1403:
	s_andn2_b64 vcc, exec, s[12:13]
	s_cbranch_vccnz .LBB95_1405
; %bb.1404:
	s_waitcnt vmcnt(0)
	global_load_dword v3, v[4:5], off
	s_waitcnt vmcnt(0)
	v_cvt_f32_f16_e32 v3, v3
	v_cvt_i32_f32_e32 v7, v3
	v_ashrrev_i32_e32 v8, 31, v7
.LBB95_1405:
	s_cbranch_execnz .LBB95_1416
.LBB95_1406:
	s_sext_i32_i16 s12, s22
	s_cmp_lt_i32 s12, 6
	s_cbranch_scc1 .LBB95_1409
; %bb.1407:
	s_cmp_gt_i32 s12, 6
	s_cbranch_scc0 .LBB95_1410
; %bb.1408:
	s_waitcnt vmcnt(0)
	global_load_dwordx2 v[6:7], v[4:5], off
	s_movk_i32 s12, 0xffe0
	s_waitcnt vmcnt(0)
	v_trunc_f64_e32 v[6:7], v[6:7]
	v_ldexp_f64 v[8:9], v[6:7], s12
	s_mov_b32 s12, 0
	s_mov_b32 s13, 0xc1f00000
	v_floor_f64_e32 v[8:9], v[8:9]
	v_fma_f64 v[6:7], v[8:9], s[12:13], v[6:7]
	v_cvt_i32_f64_e32 v8, v[8:9]
	s_mov_b64 s[12:13], 0
	v_cvt_u32_f64_e32 v7, v[6:7]
	s_branch .LBB95_1411
.LBB95_1409:
	s_mov_b64 s[12:13], -1
                                        ; implicit-def: $vgpr7_vgpr8
	s_branch .LBB95_1414
.LBB95_1410:
	s_mov_b64 s[12:13], -1
                                        ; implicit-def: $vgpr7_vgpr8
.LBB95_1411:
	s_andn2_b64 vcc, exec, s[12:13]
	s_cbranch_vccnz .LBB95_1413
; %bb.1412:
	s_waitcnt vmcnt(0)
	global_load_dword v3, v[4:5], off
	s_mov_b32 s12, 0x2f800000
	s_mov_b32 s13, 0xcf800000
	s_waitcnt vmcnt(0)
	v_trunc_f32_e32 v3, v3
	v_mul_f32_e64 v6, |v3|, s12
	v_floor_f32_e32 v6, v6
	v_cvt_u32_f32_e32 v7, v6
	v_fma_f32 v6, v6, s13, |v3|
	v_cvt_u32_f32_e32 v6, v6
	v_ashrrev_i32_e32 v3, 31, v3
	v_xor_b32_e32 v8, v7, v3
	v_xor_b32_e32 v6, v6, v3
	v_sub_co_u32_e32 v7, vcc, v6, v3
	v_subb_co_u32_e32 v8, vcc, v8, v3, vcc
.LBB95_1413:
	s_mov_b64 s[12:13], 0
.LBB95_1414:
	s_andn2_b64 vcc, exec, s[12:13]
	s_cbranch_vccnz .LBB95_1416
; %bb.1415:
	s_waitcnt vmcnt(0)
	global_load_ushort v3, v[4:5], off
	s_waitcnt vmcnt(0)
	v_cvt_f32_f16_e32 v3, v3
	v_cvt_i32_f32_e32 v7, v3
	v_ashrrev_i32_e32 v8, 31, v7
.LBB95_1416:
	s_cbranch_execnz .LBB95_1435
.LBB95_1417:
	s_sext_i32_i16 s12, s22
	s_cmp_lt_i32 s12, 2
	s_cbranch_scc1 .LBB95_1421
; %bb.1418:
	s_cmp_lt_i32 s12, 3
	s_cbranch_scc1 .LBB95_1422
; %bb.1419:
	s_cmp_gt_i32 s12, 3
	s_cbranch_scc0 .LBB95_1423
; %bb.1420:
	s_waitcnt vmcnt(0)
	global_load_dwordx2 v[7:8], v[4:5], off
	s_mov_b64 s[12:13], 0
	s_branch .LBB95_1424
.LBB95_1421:
                                        ; implicit-def: $vgpr7_vgpr8
	s_branch .LBB95_1430
.LBB95_1422:
	s_mov_b64 s[12:13], -1
                                        ; implicit-def: $vgpr7_vgpr8
	s_branch .LBB95_1427
.LBB95_1423:
	s_mov_b64 s[12:13], -1
                                        ; implicit-def: $vgpr7_vgpr8
.LBB95_1424:
	s_andn2_b64 vcc, exec, s[12:13]
	s_cbranch_vccnz .LBB95_1426
; %bb.1425:
	s_waitcnt vmcnt(0)
	global_load_dword v7, v[4:5], off
	s_waitcnt vmcnt(0)
	v_ashrrev_i32_e32 v8, 31, v7
.LBB95_1426:
	s_mov_b64 s[12:13], 0
.LBB95_1427:
	s_andn2_b64 vcc, exec, s[12:13]
	s_cbranch_vccnz .LBB95_1429
; %bb.1428:
	s_waitcnt vmcnt(0)
	global_load_ushort v3, v[4:5], off
	s_waitcnt vmcnt(0)
	v_bfe_i32 v7, v3, 0, 16
	v_ashrrev_i32_e32 v8, 31, v7
.LBB95_1429:
	s_cbranch_execnz .LBB95_1435
.LBB95_1430:
	s_sext_i32_i16 s12, s22
	s_cmp_gt_i32 s12, 0
	s_cbranch_scc0 .LBB95_1432
; %bb.1431:
	s_waitcnt vmcnt(0)
	global_load_sbyte v3, v[4:5], off
	s_mov_b64 s[12:13], 0
	s_waitcnt vmcnt(0)
	v_bfe_i32 v7, v3, 0, 16
	v_ashrrev_i32_e32 v8, 31, v7
	s_branch .LBB95_1433
.LBB95_1432:
	s_mov_b64 s[12:13], -1
                                        ; implicit-def: $vgpr7_vgpr8
.LBB95_1433:
	s_andn2_b64 vcc, exec, s[12:13]
	s_cbranch_vccnz .LBB95_1435
; %bb.1434:
	s_waitcnt vmcnt(0)
	global_load_ubyte v3, v[4:5], off
	s_mov_b32 s12, 0
	v_mov_b32_e32 v8, s12
	s_waitcnt vmcnt(0)
	v_and_b32_e32 v7, 0xffff, v3
.LBB95_1435:
	s_or_b64 s[16:17], s[16:17], exec
.LBB95_1436:
	s_or_b64 exec, exec, s[0:1]
	s_mov_b64 s[20:21], 0
	s_mov_b64 s[18:19], 0
                                        ; implicit-def: $sgpr22
                                        ; implicit-def: $vgpr5_vgpr6
                                        ; implicit-def: $vgpr3_vgpr4
	s_and_saveexec_b64 s[12:13], s[16:17]
	s_cbranch_execz .LBB95_1444
; %bb.1437:
	s_waitcnt vmcnt(0)
	v_cmp_lt_i64_e32 vcc, s[14:15], v[1:2]
	v_mov_b32_e32 v3, s29
	v_mov_b32_e32 v1, s28
	v_cndmask_b32_e32 v4, v3, v8, vcc
	v_cndmask_b32_e32 v3, v1, v7, vcc
	v_mov_b32_e32 v1, s9
	s_and_b32 s22, s73, 0xff
	v_add_co_u32_e32 v5, vcc, s8, v0
	s_cmp_lt_i32 s22, 11
	v_addc_co_u32_e32 v6, vcc, 0, v1, vcc
	s_cbranch_scc1 .LBB95_1447
; %bb.1438:
	s_and_b32 s20, 0xffff, s22
	s_mov_b64 s[14:15], -1
	s_cmp_gt_i32 s20, 25
	s_mov_b64 s[0:1], s[40:41]
	s_cbranch_scc0 .LBB95_1475
; %bb.1439:
	s_mov_b64 s[8:9], -1
	s_cmp_gt_i32 s20, 28
	s_mov_b64 s[0:1], s[40:41]
	s_cbranch_scc0 .LBB95_1459
; %bb.1440:
	s_cmp_gt_i32 s20, 43
	s_mov_b64 s[0:1], s[40:41]
	s_cbranch_scc0 .LBB95_1455
; %bb.1441:
	;; [unrolled: 4-line block ×3, first 2 shown]
	s_cmp_eq_u32 s20, 46
	s_mov_b64 s[0:1], -1
	s_cbranch_scc0 .LBB95_1448
; %bb.1443:
	v_xor_b32_e32 v1, v3, v4
	v_ffbh_i32_e32 v0, v4
	v_ashrrev_i32_e32 v1, 31, v1
	v_add_u32_e32 v0, -1, v0
	v_add_u32_e32 v1, 32, v1
	v_min_u32_e32 v2, v0, v1
	v_lshlrev_b64 v[0:1], v2, v[3:4]
	s_movk_i32 s0, 0x7fff
	v_min_u32_e32 v0, 1, v0
	v_or_b32_e32 v0, v1, v0
	v_cvt_f32_i32_e32 v0, v0
	v_sub_u32_e32 v1, 32, v2
	s_mov_b64 s[8:9], 0
	v_ldexp_f32 v0, v0, v1
	v_bfe_u32 v1, v0, 16, 1
	v_add3_u32 v0, v0, v1, s0
	v_lshrrev_b32_e32 v0, 16, v0
	global_store_dword v[5:6], v0, off
	s_mov_b64 s[0:1], 0
	s_branch .LBB95_1449
.LBB95_1444:
	s_or_b64 exec, exec, s[12:13]
	s_and_saveexec_b64 s[0:1], s[40:41]
	s_cbranch_execnz .LBB95_1517
.LBB95_1445:
	s_or_b64 exec, exec, s[0:1]
	s_and_saveexec_b64 s[0:1], s[20:21]
	s_xor_b64 s[0:1], exec, s[0:1]
	s_cbranch_execz .LBB95_1518
.LBB95_1446:
	v_cmp_ne_u64_e32 vcc, 0, v[3:4]
	v_cndmask_b32_e64 v0, 0, 1, vcc
	s_waitcnt vmcnt(0)
	global_store_byte v[5:6], v0, off
	s_or_b64 exec, exec, s[0:1]
	s_and_saveexec_b64 s[0:1], s[18:19]
	s_xor_b64 s[0:1], exec, s[0:1]
	s_cbranch_execz .LBB95_1556
	s_branch .LBB95_1519
.LBB95_1447:
	s_mov_b64 s[14:15], 0
	s_mov_b64 s[8:9], -1
	s_mov_b64 s[0:1], s[40:41]
	s_branch .LBB95_1516
.LBB95_1448:
	s_mov_b64 s[8:9], 0
.LBB95_1449:
	s_and_b64 vcc, exec, s[8:9]
	s_cbranch_vccz .LBB95_1454
; %bb.1450:
	s_cmp_eq_u32 s20, 44
	s_mov_b64 s[0:1], -1
	s_cbranch_scc0 .LBB95_1454
; %bb.1451:
	v_xor_b32_e32 v1, v3, v4
	v_ffbh_i32_e32 v0, v4
	v_ashrrev_i32_e32 v1, 31, v1
	v_add_u32_e32 v0, -1, v0
	v_add_u32_e32 v1, 32, v1
	v_min_u32_e32 v2, v0, v1
	v_lshlrev_b64 v[0:1], v2, v[3:4]
	s_movk_i32 s0, 0xff
	v_min_u32_e32 v0, 1, v0
	v_or_b32_e32 v0, v1, v0
	v_cvt_f32_i32_e32 v0, v0
	v_sub_u32_e32 v1, 32, v2
	v_mov_b32_e32 v2, 0xff
	v_ldexp_f32 v0, v0, v1
	v_bfe_u32 v1, v0, 23, 8
	v_cmp_ne_u32_e32 vcc, s0, v1
	s_and_saveexec_b64 s[8:9], vcc
; %bb.1452:
	s_mov_b32 s0, 0x3fffff
	v_lshrrev_b32_e32 v2, 23, v0
	v_and_b32_e32 v7, 0x400000, v0
	v_and_or_b32 v0, v0, s0, v1
	v_cmp_ne_u32_e32 vcc, 0, v7
	v_cmp_ne_u32_e64 s[0:1], 0, v0
	s_and_b64 s[0:1], vcc, s[0:1]
	v_cndmask_b32_e64 v0, 0, 1, s[0:1]
	v_add_u32_e32 v2, v2, v0
; %bb.1453:
	s_or_b64 exec, exec, s[8:9]
	s_mov_b64 s[0:1], 0
	global_store_byte v[5:6], v2, off
.LBB95_1454:
	s_mov_b64 s[8:9], 0
.LBB95_1455:
	s_and_b64 vcc, exec, s[8:9]
	s_cbranch_vccz .LBB95_1458
; %bb.1456:
	s_cmp_eq_u32 s20, 29
	s_mov_b64 s[0:1], -1
	s_cbranch_scc0 .LBB95_1458
; %bb.1457:
	global_store_dwordx2 v[5:6], v[3:4], off
	s_mov_b64 s[0:1], 0
.LBB95_1458:
	s_mov_b64 s[8:9], 0
.LBB95_1459:
	s_and_b64 vcc, exec, s[8:9]
	s_cbranch_vccz .LBB95_1474
; %bb.1460:
	s_cmp_lt_i32 s20, 27
	s_mov_b64 s[8:9], -1
	s_cbranch_scc1 .LBB95_1466
; %bb.1461:
	s_cmp_gt_i32 s20, 27
	s_cbranch_scc0 .LBB95_1463
; %bb.1462:
	s_mov_b64 s[8:9], 0
	global_store_dword v[5:6], v3, off
.LBB95_1463:
	s_andn2_b64 vcc, exec, s[8:9]
	s_cbranch_vccnz .LBB95_1465
; %bb.1464:
	global_store_short v[5:6], v3, off
.LBB95_1465:
	s_mov_b64 s[8:9], 0
.LBB95_1466:
	s_andn2_b64 vcc, exec, s[8:9]
	s_cbranch_vccnz .LBB95_1474
; %bb.1467:
	v_xor_b32_e32 v1, v3, v4
	v_ffbh_i32_e32 v0, v4
	v_ashrrev_i32_e32 v1, 31, v1
	v_add_u32_e32 v0, -1, v0
	v_add_u32_e32 v1, 32, v1
	v_min_u32_e32 v2, v0, v1
	v_lshlrev_b64 v[0:1], v2, v[3:4]
	s_mov_b32 s8, 0x43800000
	v_min_u32_e32 v0, 1, v0
	v_or_b32_e32 v0, v1, v0
	v_cvt_f32_i32_e32 v0, v0
	v_sub_u32_e32 v1, 32, v2
	v_mov_b32_e32 v2, 0x80
	v_ldexp_f32 v0, v0, v1
	v_and_b32_e32 v1, 0x7fffffff, v0
	v_cmp_gt_u32_e32 vcc, s8, v1
	s_and_saveexec_b64 s[8:9], vcc
	s_cbranch_execz .LBB95_1473
; %bb.1468:
	s_mov_b32 s14, 0x3bffffff
	v_cmp_lt_u32_e32 vcc, s14, v1
	s_mov_b64 s[14:15], 0
                                        ; implicit-def: $vgpr1
	s_and_saveexec_b64 s[16:17], vcc
	s_xor_b64 s[16:17], exec, s[16:17]
	s_cbranch_execz .LBB95_1615
; %bb.1469:
	v_bfe_u32 v1, v0, 20, 1
	s_mov_b32 s18, 0x487ffff
	v_add3_u32 v1, v0, v1, s18
	s_mov_b64 s[14:15], exec
	v_lshrrev_b32_e32 v1, 20, v1
	s_andn2_saveexec_b64 s[16:17], s[16:17]
	s_cbranch_execnz .LBB95_1616
.LBB95_1470:
	s_or_b64 exec, exec, s[16:17]
	v_mov_b32_e32 v2, 0
	s_and_saveexec_b64 s[16:17], s[14:15]
.LBB95_1471:
	v_lshrrev_b32_e32 v0, 24, v0
	s_movk_i32 s14, 0x80
	v_and_or_b32 v2, v0, s14, v1
.LBB95_1472:
	s_or_b64 exec, exec, s[16:17]
.LBB95_1473:
	s_or_b64 exec, exec, s[8:9]
	global_store_byte v[5:6], v2, off
.LBB95_1474:
	s_mov_b64 s[14:15], 0
.LBB95_1475:
	s_mov_b64 s[8:9], 0
	s_and_b64 vcc, exec, s[14:15]
	s_cbranch_vccz .LBB95_1515
; %bb.1476:
	s_cmp_gt_i32 s20, 22
	s_mov_b64 s[14:15], -1
	s_cbranch_scc0 .LBB95_1508
; %bb.1477:
	s_cmp_lt_i32 s20, 24
	s_cbranch_scc1 .LBB95_1497
; %bb.1478:
	s_cmp_gt_i32 s20, 24
	s_cbranch_scc0 .LBB95_1486
; %bb.1479:
	v_xor_b32_e32 v1, v3, v4
	v_ffbh_i32_e32 v0, v4
	v_ashrrev_i32_e32 v1, 31, v1
	v_add_u32_e32 v0, -1, v0
	v_add_u32_e32 v1, 32, v1
	v_min_u32_e32 v2, v0, v1
	v_lshlrev_b64 v[0:1], v2, v[3:4]
	s_mov_b32 s14, 0x47800000
	v_min_u32_e32 v0, 1, v0
	v_or_b32_e32 v0, v1, v0
	v_cvt_f32_i32_e32 v0, v0
	v_sub_u32_e32 v1, 32, v2
	v_mov_b32_e32 v2, 0x80
	v_ldexp_f32 v0, v0, v1
	v_and_b32_e32 v1, 0x7fffffff, v0
	v_cmp_gt_u32_e32 vcc, s14, v1
	s_and_saveexec_b64 s[14:15], vcc
	s_cbranch_execz .LBB95_1485
; %bb.1480:
	s_mov_b32 s16, 0x37ffffff
	v_cmp_lt_u32_e32 vcc, s16, v1
	s_mov_b64 s[16:17], 0
                                        ; implicit-def: $vgpr1
	s_and_saveexec_b64 s[18:19], vcc
	s_xor_b64 s[18:19], exec, s[18:19]
	s_cbranch_execz .LBB95_1735
; %bb.1481:
	v_bfe_u32 v1, v0, 21, 1
	s_mov_b32 s21, 0x88fffff
	v_add3_u32 v1, v0, v1, s21
	s_mov_b64 s[16:17], exec
	v_lshrrev_b32_e32 v1, 21, v1
	s_andn2_saveexec_b64 s[18:19], s[18:19]
	s_cbranch_execnz .LBB95_1736
.LBB95_1482:
	s_or_b64 exec, exec, s[18:19]
	v_mov_b32_e32 v2, 0
	s_and_saveexec_b64 s[18:19], s[16:17]
.LBB95_1483:
	v_lshrrev_b32_e32 v0, 24, v0
	s_movk_i32 s16, 0x80
	v_and_or_b32 v2, v0, s16, v1
.LBB95_1484:
	s_or_b64 exec, exec, s[18:19]
.LBB95_1485:
	s_or_b64 exec, exec, s[14:15]
	s_mov_b64 s[14:15], 0
	global_store_byte v[5:6], v2, off
.LBB95_1486:
	s_and_b64 vcc, exec, s[14:15]
	s_cbranch_vccz .LBB95_1496
; %bb.1487:
	v_xor_b32_e32 v1, v3, v4
	v_ffbh_i32_e32 v0, v4
	v_ashrrev_i32_e32 v1, 31, v1
	v_add_u32_e32 v0, -1, v0
	v_add_u32_e32 v1, 32, v1
	v_min_u32_e32 v2, v0, v1
	v_lshlrev_b64 v[0:1], v2, v[3:4]
	s_mov_b32 s14, 0x43f00000
	v_min_u32_e32 v0, 1, v0
	v_or_b32_e32 v0, v1, v0
	v_cvt_f32_i32_e32 v0, v0
	v_sub_u32_e32 v1, 32, v2
	v_ldexp_f32 v0, v0, v1
	v_and_b32_e32 v2, 0x7fffffff, v0
	v_cmp_gt_u32_e32 vcc, s14, v2
                                        ; implicit-def: $vgpr1
	s_and_saveexec_b64 s[14:15], vcc
	s_xor_b64 s[14:15], exec, s[14:15]
	s_cbranch_execz .LBB95_1493
; %bb.1488:
	s_mov_b32 s16, 0x3c7fffff
	v_cmp_lt_u32_e32 vcc, s16, v2
                                        ; implicit-def: $vgpr1
	s_and_saveexec_b64 s[16:17], vcc
	s_xor_b64 s[16:17], exec, s[16:17]
; %bb.1489:
	v_bfe_u32 v1, v0, 20, 1
	s_mov_b32 s18, 0x407ffff
	v_add3_u32 v1, v0, v1, s18
	v_lshrrev_b32_e32 v2, 20, v1
	v_and_b32_e32 v1, 0xff00000, v1
	s_mov_b32 s18, 0x7f00000
	v_mov_b32_e32 v7, 0x7e
	v_cmp_ne_u32_e32 vcc, s18, v1
	v_cndmask_b32_e32 v1, v7, v2, vcc
; %bb.1490:
	s_andn2_saveexec_b64 s[16:17], s[16:17]
; %bb.1491:
	s_mov_b32 s18, 0x46800000
	v_add_f32_e64 v1, |v0|, s18
; %bb.1492:
	s_or_b64 exec, exec, s[16:17]
                                        ; implicit-def: $vgpr2
.LBB95_1493:
	s_andn2_saveexec_b64 s[14:15], s[14:15]
; %bb.1494:
	s_mov_b32 s16, 0x7f800000
	v_mov_b32_e32 v1, 0x7e
	v_mov_b32_e32 v7, 0x7f
	v_cmp_lt_u32_e32 vcc, s16, v2
	v_cndmask_b32_e32 v1, v1, v7, vcc
; %bb.1495:
	s_or_b64 exec, exec, s[14:15]
	v_lshrrev_b32_e32 v0, 24, v0
	s_movk_i32 s14, 0x80
	v_and_or_b32 v0, v0, s14, v1
	global_store_byte v[5:6], v0, off
.LBB95_1496:
	s_mov_b64 s[14:15], 0
.LBB95_1497:
	s_andn2_b64 vcc, exec, s[14:15]
	s_cbranch_vccnz .LBB95_1507
; %bb.1498:
	v_xor_b32_e32 v1, v3, v4
	v_ffbh_i32_e32 v0, v4
	v_ashrrev_i32_e32 v1, 31, v1
	v_add_u32_e32 v0, -1, v0
	v_add_u32_e32 v1, 32, v1
	v_min_u32_e32 v2, v0, v1
	v_lshlrev_b64 v[0:1], v2, v[3:4]
	s_mov_b32 s14, 0x47800000
	v_min_u32_e32 v0, 1, v0
	v_or_b32_e32 v0, v1, v0
	v_cvt_f32_i32_e32 v0, v0
	v_sub_u32_e32 v1, 32, v2
	v_ldexp_f32 v0, v0, v1
	v_and_b32_e32 v2, 0x7fffffff, v0
	v_cmp_gt_u32_e32 vcc, s14, v2
                                        ; implicit-def: $vgpr1
	s_and_saveexec_b64 s[14:15], vcc
	s_xor_b64 s[14:15], exec, s[14:15]
	s_cbranch_execz .LBB95_1504
; %bb.1499:
	s_mov_b32 s16, 0x387fffff
	v_cmp_lt_u32_e32 vcc, s16, v2
                                        ; implicit-def: $vgpr1
	s_and_saveexec_b64 s[16:17], vcc
	s_xor_b64 s[16:17], exec, s[16:17]
; %bb.1500:
	v_bfe_u32 v1, v0, 21, 1
	s_mov_b32 s18, 0x80fffff
	v_add3_u32 v1, v0, v1, s18
	v_lshrrev_b32_e32 v1, 21, v1
; %bb.1501:
	s_andn2_saveexec_b64 s[16:17], s[16:17]
; %bb.1502:
	s_mov_b32 s18, 0x43000000
	v_add_f32_e64 v1, |v0|, s18
; %bb.1503:
	s_or_b64 exec, exec, s[16:17]
                                        ; implicit-def: $vgpr2
.LBB95_1504:
	s_andn2_saveexec_b64 s[14:15], s[14:15]
; %bb.1505:
	s_mov_b32 s16, 0x7f800000
	v_mov_b32_e32 v1, 0x7c
	v_mov_b32_e32 v7, 0x7f
	v_cmp_lt_u32_e32 vcc, s16, v2
	v_cndmask_b32_e32 v1, v1, v7, vcc
; %bb.1506:
	s_or_b64 exec, exec, s[14:15]
	v_lshrrev_b32_e32 v0, 24, v0
	s_movk_i32 s14, 0x80
	v_and_or_b32 v0, v0, s14, v1
	global_store_byte v[5:6], v0, off
.LBB95_1507:
	s_mov_b64 s[14:15], 0
.LBB95_1508:
	s_andn2_b64 vcc, exec, s[14:15]
	s_mov_b64 s[14:15], 0
	s_cbranch_vccnz .LBB95_1516
; %bb.1509:
	s_cmp_gt_i32 s20, 14
	s_mov_b64 s[16:17], -1
	s_cbranch_scc0 .LBB95_1513
; %bb.1510:
	s_cmp_eq_u32 s20, 15
	s_mov_b64 s[0:1], -1
	s_cbranch_scc0 .LBB95_1512
; %bb.1511:
	v_xor_b32_e32 v1, v3, v4
	v_ffbh_i32_e32 v0, v4
	v_ashrrev_i32_e32 v1, 31, v1
	v_add_u32_e32 v0, -1, v0
	v_add_u32_e32 v1, 32, v1
	v_min_u32_e32 v2, v0, v1
	v_lshlrev_b64 v[0:1], v2, v[3:4]
	s_movk_i32 s0, 0x7fff
	v_min_u32_e32 v0, 1, v0
	v_or_b32_e32 v0, v1, v0
	v_cvt_f32_i32_e32 v0, v0
	v_sub_u32_e32 v1, 32, v2
	v_ldexp_f32 v0, v0, v1
	v_bfe_u32 v1, v0, 16, 1
	v_add3_u32 v0, v0, v1, s0
	global_store_short_d16_hi v[5:6], v0, off
	s_mov_b64 s[0:1], 0
.LBB95_1512:
	s_mov_b64 s[16:17], 0
.LBB95_1513:
	s_and_b64 vcc, exec, s[16:17]
	s_cbranch_vccz .LBB95_1516
; %bb.1514:
	s_cmp_lg_u32 s20, 11
	s_cselect_b64 s[16:17], -1, 0
	s_andn2_b64 s[0:1], s[0:1], exec
	s_and_b64 s[16:17], s[16:17], exec
	s_mov_b64 s[14:15], -1
	s_or_b64 s[0:1], s[0:1], s[16:17]
	s_branch .LBB95_1516
.LBB95_1515:
	s_mov_b64 s[14:15], 0
.LBB95_1516:
	s_and_b64 s[18:19], s[8:9], exec
	s_andn2_b64 s[8:9], s[40:41], exec
	s_and_b64 s[0:1], s[0:1], exec
	s_and_b64 s[20:21], s[14:15], exec
	s_or_b64 s[40:41], s[8:9], s[0:1]
	s_or_b64 exec, exec, s[12:13]
	s_and_saveexec_b64 s[0:1], s[40:41]
	s_cbranch_execz .LBB95_1445
.LBB95_1517:
	s_or_b64 s[10:11], s[10:11], exec
	s_andn2_b64 s[20:21], s[20:21], exec
	s_trap 2
	s_or_b64 exec, exec, s[0:1]
	s_and_saveexec_b64 s[0:1], s[20:21]
	s_xor_b64 s[0:1], exec, s[0:1]
	s_cbranch_execnz .LBB95_1446
.LBB95_1518:
	s_or_b64 exec, exec, s[0:1]
	s_and_saveexec_b64 s[0:1], s[18:19]
	s_xor_b64 s[0:1], exec, s[0:1]
	s_cbranch_execz .LBB95_1556
.LBB95_1519:
	s_sext_i32_i16 s12, s22
	s_cmp_lt_i32 s12, 5
	s_mov_b64 s[8:9], -1
	s_cbranch_scc1 .LBB95_1540
; %bb.1520:
	s_cmp_lt_i32 s12, 8
	s_cbranch_scc1 .LBB95_1530
; %bb.1521:
	s_cmp_lt_i32 s12, 9
	s_cbranch_scc1 .LBB95_1527
; %bb.1522:
	s_cmp_gt_i32 s12, 9
	s_cbranch_scc0 .LBB95_1524
; %bb.1523:
	s_waitcnt vmcnt(0)
	v_cvt_f64_i32_e32 v[0:1], v4
	v_cvt_f64_u32_e32 v[7:8], v3
	v_mov_b32_e32 v9, 0
	v_mov_b32_e32 v10, v9
	v_ldexp_f64 v[0:1], v[0:1], 32
	s_mov_b64 s[8:9], 0
	v_add_f64 v[7:8], v[0:1], v[7:8]
	global_store_dwordx4 v[5:6], v[7:10], off
.LBB95_1524:
	s_andn2_b64 vcc, exec, s[8:9]
	s_cbranch_vccnz .LBB95_1526
; %bb.1525:
	s_waitcnt vmcnt(0)
	v_xor_b32_e32 v1, v3, v4
	v_ffbh_i32_e32 v0, v4
	v_ashrrev_i32_e32 v1, 31, v1
	v_add_u32_e32 v0, -1, v0
	v_add_u32_e32 v1, 32, v1
	v_min_u32_e32 v2, v0, v1
	v_lshlrev_b64 v[0:1], v2, v[3:4]
	v_min_u32_e32 v0, 1, v0
	v_or_b32_e32 v0, v1, v0
	v_cvt_f32_i32_e32 v0, v0
	v_sub_u32_e32 v1, 32, v2
	v_ldexp_f32 v0, v0, v1
	v_mov_b32_e32 v1, 0
	global_store_dwordx2 v[5:6], v[0:1], off
.LBB95_1526:
	s_mov_b64 s[8:9], 0
.LBB95_1527:
	s_andn2_b64 vcc, exec, s[8:9]
	s_cbranch_vccnz .LBB95_1529
; %bb.1528:
	s_waitcnt vmcnt(0)
	v_xor_b32_e32 v1, v3, v4
	v_ffbh_i32_e32 v0, v4
	v_ashrrev_i32_e32 v1, 31, v1
	v_add_u32_e32 v0, -1, v0
	v_add_u32_e32 v1, 32, v1
	v_min_u32_e32 v2, v0, v1
	v_lshlrev_b64 v[0:1], v2, v[3:4]
	v_min_u32_e32 v0, 1, v0
	v_or_b32_e32 v0, v1, v0
	v_cvt_f32_i32_e32 v0, v0
	v_sub_u32_e32 v1, 32, v2
	v_ldexp_f32 v0, v0, v1
	v_cvt_f16_f32_e32 v0, v0
	global_store_dword v[5:6], v0, off
.LBB95_1529:
	s_mov_b64 s[8:9], 0
.LBB95_1530:
	s_andn2_b64 vcc, exec, s[8:9]
	s_cbranch_vccnz .LBB95_1539
; %bb.1531:
	s_sext_i32_i16 s12, s22
	s_cmp_lt_i32 s12, 6
	s_mov_b64 s[8:9], -1
	s_cbranch_scc1 .LBB95_1537
; %bb.1532:
	s_cmp_gt_i32 s12, 6
	s_cbranch_scc0 .LBB95_1534
; %bb.1533:
	s_waitcnt vmcnt(0)
	v_cvt_f64_i32_e32 v[0:1], v4
	v_cvt_f64_u32_e32 v[7:8], v3
	s_mov_b64 s[8:9], 0
	v_ldexp_f64 v[0:1], v[0:1], 32
	v_add_f64 v[0:1], v[0:1], v[7:8]
	global_store_dwordx2 v[5:6], v[0:1], off
.LBB95_1534:
	s_andn2_b64 vcc, exec, s[8:9]
	s_cbranch_vccnz .LBB95_1536
; %bb.1535:
	s_waitcnt vmcnt(0)
	v_xor_b32_e32 v1, v3, v4
	v_ffbh_i32_e32 v0, v4
	v_ashrrev_i32_e32 v1, 31, v1
	v_add_u32_e32 v0, -1, v0
	v_add_u32_e32 v1, 32, v1
	v_min_u32_e32 v2, v0, v1
	v_lshlrev_b64 v[0:1], v2, v[3:4]
	v_min_u32_e32 v0, 1, v0
	v_or_b32_e32 v0, v1, v0
	v_cvt_f32_i32_e32 v0, v0
	v_sub_u32_e32 v1, 32, v2
	v_ldexp_f32 v0, v0, v1
	global_store_dword v[5:6], v0, off
.LBB95_1536:
	s_mov_b64 s[8:9], 0
.LBB95_1537:
	s_andn2_b64 vcc, exec, s[8:9]
	s_cbranch_vccnz .LBB95_1539
; %bb.1538:
	s_waitcnt vmcnt(0)
	v_xor_b32_e32 v1, v3, v4
	v_ffbh_i32_e32 v0, v4
	v_ashrrev_i32_e32 v1, 31, v1
	v_add_u32_e32 v0, -1, v0
	v_add_u32_e32 v1, 32, v1
	v_min_u32_e32 v2, v0, v1
	v_lshlrev_b64 v[0:1], v2, v[3:4]
	v_min_u32_e32 v0, 1, v0
	v_or_b32_e32 v0, v1, v0
	v_cvt_f32_i32_e32 v0, v0
	v_sub_u32_e32 v1, 32, v2
	v_ldexp_f32 v0, v0, v1
	v_cvt_f16_f32_e32 v0, v0
	global_store_short v[5:6], v0, off
.LBB95_1539:
	s_mov_b64 s[8:9], 0
.LBB95_1540:
	s_andn2_b64 vcc, exec, s[8:9]
	s_cbranch_vccnz .LBB95_1556
; %bb.1541:
	s_sext_i32_i16 s12, s22
	s_cmp_lt_i32 s12, 2
	s_mov_b64 s[8:9], -1
	s_cbranch_scc1 .LBB95_1551
; %bb.1542:
	s_cmp_lt_i32 s12, 3
	s_cbranch_scc1 .LBB95_1548
; %bb.1543:
	s_cmp_gt_i32 s12, 3
	s_cbranch_scc0 .LBB95_1545
; %bb.1544:
	s_mov_b64 s[8:9], 0
	s_waitcnt vmcnt(0)
	global_store_dwordx2 v[5:6], v[3:4], off
.LBB95_1545:
	s_andn2_b64 vcc, exec, s[8:9]
	s_cbranch_vccnz .LBB95_1547
; %bb.1546:
	s_waitcnt vmcnt(0)
	global_store_dword v[5:6], v3, off
.LBB95_1547:
	s_mov_b64 s[8:9], 0
.LBB95_1548:
	s_andn2_b64 vcc, exec, s[8:9]
	s_cbranch_vccnz .LBB95_1550
; %bb.1549:
	s_waitcnt vmcnt(0)
	global_store_short v[5:6], v3, off
.LBB95_1550:
	s_mov_b64 s[8:9], 0
.LBB95_1551:
	s_andn2_b64 vcc, exec, s[8:9]
	s_cbranch_vccnz .LBB95_1556
; %bb.1552:
	s_sext_i32_i16 s8, s22
	s_cmp_gt_i32 s8, 0
	s_mov_b64 s[8:9], -1
	s_cbranch_scc0 .LBB95_1554
; %bb.1553:
	s_mov_b64 s[8:9], 0
	s_waitcnt vmcnt(0)
	global_store_byte v[5:6], v3, off
.LBB95_1554:
	s_andn2_b64 vcc, exec, s[8:9]
	s_cbranch_vccnz .LBB95_1556
; %bb.1555:
	s_waitcnt vmcnt(0)
	global_store_byte v[5:6], v3, off
.LBB95_1556:
	s_or_b64 exec, exec, s[0:1]
	s_and_b64 s[12:13], s[10:11], exec
                                        ; implicit-def: $vgpr21
                                        ; implicit-def: $vgpr10
.LBB95_1557:
	s_or_saveexec_b64 s[14:15], s[26:27]
	s_mov_b64 s[0:1], 0
                                        ; implicit-def: $vgpr0_vgpr1
                                        ; implicit-def: $sgpr22
                                        ; implicit-def: $vgpr2_vgpr3
	s_xor_b64 exec, exec, s[14:15]
	s_cbranch_execz .LBB95_3038
; %bb.1558:
	v_cndmask_b32_e64 v0, 0, 1, s[24:25]
	v_cmp_ne_u32_e64 s[0:1], 1, v0
	s_andn2_b64 vcc, exec, s[24:25]
	s_cbranch_vccnz .LBB95_1564
; %bb.1559:
	s_cmp_lg_u32 s33, 0
	s_cbranch_scc0 .LBB95_1565
; %bb.1560:
	s_min_u32 s8, s72, 15
	s_add_i32 s6, s8, 1
	s_and_b32 s9, s6, 30
	s_add_u32 s6, s2, 0xffffffe8
	s_addc_u32 s7, s3, -1
	v_mov_b32_e32 v11, 0
	s_waitcnt vmcnt(0)
	v_mov_b32_e32 v8, 0
	v_mov_b32_e32 v6, 0
	;; [unrolled: 1-line block ×3, first 2 shown]
.LBB95_1561:                            ; =>This Inner Loop Header: Depth=1
	s_load_dwordx4 s[16:19], s[6:7], 0x1c
	s_load_dwordx2 s[10:11], s[6:7], 0x2c
	s_load_dwordx2 s[24:25], s[6:7], 0xec
	s_load_dwordx4 s[20:23], s[6:7], 0xdc
	s_add_u32 s6, s6, 24
	s_waitcnt lgkmcnt(0)
	v_mul_hi_u32 v1, s17, v0
	s_addc_u32 s7, s7, 0
	s_add_i32 s9, s9, -2
	s_cmp_lg_u32 s9, 0
	v_add_u32_e32 v1, v0, v1
	v_lshrrev_b32_e32 v1, s18, v1
	v_mul_lo_u32 v2, v1, s16
	v_mul_hi_u32 v3, s10, v1
	v_sub_u32_e32 v2, v0, v2
	v_add_u32_e32 v0, v1, v3
	v_lshrrev_b32_e32 v0, s11, v0
	v_mul_lo_u32 v5, v0, s19
	v_mul_lo_u32 v3, v2, s20
	;; [unrolled: 1-line block ×4, first 2 shown]
	v_sub_u32_e32 v1, v1, v5
	v_mul_lo_u32 v5, v1, s23
	v_mul_lo_u32 v7, v1, s24
	;; [unrolled: 1-line block ×3, first 2 shown]
	v_add3_u32 v6, v3, v6, v5
	v_add3_u32 v8, v4, v8, v7
	v_add3_u32 v11, v2, v11, v1
	s_cbranch_scc1 .LBB95_1561
; %bb.1562:
	s_bitcmp1_b32 s8, 0
	s_cselect_b64 s[8:9], -1, 0
	s_and_b64 vcc, exec, s[8:9]
	s_cbranch_vccnz .LBB95_1566
; %bb.1563:
	s_load_dwordx2 s[8:9], s[6:7], 0x1c
	s_load_dword s16, s[6:7], 0x24
	s_load_dwordx2 s[10:11], s[6:7], 0xdc
	s_waitcnt lgkmcnt(0)
	v_mul_hi_u32 v1, s9, v0
	v_add_u32_e32 v1, v0, v1
	v_lshrrev_b32_e32 v1, s16, v1
	v_mul_lo_u32 v1, v1, s8
	s_load_dword s8, s[6:7], 0xe4
	v_sub_u32_e32 v0, v0, v1
	v_mad_u64_u32 v[6:7], s[6:7], v0, s10, v[6:7]
	v_mad_u64_u32 v[8:9], s[6:7], v0, s11, v[8:9]
	s_waitcnt lgkmcnt(0)
	v_mad_u64_u32 v[11:12], s[6:7], v0, s8, v[11:12]
	s_cbranch_execz .LBB95_1567
	s_branch .LBB95_1569
.LBB95_1564:
                                        ; implicit-def: $vgpr6
                                        ; implicit-def: $vgpr8
                                        ; implicit-def: $vgpr11
	s_branch .LBB95_1567
.LBB95_1565:
	s_waitcnt vmcnt(0)
	v_mov_b32_e32 v6, 0
	v_mov_b32_e32 v8, 0
	;; [unrolled: 1-line block ×3, first 2 shown]
.LBB95_1566:
	s_cbranch_execnz .LBB95_1569
.LBB95_1567:
	s_load_dwordx4 s[8:11], s[2:3], 0x4
	s_load_dwordx4 s[16:19], s[2:3], 0xc4
	s_cmp_lt_u32 s33, 2
	s_waitcnt lgkmcnt(0)
	v_mul_hi_u32 v0, s9, v10
	v_add_u32_e32 v0, v10, v0
	v_lshrrev_b32_e32 v0, s10, v0
	s_waitcnt vmcnt(0)
	v_mul_lo_u32 v1, v0, s8
	v_sub_u32_e32 v1, v10, v1
	v_mul_lo_u32 v6, v1, s16
	v_mul_lo_u32 v8, v1, s17
	;; [unrolled: 1-line block ×3, first 2 shown]
	s_cbranch_scc1 .LBB95_1569
; %bb.1568:
	s_load_dwordx4 s[8:11], s[2:3], 0x10
	s_load_dwordx4 s[16:19], s[2:3], 0xd0
	s_waitcnt lgkmcnt(0)
	v_mul_hi_u32 v1, s9, v0
	v_add_u32_e32 v1, v0, v1
	v_lshrrev_b32_e32 v1, s10, v1
	v_mul_lo_u32 v1, v1, s8
	v_sub_u32_e32 v0, v0, v1
	v_mad_u64_u32 v[6:7], s[6:7], v0, s16, v[6:7]
	v_mad_u64_u32 v[8:9], s[6:7], v0, s17, v[8:9]
	;; [unrolled: 1-line block ×3, first 2 shown]
.LBB95_1569:
	s_and_b64 vcc, exec, s[0:1]
	v_add_u32_e32 v0, 0x80, v10
	s_cbranch_vccnz .LBB95_1575
; %bb.1570:
	s_cmp_lg_u32 s33, 0
	s_cbranch_scc0 .LBB95_1576
; %bb.1571:
	s_min_u32 s8, s72, 15
	s_add_i32 s6, s8, 1
	s_and_b32 s9, s6, 30
	s_add_u32 s6, s2, 0xffffffe8
	s_addc_u32 s7, s3, -1
	v_mov_b32_e32 v16, 0
	v_mov_b32_e32 v12, 0
	;; [unrolled: 1-line block ×3, first 2 shown]
	s_waitcnt vmcnt(0)
	v_mov_b32_e32 v1, v0
.LBB95_1572:                            ; =>This Inner Loop Header: Depth=1
	s_load_dwordx4 s[16:19], s[6:7], 0x1c
	s_load_dwordx2 s[10:11], s[6:7], 0x2c
	s_load_dwordx2 s[24:25], s[6:7], 0xec
	s_load_dwordx4 s[20:23], s[6:7], 0xdc
	s_add_u32 s6, s6, 24
	s_waitcnt lgkmcnt(0)
	v_mul_hi_u32 v2, s17, v1
	s_addc_u32 s7, s7, 0
	s_add_i32 s9, s9, -2
	s_cmp_lg_u32 s9, 0
	v_add_u32_e32 v2, v1, v2
	v_lshrrev_b32_e32 v2, s18, v2
	v_mul_lo_u32 v3, v2, s16
	v_mul_hi_u32 v5, s10, v2
	v_sub_u32_e32 v3, v1, v3
	v_add_u32_e32 v1, v2, v5
	v_lshrrev_b32_e32 v1, s11, v1
	v_mul_lo_u32 v9, v1, s19
	v_mul_lo_u32 v5, v3, s20
	;; [unrolled: 1-line block ×4, first 2 shown]
	v_sub_u32_e32 v2, v2, v9
	v_mul_lo_u32 v9, v2, s23
	v_mul_lo_u32 v13, v2, s24
	;; [unrolled: 1-line block ×3, first 2 shown]
	v_add3_u32 v4, v5, v4, v9
	v_add3_u32 v12, v7, v12, v13
	;; [unrolled: 1-line block ×3, first 2 shown]
	s_cbranch_scc1 .LBB95_1572
; %bb.1573:
	s_bitcmp1_b32 s8, 0
	s_cselect_b64 s[8:9], -1, 0
	s_and_b64 vcc, exec, s[8:9]
	s_cbranch_vccnz .LBB95_1577
; %bb.1574:
	s_load_dwordx2 s[8:9], s[6:7], 0x1c
	s_load_dword s16, s[6:7], 0x24
	s_load_dwordx2 s[10:11], s[6:7], 0xdc
	s_waitcnt lgkmcnt(0)
	v_mul_hi_u32 v2, s9, v1
	v_add_u32_e32 v2, v1, v2
	v_lshrrev_b32_e32 v2, s16, v2
	v_mul_lo_u32 v2, v2, s8
	s_load_dword s8, s[6:7], 0xe4
	v_sub_u32_e32 v1, v1, v2
	v_mad_u64_u32 v[4:5], s[6:7], v1, s10, v[4:5]
	v_mad_u64_u32 v[12:13], s[6:7], v1, s11, v[12:13]
	s_waitcnt lgkmcnt(0)
	v_mad_u64_u32 v[16:17], s[6:7], v1, s8, v[16:17]
	s_cbranch_execz .LBB95_1578
	s_branch .LBB95_1580
.LBB95_1575:
                                        ; implicit-def: $vgpr4
                                        ; implicit-def: $vgpr12
                                        ; implicit-def: $vgpr16
	s_branch .LBB95_1578
.LBB95_1576:
	v_mov_b32_e32 v4, 0
	v_mov_b32_e32 v12, 0
	;; [unrolled: 1-line block ×3, first 2 shown]
.LBB95_1577:
	s_cbranch_execnz .LBB95_1580
.LBB95_1578:
	s_load_dwordx4 s[8:11], s[2:3], 0x4
	s_load_dwordx4 s[16:19], s[2:3], 0xc4
	s_cmp_lt_u32 s33, 2
	s_waitcnt vmcnt(0) lgkmcnt(0)
	v_mul_hi_u32 v1, s9, v0
	v_add_u32_e32 v1, v0, v1
	v_lshrrev_b32_e32 v1, s10, v1
	v_mul_lo_u32 v2, v1, s8
	v_sub_u32_e32 v0, v0, v2
	v_mul_lo_u32 v4, v0, s16
	v_mul_lo_u32 v12, v0, s17
	;; [unrolled: 1-line block ×3, first 2 shown]
	s_cbranch_scc1 .LBB95_1580
; %bb.1579:
	s_load_dwordx4 s[8:11], s[2:3], 0x10
	s_load_dwordx4 s[16:19], s[2:3], 0xd0
	s_waitcnt lgkmcnt(0)
	v_mul_hi_u32 v0, s9, v1
	v_add_u32_e32 v0, v1, v0
	v_lshrrev_b32_e32 v0, s10, v0
	v_mul_lo_u32 v0, v0, s8
	v_sub_u32_e32 v0, v1, v0
	v_mad_u64_u32 v[4:5], s[6:7], v0, s16, v[4:5]
	v_mad_u64_u32 v[12:13], s[6:7], v0, s17, v[12:13]
	;; [unrolled: 1-line block ×3, first 2 shown]
.LBB95_1580:
	s_and_b64 vcc, exec, s[0:1]
	v_add_u32_e32 v0, 0x100, v10
	s_cbranch_vccnz .LBB95_1586
; %bb.1581:
	s_cmp_lg_u32 s33, 0
	s_cbranch_scc0 .LBB95_1587
; %bb.1582:
	s_min_u32 s8, s72, 15
	s_add_i32 s6, s8, 1
	s_and_b32 s9, s6, 30
	s_add_u32 s6, s2, 0xffffffe8
	s_addc_u32 s7, s3, -1
	v_mov_b32_e32 v19, 0
	v_mov_b32_e32 v17, 0
	s_waitcnt vmcnt(0)
	v_mov_b32_e32 v2, 0
	v_mov_b32_e32 v1, v0
.LBB95_1583:                            ; =>This Inner Loop Header: Depth=1
	s_load_dwordx4 s[16:19], s[6:7], 0x1c
	s_load_dwordx2 s[10:11], s[6:7], 0x2c
	s_load_dwordx2 s[24:25], s[6:7], 0xec
	s_load_dwordx4 s[20:23], s[6:7], 0xdc
	s_add_u32 s6, s6, 24
	s_waitcnt lgkmcnt(0)
	v_mul_hi_u32 v3, s17, v1
	s_addc_u32 s7, s7, 0
	s_add_i32 s9, s9, -2
	s_cmp_lg_u32 s9, 0
	v_add_u32_e32 v3, v1, v3
	v_lshrrev_b32_e32 v3, s18, v3
	v_mul_lo_u32 v5, v3, s16
	v_mul_hi_u32 v7, s10, v3
	v_sub_u32_e32 v5, v1, v5
	v_add_u32_e32 v1, v3, v7
	v_lshrrev_b32_e32 v1, s11, v1
	v_mul_lo_u32 v10, v1, s19
	v_mul_lo_u32 v7, v5, s20
	;; [unrolled: 1-line block ×4, first 2 shown]
	v_sub_u32_e32 v3, v3, v10
	v_mul_lo_u32 v10, v3, s23
	v_mul_lo_u32 v13, v3, s24
	;; [unrolled: 1-line block ×3, first 2 shown]
	v_add3_u32 v2, v7, v2, v10
	v_add3_u32 v17, v9, v17, v13
	;; [unrolled: 1-line block ×3, first 2 shown]
	s_cbranch_scc1 .LBB95_1583
; %bb.1584:
	s_bitcmp1_b32 s8, 0
	s_cselect_b64 s[8:9], -1, 0
	s_and_b64 vcc, exec, s[8:9]
	s_cbranch_vccnz .LBB95_1588
; %bb.1585:
	s_load_dwordx2 s[8:9], s[6:7], 0x1c
	s_load_dword s16, s[6:7], 0x24
	s_load_dwordx2 s[10:11], s[6:7], 0xdc
	s_waitcnt lgkmcnt(0)
	v_mul_hi_u32 v3, s9, v1
	v_add_u32_e32 v3, v1, v3
	v_lshrrev_b32_e32 v3, s16, v3
	v_mul_lo_u32 v3, v3, s8
	s_load_dword s8, s[6:7], 0xe4
	v_sub_u32_e32 v1, v1, v3
	v_mad_u64_u32 v[2:3], s[6:7], v1, s10, v[2:3]
	v_mad_u64_u32 v[17:18], s[6:7], v1, s11, v[17:18]
	s_waitcnt lgkmcnt(0)
	v_mad_u64_u32 v[19:20], s[6:7], v1, s8, v[19:20]
	s_cbranch_execz .LBB95_1589
	s_branch .LBB95_1591
.LBB95_1586:
                                        ; implicit-def: $vgpr2
                                        ; implicit-def: $vgpr17
                                        ; implicit-def: $vgpr19
	s_branch .LBB95_1589
.LBB95_1587:
	s_waitcnt vmcnt(0)
	v_mov_b32_e32 v2, 0
	v_mov_b32_e32 v17, 0
	;; [unrolled: 1-line block ×3, first 2 shown]
.LBB95_1588:
	s_cbranch_execnz .LBB95_1591
.LBB95_1589:
	s_load_dwordx4 s[8:11], s[2:3], 0x4
	s_load_dwordx4 s[16:19], s[2:3], 0xc4
	s_cmp_lt_u32 s33, 2
	s_waitcnt vmcnt(0) lgkmcnt(0)
	v_mul_hi_u32 v1, s9, v0
	v_add_u32_e32 v1, v0, v1
	v_lshrrev_b32_e32 v1, s10, v1
	v_mul_lo_u32 v2, v1, s8
	v_sub_u32_e32 v0, v0, v2
	v_mul_lo_u32 v2, v0, s16
	v_mul_lo_u32 v17, v0, s17
	;; [unrolled: 1-line block ×3, first 2 shown]
	s_cbranch_scc1 .LBB95_1591
; %bb.1590:
	s_load_dwordx4 s[8:11], s[2:3], 0x10
	s_load_dwordx4 s[16:19], s[2:3], 0xd0
	s_waitcnt lgkmcnt(0)
	v_mul_hi_u32 v0, s9, v1
	v_add_u32_e32 v0, v1, v0
	v_lshrrev_b32_e32 v0, s10, v0
	v_mul_lo_u32 v0, v0, s8
	v_sub_u32_e32 v0, v1, v0
	v_mad_u64_u32 v[2:3], s[6:7], v0, s16, v[2:3]
	v_mad_u64_u32 v[17:18], s[6:7], v0, s17, v[17:18]
	;; [unrolled: 1-line block ×3, first 2 shown]
.LBB95_1591:
	s_and_b64 vcc, exec, s[0:1]
	s_cbranch_vccnz .LBB95_1597
; %bb.1592:
	s_cmp_lg_u32 s33, 0
	s_cbranch_scc0 .LBB95_1598
; %bb.1593:
	s_min_u32 s6, s72, 15
	s_add_i32 s0, s6, 1
	s_and_b32 s7, s0, 30
	s_add_u32 s0, s2, 0xffffffe8
	s_addc_u32 s1, s3, -1
	v_mov_b32_e32 v9, 0
	v_mov_b32_e32 v14, 0
	;; [unrolled: 1-line block ×3, first 2 shown]
	s_waitcnt vmcnt(0)
	v_mov_b32_e32 v1, v21
.LBB95_1594:                            ; =>This Inner Loop Header: Depth=1
	s_load_dwordx4 s[8:11], s[0:1], 0x1c
	s_load_dwordx2 s[20:21], s[0:1], 0x2c
	s_load_dwordx2 s[22:23], s[0:1], 0xec
	s_load_dwordx4 s[16:19], s[0:1], 0xdc
	s_add_u32 s0, s0, 24
	s_waitcnt lgkmcnt(0)
	v_mul_hi_u32 v3, s9, v1
	s_addc_u32 s1, s1, 0
	s_add_i32 s7, s7, -2
	s_cmp_lg_u32 s7, 0
	v_add_u32_e32 v3, v1, v3
	v_lshrrev_b32_e32 v3, s10, v3
	v_mul_lo_u32 v5, v3, s8
	v_mul_hi_u32 v7, s20, v3
	v_sub_u32_e32 v5, v1, v5
	v_add_u32_e32 v1, v3, v7
	v_lshrrev_b32_e32 v1, s21, v1
	v_mul_lo_u32 v13, v1, s11
	v_mul_lo_u32 v7, v5, s16
	;; [unrolled: 1-line block ×4, first 2 shown]
	v_sub_u32_e32 v3, v3, v13
	v_mul_lo_u32 v13, v3, s19
	v_mul_lo_u32 v15, v3, s22
	;; [unrolled: 1-line block ×3, first 2 shown]
	v_add3_u32 v0, v7, v0, v13
	v_add3_u32 v14, v10, v14, v15
	;; [unrolled: 1-line block ×3, first 2 shown]
	s_cbranch_scc1 .LBB95_1594
; %bb.1595:
	s_bitcmp1_b32 s6, 0
	s_cselect_b64 s[6:7], -1, 0
	s_and_b64 vcc, exec, s[6:7]
	s_cbranch_vccnz .LBB95_1599
; %bb.1596:
	s_load_dwordx2 s[6:7], s[0:1], 0x1c
	s_load_dword s10, s[0:1], 0x24
	s_load_dwordx2 s[8:9], s[0:1], 0xdc
	s_waitcnt lgkmcnt(0)
	v_mul_hi_u32 v3, s7, v1
	v_add_u32_e32 v3, v1, v3
	v_lshrrev_b32_e32 v3, s10, v3
	v_mul_lo_u32 v3, v3, s6
	s_load_dword s6, s[0:1], 0xe4
	v_sub_u32_e32 v3, v1, v3
	v_mad_u64_u32 v[0:1], s[0:1], v3, s8, v[0:1]
	v_mad_u64_u32 v[14:15], s[0:1], v3, s9, v[14:15]
	s_waitcnt lgkmcnt(0)
	v_mad_u64_u32 v[9:10], s[0:1], v3, s6, v[9:10]
	s_cbranch_execz .LBB95_1600
	s_branch .LBB95_1602
.LBB95_1597:
                                        ; implicit-def: $vgpr0
                                        ; implicit-def: $vgpr14
                                        ; implicit-def: $vgpr9
	s_branch .LBB95_1600
.LBB95_1598:
	v_mov_b32_e32 v0, 0
	v_mov_b32_e32 v14, 0
	;; [unrolled: 1-line block ×3, first 2 shown]
.LBB95_1599:
	s_cbranch_execnz .LBB95_1602
.LBB95_1600:
	s_load_dwordx4 s[8:11], s[2:3], 0x4
	s_load_dwordx4 s[16:19], s[2:3], 0xc4
	s_cmp_lt_u32 s33, 2
	s_waitcnt lgkmcnt(0)
	v_mul_hi_u32 v0, s9, v21
	v_add_u32_e32 v0, v21, v0
	s_waitcnt vmcnt(0)
	v_lshrrev_b32_e32 v1, s10, v0
	v_mul_lo_u32 v0, v1, s8
	v_sub_u32_e32 v3, v21, v0
	v_mul_lo_u32 v0, v3, s16
	v_mul_lo_u32 v14, v3, s17
	;; [unrolled: 1-line block ×3, first 2 shown]
	s_cbranch_scc1 .LBB95_1602
; %bb.1601:
	s_load_dwordx4 s[8:11], s[2:3], 0x10
	s_load_dwordx4 s[16:19], s[2:3], 0xd0
	s_waitcnt lgkmcnt(0)
	v_mul_hi_u32 v3, s9, v1
	v_add_u32_e32 v3, v1, v3
	v_lshrrev_b32_e32 v3, s10, v3
	v_mul_lo_u32 v3, v3, s8
	v_sub_u32_e32 v3, v1, v3
	v_mad_u64_u32 v[0:1], s[0:1], v3, s16, v[0:1]
	v_mad_u64_u32 v[14:15], s[0:1], v3, s17, v[14:15]
	;; [unrolled: 1-line block ×3, first 2 shown]
.LBB95_1602:
	s_load_dwordx4 s[8:11], s[2:3], 0x188
	s_load_dword s23, s[4:5], 0x1b8
	s_waitcnt vmcnt(0) lgkmcnt(0)
	v_mov_b32_e32 v1, s11
	s_bfe_u32 s18, s23, 0x80008
	v_add_co_u32_e32 v20, vcc, s10, v8
	s_cmp_lt_i32 s18, 11
	v_addc_co_u32_e32 v21, vcc, 0, v1, vcc
	s_cbranch_scc1 .LBB95_1609
; %bb.1603:
	s_and_b32 s19, 0xffff, s18
	s_cmp_gt_i32 s19, 25
	s_mov_b64 s[4:5], 0
	s_cbranch_scc0 .LBB95_1611
; %bb.1604:
	s_cmp_gt_i32 s19, 28
	s_cbranch_scc0 .LBB95_1612
; %bb.1605:
	s_cmp_gt_i32 s19, 43
	;; [unrolled: 3-line block ×3, first 2 shown]
	s_cbranch_scc0 .LBB95_1614
; %bb.1607:
	s_cmp_eq_u32 s19, 46
	s_mov_b64 s[16:17], 0
	s_cbranch_scc0 .LBB95_1617
; %bb.1608:
	global_load_dword v1, v[20:21], off
	s_mov_b32 s0, 0x2f800000
	s_mov_b32 s1, 0xcf800000
	s_mov_b64 s[6:7], -1
	s_waitcnt vmcnt(0)
	v_lshlrev_b32_e32 v1, 16, v1
	v_trunc_f32_e32 v1, v1
	v_mul_f32_e64 v3, |v1|, s0
	v_floor_f32_e32 v3, v3
	v_fma_f32 v5, v3, s1, |v1|
	v_cvt_u32_f32_e32 v5, v5
	v_cvt_u32_f32_e32 v3, v3
	v_ashrrev_i32_e32 v1, 31, v1
	s_mov_b64 s[0:1], 0
	v_xor_b32_e32 v5, v5, v1
	v_xor_b32_e32 v3, v3, v1
	v_sub_co_u32_e32 v7, vcc, v5, v1
	v_subb_co_u32_e32 v8, vcc, v3, v1, vcc
	s_branch .LBB95_1618
.LBB95_1609:
	s_mov_b64 s[6:7], 0
                                        ; implicit-def: $vgpr7_vgpr8
	s_mov_b64 s[16:17], s[12:13]
	s_cbranch_execnz .LBB95_1676
.LBB95_1610:
	s_andn2_b64 vcc, exec, s[6:7]
	s_cbranch_vccz .LBB95_1721
	s_branch .LBB95_3036
.LBB95_1611:
	s_mov_b64 s[6:7], 0
	s_mov_b64 s[0:1], 0
                                        ; implicit-def: $vgpr7_vgpr8
	s_cbranch_execnz .LBB95_1645
	s_branch .LBB95_1672
.LBB95_1612:
	s_mov_b64 s[6:7], 0
	s_mov_b64 s[0:1], 0
                                        ; implicit-def: $vgpr7_vgpr8
	s_cbranch_execz .LBB95_1644
	s_branch .LBB95_1627
.LBB95_1613:
	s_mov_b64 s[6:7], 0
	s_mov_b64 s[0:1], 0
                                        ; implicit-def: $vgpr7_vgpr8
	s_cbranch_execnz .LBB95_1623
	s_branch .LBB95_1626
.LBB95_1614:
	s_mov_b64 s[16:17], -1
	s_mov_b64 s[6:7], 0
	s_mov_b64 s[0:1], 0
                                        ; implicit-def: $vgpr7_vgpr8
	s_branch .LBB95_1618
.LBB95_1615:
	s_andn2_saveexec_b64 s[16:17], s[16:17]
	s_cbranch_execz .LBB95_1470
.LBB95_1616:
	s_mov_b32 s18, 0x46000000
	v_add_f32_e64 v1, |v0|, s18
	v_and_b32_e32 v1, 0xff, v1
	v_cmp_ne_u32_e32 vcc, 0, v1
	s_andn2_b64 s[14:15], s[14:15], exec
	s_and_b64 s[18:19], vcc, exec
	s_or_b64 s[14:15], s[14:15], s[18:19]
	s_or_b64 exec, exec, s[16:17]
	v_mov_b32_e32 v2, 0
	s_and_saveexec_b64 s[16:17], s[14:15]
	s_cbranch_execnz .LBB95_1471
	s_branch .LBB95_1472
.LBB95_1617:
	s_mov_b64 s[0:1], -1
                                        ; implicit-def: $vgpr7_vgpr8
	s_mov_b64 s[6:7], 0
.LBB95_1618:
	s_and_b64 vcc, exec, s[16:17]
	s_cbranch_vccz .LBB95_1621
; %bb.1619:
	s_cmp_eq_u32 s19, 44
	s_cbranch_scc0 .LBB95_1622
; %bb.1620:
	global_load_ubyte v1, v[20:21], off
	s_mov_b32 s0, 0x2f800000
	s_mov_b32 s1, 0xcf800000
	s_mov_b64 s[6:7], -1
	s_waitcnt vmcnt(0)
	v_lshlrev_b32_e32 v3, 23, v1
	v_trunc_f32_e32 v3, v3
	v_mul_f32_e64 v5, |v3|, s0
	v_floor_f32_e32 v5, v5
	v_fma_f32 v7, v5, s1, |v3|
	v_cvt_u32_f32_e32 v7, v7
	v_cvt_u32_f32_e32 v5, v5
	v_ashrrev_i32_e32 v3, 31, v3
	s_mov_b64 s[0:1], 0
	v_xor_b32_e32 v7, v7, v3
	v_xor_b32_e32 v5, v5, v3
	v_sub_co_u32_e32 v7, vcc, v7, v3
	v_subb_co_u32_e32 v3, vcc, v5, v3, vcc
	v_cmp_ne_u32_e32 vcc, 0, v1
	v_cndmask_b32_e32 v8, 0, v3, vcc
	v_cndmask_b32_e32 v7, 0, v7, vcc
.LBB95_1621:
	s_branch .LBB95_1626
.LBB95_1622:
	s_mov_b64 s[0:1], -1
                                        ; implicit-def: $vgpr7_vgpr8
	s_branch .LBB95_1626
.LBB95_1623:
	s_cmp_eq_u32 s19, 29
	s_cbranch_scc0 .LBB95_1625
; %bb.1624:
	global_load_dwordx2 v[7:8], v[20:21], off
	s_mov_b64 s[0:1], 0
	s_mov_b64 s[6:7], -1
	s_branch .LBB95_1626
.LBB95_1625:
	s_mov_b64 s[0:1], -1
                                        ; implicit-def: $vgpr7_vgpr8
.LBB95_1626:
	s_branch .LBB95_1644
.LBB95_1627:
	s_cmp_lt_i32 s19, 27
	s_cbranch_scc1 .LBB95_1630
; %bb.1628:
	s_cmp_gt_i32 s19, 27
	s_cbranch_scc0 .LBB95_1631
; %bb.1629:
	global_load_dword v7, v[20:21], off
	s_waitcnt vmcnt(1)
	v_mov_b32_e32 v8, 0
	s_mov_b64 s[6:7], 0
	s_branch .LBB95_1632
.LBB95_1630:
	s_mov_b64 s[6:7], -1
                                        ; implicit-def: $vgpr7_vgpr8
	s_branch .LBB95_1635
.LBB95_1631:
	s_mov_b64 s[6:7], -1
                                        ; implicit-def: $vgpr7_vgpr8
.LBB95_1632:
	s_andn2_b64 vcc, exec, s[6:7]
	s_cbranch_vccnz .LBB95_1634
; %bb.1633:
	global_load_ushort v1, v[20:21], off
	s_mov_b32 s6, 0
	s_waitcnt vmcnt(1)
	v_mov_b32_e32 v8, s6
	s_waitcnt vmcnt(0)
	v_and_b32_e32 v7, 0xffff, v1
.LBB95_1634:
	s_mov_b64 s[6:7], 0
.LBB95_1635:
	s_andn2_b64 vcc, exec, s[6:7]
	s_cbranch_vccnz .LBB95_1643
; %bb.1636:
	global_load_ubyte v1, v[20:21], off
	s_movk_i32 s6, 0x7f
	s_mov_b64 s[16:17], 0
	s_waitcnt vmcnt(0)
	v_cmp_lt_i16_e32 vcc, s6, v1
	s_and_saveexec_b64 s[6:7], vcc
	s_xor_b64 s[6:7], exec, s[6:7]
; %bb.1637:
	s_movk_i32 s16, 0x80
	v_cmp_ne_u16_e32 vcc, s16, v1
	s_and_b64 s[16:17], vcc, exec
; %bb.1638:
	s_andn2_saveexec_b64 s[6:7], s[6:7]
; %bb.1639:
	v_cmp_ne_u16_e32 vcc, 0, v1
	s_andn2_b64 s[16:17], s[16:17], exec
	s_and_b64 s[20:21], vcc, exec
	s_or_b64 s[16:17], s[16:17], s[20:21]
; %bb.1640:
	s_or_b64 exec, exec, s[6:7]
	v_mov_b32_e32 v7, 0
	v_mov_b32_e32 v8, 0
	s_and_saveexec_b64 s[6:7], s[16:17]
	s_cbranch_execz .LBB95_1642
; %bb.1641:
	v_lshlrev_b32_e32 v3, 24, v1
	v_and_b32_e32 v1, 0xffff, v1
	v_and_b32_e32 v5, 7, v1
	v_ffbh_u32_e32 v8, v5
	v_min_u32_e32 v8, 32, v8
	v_subrev_u32_e32 v10, 28, v8
	v_bfe_u32 v7, v1, 3, 4
	v_lshlrev_b32_e32 v1, v10, v1
	v_sub_u32_e32 v8, 29, v8
	v_and_b32_e32 v1, 7, v1
	v_cmp_eq_u32_e32 vcc, 0, v7
	v_cndmask_b32_e32 v7, v7, v8, vcc
	v_cndmask_b32_e32 v1, v5, v1, vcc
	v_mov_b32_e32 v5, 0x3b800000
	v_lshlrev_b32_e32 v1, 20, v1
	v_and_b32_e32 v3, 0x80000000, v3
	v_lshl_add_u32 v5, v7, 23, v5
	v_or3_b32 v1, v3, v5, v1
	v_trunc_f32_e32 v1, v1
	s_mov_b32 s16, 0x2f800000
	v_mul_f32_e64 v3, |v1|, s16
	v_floor_f32_e32 v3, v3
	s_mov_b32 s16, 0xcf800000
	v_fma_f32 v5, v3, s16, |v1|
	v_cvt_u32_f32_e32 v5, v5
	v_cvt_u32_f32_e32 v3, v3
	v_ashrrev_i32_e32 v1, 31, v1
	v_xor_b32_e32 v5, v5, v1
	v_xor_b32_e32 v3, v3, v1
	v_sub_co_u32_e32 v7, vcc, v5, v1
	v_subb_co_u32_e32 v8, vcc, v3, v1, vcc
.LBB95_1642:
	s_or_b64 exec, exec, s[6:7]
.LBB95_1643:
	s_mov_b64 s[6:7], -1
.LBB95_1644:
	s_branch .LBB95_1672
.LBB95_1645:
	s_cmp_gt_i32 s19, 22
	s_cbranch_scc0 .LBB95_1655
; %bb.1646:
	s_cmp_lt_i32 s19, 24
	s_cbranch_scc1 .LBB95_1656
; %bb.1647:
	s_cmp_gt_i32 s19, 24
	s_cbranch_scc0 .LBB95_1657
; %bb.1648:
	global_load_ubyte v1, v[20:21], off
	s_movk_i32 s4, 0x7f
	s_mov_b64 s[6:7], 0
	s_waitcnt vmcnt(0)
	v_cmp_lt_i16_e32 vcc, s4, v1
	s_and_saveexec_b64 s[4:5], vcc
	s_xor_b64 s[4:5], exec, s[4:5]
; %bb.1649:
	s_movk_i32 s6, 0x80
	v_cmp_ne_u16_e32 vcc, s6, v1
	s_and_b64 s[6:7], vcc, exec
; %bb.1650:
	s_andn2_saveexec_b64 s[4:5], s[4:5]
; %bb.1651:
	v_cmp_ne_u16_e32 vcc, 0, v1
	s_andn2_b64 s[6:7], s[6:7], exec
	s_and_b64 s[16:17], vcc, exec
	s_or_b64 s[6:7], s[6:7], s[16:17]
; %bb.1652:
	s_or_b64 exec, exec, s[4:5]
	v_mov_b32_e32 v7, 0
	v_mov_b32_e32 v8, 0
	s_and_saveexec_b64 s[4:5], s[6:7]
	s_cbranch_execz .LBB95_1654
; %bb.1653:
	v_lshlrev_b32_e32 v3, 24, v1
	v_and_b32_e32 v1, 0xffff, v1
	v_and_b32_e32 v5, 3, v1
	v_ffbh_u32_e32 v8, v5
	v_min_u32_e32 v8, 32, v8
	v_subrev_u32_e32 v10, 29, v8
	v_bfe_u32 v7, v1, 2, 5
	v_lshlrev_b32_e32 v1, v10, v1
	v_sub_u32_e32 v8, 30, v8
	v_and_b32_e32 v1, 3, v1
	v_cmp_eq_u32_e32 vcc, 0, v7
	v_cndmask_b32_e32 v7, v7, v8, vcc
	v_cndmask_b32_e32 v1, v5, v1, vcc
	v_mov_b32_e32 v5, 0x37800000
	v_lshlrev_b32_e32 v1, 21, v1
	v_and_b32_e32 v3, 0x80000000, v3
	v_lshl_add_u32 v5, v7, 23, v5
	v_or3_b32 v1, v3, v5, v1
	v_trunc_f32_e32 v1, v1
	s_mov_b32 s6, 0x2f800000
	v_mul_f32_e64 v3, |v1|, s6
	v_floor_f32_e32 v3, v3
	s_mov_b32 s6, 0xcf800000
	v_fma_f32 v5, v3, s6, |v1|
	v_cvt_u32_f32_e32 v5, v5
	v_cvt_u32_f32_e32 v3, v3
	v_ashrrev_i32_e32 v1, 31, v1
	v_xor_b32_e32 v5, v5, v1
	v_xor_b32_e32 v3, v3, v1
	v_sub_co_u32_e32 v7, vcc, v5, v1
	v_subb_co_u32_e32 v8, vcc, v3, v1, vcc
.LBB95_1654:
	s_or_b64 exec, exec, s[4:5]
	s_mov_b64 s[4:5], 0
	s_branch .LBB95_1658
.LBB95_1655:
                                        ; implicit-def: $vgpr7_vgpr8
	s_mov_b64 s[4:5], 0
	s_branch .LBB95_1664
.LBB95_1656:
	s_mov_b64 s[4:5], -1
                                        ; implicit-def: $vgpr7_vgpr8
	s_branch .LBB95_1661
.LBB95_1657:
	s_mov_b64 s[4:5], -1
                                        ; implicit-def: $vgpr7_vgpr8
.LBB95_1658:
	s_and_b64 vcc, exec, s[4:5]
	s_cbranch_vccz .LBB95_1660
; %bb.1659:
	global_load_ubyte v1, v[20:21], off
	s_mov_b32 s4, 0x7f800000
	s_brev_b32 s5, 1
	s_mov_b32 s6, 0x2f800000
	s_mov_b32 s7, 0xcf800000
	s_waitcnt vmcnt(0)
	v_lshlrev_b32_e32 v1, 24, v1
	v_and_b32_e32 v3, 0x7f000000, v1
	v_ffbh_u32_e32 v5, v3
	v_min_u32_e32 v5, 32, v5
	v_sub_u32_e64 v5, v5, 4 clamp
	v_lshlrev_b32_e32 v8, v5, v3
	v_lshlrev_b32_e32 v5, 23, v5
	v_lshrrev_b32_e32 v8, 4, v8
	v_add_u32_e32 v7, 0x1000000, v3
	v_sub_u32_e32 v5, v8, v5
	v_ashrrev_i32_e32 v7, 8, v7
	v_add_u32_e32 v5, 0x3c000000, v5
	v_and_or_b32 v5, v7, s4, v5
	v_cmp_ne_u32_e32 vcc, 0, v3
	v_cndmask_b32_e32 v3, 0, v5, vcc
	v_and_or_b32 v1, v1, s5, v3
	v_trunc_f32_e32 v1, v1
	v_mul_f32_e64 v3, |v1|, s6
	v_floor_f32_e32 v3, v3
	v_fma_f32 v5, v3, s7, |v1|
	v_cvt_u32_f32_e32 v5, v5
	v_cvt_u32_f32_e32 v3, v3
	v_ashrrev_i32_e32 v1, 31, v1
	v_xor_b32_e32 v5, v5, v1
	v_xor_b32_e32 v3, v3, v1
	v_sub_co_u32_e32 v7, vcc, v5, v1
	v_subb_co_u32_e32 v8, vcc, v3, v1, vcc
.LBB95_1660:
	s_mov_b64 s[4:5], 0
.LBB95_1661:
	s_andn2_b64 vcc, exec, s[4:5]
	s_cbranch_vccnz .LBB95_1663
; %bb.1662:
	global_load_ubyte v1, v[20:21], off
	s_movk_i32 s4, 0x7f00
	s_brev_b32 s5, 16
	s_brev_b32 s6, 1
	s_mov_b32 s7, 0x2f800000
	s_mov_b32 s16, 0xcf800000
	s_waitcnt vmcnt(0)
	v_lshlrev_b16_e32 v3, 8, v1
	v_lshlrev_b32_e32 v1, 25, v1
	v_lshrrev_b32_e32 v5, 4, v1
	v_and_or_b32 v7, v3, s4, 0.5
	v_or_b32_e32 v5, 0x70000000, v5
	v_add_f32_e32 v7, -0.5, v7
	v_mul_f32_e32 v5, 0x7800000, v5
	v_cmp_gt_u32_e32 vcc, s5, v1
	v_bfe_i32 v3, v3, 0, 16
	v_cndmask_b32_e32 v1, v5, v7, vcc
	v_and_or_b32 v1, v3, s6, v1
	v_trunc_f32_e32 v1, v1
	v_mul_f32_e64 v3, |v1|, s7
	v_floor_f32_e32 v3, v3
	v_fma_f32 v5, v3, s16, |v1|
	v_cvt_u32_f32_e32 v5, v5
	v_cvt_u32_f32_e32 v3, v3
	v_ashrrev_i32_e32 v1, 31, v1
	v_xor_b32_e32 v5, v5, v1
	v_xor_b32_e32 v3, v3, v1
	v_sub_co_u32_e32 v7, vcc, v5, v1
	v_subb_co_u32_e32 v8, vcc, v3, v1, vcc
.LBB95_1663:
	s_mov_b64 s[6:7], -1
	s_mov_b64 s[4:5], 0
	s_cbranch_execnz .LBB95_1672
.LBB95_1664:
	s_cmp_gt_i32 s19, 14
	s_cbranch_scc0 .LBB95_1667
; %bb.1665:
	s_cmp_eq_u32 s19, 15
	s_cbranch_scc0 .LBB95_1668
; %bb.1666:
	global_load_ushort v1, v[20:21], off
	s_mov_b32 s0, 0x2f800000
	s_mov_b32 s1, 0xcf800000
	s_mov_b64 s[6:7], -1
	s_waitcnt vmcnt(0)
	v_lshlrev_b32_e32 v1, 16, v1
	v_trunc_f32_e32 v1, v1
	v_mul_f32_e64 v3, |v1|, s0
	v_floor_f32_e32 v3, v3
	v_fma_f32 v5, v3, s1, |v1|
	v_cvt_u32_f32_e32 v5, v5
	v_cvt_u32_f32_e32 v3, v3
	v_ashrrev_i32_e32 v1, 31, v1
	s_mov_b64 s[0:1], 0
	v_xor_b32_e32 v5, v5, v1
	v_xor_b32_e32 v3, v3, v1
	v_sub_co_u32_e32 v7, vcc, v5, v1
	v_subb_co_u32_e32 v8, vcc, v3, v1, vcc
	s_branch .LBB95_1669
.LBB95_1667:
	s_mov_b64 s[16:17], -1
                                        ; implicit-def: $vgpr7_vgpr8
	s_branch .LBB95_1670
.LBB95_1668:
	s_mov_b64 s[0:1], -1
                                        ; implicit-def: $vgpr7_vgpr8
.LBB95_1669:
	s_mov_b64 s[16:17], 0
.LBB95_1670:
	s_and_b64 vcc, exec, s[16:17]
	s_cbranch_vccz .LBB95_1672
; %bb.1671:
	s_cmp_lg_u32 s19, 11
	s_mov_b64 s[4:5], -1
	s_cselect_b64 s[0:1], -1, 0
.LBB95_1672:
	s_and_b64 vcc, exec, s[0:1]
	s_mov_b64 s[16:17], s[12:13]
	s_cbranch_vccnz .LBB95_1733
; %bb.1673:
	s_andn2_b64 vcc, exec, s[4:5]
	s_cbranch_vccnz .LBB95_1675
.LBB95_1674:
	global_load_ubyte v1, v[20:21], off
	s_mov_b32 s0, 0
	s_waitcnt vmcnt(1)
	v_mov_b32_e32 v8, s0
	s_mov_b64 s[6:7], -1
	s_waitcnt vmcnt(0)
	v_cmp_ne_u16_e32 vcc, 0, v1
	v_cndmask_b32_e64 v7, 0, 1, vcc
.LBB95_1675:
	s_branch .LBB95_1610
.LBB95_1676:
	s_and_b32 s4, 0xffff, s18
	s_cmp_lt_i32 s4, 5
	s_cbranch_scc1 .LBB95_1681
; %bb.1677:
	s_cmp_lt_i32 s4, 8
	s_cbranch_scc1 .LBB95_1682
; %bb.1678:
	;; [unrolled: 3-line block ×3, first 2 shown]
	s_cmp_gt_i32 s4, 9
	s_cbranch_scc0 .LBB95_1684
; %bb.1680:
	global_load_dwordx2 v[7:8], v[20:21], off
	s_movk_i32 s0, 0xffe0
	s_waitcnt vmcnt(0)
	v_trunc_f64_e32 v[7:8], v[7:8]
	v_ldexp_f64 v[22:23], v[7:8], s0
	s_mov_b32 s0, 0
	s_mov_b32 s1, 0xc1f00000
	v_floor_f64_e32 v[22:23], v[22:23]
	v_fma_f64 v[24:25], v[22:23], s[0:1], v[7:8]
	v_cvt_i32_f64_e32 v8, v[22:23]
	s_mov_b64 s[0:1], 0
	v_cvt_u32_f64_e32 v7, v[24:25]
	s_branch .LBB95_1685
.LBB95_1681:
                                        ; implicit-def: $vgpr7_vgpr8
	s_branch .LBB95_1702
.LBB95_1682:
                                        ; implicit-def: $vgpr7_vgpr8
	s_branch .LBB95_1691
.LBB95_1683:
	s_mov_b64 s[0:1], -1
                                        ; implicit-def: $vgpr7_vgpr8
	s_branch .LBB95_1688
.LBB95_1684:
	s_mov_b64 s[0:1], -1
                                        ; implicit-def: $vgpr7_vgpr8
.LBB95_1685:
	s_andn2_b64 vcc, exec, s[0:1]
	s_cbranch_vccnz .LBB95_1687
; %bb.1686:
	global_load_dword v1, v[20:21], off
	s_mov_b32 s0, 0x2f800000
	s_mov_b32 s1, 0xcf800000
	s_waitcnt vmcnt(0)
	v_trunc_f32_e32 v1, v1
	v_mul_f32_e64 v3, |v1|, s0
	v_floor_f32_e32 v3, v3
	v_cvt_u32_f32_e32 v5, v3
	v_fma_f32 v3, v3, s1, |v1|
	v_cvt_u32_f32_e32 v3, v3
	v_ashrrev_i32_e32 v1, 31, v1
	v_xor_b32_e32 v5, v5, v1
	v_xor_b32_e32 v3, v3, v1
	v_sub_co_u32_e32 v7, vcc, v3, v1
	v_subb_co_u32_e32 v8, vcc, v5, v1, vcc
.LBB95_1687:
	s_mov_b64 s[0:1], 0
.LBB95_1688:
	s_andn2_b64 vcc, exec, s[0:1]
	s_cbranch_vccnz .LBB95_1690
; %bb.1689:
	global_load_dword v1, v[20:21], off
	s_waitcnt vmcnt(0)
	v_cvt_f32_f16_e32 v1, v1
	v_cvt_i32_f32_e32 v7, v1
	v_ashrrev_i32_e32 v8, 31, v7
.LBB95_1690:
	s_cbranch_execnz .LBB95_1701
.LBB95_1691:
	s_cmp_lt_i32 s4, 6
	s_cbranch_scc1 .LBB95_1694
; %bb.1692:
	s_cmp_gt_i32 s4, 6
	s_cbranch_scc0 .LBB95_1695
; %bb.1693:
	global_load_dwordx2 v[7:8], v[20:21], off
	s_movk_i32 s0, 0xffe0
	s_waitcnt vmcnt(0)
	v_trunc_f64_e32 v[7:8], v[7:8]
	v_ldexp_f64 v[22:23], v[7:8], s0
	s_mov_b32 s0, 0
	s_mov_b32 s1, 0xc1f00000
	v_floor_f64_e32 v[22:23], v[22:23]
	v_fma_f64 v[24:25], v[22:23], s[0:1], v[7:8]
	v_cvt_i32_f64_e32 v8, v[22:23]
	s_mov_b64 s[0:1], 0
	v_cvt_u32_f64_e32 v7, v[24:25]
	s_branch .LBB95_1696
.LBB95_1694:
	s_mov_b64 s[0:1], -1
                                        ; implicit-def: $vgpr7_vgpr8
	s_branch .LBB95_1699
.LBB95_1695:
	s_mov_b64 s[0:1], -1
                                        ; implicit-def: $vgpr7_vgpr8
.LBB95_1696:
	s_andn2_b64 vcc, exec, s[0:1]
	s_cbranch_vccnz .LBB95_1698
; %bb.1697:
	global_load_dword v1, v[20:21], off
	s_mov_b32 s0, 0x2f800000
	s_mov_b32 s1, 0xcf800000
	s_waitcnt vmcnt(0)
	v_trunc_f32_e32 v1, v1
	v_mul_f32_e64 v3, |v1|, s0
	v_floor_f32_e32 v3, v3
	v_cvt_u32_f32_e32 v5, v3
	v_fma_f32 v3, v3, s1, |v1|
	v_cvt_u32_f32_e32 v3, v3
	v_ashrrev_i32_e32 v1, 31, v1
	v_xor_b32_e32 v5, v5, v1
	v_xor_b32_e32 v3, v3, v1
	v_sub_co_u32_e32 v7, vcc, v3, v1
	v_subb_co_u32_e32 v8, vcc, v5, v1, vcc
.LBB95_1698:
	s_mov_b64 s[0:1], 0
.LBB95_1699:
	s_andn2_b64 vcc, exec, s[0:1]
	s_cbranch_vccnz .LBB95_1701
; %bb.1700:
	global_load_ushort v1, v[20:21], off
	s_waitcnt vmcnt(0)
	v_cvt_f32_f16_e32 v1, v1
	v_cvt_i32_f32_e32 v7, v1
	v_ashrrev_i32_e32 v8, 31, v7
.LBB95_1701:
	s_cbranch_execnz .LBB95_1720
.LBB95_1702:
	s_cmp_lt_i32 s4, 2
	s_cbranch_scc1 .LBB95_1706
; %bb.1703:
	s_cmp_lt_i32 s4, 3
	s_cbranch_scc1 .LBB95_1707
; %bb.1704:
	s_cmp_gt_i32 s4, 3
	s_cbranch_scc0 .LBB95_1708
; %bb.1705:
	global_load_dwordx2 v[7:8], v[20:21], off
	s_mov_b64 s[0:1], 0
	s_branch .LBB95_1709
.LBB95_1706:
                                        ; implicit-def: $vgpr7_vgpr8
	s_branch .LBB95_1715
.LBB95_1707:
	s_mov_b64 s[0:1], -1
                                        ; implicit-def: $vgpr7_vgpr8
	s_branch .LBB95_1712
.LBB95_1708:
	s_mov_b64 s[0:1], -1
                                        ; implicit-def: $vgpr7_vgpr8
.LBB95_1709:
	s_andn2_b64 vcc, exec, s[0:1]
	s_cbranch_vccnz .LBB95_1711
; %bb.1710:
	global_load_dword v7, v[20:21], off
	s_waitcnt vmcnt(0)
	v_ashrrev_i32_e32 v8, 31, v7
.LBB95_1711:
	s_mov_b64 s[0:1], 0
.LBB95_1712:
	s_andn2_b64 vcc, exec, s[0:1]
	s_cbranch_vccnz .LBB95_1714
; %bb.1713:
	global_load_ushort v1, v[20:21], off
	s_waitcnt vmcnt(0)
	v_bfe_i32 v7, v1, 0, 16
	v_ashrrev_i32_e32 v8, 31, v7
.LBB95_1714:
	s_cbranch_execnz .LBB95_1720
.LBB95_1715:
	s_cmp_gt_i32 s4, 0
	s_cbranch_scc0 .LBB95_1717
; %bb.1716:
	global_load_sbyte v1, v[20:21], off
	s_mov_b64 s[0:1], 0
	s_waitcnt vmcnt(0)
	v_bfe_i32 v7, v1, 0, 16
	v_ashrrev_i32_e32 v8, 31, v7
	s_branch .LBB95_1718
.LBB95_1717:
	s_mov_b64 s[0:1], -1
                                        ; implicit-def: $vgpr7_vgpr8
.LBB95_1718:
	s_andn2_b64 vcc, exec, s[0:1]
	s_cbranch_vccnz .LBB95_1720
; %bb.1719:
	global_load_ubyte v1, v[20:21], off
	s_mov_b32 s0, 0
	s_waitcnt vmcnt(1)
	v_mov_b32_e32 v8, s0
	s_waitcnt vmcnt(0)
	v_and_b32_e32 v7, 0xffff, v1
.LBB95_1720:
.LBB95_1721:
	s_load_dwordx2 s[0:1], s[2:3], 0x198
	s_bfe_u32 s22, s23, 0x80010
	s_cmp_lt_i32 s22, 11
	s_waitcnt lgkmcnt(0)
	v_mov_b32_e32 v1, s1
	v_add_co_u32_e32 v20, vcc, s0, v11
	v_addc_co_u32_e32 v21, vcc, 0, v1, vcc
	s_cbranch_scc1 .LBB95_1728
; %bb.1722:
	s_and_b32 s24, 0xffff, s22
	s_cmp_gt_i32 s24, 25
	s_mov_b64 s[6:7], 0
	s_cbranch_scc0 .LBB95_1730
; %bb.1723:
	s_cmp_gt_i32 s24, 28
	s_cbranch_scc0 .LBB95_1731
; %bb.1724:
	s_cmp_gt_i32 s24, 43
	;; [unrolled: 3-line block ×3, first 2 shown]
	s_cbranch_scc0 .LBB95_1734
; %bb.1726:
	s_cmp_eq_u32 s24, 46
	s_mov_b64 s[20:21], 0
	s_cbranch_scc0 .LBB95_1737
; %bb.1727:
	global_load_dword v1, v[20:21], off
	s_mov_b32 s4, 0x2f800000
	s_mov_b32 s5, 0xcf800000
	s_mov_b64 s[18:19], -1
	s_waitcnt vmcnt(0)
	v_lshlrev_b32_e32 v1, 16, v1
	v_trunc_f32_e32 v1, v1
	v_mul_f32_e64 v3, |v1|, s4
	v_floor_f32_e32 v3, v3
	v_fma_f32 v5, v3, s5, |v1|
	v_cvt_u32_f32_e32 v5, v5
	v_cvt_u32_f32_e32 v3, v3
	v_ashrrev_i32_e32 v1, 31, v1
	s_mov_b64 s[4:5], 0
	v_xor_b32_e32 v5, v5, v1
	v_xor_b32_e32 v3, v3, v1
	v_sub_co_u32_e32 v10, vcc, v5, v1
	v_subb_co_u32_e32 v11, vcc, v3, v1, vcc
	s_branch .LBB95_1738
.LBB95_1728:
	s_mov_b64 s[18:19], 0
                                        ; implicit-def: $vgpr10_vgpr11
	s_cbranch_execnz .LBB95_1799
.LBB95_1729:
	s_andn2_b64 vcc, exec, s[18:19]
	s_cbranch_vccnz .LBB95_3036
	s_branch .LBB95_1846
.LBB95_1730:
	s_mov_b64 s[18:19], 0
	s_mov_b64 s[4:5], 0
                                        ; implicit-def: $vgpr10_vgpr11
	s_cbranch_execnz .LBB95_1767
	s_branch .LBB95_1795
.LBB95_1731:
	s_mov_b64 s[20:21], -1
	s_mov_b64 s[18:19], 0
	s_mov_b64 s[4:5], 0
                                        ; implicit-def: $vgpr10_vgpr11
	s_branch .LBB95_1748
.LBB95_1732:
	s_mov_b64 s[20:21], -1
	s_mov_b64 s[18:19], 0
	s_mov_b64 s[4:5], 0
                                        ; implicit-def: $vgpr10_vgpr11
	s_branch .LBB95_1743
.LBB95_1733:
	s_or_b64 s[16:17], s[12:13], exec
	s_trap 2
	s_cbranch_execz .LBB95_1674
	s_branch .LBB95_1675
.LBB95_1734:
	s_mov_b64 s[20:21], -1
	s_mov_b64 s[18:19], 0
	s_mov_b64 s[4:5], 0
                                        ; implicit-def: $vgpr10_vgpr11
	s_branch .LBB95_1738
.LBB95_1735:
	s_andn2_saveexec_b64 s[18:19], s[18:19]
	s_cbranch_execz .LBB95_1482
.LBB95_1736:
	s_mov_b32 s21, 0x42800000
	v_add_f32_e64 v1, |v0|, s21
	v_and_b32_e32 v1, 0xff, v1
	v_cmp_ne_u32_e32 vcc, 0, v1
	s_andn2_b64 s[16:17], s[16:17], exec
	s_and_b64 s[28:29], vcc, exec
	s_or_b64 s[16:17], s[16:17], s[28:29]
	s_or_b64 exec, exec, s[18:19]
	v_mov_b32_e32 v2, 0
	s_and_saveexec_b64 s[18:19], s[16:17]
	s_cbranch_execnz .LBB95_1483
	s_branch .LBB95_1484
.LBB95_1737:
	s_mov_b64 s[4:5], -1
                                        ; implicit-def: $vgpr10_vgpr11
	s_mov_b64 s[18:19], 0
.LBB95_1738:
	s_and_b64 vcc, exec, s[20:21]
	s_cbranch_vccz .LBB95_1742
; %bb.1739:
	s_cmp_eq_u32 s24, 44
	s_cbranch_scc0 .LBB95_1741
; %bb.1740:
	global_load_ubyte v1, v[20:21], off
	s_mov_b32 s4, 0x2f800000
	s_mov_b32 s5, 0xcf800000
	s_mov_b64 s[18:19], -1
	s_waitcnt vmcnt(0)
	v_lshlrev_b32_e32 v3, 23, v1
	v_trunc_f32_e32 v3, v3
	v_mul_f32_e64 v5, |v3|, s4
	v_floor_f32_e32 v5, v5
	v_fma_f32 v10, v5, s5, |v3|
	v_cvt_u32_f32_e32 v10, v10
	v_cvt_u32_f32_e32 v5, v5
	v_ashrrev_i32_e32 v3, 31, v3
	s_mov_b64 s[4:5], 0
	v_xor_b32_e32 v10, v10, v3
	v_xor_b32_e32 v5, v5, v3
	v_sub_co_u32_e32 v10, vcc, v10, v3
	v_subb_co_u32_e32 v3, vcc, v5, v3, vcc
	v_cmp_ne_u32_e32 vcc, 0, v1
	v_cndmask_b32_e32 v11, 0, v3, vcc
	v_cndmask_b32_e32 v10, 0, v10, vcc
	s_branch .LBB95_1742
.LBB95_1741:
	s_mov_b64 s[4:5], -1
                                        ; implicit-def: $vgpr10_vgpr11
.LBB95_1742:
	s_mov_b64 s[20:21], 0
.LBB95_1743:
	s_and_b64 vcc, exec, s[20:21]
	s_cbranch_vccz .LBB95_1747
; %bb.1744:
	s_cmp_eq_u32 s24, 29
	s_cbranch_scc0 .LBB95_1746
; %bb.1745:
	global_load_dwordx2 v[10:11], v[20:21], off
	s_mov_b64 s[4:5], 0
	s_mov_b64 s[18:19], -1
	s_branch .LBB95_1747
.LBB95_1746:
	s_mov_b64 s[4:5], -1
                                        ; implicit-def: $vgpr10_vgpr11
.LBB95_1747:
	s_mov_b64 s[20:21], 0
.LBB95_1748:
	s_and_b64 vcc, exec, s[20:21]
	s_cbranch_vccz .LBB95_1766
; %bb.1749:
	s_cmp_lt_i32 s24, 27
	s_cbranch_scc1 .LBB95_1752
; %bb.1750:
	s_cmp_gt_i32 s24, 27
	s_cbranch_scc0 .LBB95_1753
; %bb.1751:
	global_load_dword v10, v[20:21], off
	s_waitcnt vmcnt(1)
	v_mov_b32_e32 v11, 0
	s_mov_b64 s[18:19], 0
	s_branch .LBB95_1754
.LBB95_1752:
	s_mov_b64 s[18:19], -1
                                        ; implicit-def: $vgpr10_vgpr11
	s_branch .LBB95_1757
.LBB95_1753:
	s_mov_b64 s[18:19], -1
                                        ; implicit-def: $vgpr10_vgpr11
.LBB95_1754:
	s_andn2_b64 vcc, exec, s[18:19]
	s_cbranch_vccnz .LBB95_1756
; %bb.1755:
	global_load_ushort v1, v[20:21], off
	s_mov_b32 s18, 0
	s_waitcnt vmcnt(1)
	v_mov_b32_e32 v11, s18
	s_waitcnt vmcnt(0)
	v_and_b32_e32 v10, 0xffff, v1
.LBB95_1756:
	s_mov_b64 s[18:19], 0
.LBB95_1757:
	s_andn2_b64 vcc, exec, s[18:19]
	s_cbranch_vccnz .LBB95_1765
; %bb.1758:
	global_load_ubyte v1, v[20:21], off
	s_movk_i32 s18, 0x7f
	s_mov_b64 s[20:21], 0
	s_waitcnt vmcnt(0)
	v_cmp_lt_i16_e32 vcc, s18, v1
	s_and_saveexec_b64 s[18:19], vcc
	s_xor_b64 s[18:19], exec, s[18:19]
; %bb.1759:
	s_movk_i32 s20, 0x80
	v_cmp_ne_u16_e32 vcc, s20, v1
	s_and_b64 s[20:21], vcc, exec
; %bb.1760:
	s_andn2_saveexec_b64 s[18:19], s[18:19]
; %bb.1761:
	v_cmp_ne_u16_e32 vcc, 0, v1
	s_andn2_b64 s[20:21], s[20:21], exec
	s_and_b64 s[26:27], vcc, exec
	s_or_b64 s[20:21], s[20:21], s[26:27]
; %bb.1762:
	s_or_b64 exec, exec, s[18:19]
	v_mov_b32_e32 v10, 0
	v_mov_b32_e32 v11, 0
	s_and_saveexec_b64 s[18:19], s[20:21]
	s_cbranch_execz .LBB95_1764
; %bb.1763:
	v_lshlrev_b32_e32 v3, 24, v1
	v_and_b32_e32 v1, 0xffff, v1
	v_and_b32_e32 v5, 7, v1
	v_ffbh_u32_e32 v11, v5
	v_min_u32_e32 v11, 32, v11
	v_subrev_u32_e32 v13, 28, v11
	v_bfe_u32 v10, v1, 3, 4
	v_lshlrev_b32_e32 v1, v13, v1
	v_sub_u32_e32 v11, 29, v11
	v_and_b32_e32 v1, 7, v1
	v_cmp_eq_u32_e32 vcc, 0, v10
	v_cndmask_b32_e32 v10, v10, v11, vcc
	v_cndmask_b32_e32 v1, v5, v1, vcc
	v_mov_b32_e32 v5, 0x3b800000
	v_lshlrev_b32_e32 v1, 20, v1
	v_and_b32_e32 v3, 0x80000000, v3
	v_lshl_add_u32 v5, v10, 23, v5
	v_or3_b32 v1, v3, v5, v1
	v_trunc_f32_e32 v1, v1
	s_mov_b32 s20, 0x2f800000
	v_mul_f32_e64 v3, |v1|, s20
	v_floor_f32_e32 v3, v3
	s_mov_b32 s20, 0xcf800000
	v_fma_f32 v5, v3, s20, |v1|
	v_cvt_u32_f32_e32 v5, v5
	v_cvt_u32_f32_e32 v3, v3
	v_ashrrev_i32_e32 v1, 31, v1
	v_xor_b32_e32 v5, v5, v1
	v_xor_b32_e32 v3, v3, v1
	v_sub_co_u32_e32 v10, vcc, v5, v1
	v_subb_co_u32_e32 v11, vcc, v3, v1, vcc
.LBB95_1764:
	s_or_b64 exec, exec, s[18:19]
.LBB95_1765:
	s_mov_b64 s[18:19], -1
.LBB95_1766:
	s_branch .LBB95_1795
.LBB95_1767:
	s_cmp_gt_i32 s24, 22
	s_cbranch_scc0 .LBB95_1777
; %bb.1768:
	s_cmp_lt_i32 s24, 24
	s_cbranch_scc1 .LBB95_1778
; %bb.1769:
	s_cmp_gt_i32 s24, 24
	s_cbranch_scc0 .LBB95_1779
; %bb.1770:
	global_load_ubyte v1, v[20:21], off
	s_movk_i32 s6, 0x7f
	s_mov_b64 s[18:19], 0
	s_waitcnt vmcnt(0)
	v_cmp_lt_i16_e32 vcc, s6, v1
	s_and_saveexec_b64 s[6:7], vcc
	s_xor_b64 s[6:7], exec, s[6:7]
; %bb.1771:
	s_movk_i32 s18, 0x80
	v_cmp_ne_u16_e32 vcc, s18, v1
	s_and_b64 s[18:19], vcc, exec
; %bb.1772:
	s_andn2_saveexec_b64 s[6:7], s[6:7]
; %bb.1773:
	v_cmp_ne_u16_e32 vcc, 0, v1
	s_andn2_b64 s[18:19], s[18:19], exec
	s_and_b64 s[20:21], vcc, exec
	s_or_b64 s[18:19], s[18:19], s[20:21]
; %bb.1774:
	s_or_b64 exec, exec, s[6:7]
	v_mov_b32_e32 v10, 0
	v_mov_b32_e32 v11, 0
	s_and_saveexec_b64 s[6:7], s[18:19]
	s_cbranch_execz .LBB95_1776
; %bb.1775:
	v_lshlrev_b32_e32 v3, 24, v1
	v_and_b32_e32 v1, 0xffff, v1
	v_and_b32_e32 v5, 3, v1
	v_ffbh_u32_e32 v11, v5
	v_min_u32_e32 v11, 32, v11
	v_subrev_u32_e32 v13, 29, v11
	v_bfe_u32 v10, v1, 2, 5
	v_lshlrev_b32_e32 v1, v13, v1
	v_sub_u32_e32 v11, 30, v11
	v_and_b32_e32 v1, 3, v1
	v_cmp_eq_u32_e32 vcc, 0, v10
	v_cndmask_b32_e32 v10, v10, v11, vcc
	v_cndmask_b32_e32 v1, v5, v1, vcc
	v_mov_b32_e32 v5, 0x37800000
	v_lshlrev_b32_e32 v1, 21, v1
	v_and_b32_e32 v3, 0x80000000, v3
	v_lshl_add_u32 v5, v10, 23, v5
	v_or3_b32 v1, v3, v5, v1
	v_trunc_f32_e32 v1, v1
	s_mov_b32 s18, 0x2f800000
	v_mul_f32_e64 v3, |v1|, s18
	v_floor_f32_e32 v3, v3
	s_mov_b32 s18, 0xcf800000
	v_fma_f32 v5, v3, s18, |v1|
	v_cvt_u32_f32_e32 v5, v5
	v_cvt_u32_f32_e32 v3, v3
	v_ashrrev_i32_e32 v1, 31, v1
	v_xor_b32_e32 v5, v5, v1
	v_xor_b32_e32 v3, v3, v1
	v_sub_co_u32_e32 v10, vcc, v5, v1
	v_subb_co_u32_e32 v11, vcc, v3, v1, vcc
.LBB95_1776:
	s_or_b64 exec, exec, s[6:7]
	s_mov_b64 s[6:7], 0
	s_branch .LBB95_1780
.LBB95_1777:
	s_mov_b64 s[6:7], -1
                                        ; implicit-def: $vgpr10_vgpr11
	s_branch .LBB95_1786
.LBB95_1778:
	s_mov_b64 s[6:7], -1
                                        ; implicit-def: $vgpr10_vgpr11
	s_branch .LBB95_1783
.LBB95_1779:
	s_mov_b64 s[6:7], -1
                                        ; implicit-def: $vgpr10_vgpr11
.LBB95_1780:
	s_and_b64 vcc, exec, s[6:7]
	s_cbranch_vccz .LBB95_1782
; %bb.1781:
	global_load_ubyte v1, v[20:21], off
	s_mov_b32 s6, 0x7f800000
	s_brev_b32 s7, 1
	s_mov_b32 s18, 0x2f800000
	s_mov_b32 s19, 0xcf800000
	s_waitcnt vmcnt(0)
	v_lshlrev_b32_e32 v1, 24, v1
	v_and_b32_e32 v3, 0x7f000000, v1
	v_ffbh_u32_e32 v5, v3
	v_min_u32_e32 v5, 32, v5
	v_sub_u32_e64 v5, v5, 4 clamp
	v_lshlrev_b32_e32 v11, v5, v3
	v_lshlrev_b32_e32 v5, 23, v5
	v_lshrrev_b32_e32 v11, 4, v11
	v_add_u32_e32 v10, 0x1000000, v3
	v_sub_u32_e32 v5, v11, v5
	v_ashrrev_i32_e32 v10, 8, v10
	v_add_u32_e32 v5, 0x3c000000, v5
	v_and_or_b32 v5, v10, s6, v5
	v_cmp_ne_u32_e32 vcc, 0, v3
	v_cndmask_b32_e32 v3, 0, v5, vcc
	v_and_or_b32 v1, v1, s7, v3
	v_trunc_f32_e32 v1, v1
	v_mul_f32_e64 v3, |v1|, s18
	v_floor_f32_e32 v3, v3
	v_fma_f32 v5, v3, s19, |v1|
	v_cvt_u32_f32_e32 v5, v5
	v_cvt_u32_f32_e32 v3, v3
	v_ashrrev_i32_e32 v1, 31, v1
	v_xor_b32_e32 v5, v5, v1
	v_xor_b32_e32 v3, v3, v1
	v_sub_co_u32_e32 v10, vcc, v5, v1
	v_subb_co_u32_e32 v11, vcc, v3, v1, vcc
.LBB95_1782:
	s_mov_b64 s[6:7], 0
.LBB95_1783:
	s_andn2_b64 vcc, exec, s[6:7]
	s_cbranch_vccnz .LBB95_1785
; %bb.1784:
	global_load_ubyte v1, v[20:21], off
	s_movk_i32 s6, 0x7f00
	s_brev_b32 s7, 16
	s_brev_b32 s18, 1
	s_mov_b32 s19, 0x2f800000
	s_mov_b32 s20, 0xcf800000
	s_waitcnt vmcnt(0)
	v_lshlrev_b16_e32 v3, 8, v1
	v_lshlrev_b32_e32 v1, 25, v1
	v_lshrrev_b32_e32 v5, 4, v1
	v_and_or_b32 v10, v3, s6, 0.5
	v_or_b32_e32 v5, 0x70000000, v5
	v_add_f32_e32 v10, -0.5, v10
	v_mul_f32_e32 v5, 0x7800000, v5
	v_cmp_gt_u32_e32 vcc, s7, v1
	v_bfe_i32 v3, v3, 0, 16
	v_cndmask_b32_e32 v1, v5, v10, vcc
	v_and_or_b32 v1, v3, s18, v1
	v_trunc_f32_e32 v1, v1
	v_mul_f32_e64 v3, |v1|, s19
	v_floor_f32_e32 v3, v3
	v_fma_f32 v5, v3, s20, |v1|
	v_cvt_u32_f32_e32 v5, v5
	v_cvt_u32_f32_e32 v3, v3
	v_ashrrev_i32_e32 v1, 31, v1
	v_xor_b32_e32 v5, v5, v1
	v_xor_b32_e32 v3, v3, v1
	v_sub_co_u32_e32 v10, vcc, v5, v1
	v_subb_co_u32_e32 v11, vcc, v3, v1, vcc
.LBB95_1785:
	s_mov_b64 s[6:7], 0
	s_mov_b64 s[18:19], -1
.LBB95_1786:
	s_andn2_b64 vcc, exec, s[6:7]
	s_mov_b64 s[6:7], 0
	s_cbranch_vccnz .LBB95_1795
; %bb.1787:
	s_cmp_gt_i32 s24, 14
	s_cbranch_scc0 .LBB95_1790
; %bb.1788:
	s_cmp_eq_u32 s24, 15
	s_cbranch_scc0 .LBB95_1791
; %bb.1789:
	global_load_ushort v1, v[20:21], off
	s_mov_b32 s4, 0x2f800000
	s_mov_b32 s5, 0xcf800000
	s_mov_b64 s[18:19], -1
	s_waitcnt vmcnt(0)
	v_lshlrev_b32_e32 v1, 16, v1
	v_trunc_f32_e32 v1, v1
	v_mul_f32_e64 v3, |v1|, s4
	v_floor_f32_e32 v3, v3
	v_fma_f32 v5, v3, s5, |v1|
	v_cvt_u32_f32_e32 v5, v5
	v_cvt_u32_f32_e32 v3, v3
	v_ashrrev_i32_e32 v1, 31, v1
	s_mov_b64 s[4:5], 0
	v_xor_b32_e32 v5, v5, v1
	v_xor_b32_e32 v3, v3, v1
	v_sub_co_u32_e32 v10, vcc, v5, v1
	v_subb_co_u32_e32 v11, vcc, v3, v1, vcc
	s_branch .LBB95_1792
.LBB95_1790:
	s_mov_b64 s[20:21], -1
                                        ; implicit-def: $vgpr10_vgpr11
	s_branch .LBB95_1793
.LBB95_1791:
	s_mov_b64 s[4:5], -1
                                        ; implicit-def: $vgpr10_vgpr11
.LBB95_1792:
	s_mov_b64 s[20:21], 0
.LBB95_1793:
	s_and_b64 vcc, exec, s[20:21]
	s_cbranch_vccz .LBB95_1795
; %bb.1794:
	s_cmp_lg_u32 s24, 11
	s_mov_b64 s[6:7], -1
	s_cselect_b64 s[4:5], -1, 0
.LBB95_1795:
	s_and_b64 vcc, exec, s[4:5]
	s_cbranch_vccnz .LBB95_1858
; %bb.1796:
	s_andn2_b64 vcc, exec, s[6:7]
	s_cbranch_vccnz .LBB95_1798
.LBB95_1797:
	global_load_ubyte v1, v[20:21], off
	s_mov_b32 s4, 0
	s_waitcnt vmcnt(1)
	v_mov_b32_e32 v11, s4
	s_mov_b64 s[18:19], -1
	s_waitcnt vmcnt(0)
	v_cmp_ne_u16_e32 vcc, 0, v1
	v_cndmask_b32_e64 v10, 0, 1, vcc
.LBB95_1798:
	s_branch .LBB95_1729
.LBB95_1799:
	s_and_b32 s6, 0xffff, s22
	s_cmp_lt_i32 s6, 5
	s_cbranch_scc1 .LBB95_1804
; %bb.1800:
	s_cmp_lt_i32 s6, 8
	s_cbranch_scc1 .LBB95_1805
; %bb.1801:
	;; [unrolled: 3-line block ×3, first 2 shown]
	s_cmp_gt_i32 s6, 9
	s_cbranch_scc0 .LBB95_1807
; %bb.1803:
	global_load_dwordx2 v[10:11], v[20:21], off
	s_movk_i32 s4, 0xffe0
	s_waitcnt vmcnt(0)
	v_trunc_f64_e32 v[10:11], v[10:11]
	v_ldexp_f64 v[22:23], v[10:11], s4
	s_mov_b32 s4, 0
	s_mov_b32 s5, 0xc1f00000
	v_floor_f64_e32 v[22:23], v[22:23]
	v_fma_f64 v[24:25], v[22:23], s[4:5], v[10:11]
	v_cvt_i32_f64_e32 v11, v[22:23]
	s_mov_b64 s[4:5], 0
	v_cvt_u32_f64_e32 v10, v[24:25]
	s_branch .LBB95_1808
.LBB95_1804:
                                        ; implicit-def: $vgpr10_vgpr11
	s_branch .LBB95_1826
.LBB95_1805:
	s_mov_b64 s[4:5], -1
                                        ; implicit-def: $vgpr10_vgpr11
	s_branch .LBB95_1814
.LBB95_1806:
	s_mov_b64 s[4:5], -1
                                        ; implicit-def: $vgpr10_vgpr11
	s_branch .LBB95_1811
.LBB95_1807:
	s_mov_b64 s[4:5], -1
                                        ; implicit-def: $vgpr10_vgpr11
.LBB95_1808:
	s_andn2_b64 vcc, exec, s[4:5]
	s_cbranch_vccnz .LBB95_1810
; %bb.1809:
	global_load_dword v1, v[20:21], off
	s_mov_b32 s4, 0x2f800000
	s_mov_b32 s5, 0xcf800000
	s_waitcnt vmcnt(0)
	v_trunc_f32_e32 v1, v1
	v_mul_f32_e64 v3, |v1|, s4
	v_floor_f32_e32 v3, v3
	v_cvt_u32_f32_e32 v5, v3
	v_fma_f32 v3, v3, s5, |v1|
	v_cvt_u32_f32_e32 v3, v3
	v_ashrrev_i32_e32 v1, 31, v1
	v_xor_b32_e32 v5, v5, v1
	v_xor_b32_e32 v3, v3, v1
	v_sub_co_u32_e32 v10, vcc, v3, v1
	v_subb_co_u32_e32 v11, vcc, v5, v1, vcc
.LBB95_1810:
	s_mov_b64 s[4:5], 0
.LBB95_1811:
	s_andn2_b64 vcc, exec, s[4:5]
	s_cbranch_vccnz .LBB95_1813
; %bb.1812:
	global_load_dword v1, v[20:21], off
	s_waitcnt vmcnt(0)
	v_cvt_f32_f16_e32 v1, v1
	v_cvt_i32_f32_e32 v10, v1
	v_ashrrev_i32_e32 v11, 31, v10
.LBB95_1813:
	s_mov_b64 s[4:5], 0
.LBB95_1814:
	s_andn2_b64 vcc, exec, s[4:5]
	s_cbranch_vccnz .LBB95_1825
; %bb.1815:
	s_cmp_lt_i32 s6, 6
	s_cbranch_scc1 .LBB95_1818
; %bb.1816:
	s_cmp_gt_i32 s6, 6
	s_cbranch_scc0 .LBB95_1819
; %bb.1817:
	global_load_dwordx2 v[10:11], v[20:21], off
	s_movk_i32 s4, 0xffe0
	s_waitcnt vmcnt(0)
	v_trunc_f64_e32 v[10:11], v[10:11]
	v_ldexp_f64 v[22:23], v[10:11], s4
	s_mov_b32 s4, 0
	s_mov_b32 s5, 0xc1f00000
	v_floor_f64_e32 v[22:23], v[22:23]
	v_fma_f64 v[24:25], v[22:23], s[4:5], v[10:11]
	v_cvt_i32_f64_e32 v11, v[22:23]
	s_mov_b64 s[4:5], 0
	v_cvt_u32_f64_e32 v10, v[24:25]
	s_branch .LBB95_1820
.LBB95_1818:
	s_mov_b64 s[4:5], -1
                                        ; implicit-def: $vgpr10_vgpr11
	s_branch .LBB95_1823
.LBB95_1819:
	s_mov_b64 s[4:5], -1
                                        ; implicit-def: $vgpr10_vgpr11
.LBB95_1820:
	s_andn2_b64 vcc, exec, s[4:5]
	s_cbranch_vccnz .LBB95_1822
; %bb.1821:
	global_load_dword v1, v[20:21], off
	s_mov_b32 s4, 0x2f800000
	s_mov_b32 s5, 0xcf800000
	s_waitcnt vmcnt(0)
	v_trunc_f32_e32 v1, v1
	v_mul_f32_e64 v3, |v1|, s4
	v_floor_f32_e32 v3, v3
	v_cvt_u32_f32_e32 v5, v3
	v_fma_f32 v3, v3, s5, |v1|
	v_cvt_u32_f32_e32 v3, v3
	v_ashrrev_i32_e32 v1, 31, v1
	v_xor_b32_e32 v5, v5, v1
	v_xor_b32_e32 v3, v3, v1
	v_sub_co_u32_e32 v10, vcc, v3, v1
	v_subb_co_u32_e32 v11, vcc, v5, v1, vcc
.LBB95_1822:
	s_mov_b64 s[4:5], 0
.LBB95_1823:
	s_andn2_b64 vcc, exec, s[4:5]
	s_cbranch_vccnz .LBB95_1825
; %bb.1824:
	global_load_ushort v1, v[20:21], off
	s_waitcnt vmcnt(0)
	v_cvt_f32_f16_e32 v1, v1
	v_cvt_i32_f32_e32 v10, v1
	v_ashrrev_i32_e32 v11, 31, v10
.LBB95_1825:
	s_cbranch_execnz .LBB95_1845
.LBB95_1826:
	s_cmp_lt_i32 s6, 2
	s_cbranch_scc1 .LBB95_1830
; %bb.1827:
	s_cmp_lt_i32 s6, 3
	s_cbranch_scc1 .LBB95_1831
; %bb.1828:
	s_cmp_gt_i32 s6, 3
	s_cbranch_scc0 .LBB95_1832
; %bb.1829:
	global_load_dwordx2 v[10:11], v[20:21], off
	s_mov_b64 s[4:5], 0
	s_branch .LBB95_1833
.LBB95_1830:
	s_mov_b64 s[4:5], -1
                                        ; implicit-def: $vgpr10_vgpr11
	s_branch .LBB95_1839
.LBB95_1831:
	s_mov_b64 s[4:5], -1
                                        ; implicit-def: $vgpr10_vgpr11
	s_branch .LBB95_1836
.LBB95_1832:
	s_mov_b64 s[4:5], -1
                                        ; implicit-def: $vgpr10_vgpr11
.LBB95_1833:
	s_andn2_b64 vcc, exec, s[4:5]
	s_cbranch_vccnz .LBB95_1835
; %bb.1834:
	global_load_dword v10, v[20:21], off
	s_waitcnt vmcnt(0)
	v_ashrrev_i32_e32 v11, 31, v10
.LBB95_1835:
	s_mov_b64 s[4:5], 0
.LBB95_1836:
	s_andn2_b64 vcc, exec, s[4:5]
	s_cbranch_vccnz .LBB95_1838
; %bb.1837:
	global_load_ushort v1, v[20:21], off
	s_waitcnt vmcnt(0)
	v_bfe_i32 v10, v1, 0, 16
	v_ashrrev_i32_e32 v11, 31, v10
.LBB95_1838:
	s_mov_b64 s[4:5], 0
.LBB95_1839:
	s_andn2_b64 vcc, exec, s[4:5]
	s_cbranch_vccnz .LBB95_1845
; %bb.1840:
	s_cmp_gt_i32 s6, 0
	s_cbranch_scc0 .LBB95_1842
; %bb.1841:
	global_load_sbyte v1, v[20:21], off
	s_mov_b64 s[4:5], 0
	s_waitcnt vmcnt(0)
	v_bfe_i32 v10, v1, 0, 16
	v_ashrrev_i32_e32 v11, 31, v10
	s_branch .LBB95_1843
.LBB95_1842:
	s_mov_b64 s[4:5], -1
                                        ; implicit-def: $vgpr10_vgpr11
.LBB95_1843:
	s_andn2_b64 vcc, exec, s[4:5]
	s_cbranch_vccnz .LBB95_1845
; %bb.1844:
	global_load_ubyte v1, v[20:21], off
	s_mov_b32 s4, 0
	s_waitcnt vmcnt(1)
	v_mov_b32_e32 v11, s4
	s_waitcnt vmcnt(0)
	v_and_b32_e32 v10, 0xffff, v1
.LBB95_1845:
.LBB95_1846:
	s_lshr_b32 s4, s23, 8
	v_mov_b32_e32 v1, s11
	s_and_b32 s22, s4, 0xff
	v_add_co_u32_e32 v20, vcc, s10, v12
	s_cmp_lt_i32 s22, 11
	v_addc_co_u32_e32 v21, vcc, 0, v1, vcc
	s_cbranch_scc1 .LBB95_1853
; %bb.1847:
	s_and_b32 s24, 0xffff, s22
	s_cmp_gt_i32 s24, 25
	s_mov_b64 s[6:7], 0
	s_cbranch_scc0 .LBB95_1855
; %bb.1848:
	s_cmp_gt_i32 s24, 28
	s_cbranch_scc0 .LBB95_1856
; %bb.1849:
	s_cmp_gt_i32 s24, 43
	;; [unrolled: 3-line block ×3, first 2 shown]
	s_cbranch_scc0 .LBB95_1859
; %bb.1851:
	s_cmp_eq_u32 s24, 46
	s_mov_b64 s[20:21], 0
	s_cbranch_scc0 .LBB95_1860
; %bb.1852:
	global_load_dword v1, v[20:21], off
	s_mov_b32 s4, 0x2f800000
	s_mov_b32 s5, 0xcf800000
	s_mov_b64 s[18:19], -1
	s_waitcnt vmcnt(0)
	v_lshlrev_b32_e32 v1, 16, v1
	v_trunc_f32_e32 v1, v1
	v_mul_f32_e64 v3, |v1|, s4
	v_floor_f32_e32 v3, v3
	v_fma_f32 v5, v3, s5, |v1|
	v_cvt_u32_f32_e32 v5, v5
	v_cvt_u32_f32_e32 v3, v3
	v_ashrrev_i32_e32 v1, 31, v1
	s_mov_b64 s[4:5], 0
	v_xor_b32_e32 v5, v5, v1
	v_xor_b32_e32 v3, v3, v1
	v_sub_co_u32_e32 v12, vcc, v5, v1
	v_subb_co_u32_e32 v13, vcc, v3, v1, vcc
	s_branch .LBB95_1861
.LBB95_1853:
	s_mov_b64 s[18:19], 0
                                        ; implicit-def: $vgpr12_vgpr13
	s_cbranch_execnz .LBB95_1923
.LBB95_1854:
	s_andn2_b64 vcc, exec, s[18:19]
	s_cbranch_vccnz .LBB95_3036
	s_branch .LBB95_1971
.LBB95_1855:
	s_mov_b64 s[20:21], -1
	s_mov_b64 s[18:19], 0
	s_mov_b64 s[4:5], 0
                                        ; implicit-def: $vgpr12_vgpr13
	s_branch .LBB95_1890
.LBB95_1856:
	s_mov_b64 s[20:21], -1
	s_mov_b64 s[18:19], 0
	s_mov_b64 s[4:5], 0
                                        ; implicit-def: $vgpr12_vgpr13
	s_branch .LBB95_1871
.LBB95_1857:
	s_mov_b64 s[20:21], -1
	s_mov_b64 s[18:19], 0
	s_mov_b64 s[4:5], 0
                                        ; implicit-def: $vgpr12_vgpr13
	s_branch .LBB95_1866
.LBB95_1858:
	s_trap 2
	s_or_b64 s[16:17], s[16:17], exec
	s_cbranch_execz .LBB95_1797
	s_branch .LBB95_1798
.LBB95_1859:
	s_mov_b64 s[20:21], -1
	s_mov_b64 s[18:19], 0
	s_mov_b64 s[4:5], 0
                                        ; implicit-def: $vgpr12_vgpr13
	s_branch .LBB95_1861
.LBB95_1860:
	s_mov_b64 s[4:5], -1
                                        ; implicit-def: $vgpr12_vgpr13
	s_mov_b64 s[18:19], 0
.LBB95_1861:
	s_and_b64 vcc, exec, s[20:21]
	s_cbranch_vccz .LBB95_1865
; %bb.1862:
	s_cmp_eq_u32 s24, 44
	s_cbranch_scc0 .LBB95_1864
; %bb.1863:
	global_load_ubyte v1, v[20:21], off
	s_mov_b32 s4, 0x2f800000
	s_mov_b32 s5, 0xcf800000
	s_mov_b64 s[18:19], -1
	s_waitcnt vmcnt(0)
	v_lshlrev_b32_e32 v3, 23, v1
	v_trunc_f32_e32 v3, v3
	v_mul_f32_e64 v5, |v3|, s4
	v_floor_f32_e32 v5, v5
	v_fma_f32 v12, v5, s5, |v3|
	v_cvt_u32_f32_e32 v12, v12
	v_cvt_u32_f32_e32 v5, v5
	v_ashrrev_i32_e32 v3, 31, v3
	s_mov_b64 s[4:5], 0
	v_xor_b32_e32 v12, v12, v3
	v_xor_b32_e32 v5, v5, v3
	v_sub_co_u32_e32 v12, vcc, v12, v3
	v_subb_co_u32_e32 v3, vcc, v5, v3, vcc
	v_cmp_ne_u32_e32 vcc, 0, v1
	v_cndmask_b32_e32 v13, 0, v3, vcc
	v_cndmask_b32_e32 v12, 0, v12, vcc
	s_branch .LBB95_1865
.LBB95_1864:
	s_mov_b64 s[4:5], -1
                                        ; implicit-def: $vgpr12_vgpr13
.LBB95_1865:
	s_mov_b64 s[20:21], 0
.LBB95_1866:
	s_and_b64 vcc, exec, s[20:21]
	s_cbranch_vccz .LBB95_1870
; %bb.1867:
	s_cmp_eq_u32 s24, 29
	s_cbranch_scc0 .LBB95_1869
; %bb.1868:
	global_load_dwordx2 v[12:13], v[20:21], off
	s_mov_b64 s[4:5], 0
	s_mov_b64 s[18:19], -1
	s_branch .LBB95_1870
.LBB95_1869:
	s_mov_b64 s[4:5], -1
                                        ; implicit-def: $vgpr12_vgpr13
.LBB95_1870:
	s_mov_b64 s[20:21], 0
.LBB95_1871:
	s_and_b64 vcc, exec, s[20:21]
	s_cbranch_vccz .LBB95_1889
; %bb.1872:
	s_cmp_lt_i32 s24, 27
	s_cbranch_scc1 .LBB95_1875
; %bb.1873:
	s_cmp_gt_i32 s24, 27
	s_cbranch_scc0 .LBB95_1876
; %bb.1874:
	global_load_dword v12, v[20:21], off
	s_waitcnt vmcnt(1)
	v_mov_b32_e32 v13, 0
	s_mov_b64 s[18:19], 0
	s_branch .LBB95_1877
.LBB95_1875:
	s_mov_b64 s[18:19], -1
                                        ; implicit-def: $vgpr12_vgpr13
	s_branch .LBB95_1880
.LBB95_1876:
	s_mov_b64 s[18:19], -1
                                        ; implicit-def: $vgpr12_vgpr13
.LBB95_1877:
	s_andn2_b64 vcc, exec, s[18:19]
	s_cbranch_vccnz .LBB95_1879
; %bb.1878:
	global_load_ushort v1, v[20:21], off
	s_mov_b32 s18, 0
	s_waitcnt vmcnt(1)
	v_mov_b32_e32 v13, s18
	s_waitcnt vmcnt(0)
	v_and_b32_e32 v12, 0xffff, v1
.LBB95_1879:
	s_mov_b64 s[18:19], 0
.LBB95_1880:
	s_andn2_b64 vcc, exec, s[18:19]
	s_cbranch_vccnz .LBB95_1888
; %bb.1881:
	global_load_ubyte v1, v[20:21], off
	s_movk_i32 s18, 0x7f
	s_mov_b64 s[20:21], 0
	s_waitcnt vmcnt(0)
	v_cmp_lt_i16_e32 vcc, s18, v1
	s_and_saveexec_b64 s[18:19], vcc
	s_xor_b64 s[18:19], exec, s[18:19]
; %bb.1882:
	s_movk_i32 s20, 0x80
	v_cmp_ne_u16_e32 vcc, s20, v1
	s_and_b64 s[20:21], vcc, exec
; %bb.1883:
	s_andn2_saveexec_b64 s[18:19], s[18:19]
; %bb.1884:
	v_cmp_ne_u16_e32 vcc, 0, v1
	s_andn2_b64 s[20:21], s[20:21], exec
	s_and_b64 s[26:27], vcc, exec
	s_or_b64 s[20:21], s[20:21], s[26:27]
; %bb.1885:
	s_or_b64 exec, exec, s[18:19]
	v_mov_b32_e32 v12, 0
	v_mov_b32_e32 v13, 0
	s_and_saveexec_b64 s[18:19], s[20:21]
	s_cbranch_execz .LBB95_1887
; %bb.1886:
	v_lshlrev_b32_e32 v3, 24, v1
	v_and_b32_e32 v1, 0xffff, v1
	v_and_b32_e32 v5, 7, v1
	v_ffbh_u32_e32 v13, v5
	v_min_u32_e32 v13, 32, v13
	v_subrev_u32_e32 v15, 28, v13
	v_bfe_u32 v12, v1, 3, 4
	v_lshlrev_b32_e32 v1, v15, v1
	v_sub_u32_e32 v13, 29, v13
	v_and_b32_e32 v1, 7, v1
	v_cmp_eq_u32_e32 vcc, 0, v12
	v_cndmask_b32_e32 v12, v12, v13, vcc
	v_cndmask_b32_e32 v1, v5, v1, vcc
	v_mov_b32_e32 v5, 0x3b800000
	v_lshlrev_b32_e32 v1, 20, v1
	v_and_b32_e32 v3, 0x80000000, v3
	v_lshl_add_u32 v5, v12, 23, v5
	v_or3_b32 v1, v3, v5, v1
	v_trunc_f32_e32 v1, v1
	s_mov_b32 s20, 0x2f800000
	v_mul_f32_e64 v3, |v1|, s20
	v_floor_f32_e32 v3, v3
	s_mov_b32 s20, 0xcf800000
	v_fma_f32 v5, v3, s20, |v1|
	v_cvt_u32_f32_e32 v5, v5
	v_cvt_u32_f32_e32 v3, v3
	v_ashrrev_i32_e32 v1, 31, v1
	v_xor_b32_e32 v5, v5, v1
	v_xor_b32_e32 v3, v3, v1
	v_sub_co_u32_e32 v12, vcc, v5, v1
	v_subb_co_u32_e32 v13, vcc, v3, v1, vcc
.LBB95_1887:
	s_or_b64 exec, exec, s[18:19]
.LBB95_1888:
	s_mov_b64 s[18:19], -1
.LBB95_1889:
	s_mov_b64 s[20:21], 0
.LBB95_1890:
	s_and_b64 vcc, exec, s[20:21]
	s_cbranch_vccz .LBB95_1919
; %bb.1891:
	s_cmp_gt_i32 s24, 22
	s_cbranch_scc0 .LBB95_1901
; %bb.1892:
	s_cmp_lt_i32 s24, 24
	s_cbranch_scc1 .LBB95_1902
; %bb.1893:
	s_cmp_gt_i32 s24, 24
	s_cbranch_scc0 .LBB95_1903
; %bb.1894:
	global_load_ubyte v1, v[20:21], off
	s_movk_i32 s6, 0x7f
	s_mov_b64 s[18:19], 0
	s_waitcnt vmcnt(0)
	v_cmp_lt_i16_e32 vcc, s6, v1
	s_and_saveexec_b64 s[6:7], vcc
	s_xor_b64 s[6:7], exec, s[6:7]
; %bb.1895:
	s_movk_i32 s18, 0x80
	v_cmp_ne_u16_e32 vcc, s18, v1
	s_and_b64 s[18:19], vcc, exec
; %bb.1896:
	s_andn2_saveexec_b64 s[6:7], s[6:7]
; %bb.1897:
	v_cmp_ne_u16_e32 vcc, 0, v1
	s_andn2_b64 s[18:19], s[18:19], exec
	s_and_b64 s[20:21], vcc, exec
	s_or_b64 s[18:19], s[18:19], s[20:21]
; %bb.1898:
	s_or_b64 exec, exec, s[6:7]
	v_mov_b32_e32 v12, 0
	v_mov_b32_e32 v13, 0
	s_and_saveexec_b64 s[6:7], s[18:19]
	s_cbranch_execz .LBB95_1900
; %bb.1899:
	v_lshlrev_b32_e32 v3, 24, v1
	v_and_b32_e32 v1, 0xffff, v1
	v_and_b32_e32 v5, 3, v1
	v_ffbh_u32_e32 v13, v5
	v_min_u32_e32 v13, 32, v13
	v_subrev_u32_e32 v15, 29, v13
	v_bfe_u32 v12, v1, 2, 5
	v_lshlrev_b32_e32 v1, v15, v1
	v_sub_u32_e32 v13, 30, v13
	v_and_b32_e32 v1, 3, v1
	v_cmp_eq_u32_e32 vcc, 0, v12
	v_cndmask_b32_e32 v12, v12, v13, vcc
	v_cndmask_b32_e32 v1, v5, v1, vcc
	v_mov_b32_e32 v5, 0x37800000
	v_lshlrev_b32_e32 v1, 21, v1
	v_and_b32_e32 v3, 0x80000000, v3
	v_lshl_add_u32 v5, v12, 23, v5
	v_or3_b32 v1, v3, v5, v1
	v_trunc_f32_e32 v1, v1
	s_mov_b32 s18, 0x2f800000
	v_mul_f32_e64 v3, |v1|, s18
	v_floor_f32_e32 v3, v3
	s_mov_b32 s18, 0xcf800000
	v_fma_f32 v5, v3, s18, |v1|
	v_cvt_u32_f32_e32 v5, v5
	v_cvt_u32_f32_e32 v3, v3
	v_ashrrev_i32_e32 v1, 31, v1
	v_xor_b32_e32 v5, v5, v1
	v_xor_b32_e32 v3, v3, v1
	v_sub_co_u32_e32 v12, vcc, v5, v1
	v_subb_co_u32_e32 v13, vcc, v3, v1, vcc
.LBB95_1900:
	s_or_b64 exec, exec, s[6:7]
	s_mov_b64 s[6:7], 0
	s_branch .LBB95_1904
.LBB95_1901:
	s_mov_b64 s[6:7], -1
                                        ; implicit-def: $vgpr12_vgpr13
	s_branch .LBB95_1910
.LBB95_1902:
	s_mov_b64 s[6:7], -1
                                        ; implicit-def: $vgpr12_vgpr13
	s_branch .LBB95_1907
.LBB95_1903:
	s_mov_b64 s[6:7], -1
                                        ; implicit-def: $vgpr12_vgpr13
.LBB95_1904:
	s_and_b64 vcc, exec, s[6:7]
	s_cbranch_vccz .LBB95_1906
; %bb.1905:
	global_load_ubyte v1, v[20:21], off
	s_mov_b32 s6, 0x7f800000
	s_brev_b32 s7, 1
	s_mov_b32 s18, 0x2f800000
	s_mov_b32 s19, 0xcf800000
	s_waitcnt vmcnt(0)
	v_lshlrev_b32_e32 v1, 24, v1
	v_and_b32_e32 v3, 0x7f000000, v1
	v_ffbh_u32_e32 v5, v3
	v_min_u32_e32 v5, 32, v5
	v_sub_u32_e64 v5, v5, 4 clamp
	v_lshlrev_b32_e32 v13, v5, v3
	v_lshlrev_b32_e32 v5, 23, v5
	v_lshrrev_b32_e32 v13, 4, v13
	v_add_u32_e32 v12, 0x1000000, v3
	v_sub_u32_e32 v5, v13, v5
	v_ashrrev_i32_e32 v12, 8, v12
	v_add_u32_e32 v5, 0x3c000000, v5
	v_and_or_b32 v5, v12, s6, v5
	v_cmp_ne_u32_e32 vcc, 0, v3
	v_cndmask_b32_e32 v3, 0, v5, vcc
	v_and_or_b32 v1, v1, s7, v3
	v_trunc_f32_e32 v1, v1
	v_mul_f32_e64 v3, |v1|, s18
	v_floor_f32_e32 v3, v3
	v_fma_f32 v5, v3, s19, |v1|
	v_cvt_u32_f32_e32 v5, v5
	v_cvt_u32_f32_e32 v3, v3
	v_ashrrev_i32_e32 v1, 31, v1
	v_xor_b32_e32 v5, v5, v1
	v_xor_b32_e32 v3, v3, v1
	v_sub_co_u32_e32 v12, vcc, v5, v1
	v_subb_co_u32_e32 v13, vcc, v3, v1, vcc
.LBB95_1906:
	s_mov_b64 s[6:7], 0
.LBB95_1907:
	s_andn2_b64 vcc, exec, s[6:7]
	s_cbranch_vccnz .LBB95_1909
; %bb.1908:
	global_load_ubyte v1, v[20:21], off
	s_movk_i32 s6, 0x7f00
	s_brev_b32 s7, 16
	s_brev_b32 s18, 1
	s_mov_b32 s19, 0x2f800000
	s_mov_b32 s20, 0xcf800000
	s_waitcnt vmcnt(0)
	v_lshlrev_b16_e32 v3, 8, v1
	v_lshlrev_b32_e32 v1, 25, v1
	v_lshrrev_b32_e32 v5, 4, v1
	v_and_or_b32 v12, v3, s6, 0.5
	v_or_b32_e32 v5, 0x70000000, v5
	v_add_f32_e32 v12, -0.5, v12
	v_mul_f32_e32 v5, 0x7800000, v5
	v_cmp_gt_u32_e32 vcc, s7, v1
	v_bfe_i32 v3, v3, 0, 16
	v_cndmask_b32_e32 v1, v5, v12, vcc
	v_and_or_b32 v1, v3, s18, v1
	v_trunc_f32_e32 v1, v1
	v_mul_f32_e64 v3, |v1|, s19
	v_floor_f32_e32 v3, v3
	v_fma_f32 v5, v3, s20, |v1|
	v_cvt_u32_f32_e32 v5, v5
	v_cvt_u32_f32_e32 v3, v3
	v_ashrrev_i32_e32 v1, 31, v1
	v_xor_b32_e32 v5, v5, v1
	v_xor_b32_e32 v3, v3, v1
	v_sub_co_u32_e32 v12, vcc, v5, v1
	v_subb_co_u32_e32 v13, vcc, v3, v1, vcc
.LBB95_1909:
	s_mov_b64 s[6:7], 0
	s_mov_b64 s[18:19], -1
.LBB95_1910:
	s_andn2_b64 vcc, exec, s[6:7]
	s_mov_b64 s[6:7], 0
	s_cbranch_vccnz .LBB95_1919
; %bb.1911:
	s_cmp_gt_i32 s24, 14
	s_cbranch_scc0 .LBB95_1914
; %bb.1912:
	s_cmp_eq_u32 s24, 15
	s_cbranch_scc0 .LBB95_1915
; %bb.1913:
	global_load_ushort v1, v[20:21], off
	s_mov_b32 s4, 0x2f800000
	s_mov_b32 s5, 0xcf800000
	s_mov_b64 s[18:19], -1
	s_waitcnt vmcnt(0)
	v_lshlrev_b32_e32 v1, 16, v1
	v_trunc_f32_e32 v1, v1
	v_mul_f32_e64 v3, |v1|, s4
	v_floor_f32_e32 v3, v3
	v_fma_f32 v5, v3, s5, |v1|
	v_cvt_u32_f32_e32 v5, v5
	v_cvt_u32_f32_e32 v3, v3
	v_ashrrev_i32_e32 v1, 31, v1
	s_mov_b64 s[4:5], 0
	v_xor_b32_e32 v5, v5, v1
	v_xor_b32_e32 v3, v3, v1
	v_sub_co_u32_e32 v12, vcc, v5, v1
	v_subb_co_u32_e32 v13, vcc, v3, v1, vcc
	s_branch .LBB95_1916
.LBB95_1914:
	s_mov_b64 s[20:21], -1
                                        ; implicit-def: $vgpr12_vgpr13
	s_branch .LBB95_1917
.LBB95_1915:
	s_mov_b64 s[4:5], -1
                                        ; implicit-def: $vgpr12_vgpr13
.LBB95_1916:
	s_mov_b64 s[20:21], 0
.LBB95_1917:
	s_and_b64 vcc, exec, s[20:21]
	s_cbranch_vccz .LBB95_1919
; %bb.1918:
	s_cmp_lg_u32 s24, 11
	s_mov_b64 s[6:7], -1
	s_cselect_b64 s[4:5], -1, 0
.LBB95_1919:
	s_and_b64 vcc, exec, s[4:5]
	s_cbranch_vccnz .LBB95_1982
; %bb.1920:
	s_andn2_b64 vcc, exec, s[6:7]
	s_cbranch_vccnz .LBB95_1922
.LBB95_1921:
	global_load_ubyte v1, v[20:21], off
	s_mov_b32 s4, 0
	s_waitcnt vmcnt(1)
	v_mov_b32_e32 v13, s4
	s_mov_b64 s[18:19], -1
	s_waitcnt vmcnt(0)
	v_cmp_ne_u16_e32 vcc, 0, v1
	v_cndmask_b32_e64 v12, 0, 1, vcc
.LBB95_1922:
	s_branch .LBB95_1854
.LBB95_1923:
	s_and_b32 s6, 0xffff, s22
	s_cmp_lt_i32 s6, 5
	s_cbranch_scc1 .LBB95_1928
; %bb.1924:
	s_cmp_lt_i32 s6, 8
	s_cbranch_scc1 .LBB95_1929
; %bb.1925:
	;; [unrolled: 3-line block ×3, first 2 shown]
	s_cmp_gt_i32 s6, 9
	s_cbranch_scc0 .LBB95_1931
; %bb.1927:
	global_load_dwordx2 v[12:13], v[20:21], off
	s_movk_i32 s4, 0xffe0
	s_waitcnt vmcnt(0)
	v_trunc_f64_e32 v[12:13], v[12:13]
	v_ldexp_f64 v[22:23], v[12:13], s4
	s_mov_b32 s4, 0
	s_mov_b32 s5, 0xc1f00000
	v_floor_f64_e32 v[22:23], v[22:23]
	v_fma_f64 v[24:25], v[22:23], s[4:5], v[12:13]
	v_cvt_i32_f64_e32 v13, v[22:23]
	s_mov_b64 s[4:5], 0
	v_cvt_u32_f64_e32 v12, v[24:25]
	s_branch .LBB95_1932
.LBB95_1928:
	s_mov_b64 s[4:5], -1
                                        ; implicit-def: $vgpr12_vgpr13
	s_branch .LBB95_1950
.LBB95_1929:
	s_mov_b64 s[4:5], -1
                                        ; implicit-def: $vgpr12_vgpr13
	s_branch .LBB95_1938
.LBB95_1930:
	s_mov_b64 s[4:5], -1
                                        ; implicit-def: $vgpr12_vgpr13
	s_branch .LBB95_1935
.LBB95_1931:
	s_mov_b64 s[4:5], -1
                                        ; implicit-def: $vgpr12_vgpr13
.LBB95_1932:
	s_andn2_b64 vcc, exec, s[4:5]
	s_cbranch_vccnz .LBB95_1934
; %bb.1933:
	global_load_dword v1, v[20:21], off
	s_mov_b32 s4, 0x2f800000
	s_mov_b32 s5, 0xcf800000
	s_waitcnt vmcnt(0)
	v_trunc_f32_e32 v1, v1
	v_mul_f32_e64 v3, |v1|, s4
	v_floor_f32_e32 v3, v3
	v_cvt_u32_f32_e32 v5, v3
	v_fma_f32 v3, v3, s5, |v1|
	v_cvt_u32_f32_e32 v3, v3
	v_ashrrev_i32_e32 v1, 31, v1
	v_xor_b32_e32 v5, v5, v1
	v_xor_b32_e32 v3, v3, v1
	v_sub_co_u32_e32 v12, vcc, v3, v1
	v_subb_co_u32_e32 v13, vcc, v5, v1, vcc
.LBB95_1934:
	s_mov_b64 s[4:5], 0
.LBB95_1935:
	s_andn2_b64 vcc, exec, s[4:5]
	s_cbranch_vccnz .LBB95_1937
; %bb.1936:
	global_load_dword v1, v[20:21], off
	s_waitcnt vmcnt(0)
	v_cvt_f32_f16_e32 v1, v1
	v_cvt_i32_f32_e32 v12, v1
	v_ashrrev_i32_e32 v13, 31, v12
.LBB95_1937:
	s_mov_b64 s[4:5], 0
.LBB95_1938:
	s_andn2_b64 vcc, exec, s[4:5]
	s_cbranch_vccnz .LBB95_1949
; %bb.1939:
	s_cmp_lt_i32 s6, 6
	s_cbranch_scc1 .LBB95_1942
; %bb.1940:
	s_cmp_gt_i32 s6, 6
	s_cbranch_scc0 .LBB95_1943
; %bb.1941:
	global_load_dwordx2 v[12:13], v[20:21], off
	s_movk_i32 s4, 0xffe0
	s_waitcnt vmcnt(0)
	v_trunc_f64_e32 v[12:13], v[12:13]
	v_ldexp_f64 v[22:23], v[12:13], s4
	s_mov_b32 s4, 0
	s_mov_b32 s5, 0xc1f00000
	v_floor_f64_e32 v[22:23], v[22:23]
	v_fma_f64 v[24:25], v[22:23], s[4:5], v[12:13]
	v_cvt_i32_f64_e32 v13, v[22:23]
	s_mov_b64 s[4:5], 0
	v_cvt_u32_f64_e32 v12, v[24:25]
	s_branch .LBB95_1944
.LBB95_1942:
	s_mov_b64 s[4:5], -1
                                        ; implicit-def: $vgpr12_vgpr13
	s_branch .LBB95_1947
.LBB95_1943:
	s_mov_b64 s[4:5], -1
                                        ; implicit-def: $vgpr12_vgpr13
.LBB95_1944:
	s_andn2_b64 vcc, exec, s[4:5]
	s_cbranch_vccnz .LBB95_1946
; %bb.1945:
	global_load_dword v1, v[20:21], off
	s_mov_b32 s4, 0x2f800000
	s_mov_b32 s5, 0xcf800000
	s_waitcnt vmcnt(0)
	v_trunc_f32_e32 v1, v1
	v_mul_f32_e64 v3, |v1|, s4
	v_floor_f32_e32 v3, v3
	v_cvt_u32_f32_e32 v5, v3
	v_fma_f32 v3, v3, s5, |v1|
	v_cvt_u32_f32_e32 v3, v3
	v_ashrrev_i32_e32 v1, 31, v1
	v_xor_b32_e32 v5, v5, v1
	v_xor_b32_e32 v3, v3, v1
	v_sub_co_u32_e32 v12, vcc, v3, v1
	v_subb_co_u32_e32 v13, vcc, v5, v1, vcc
.LBB95_1946:
	s_mov_b64 s[4:5], 0
.LBB95_1947:
	s_andn2_b64 vcc, exec, s[4:5]
	s_cbranch_vccnz .LBB95_1949
; %bb.1948:
	global_load_ushort v1, v[20:21], off
	s_waitcnt vmcnt(0)
	v_cvt_f32_f16_e32 v1, v1
	v_cvt_i32_f32_e32 v12, v1
	v_ashrrev_i32_e32 v13, 31, v12
.LBB95_1949:
	s_mov_b64 s[4:5], 0
.LBB95_1950:
	s_andn2_b64 vcc, exec, s[4:5]
	s_cbranch_vccnz .LBB95_1970
; %bb.1951:
	s_cmp_lt_i32 s6, 2
	s_cbranch_scc1 .LBB95_1955
; %bb.1952:
	s_cmp_lt_i32 s6, 3
	s_cbranch_scc1 .LBB95_1956
; %bb.1953:
	s_cmp_gt_i32 s6, 3
	s_cbranch_scc0 .LBB95_1957
; %bb.1954:
	global_load_dwordx2 v[12:13], v[20:21], off
	s_mov_b64 s[4:5], 0
	s_branch .LBB95_1958
.LBB95_1955:
	s_mov_b64 s[4:5], -1
                                        ; implicit-def: $vgpr12_vgpr13
	s_branch .LBB95_1964
.LBB95_1956:
	s_mov_b64 s[4:5], -1
                                        ; implicit-def: $vgpr12_vgpr13
	s_branch .LBB95_1961
.LBB95_1957:
	s_mov_b64 s[4:5], -1
                                        ; implicit-def: $vgpr12_vgpr13
.LBB95_1958:
	s_andn2_b64 vcc, exec, s[4:5]
	s_cbranch_vccnz .LBB95_1960
; %bb.1959:
	global_load_dword v12, v[20:21], off
	s_waitcnt vmcnt(0)
	v_ashrrev_i32_e32 v13, 31, v12
.LBB95_1960:
	s_mov_b64 s[4:5], 0
.LBB95_1961:
	s_andn2_b64 vcc, exec, s[4:5]
	s_cbranch_vccnz .LBB95_1963
; %bb.1962:
	global_load_ushort v1, v[20:21], off
	s_waitcnt vmcnt(0)
	v_bfe_i32 v12, v1, 0, 16
	v_ashrrev_i32_e32 v13, 31, v12
.LBB95_1963:
	s_mov_b64 s[4:5], 0
.LBB95_1964:
	s_andn2_b64 vcc, exec, s[4:5]
	s_cbranch_vccnz .LBB95_1970
; %bb.1965:
	s_cmp_gt_i32 s6, 0
	s_cbranch_scc0 .LBB95_1967
; %bb.1966:
	global_load_sbyte v1, v[20:21], off
	s_mov_b64 s[4:5], 0
	s_waitcnt vmcnt(0)
	v_bfe_i32 v12, v1, 0, 16
	v_ashrrev_i32_e32 v13, 31, v12
	s_branch .LBB95_1968
.LBB95_1967:
	s_mov_b64 s[4:5], -1
                                        ; implicit-def: $vgpr12_vgpr13
.LBB95_1968:
	s_andn2_b64 vcc, exec, s[4:5]
	s_cbranch_vccnz .LBB95_1970
; %bb.1969:
	global_load_ubyte v1, v[20:21], off
	s_mov_b32 s4, 0
	s_waitcnt vmcnt(1)
	v_mov_b32_e32 v13, s4
	s_waitcnt vmcnt(0)
	v_and_b32_e32 v12, 0xffff, v1
.LBB95_1970:
.LBB95_1971:
	s_lshr_b32 s4, s23, 16
	v_mov_b32_e32 v1, s1
	s_and_b32 s23, s4, 0xff
	v_add_co_u32_e32 v20, vcc, s0, v16
	s_cmp_lt_i32 s23, 11
	v_addc_co_u32_e32 v21, vcc, 0, v1, vcc
	s_cbranch_scc1 .LBB95_1978
; %bb.1972:
	s_and_b32 s24, 0xffff, s23
	s_cmp_gt_i32 s24, 25
	s_mov_b64 s[6:7], 0
	s_cbranch_scc0 .LBB95_1979
; %bb.1973:
	s_cmp_gt_i32 s24, 28
	s_cbranch_scc0 .LBB95_1980
; %bb.1974:
	s_cmp_gt_i32 s24, 43
	;; [unrolled: 3-line block ×3, first 2 shown]
	s_cbranch_scc0 .LBB95_1983
; %bb.1976:
	s_cmp_eq_u32 s24, 46
	s_mov_b64 s[20:21], 0
	s_cbranch_scc0 .LBB95_1984
; %bb.1977:
	global_load_dword v1, v[20:21], off
	s_mov_b32 s4, 0x2f800000
	s_mov_b32 s5, 0xcf800000
	s_mov_b64 s[18:19], -1
	s_waitcnt vmcnt(0)
	v_lshlrev_b32_e32 v1, 16, v1
	v_trunc_f32_e32 v1, v1
	v_mul_f32_e64 v3, |v1|, s4
	v_floor_f32_e32 v3, v3
	v_fma_f32 v5, v3, s5, |v1|
	v_cvt_u32_f32_e32 v5, v5
	v_cvt_u32_f32_e32 v3, v3
	v_ashrrev_i32_e32 v1, 31, v1
	s_mov_b64 s[4:5], 0
	v_xor_b32_e32 v5, v5, v1
	v_xor_b32_e32 v3, v3, v1
	v_sub_co_u32_e32 v15, vcc, v5, v1
	v_subb_co_u32_e32 v16, vcc, v3, v1, vcc
	s_branch .LBB95_1985
.LBB95_1978:
	s_mov_b64 s[4:5], -1
	s_mov_b64 s[18:19], 0
                                        ; implicit-def: $vgpr15_vgpr16
	s_branch .LBB95_2047
.LBB95_1979:
	s_mov_b64 s[20:21], -1
	s_mov_b64 s[18:19], 0
	s_mov_b64 s[4:5], 0
                                        ; implicit-def: $vgpr15_vgpr16
	s_branch .LBB95_2014
.LBB95_1980:
	s_mov_b64 s[20:21], -1
	s_mov_b64 s[18:19], 0
	s_mov_b64 s[4:5], 0
                                        ; implicit-def: $vgpr15_vgpr16
	s_branch .LBB95_1995
.LBB95_1981:
	s_mov_b64 s[20:21], -1
	s_mov_b64 s[18:19], 0
	s_mov_b64 s[4:5], 0
                                        ; implicit-def: $vgpr15_vgpr16
	s_branch .LBB95_1990
.LBB95_1982:
	s_trap 2
	s_or_b64 s[16:17], s[16:17], exec
	s_cbranch_execz .LBB95_1921
	s_branch .LBB95_1922
.LBB95_1983:
	s_mov_b64 s[20:21], -1
	s_mov_b64 s[18:19], 0
	s_mov_b64 s[4:5], 0
                                        ; implicit-def: $vgpr15_vgpr16
	s_branch .LBB95_1985
.LBB95_1984:
	s_mov_b64 s[4:5], -1
                                        ; implicit-def: $vgpr15_vgpr16
	s_mov_b64 s[18:19], 0
.LBB95_1985:
	s_and_b64 vcc, exec, s[20:21]
	s_cbranch_vccz .LBB95_1989
; %bb.1986:
	s_cmp_eq_u32 s24, 44
	s_cbranch_scc0 .LBB95_1988
; %bb.1987:
	global_load_ubyte v1, v[20:21], off
	s_mov_b32 s4, 0x2f800000
	s_mov_b32 s5, 0xcf800000
	s_mov_b64 s[18:19], -1
	s_waitcnt vmcnt(0)
	v_lshlrev_b32_e32 v3, 23, v1
	v_trunc_f32_e32 v3, v3
	v_mul_f32_e64 v5, |v3|, s4
	v_floor_f32_e32 v5, v5
	v_fma_f32 v15, v5, s5, |v3|
	v_cvt_u32_f32_e32 v15, v15
	v_cvt_u32_f32_e32 v5, v5
	v_ashrrev_i32_e32 v3, 31, v3
	s_mov_b64 s[4:5], 0
	v_xor_b32_e32 v15, v15, v3
	v_xor_b32_e32 v5, v5, v3
	v_sub_co_u32_e32 v15, vcc, v15, v3
	v_subb_co_u32_e32 v3, vcc, v5, v3, vcc
	v_cmp_ne_u32_e32 vcc, 0, v1
	v_cndmask_b32_e32 v16, 0, v3, vcc
	v_cndmask_b32_e32 v15, 0, v15, vcc
	s_branch .LBB95_1989
.LBB95_1988:
	s_mov_b64 s[4:5], -1
                                        ; implicit-def: $vgpr15_vgpr16
.LBB95_1989:
	s_mov_b64 s[20:21], 0
.LBB95_1990:
	s_and_b64 vcc, exec, s[20:21]
	s_cbranch_vccz .LBB95_1994
; %bb.1991:
	s_cmp_eq_u32 s24, 29
	s_cbranch_scc0 .LBB95_1993
; %bb.1992:
	global_load_dwordx2 v[15:16], v[20:21], off
	s_mov_b64 s[4:5], 0
	s_mov_b64 s[18:19], -1
	s_branch .LBB95_1994
.LBB95_1993:
	s_mov_b64 s[4:5], -1
                                        ; implicit-def: $vgpr15_vgpr16
.LBB95_1994:
	s_mov_b64 s[20:21], 0
.LBB95_1995:
	s_and_b64 vcc, exec, s[20:21]
	s_cbranch_vccz .LBB95_2013
; %bb.1996:
	s_cmp_lt_i32 s24, 27
	s_cbranch_scc1 .LBB95_1999
; %bb.1997:
	s_cmp_gt_i32 s24, 27
	s_cbranch_scc0 .LBB95_2000
; %bb.1998:
	global_load_dword v15, v[20:21], off
	s_waitcnt vmcnt(1)
	v_mov_b32_e32 v16, 0
	s_mov_b64 s[18:19], 0
	s_branch .LBB95_2001
.LBB95_1999:
	s_mov_b64 s[18:19], -1
                                        ; implicit-def: $vgpr15_vgpr16
	s_branch .LBB95_2004
.LBB95_2000:
	s_mov_b64 s[18:19], -1
                                        ; implicit-def: $vgpr15_vgpr16
.LBB95_2001:
	s_andn2_b64 vcc, exec, s[18:19]
	s_cbranch_vccnz .LBB95_2003
; %bb.2002:
	global_load_ushort v1, v[20:21], off
	s_mov_b32 s18, 0
	s_waitcnt vmcnt(1)
	v_mov_b32_e32 v16, s18
	s_waitcnt vmcnt(0)
	v_and_b32_e32 v15, 0xffff, v1
.LBB95_2003:
	s_mov_b64 s[18:19], 0
.LBB95_2004:
	s_andn2_b64 vcc, exec, s[18:19]
	s_cbranch_vccnz .LBB95_2012
; %bb.2005:
	global_load_ubyte v1, v[20:21], off
	s_movk_i32 s18, 0x7f
	s_mov_b64 s[20:21], 0
	s_waitcnt vmcnt(0)
	v_cmp_lt_i16_e32 vcc, s18, v1
	s_and_saveexec_b64 s[18:19], vcc
	s_xor_b64 s[18:19], exec, s[18:19]
; %bb.2006:
	s_movk_i32 s20, 0x80
	v_cmp_ne_u16_e32 vcc, s20, v1
	s_and_b64 s[20:21], vcc, exec
; %bb.2007:
	s_andn2_saveexec_b64 s[18:19], s[18:19]
; %bb.2008:
	v_cmp_ne_u16_e32 vcc, 0, v1
	s_andn2_b64 s[20:21], s[20:21], exec
	s_and_b64 s[26:27], vcc, exec
	s_or_b64 s[20:21], s[20:21], s[26:27]
; %bb.2009:
	s_or_b64 exec, exec, s[18:19]
	v_mov_b32_e32 v15, 0
	v_mov_b32_e32 v16, 0
	s_and_saveexec_b64 s[18:19], s[20:21]
	s_cbranch_execz .LBB95_2011
; %bb.2010:
	v_lshlrev_b32_e32 v3, 24, v1
	v_and_b32_e32 v1, 0xffff, v1
	v_and_b32_e32 v5, 7, v1
	v_ffbh_u32_e32 v16, v5
	v_min_u32_e32 v16, 32, v16
	v_subrev_u32_e32 v18, 28, v16
	v_bfe_u32 v15, v1, 3, 4
	v_lshlrev_b32_e32 v1, v18, v1
	v_sub_u32_e32 v16, 29, v16
	v_and_b32_e32 v1, 7, v1
	v_cmp_eq_u32_e32 vcc, 0, v15
	v_cndmask_b32_e32 v15, v15, v16, vcc
	v_cndmask_b32_e32 v1, v5, v1, vcc
	v_mov_b32_e32 v5, 0x3b800000
	v_lshlrev_b32_e32 v1, 20, v1
	v_and_b32_e32 v3, 0x80000000, v3
	v_lshl_add_u32 v5, v15, 23, v5
	v_or3_b32 v1, v3, v5, v1
	v_trunc_f32_e32 v1, v1
	s_mov_b32 s20, 0x2f800000
	v_mul_f32_e64 v3, |v1|, s20
	v_floor_f32_e32 v3, v3
	s_mov_b32 s20, 0xcf800000
	v_fma_f32 v5, v3, s20, |v1|
	v_cvt_u32_f32_e32 v5, v5
	v_cvt_u32_f32_e32 v3, v3
	v_ashrrev_i32_e32 v1, 31, v1
	v_xor_b32_e32 v5, v5, v1
	v_xor_b32_e32 v3, v3, v1
	v_sub_co_u32_e32 v15, vcc, v5, v1
	v_subb_co_u32_e32 v16, vcc, v3, v1, vcc
.LBB95_2011:
	s_or_b64 exec, exec, s[18:19]
.LBB95_2012:
	s_mov_b64 s[18:19], -1
.LBB95_2013:
	s_mov_b64 s[20:21], 0
.LBB95_2014:
	s_and_b64 vcc, exec, s[20:21]
	s_cbranch_vccz .LBB95_2043
; %bb.2015:
	s_cmp_gt_i32 s24, 22
	s_cbranch_scc0 .LBB95_2025
; %bb.2016:
	s_cmp_lt_i32 s24, 24
	s_cbranch_scc1 .LBB95_2026
; %bb.2017:
	s_cmp_gt_i32 s24, 24
	s_cbranch_scc0 .LBB95_2027
; %bb.2018:
	global_load_ubyte v1, v[20:21], off
	s_movk_i32 s6, 0x7f
	s_mov_b64 s[18:19], 0
	s_waitcnt vmcnt(0)
	v_cmp_lt_i16_e32 vcc, s6, v1
	s_and_saveexec_b64 s[6:7], vcc
	s_xor_b64 s[6:7], exec, s[6:7]
; %bb.2019:
	s_movk_i32 s18, 0x80
	v_cmp_ne_u16_e32 vcc, s18, v1
	s_and_b64 s[18:19], vcc, exec
; %bb.2020:
	s_andn2_saveexec_b64 s[6:7], s[6:7]
; %bb.2021:
	v_cmp_ne_u16_e32 vcc, 0, v1
	s_andn2_b64 s[18:19], s[18:19], exec
	s_and_b64 s[20:21], vcc, exec
	s_or_b64 s[18:19], s[18:19], s[20:21]
; %bb.2022:
	s_or_b64 exec, exec, s[6:7]
	v_mov_b32_e32 v15, 0
	v_mov_b32_e32 v16, 0
	s_and_saveexec_b64 s[6:7], s[18:19]
	s_cbranch_execz .LBB95_2024
; %bb.2023:
	v_lshlrev_b32_e32 v3, 24, v1
	v_and_b32_e32 v1, 0xffff, v1
	v_and_b32_e32 v5, 3, v1
	v_ffbh_u32_e32 v16, v5
	v_min_u32_e32 v16, 32, v16
	v_subrev_u32_e32 v18, 29, v16
	v_bfe_u32 v15, v1, 2, 5
	v_lshlrev_b32_e32 v1, v18, v1
	v_sub_u32_e32 v16, 30, v16
	v_and_b32_e32 v1, 3, v1
	v_cmp_eq_u32_e32 vcc, 0, v15
	v_cndmask_b32_e32 v15, v15, v16, vcc
	v_cndmask_b32_e32 v1, v5, v1, vcc
	v_mov_b32_e32 v5, 0x37800000
	v_lshlrev_b32_e32 v1, 21, v1
	v_and_b32_e32 v3, 0x80000000, v3
	v_lshl_add_u32 v5, v15, 23, v5
	v_or3_b32 v1, v3, v5, v1
	v_trunc_f32_e32 v1, v1
	s_mov_b32 s18, 0x2f800000
	v_mul_f32_e64 v3, |v1|, s18
	v_floor_f32_e32 v3, v3
	s_mov_b32 s18, 0xcf800000
	v_fma_f32 v5, v3, s18, |v1|
	v_cvt_u32_f32_e32 v5, v5
	v_cvt_u32_f32_e32 v3, v3
	v_ashrrev_i32_e32 v1, 31, v1
	v_xor_b32_e32 v5, v5, v1
	v_xor_b32_e32 v3, v3, v1
	v_sub_co_u32_e32 v15, vcc, v5, v1
	v_subb_co_u32_e32 v16, vcc, v3, v1, vcc
.LBB95_2024:
	s_or_b64 exec, exec, s[6:7]
	s_mov_b64 s[6:7], 0
	s_branch .LBB95_2028
.LBB95_2025:
	s_mov_b64 s[6:7], -1
                                        ; implicit-def: $vgpr15_vgpr16
	s_branch .LBB95_2034
.LBB95_2026:
	s_mov_b64 s[6:7], -1
                                        ; implicit-def: $vgpr15_vgpr16
	s_branch .LBB95_2031
.LBB95_2027:
	s_mov_b64 s[6:7], -1
                                        ; implicit-def: $vgpr15_vgpr16
.LBB95_2028:
	s_and_b64 vcc, exec, s[6:7]
	s_cbranch_vccz .LBB95_2030
; %bb.2029:
	global_load_ubyte v1, v[20:21], off
	s_mov_b32 s6, 0x7f800000
	s_brev_b32 s7, 1
	s_mov_b32 s18, 0x2f800000
	s_mov_b32 s19, 0xcf800000
	s_waitcnt vmcnt(0)
	v_lshlrev_b32_e32 v1, 24, v1
	v_and_b32_e32 v3, 0x7f000000, v1
	v_ffbh_u32_e32 v5, v3
	v_min_u32_e32 v5, 32, v5
	v_sub_u32_e64 v5, v5, 4 clamp
	v_lshlrev_b32_e32 v16, v5, v3
	v_lshlrev_b32_e32 v5, 23, v5
	v_lshrrev_b32_e32 v16, 4, v16
	v_add_u32_e32 v15, 0x1000000, v3
	v_sub_u32_e32 v5, v16, v5
	v_ashrrev_i32_e32 v15, 8, v15
	v_add_u32_e32 v5, 0x3c000000, v5
	v_and_or_b32 v5, v15, s6, v5
	v_cmp_ne_u32_e32 vcc, 0, v3
	v_cndmask_b32_e32 v3, 0, v5, vcc
	v_and_or_b32 v1, v1, s7, v3
	v_trunc_f32_e32 v1, v1
	v_mul_f32_e64 v3, |v1|, s18
	v_floor_f32_e32 v3, v3
	v_fma_f32 v5, v3, s19, |v1|
	v_cvt_u32_f32_e32 v5, v5
	v_cvt_u32_f32_e32 v3, v3
	v_ashrrev_i32_e32 v1, 31, v1
	v_xor_b32_e32 v5, v5, v1
	v_xor_b32_e32 v3, v3, v1
	v_sub_co_u32_e32 v15, vcc, v5, v1
	v_subb_co_u32_e32 v16, vcc, v3, v1, vcc
.LBB95_2030:
	s_mov_b64 s[6:7], 0
.LBB95_2031:
	s_andn2_b64 vcc, exec, s[6:7]
	s_cbranch_vccnz .LBB95_2033
; %bb.2032:
	global_load_ubyte v1, v[20:21], off
	s_movk_i32 s6, 0x7f00
	s_brev_b32 s7, 16
	s_brev_b32 s18, 1
	s_mov_b32 s19, 0x2f800000
	s_mov_b32 s20, 0xcf800000
	s_waitcnt vmcnt(0)
	v_lshlrev_b16_e32 v3, 8, v1
	v_lshlrev_b32_e32 v1, 25, v1
	v_lshrrev_b32_e32 v5, 4, v1
	v_and_or_b32 v15, v3, s6, 0.5
	v_or_b32_e32 v5, 0x70000000, v5
	v_add_f32_e32 v15, -0.5, v15
	v_mul_f32_e32 v5, 0x7800000, v5
	v_cmp_gt_u32_e32 vcc, s7, v1
	v_bfe_i32 v3, v3, 0, 16
	v_cndmask_b32_e32 v1, v5, v15, vcc
	v_and_or_b32 v1, v3, s18, v1
	v_trunc_f32_e32 v1, v1
	v_mul_f32_e64 v3, |v1|, s19
	v_floor_f32_e32 v3, v3
	v_fma_f32 v5, v3, s20, |v1|
	v_cvt_u32_f32_e32 v5, v5
	v_cvt_u32_f32_e32 v3, v3
	v_ashrrev_i32_e32 v1, 31, v1
	v_xor_b32_e32 v5, v5, v1
	v_xor_b32_e32 v3, v3, v1
	v_sub_co_u32_e32 v15, vcc, v5, v1
	v_subb_co_u32_e32 v16, vcc, v3, v1, vcc
.LBB95_2033:
	s_mov_b64 s[6:7], 0
	s_mov_b64 s[18:19], -1
.LBB95_2034:
	s_andn2_b64 vcc, exec, s[6:7]
	s_mov_b64 s[6:7], 0
	s_cbranch_vccnz .LBB95_2043
; %bb.2035:
	s_cmp_gt_i32 s24, 14
	s_cbranch_scc0 .LBB95_2038
; %bb.2036:
	s_cmp_eq_u32 s24, 15
	s_cbranch_scc0 .LBB95_2039
; %bb.2037:
	global_load_ushort v1, v[20:21], off
	s_mov_b32 s4, 0x2f800000
	s_mov_b32 s5, 0xcf800000
	s_mov_b64 s[18:19], -1
	s_waitcnt vmcnt(0)
	v_lshlrev_b32_e32 v1, 16, v1
	v_trunc_f32_e32 v1, v1
	v_mul_f32_e64 v3, |v1|, s4
	v_floor_f32_e32 v3, v3
	v_fma_f32 v5, v3, s5, |v1|
	v_cvt_u32_f32_e32 v5, v5
	v_cvt_u32_f32_e32 v3, v3
	v_ashrrev_i32_e32 v1, 31, v1
	s_mov_b64 s[4:5], 0
	v_xor_b32_e32 v5, v5, v1
	v_xor_b32_e32 v3, v3, v1
	v_sub_co_u32_e32 v15, vcc, v5, v1
	v_subb_co_u32_e32 v16, vcc, v3, v1, vcc
	s_branch .LBB95_2040
.LBB95_2038:
	s_mov_b64 s[20:21], -1
                                        ; implicit-def: $vgpr15_vgpr16
	s_branch .LBB95_2041
.LBB95_2039:
	s_mov_b64 s[4:5], -1
                                        ; implicit-def: $vgpr15_vgpr16
.LBB95_2040:
	s_mov_b64 s[20:21], 0
.LBB95_2041:
	s_and_b64 vcc, exec, s[20:21]
	s_cbranch_vccz .LBB95_2043
; %bb.2042:
	s_cmp_lg_u32 s24, 11
	s_mov_b64 s[6:7], -1
	s_cselect_b64 s[4:5], -1, 0
.LBB95_2043:
	s_and_b64 vcc, exec, s[4:5]
	s_cbranch_vccnz .LBB95_2108
; %bb.2044:
	s_andn2_b64 vcc, exec, s[6:7]
	s_cbranch_vccnz .LBB95_2046
.LBB95_2045:
	global_load_ubyte v1, v[20:21], off
	s_mov_b32 s4, 0
	s_waitcnt vmcnt(1)
	v_mov_b32_e32 v16, s4
	s_mov_b64 s[18:19], -1
	s_waitcnt vmcnt(0)
	v_cmp_ne_u16_e32 vcc, 0, v1
	v_cndmask_b32_e64 v15, 0, 1, vcc
.LBB95_2046:
	s_mov_b64 s[4:5], 0
.LBB95_2047:
	s_and_b64 vcc, exec, s[4:5]
	s_cbranch_vccz .LBB95_2096
; %bb.2048:
	s_and_b32 s6, 0xffff, s23
	s_cmp_lt_i32 s6, 5
	s_cbranch_scc1 .LBB95_2053
; %bb.2049:
	s_cmp_lt_i32 s6, 8
	s_cbranch_scc1 .LBB95_2054
; %bb.2050:
	;; [unrolled: 3-line block ×3, first 2 shown]
	s_cmp_gt_i32 s6, 9
	s_cbranch_scc0 .LBB95_2056
; %bb.2052:
	global_load_dwordx2 v[15:16], v[20:21], off
	s_movk_i32 s4, 0xffe0
	s_waitcnt vmcnt(0)
	v_trunc_f64_e32 v[15:16], v[15:16]
	v_ldexp_f64 v[22:23], v[15:16], s4
	s_mov_b32 s4, 0
	s_mov_b32 s5, 0xc1f00000
	v_floor_f64_e32 v[22:23], v[22:23]
	v_fma_f64 v[24:25], v[22:23], s[4:5], v[15:16]
	v_cvt_i32_f64_e32 v16, v[22:23]
	s_mov_b64 s[4:5], 0
	v_cvt_u32_f64_e32 v15, v[24:25]
	s_branch .LBB95_2057
.LBB95_2053:
	s_mov_b64 s[4:5], -1
                                        ; implicit-def: $vgpr15_vgpr16
	s_branch .LBB95_2075
.LBB95_2054:
	s_mov_b64 s[4:5], -1
                                        ; implicit-def: $vgpr15_vgpr16
	s_branch .LBB95_2063
.LBB95_2055:
	s_mov_b64 s[4:5], -1
                                        ; implicit-def: $vgpr15_vgpr16
	s_branch .LBB95_2060
.LBB95_2056:
	s_mov_b64 s[4:5], -1
                                        ; implicit-def: $vgpr15_vgpr16
.LBB95_2057:
	s_andn2_b64 vcc, exec, s[4:5]
	s_cbranch_vccnz .LBB95_2059
; %bb.2058:
	global_load_dword v1, v[20:21], off
	s_mov_b32 s4, 0x2f800000
	s_mov_b32 s5, 0xcf800000
	s_waitcnt vmcnt(0)
	v_trunc_f32_e32 v1, v1
	v_mul_f32_e64 v3, |v1|, s4
	v_floor_f32_e32 v3, v3
	v_cvt_u32_f32_e32 v5, v3
	v_fma_f32 v3, v3, s5, |v1|
	v_cvt_u32_f32_e32 v3, v3
	v_ashrrev_i32_e32 v1, 31, v1
	v_xor_b32_e32 v5, v5, v1
	v_xor_b32_e32 v3, v3, v1
	v_sub_co_u32_e32 v15, vcc, v3, v1
	v_subb_co_u32_e32 v16, vcc, v5, v1, vcc
.LBB95_2059:
	s_mov_b64 s[4:5], 0
.LBB95_2060:
	s_andn2_b64 vcc, exec, s[4:5]
	s_cbranch_vccnz .LBB95_2062
; %bb.2061:
	global_load_dword v1, v[20:21], off
	s_waitcnt vmcnt(0)
	v_cvt_f32_f16_e32 v1, v1
	v_cvt_i32_f32_e32 v15, v1
	v_ashrrev_i32_e32 v16, 31, v15
.LBB95_2062:
	s_mov_b64 s[4:5], 0
.LBB95_2063:
	s_andn2_b64 vcc, exec, s[4:5]
	s_cbranch_vccnz .LBB95_2074
; %bb.2064:
	s_cmp_lt_i32 s6, 6
	s_cbranch_scc1 .LBB95_2067
; %bb.2065:
	s_cmp_gt_i32 s6, 6
	s_cbranch_scc0 .LBB95_2068
; %bb.2066:
	global_load_dwordx2 v[15:16], v[20:21], off
	s_movk_i32 s4, 0xffe0
	s_waitcnt vmcnt(0)
	v_trunc_f64_e32 v[15:16], v[15:16]
	v_ldexp_f64 v[22:23], v[15:16], s4
	s_mov_b32 s4, 0
	s_mov_b32 s5, 0xc1f00000
	v_floor_f64_e32 v[22:23], v[22:23]
	v_fma_f64 v[24:25], v[22:23], s[4:5], v[15:16]
	v_cvt_i32_f64_e32 v16, v[22:23]
	s_mov_b64 s[4:5], 0
	v_cvt_u32_f64_e32 v15, v[24:25]
	s_branch .LBB95_2069
.LBB95_2067:
	s_mov_b64 s[4:5], -1
                                        ; implicit-def: $vgpr15_vgpr16
	s_branch .LBB95_2072
.LBB95_2068:
	s_mov_b64 s[4:5], -1
                                        ; implicit-def: $vgpr15_vgpr16
.LBB95_2069:
	s_andn2_b64 vcc, exec, s[4:5]
	s_cbranch_vccnz .LBB95_2071
; %bb.2070:
	global_load_dword v1, v[20:21], off
	s_mov_b32 s4, 0x2f800000
	s_mov_b32 s5, 0xcf800000
	s_waitcnt vmcnt(0)
	v_trunc_f32_e32 v1, v1
	v_mul_f32_e64 v3, |v1|, s4
	v_floor_f32_e32 v3, v3
	v_cvt_u32_f32_e32 v5, v3
	v_fma_f32 v3, v3, s5, |v1|
	v_cvt_u32_f32_e32 v3, v3
	v_ashrrev_i32_e32 v1, 31, v1
	v_xor_b32_e32 v5, v5, v1
	v_xor_b32_e32 v3, v3, v1
	v_sub_co_u32_e32 v15, vcc, v3, v1
	v_subb_co_u32_e32 v16, vcc, v5, v1, vcc
.LBB95_2071:
	s_mov_b64 s[4:5], 0
.LBB95_2072:
	s_andn2_b64 vcc, exec, s[4:5]
	s_cbranch_vccnz .LBB95_2074
; %bb.2073:
	global_load_ushort v1, v[20:21], off
	s_waitcnt vmcnt(0)
	v_cvt_f32_f16_e32 v1, v1
	v_cvt_i32_f32_e32 v15, v1
	v_ashrrev_i32_e32 v16, 31, v15
.LBB95_2074:
	s_mov_b64 s[4:5], 0
.LBB95_2075:
	s_andn2_b64 vcc, exec, s[4:5]
	s_cbranch_vccnz .LBB95_2095
; %bb.2076:
	s_cmp_lt_i32 s6, 2
	s_cbranch_scc1 .LBB95_2080
; %bb.2077:
	s_cmp_lt_i32 s6, 3
	s_cbranch_scc1 .LBB95_2081
; %bb.2078:
	s_cmp_gt_i32 s6, 3
	s_cbranch_scc0 .LBB95_2082
; %bb.2079:
	global_load_dwordx2 v[15:16], v[20:21], off
	s_mov_b64 s[4:5], 0
	s_branch .LBB95_2083
.LBB95_2080:
	s_mov_b64 s[4:5], -1
                                        ; implicit-def: $vgpr15_vgpr16
	s_branch .LBB95_2089
.LBB95_2081:
	s_mov_b64 s[4:5], -1
                                        ; implicit-def: $vgpr15_vgpr16
	s_branch .LBB95_2086
.LBB95_2082:
	s_mov_b64 s[4:5], -1
                                        ; implicit-def: $vgpr15_vgpr16
.LBB95_2083:
	s_andn2_b64 vcc, exec, s[4:5]
	s_cbranch_vccnz .LBB95_2085
; %bb.2084:
	global_load_dword v15, v[20:21], off
	s_waitcnt vmcnt(0)
	v_ashrrev_i32_e32 v16, 31, v15
.LBB95_2085:
	s_mov_b64 s[4:5], 0
.LBB95_2086:
	s_andn2_b64 vcc, exec, s[4:5]
	s_cbranch_vccnz .LBB95_2088
; %bb.2087:
	global_load_ushort v1, v[20:21], off
	s_waitcnt vmcnt(0)
	v_bfe_i32 v15, v1, 0, 16
	v_ashrrev_i32_e32 v16, 31, v15
.LBB95_2088:
	s_mov_b64 s[4:5], 0
.LBB95_2089:
	s_andn2_b64 vcc, exec, s[4:5]
	s_cbranch_vccnz .LBB95_2095
; %bb.2090:
	s_cmp_gt_i32 s6, 0
	s_cbranch_scc0 .LBB95_2092
; %bb.2091:
	global_load_sbyte v1, v[20:21], off
	s_mov_b64 s[4:5], 0
	s_waitcnt vmcnt(0)
	v_bfe_i32 v15, v1, 0, 16
	v_ashrrev_i32_e32 v16, 31, v15
	s_branch .LBB95_2093
.LBB95_2092:
	s_mov_b64 s[4:5], -1
                                        ; implicit-def: $vgpr15_vgpr16
.LBB95_2093:
	s_andn2_b64 vcc, exec, s[4:5]
	s_cbranch_vccnz .LBB95_2095
; %bb.2094:
	global_load_ubyte v1, v[20:21], off
	s_mov_b32 s4, 0
	s_waitcnt vmcnt(1)
	v_mov_b32_e32 v16, s4
	s_waitcnt vmcnt(0)
	v_and_b32_e32 v15, 0xffff, v1
.LBB95_2095:
	s_mov_b64 s[18:19], -1
.LBB95_2096:
	s_andn2_b64 vcc, exec, s[18:19]
	s_cbranch_vccnz .LBB95_3036
; %bb.2097:
	v_mov_b32_e32 v1, s11
	v_add_co_u32_e32 v20, vcc, s10, v17
	s_cmp_lt_i32 s22, 11
	v_addc_co_u32_e32 v21, vcc, 0, v1, vcc
	s_cbranch_scc1 .LBB95_2104
; %bb.2098:
	s_and_b32 s24, 0xffff, s22
	s_cmp_gt_i32 s24, 25
	s_mov_b64 s[6:7], 0
	s_cbranch_scc0 .LBB95_2105
; %bb.2099:
	s_cmp_gt_i32 s24, 28
	s_cbranch_scc0 .LBB95_2106
; %bb.2100:
	s_cmp_gt_i32 s24, 43
	;; [unrolled: 3-line block ×3, first 2 shown]
	s_cbranch_scc0 .LBB95_2109
; %bb.2102:
	s_cmp_eq_u32 s24, 46
	s_mov_b64 s[20:21], 0
	s_cbranch_scc0 .LBB95_2110
; %bb.2103:
	global_load_dword v1, v[20:21], off
	s_mov_b32 s4, 0x2f800000
	s_mov_b32 s5, 0xcf800000
	s_mov_b64 s[18:19], -1
	s_waitcnt vmcnt(0)
	v_lshlrev_b32_e32 v1, 16, v1
	v_trunc_f32_e32 v1, v1
	v_mul_f32_e64 v3, |v1|, s4
	v_floor_f32_e32 v3, v3
	v_fma_f32 v5, v3, s5, |v1|
	v_cvt_u32_f32_e32 v5, v5
	v_cvt_u32_f32_e32 v3, v3
	v_ashrrev_i32_e32 v1, 31, v1
	s_mov_b64 s[4:5], 0
	v_xor_b32_e32 v5, v5, v1
	v_xor_b32_e32 v3, v3, v1
	v_sub_co_u32_e32 v17, vcc, v5, v1
	v_subb_co_u32_e32 v18, vcc, v3, v1, vcc
	s_branch .LBB95_2111
.LBB95_2104:
	s_mov_b64 s[4:5], -1
	s_mov_b64 s[18:19], 0
                                        ; implicit-def: $vgpr17_vgpr18
	s_branch .LBB95_2173
.LBB95_2105:
	s_mov_b64 s[20:21], -1
	s_mov_b64 s[18:19], 0
	s_mov_b64 s[4:5], 0
                                        ; implicit-def: $vgpr17_vgpr18
	s_branch .LBB95_2140
.LBB95_2106:
	s_mov_b64 s[20:21], -1
	s_mov_b64 s[18:19], 0
	s_mov_b64 s[4:5], 0
                                        ; implicit-def: $vgpr17_vgpr18
	s_branch .LBB95_2121
.LBB95_2107:
	s_mov_b64 s[20:21], -1
	s_mov_b64 s[18:19], 0
	s_mov_b64 s[4:5], 0
                                        ; implicit-def: $vgpr17_vgpr18
	s_branch .LBB95_2116
.LBB95_2108:
	s_trap 2
	s_or_b64 s[16:17], s[16:17], exec
	s_cbranch_execz .LBB95_2045
	s_branch .LBB95_2046
.LBB95_2109:
	s_mov_b64 s[20:21], -1
	s_mov_b64 s[18:19], 0
	s_mov_b64 s[4:5], 0
                                        ; implicit-def: $vgpr17_vgpr18
	s_branch .LBB95_2111
.LBB95_2110:
	s_mov_b64 s[4:5], -1
                                        ; implicit-def: $vgpr17_vgpr18
	s_mov_b64 s[18:19], 0
.LBB95_2111:
	s_and_b64 vcc, exec, s[20:21]
	s_cbranch_vccz .LBB95_2115
; %bb.2112:
	s_cmp_eq_u32 s24, 44
	s_cbranch_scc0 .LBB95_2114
; %bb.2113:
	global_load_ubyte v1, v[20:21], off
	s_mov_b32 s4, 0x2f800000
	s_mov_b32 s5, 0xcf800000
	s_mov_b64 s[18:19], -1
	s_waitcnt vmcnt(0)
	v_lshlrev_b32_e32 v3, 23, v1
	v_trunc_f32_e32 v3, v3
	v_mul_f32_e64 v5, |v3|, s4
	v_floor_f32_e32 v5, v5
	v_fma_f32 v17, v5, s5, |v3|
	v_cvt_u32_f32_e32 v17, v17
	v_cvt_u32_f32_e32 v5, v5
	v_ashrrev_i32_e32 v3, 31, v3
	s_mov_b64 s[4:5], 0
	v_xor_b32_e32 v17, v17, v3
	v_xor_b32_e32 v5, v5, v3
	v_sub_co_u32_e32 v17, vcc, v17, v3
	v_subb_co_u32_e32 v3, vcc, v5, v3, vcc
	v_cmp_ne_u32_e32 vcc, 0, v1
	v_cndmask_b32_e32 v18, 0, v3, vcc
	v_cndmask_b32_e32 v17, 0, v17, vcc
	s_branch .LBB95_2115
.LBB95_2114:
	s_mov_b64 s[4:5], -1
                                        ; implicit-def: $vgpr17_vgpr18
.LBB95_2115:
	s_mov_b64 s[20:21], 0
.LBB95_2116:
	s_and_b64 vcc, exec, s[20:21]
	s_cbranch_vccz .LBB95_2120
; %bb.2117:
	s_cmp_eq_u32 s24, 29
	s_cbranch_scc0 .LBB95_2119
; %bb.2118:
	global_load_dwordx2 v[17:18], v[20:21], off
	s_mov_b64 s[4:5], 0
	s_mov_b64 s[18:19], -1
	s_branch .LBB95_2120
.LBB95_2119:
	s_mov_b64 s[4:5], -1
                                        ; implicit-def: $vgpr17_vgpr18
.LBB95_2120:
	s_mov_b64 s[20:21], 0
.LBB95_2121:
	s_and_b64 vcc, exec, s[20:21]
	s_cbranch_vccz .LBB95_2139
; %bb.2122:
	s_cmp_lt_i32 s24, 27
	s_cbranch_scc1 .LBB95_2125
; %bb.2123:
	s_cmp_gt_i32 s24, 27
	s_cbranch_scc0 .LBB95_2126
; %bb.2124:
	global_load_dword v17, v[20:21], off
	s_waitcnt vmcnt(1)
	v_mov_b32_e32 v18, 0
	s_mov_b64 s[18:19], 0
	s_branch .LBB95_2127
.LBB95_2125:
	s_mov_b64 s[18:19], -1
                                        ; implicit-def: $vgpr17_vgpr18
	s_branch .LBB95_2130
.LBB95_2126:
	s_mov_b64 s[18:19], -1
                                        ; implicit-def: $vgpr17_vgpr18
.LBB95_2127:
	s_andn2_b64 vcc, exec, s[18:19]
	s_cbranch_vccnz .LBB95_2129
; %bb.2128:
	global_load_ushort v1, v[20:21], off
	s_mov_b32 s18, 0
	s_waitcnt vmcnt(1)
	v_mov_b32_e32 v18, s18
	s_waitcnt vmcnt(0)
	v_and_b32_e32 v17, 0xffff, v1
.LBB95_2129:
	s_mov_b64 s[18:19], 0
.LBB95_2130:
	s_andn2_b64 vcc, exec, s[18:19]
	s_cbranch_vccnz .LBB95_2138
; %bb.2131:
	global_load_ubyte v1, v[20:21], off
	s_movk_i32 s18, 0x7f
	s_mov_b64 s[20:21], 0
	s_waitcnt vmcnt(0)
	v_cmp_lt_i16_e32 vcc, s18, v1
	s_and_saveexec_b64 s[18:19], vcc
	s_xor_b64 s[18:19], exec, s[18:19]
; %bb.2132:
	s_movk_i32 s20, 0x80
	v_cmp_ne_u16_e32 vcc, s20, v1
	s_and_b64 s[20:21], vcc, exec
; %bb.2133:
	s_andn2_saveexec_b64 s[18:19], s[18:19]
; %bb.2134:
	v_cmp_ne_u16_e32 vcc, 0, v1
	s_andn2_b64 s[20:21], s[20:21], exec
	s_and_b64 s[26:27], vcc, exec
	s_or_b64 s[20:21], s[20:21], s[26:27]
; %bb.2135:
	s_or_b64 exec, exec, s[18:19]
	v_mov_b32_e32 v17, 0
	v_mov_b32_e32 v18, 0
	s_and_saveexec_b64 s[18:19], s[20:21]
	s_cbranch_execz .LBB95_2137
; %bb.2136:
	v_lshlrev_b32_e32 v3, 24, v1
	v_and_b32_e32 v1, 0xffff, v1
	v_and_b32_e32 v5, 7, v1
	v_ffbh_u32_e32 v18, v5
	v_min_u32_e32 v18, 32, v18
	v_subrev_u32_e32 v22, 28, v18
	v_bfe_u32 v17, v1, 3, 4
	v_lshlrev_b32_e32 v1, v22, v1
	v_sub_u32_e32 v18, 29, v18
	v_and_b32_e32 v1, 7, v1
	v_cmp_eq_u32_e32 vcc, 0, v17
	v_cndmask_b32_e32 v17, v17, v18, vcc
	v_cndmask_b32_e32 v1, v5, v1, vcc
	v_mov_b32_e32 v5, 0x3b800000
	v_lshlrev_b32_e32 v1, 20, v1
	v_and_b32_e32 v3, 0x80000000, v3
	v_lshl_add_u32 v5, v17, 23, v5
	v_or3_b32 v1, v3, v5, v1
	v_trunc_f32_e32 v1, v1
	s_mov_b32 s20, 0x2f800000
	v_mul_f32_e64 v3, |v1|, s20
	v_floor_f32_e32 v3, v3
	s_mov_b32 s20, 0xcf800000
	v_fma_f32 v5, v3, s20, |v1|
	v_cvt_u32_f32_e32 v5, v5
	v_cvt_u32_f32_e32 v3, v3
	v_ashrrev_i32_e32 v1, 31, v1
	v_xor_b32_e32 v5, v5, v1
	v_xor_b32_e32 v3, v3, v1
	v_sub_co_u32_e32 v17, vcc, v5, v1
	v_subb_co_u32_e32 v18, vcc, v3, v1, vcc
.LBB95_2137:
	s_or_b64 exec, exec, s[18:19]
.LBB95_2138:
	s_mov_b64 s[18:19], -1
.LBB95_2139:
	s_mov_b64 s[20:21], 0
.LBB95_2140:
	s_and_b64 vcc, exec, s[20:21]
	s_cbranch_vccz .LBB95_2169
; %bb.2141:
	s_cmp_gt_i32 s24, 22
	s_cbranch_scc0 .LBB95_2151
; %bb.2142:
	s_cmp_lt_i32 s24, 24
	s_cbranch_scc1 .LBB95_2152
; %bb.2143:
	s_cmp_gt_i32 s24, 24
	s_cbranch_scc0 .LBB95_2153
; %bb.2144:
	global_load_ubyte v1, v[20:21], off
	s_movk_i32 s6, 0x7f
	s_mov_b64 s[18:19], 0
	s_waitcnt vmcnt(0)
	v_cmp_lt_i16_e32 vcc, s6, v1
	s_and_saveexec_b64 s[6:7], vcc
	s_xor_b64 s[6:7], exec, s[6:7]
; %bb.2145:
	s_movk_i32 s18, 0x80
	v_cmp_ne_u16_e32 vcc, s18, v1
	s_and_b64 s[18:19], vcc, exec
; %bb.2146:
	s_andn2_saveexec_b64 s[6:7], s[6:7]
; %bb.2147:
	v_cmp_ne_u16_e32 vcc, 0, v1
	s_andn2_b64 s[18:19], s[18:19], exec
	s_and_b64 s[20:21], vcc, exec
	s_or_b64 s[18:19], s[18:19], s[20:21]
; %bb.2148:
	s_or_b64 exec, exec, s[6:7]
	v_mov_b32_e32 v17, 0
	v_mov_b32_e32 v18, 0
	s_and_saveexec_b64 s[6:7], s[18:19]
	s_cbranch_execz .LBB95_2150
; %bb.2149:
	v_lshlrev_b32_e32 v3, 24, v1
	v_and_b32_e32 v1, 0xffff, v1
	v_and_b32_e32 v5, 3, v1
	v_ffbh_u32_e32 v18, v5
	v_min_u32_e32 v18, 32, v18
	v_subrev_u32_e32 v22, 29, v18
	v_bfe_u32 v17, v1, 2, 5
	v_lshlrev_b32_e32 v1, v22, v1
	v_sub_u32_e32 v18, 30, v18
	v_and_b32_e32 v1, 3, v1
	v_cmp_eq_u32_e32 vcc, 0, v17
	v_cndmask_b32_e32 v17, v17, v18, vcc
	v_cndmask_b32_e32 v1, v5, v1, vcc
	v_mov_b32_e32 v5, 0x37800000
	v_lshlrev_b32_e32 v1, 21, v1
	v_and_b32_e32 v3, 0x80000000, v3
	v_lshl_add_u32 v5, v17, 23, v5
	v_or3_b32 v1, v3, v5, v1
	v_trunc_f32_e32 v1, v1
	s_mov_b32 s18, 0x2f800000
	v_mul_f32_e64 v3, |v1|, s18
	v_floor_f32_e32 v3, v3
	s_mov_b32 s18, 0xcf800000
	v_fma_f32 v5, v3, s18, |v1|
	v_cvt_u32_f32_e32 v5, v5
	v_cvt_u32_f32_e32 v3, v3
	v_ashrrev_i32_e32 v1, 31, v1
	v_xor_b32_e32 v5, v5, v1
	v_xor_b32_e32 v3, v3, v1
	v_sub_co_u32_e32 v17, vcc, v5, v1
	v_subb_co_u32_e32 v18, vcc, v3, v1, vcc
.LBB95_2150:
	s_or_b64 exec, exec, s[6:7]
	s_mov_b64 s[6:7], 0
	s_branch .LBB95_2154
.LBB95_2151:
	s_mov_b64 s[6:7], -1
                                        ; implicit-def: $vgpr17_vgpr18
	s_branch .LBB95_2160
.LBB95_2152:
	s_mov_b64 s[6:7], -1
                                        ; implicit-def: $vgpr17_vgpr18
	s_branch .LBB95_2157
.LBB95_2153:
	s_mov_b64 s[6:7], -1
                                        ; implicit-def: $vgpr17_vgpr18
.LBB95_2154:
	s_and_b64 vcc, exec, s[6:7]
	s_cbranch_vccz .LBB95_2156
; %bb.2155:
	global_load_ubyte v1, v[20:21], off
	s_mov_b32 s6, 0x7f800000
	s_brev_b32 s7, 1
	s_mov_b32 s18, 0x2f800000
	s_mov_b32 s19, 0xcf800000
	s_waitcnt vmcnt(0)
	v_lshlrev_b32_e32 v1, 24, v1
	v_and_b32_e32 v3, 0x7f000000, v1
	v_ffbh_u32_e32 v5, v3
	v_min_u32_e32 v5, 32, v5
	v_sub_u32_e64 v5, v5, 4 clamp
	v_lshlrev_b32_e32 v18, v5, v3
	v_lshlrev_b32_e32 v5, 23, v5
	v_lshrrev_b32_e32 v18, 4, v18
	v_add_u32_e32 v17, 0x1000000, v3
	v_sub_u32_e32 v5, v18, v5
	v_ashrrev_i32_e32 v17, 8, v17
	v_add_u32_e32 v5, 0x3c000000, v5
	v_and_or_b32 v5, v17, s6, v5
	v_cmp_ne_u32_e32 vcc, 0, v3
	v_cndmask_b32_e32 v3, 0, v5, vcc
	v_and_or_b32 v1, v1, s7, v3
	v_trunc_f32_e32 v1, v1
	v_mul_f32_e64 v3, |v1|, s18
	v_floor_f32_e32 v3, v3
	v_fma_f32 v5, v3, s19, |v1|
	v_cvt_u32_f32_e32 v5, v5
	v_cvt_u32_f32_e32 v3, v3
	v_ashrrev_i32_e32 v1, 31, v1
	v_xor_b32_e32 v5, v5, v1
	v_xor_b32_e32 v3, v3, v1
	v_sub_co_u32_e32 v17, vcc, v5, v1
	v_subb_co_u32_e32 v18, vcc, v3, v1, vcc
.LBB95_2156:
	s_mov_b64 s[6:7], 0
.LBB95_2157:
	s_andn2_b64 vcc, exec, s[6:7]
	s_cbranch_vccnz .LBB95_2159
; %bb.2158:
	global_load_ubyte v1, v[20:21], off
	s_movk_i32 s6, 0x7f00
	s_brev_b32 s7, 16
	s_brev_b32 s18, 1
	s_mov_b32 s19, 0x2f800000
	s_mov_b32 s20, 0xcf800000
	s_waitcnt vmcnt(0)
	v_lshlrev_b16_e32 v3, 8, v1
	v_lshlrev_b32_e32 v1, 25, v1
	v_lshrrev_b32_e32 v5, 4, v1
	v_and_or_b32 v17, v3, s6, 0.5
	v_or_b32_e32 v5, 0x70000000, v5
	v_add_f32_e32 v17, -0.5, v17
	v_mul_f32_e32 v5, 0x7800000, v5
	v_cmp_gt_u32_e32 vcc, s7, v1
	v_bfe_i32 v3, v3, 0, 16
	v_cndmask_b32_e32 v1, v5, v17, vcc
	v_and_or_b32 v1, v3, s18, v1
	v_trunc_f32_e32 v1, v1
	v_mul_f32_e64 v3, |v1|, s19
	v_floor_f32_e32 v3, v3
	v_fma_f32 v5, v3, s20, |v1|
	v_cvt_u32_f32_e32 v5, v5
	v_cvt_u32_f32_e32 v3, v3
	v_ashrrev_i32_e32 v1, 31, v1
	v_xor_b32_e32 v5, v5, v1
	v_xor_b32_e32 v3, v3, v1
	v_sub_co_u32_e32 v17, vcc, v5, v1
	v_subb_co_u32_e32 v18, vcc, v3, v1, vcc
.LBB95_2159:
	s_mov_b64 s[6:7], 0
	s_mov_b64 s[18:19], -1
.LBB95_2160:
	s_andn2_b64 vcc, exec, s[6:7]
	s_mov_b64 s[6:7], 0
	s_cbranch_vccnz .LBB95_2169
; %bb.2161:
	s_cmp_gt_i32 s24, 14
	s_cbranch_scc0 .LBB95_2164
; %bb.2162:
	s_cmp_eq_u32 s24, 15
	s_cbranch_scc0 .LBB95_2165
; %bb.2163:
	global_load_ushort v1, v[20:21], off
	s_mov_b32 s4, 0x2f800000
	s_mov_b32 s5, 0xcf800000
	s_mov_b64 s[18:19], -1
	s_waitcnt vmcnt(0)
	v_lshlrev_b32_e32 v1, 16, v1
	v_trunc_f32_e32 v1, v1
	v_mul_f32_e64 v3, |v1|, s4
	v_floor_f32_e32 v3, v3
	v_fma_f32 v5, v3, s5, |v1|
	v_cvt_u32_f32_e32 v5, v5
	v_cvt_u32_f32_e32 v3, v3
	v_ashrrev_i32_e32 v1, 31, v1
	s_mov_b64 s[4:5], 0
	v_xor_b32_e32 v5, v5, v1
	v_xor_b32_e32 v3, v3, v1
	v_sub_co_u32_e32 v17, vcc, v5, v1
	v_subb_co_u32_e32 v18, vcc, v3, v1, vcc
	s_branch .LBB95_2166
.LBB95_2164:
	s_mov_b64 s[20:21], -1
                                        ; implicit-def: $vgpr17_vgpr18
	s_branch .LBB95_2167
.LBB95_2165:
	s_mov_b64 s[4:5], -1
                                        ; implicit-def: $vgpr17_vgpr18
.LBB95_2166:
	s_mov_b64 s[20:21], 0
.LBB95_2167:
	s_and_b64 vcc, exec, s[20:21]
	s_cbranch_vccz .LBB95_2169
; %bb.2168:
	s_cmp_lg_u32 s24, 11
	s_mov_b64 s[6:7], -1
	s_cselect_b64 s[4:5], -1, 0
.LBB95_2169:
	s_and_b64 vcc, exec, s[4:5]
	s_cbranch_vccnz .LBB95_2234
; %bb.2170:
	s_andn2_b64 vcc, exec, s[6:7]
	s_cbranch_vccnz .LBB95_2172
.LBB95_2171:
	global_load_ubyte v1, v[20:21], off
	s_mov_b32 s4, 0
	s_waitcnt vmcnt(1)
	v_mov_b32_e32 v18, s4
	s_mov_b64 s[18:19], -1
	s_waitcnt vmcnt(0)
	v_cmp_ne_u16_e32 vcc, 0, v1
	v_cndmask_b32_e64 v17, 0, 1, vcc
.LBB95_2172:
	s_mov_b64 s[4:5], 0
.LBB95_2173:
	s_and_b64 vcc, exec, s[4:5]
	s_cbranch_vccz .LBB95_2222
; %bb.2174:
	s_and_b32 s6, 0xffff, s22
	s_cmp_lt_i32 s6, 5
	s_cbranch_scc1 .LBB95_2179
; %bb.2175:
	s_cmp_lt_i32 s6, 8
	s_cbranch_scc1 .LBB95_2180
; %bb.2176:
	s_cmp_lt_i32 s6, 9
	s_cbranch_scc1 .LBB95_2181
; %bb.2177:
	s_cmp_gt_i32 s6, 9
	s_cbranch_scc0 .LBB95_2182
; %bb.2178:
	global_load_dwordx2 v[17:18], v[20:21], off
	s_movk_i32 s4, 0xffe0
	s_waitcnt vmcnt(0)
	v_trunc_f64_e32 v[17:18], v[17:18]
	v_ldexp_f64 v[22:23], v[17:18], s4
	s_mov_b32 s4, 0
	s_mov_b32 s5, 0xc1f00000
	v_floor_f64_e32 v[22:23], v[22:23]
	v_fma_f64 v[24:25], v[22:23], s[4:5], v[17:18]
	v_cvt_i32_f64_e32 v18, v[22:23]
	s_mov_b64 s[4:5], 0
	v_cvt_u32_f64_e32 v17, v[24:25]
	s_branch .LBB95_2183
.LBB95_2179:
	s_mov_b64 s[4:5], -1
                                        ; implicit-def: $vgpr17_vgpr18
	s_branch .LBB95_2201
.LBB95_2180:
	s_mov_b64 s[4:5], -1
                                        ; implicit-def: $vgpr17_vgpr18
	s_branch .LBB95_2189
.LBB95_2181:
	s_mov_b64 s[4:5], -1
                                        ; implicit-def: $vgpr17_vgpr18
	s_branch .LBB95_2186
.LBB95_2182:
	s_mov_b64 s[4:5], -1
                                        ; implicit-def: $vgpr17_vgpr18
.LBB95_2183:
	s_andn2_b64 vcc, exec, s[4:5]
	s_cbranch_vccnz .LBB95_2185
; %bb.2184:
	global_load_dword v1, v[20:21], off
	s_mov_b32 s4, 0x2f800000
	s_mov_b32 s5, 0xcf800000
	s_waitcnt vmcnt(0)
	v_trunc_f32_e32 v1, v1
	v_mul_f32_e64 v3, |v1|, s4
	v_floor_f32_e32 v3, v3
	v_cvt_u32_f32_e32 v5, v3
	v_fma_f32 v3, v3, s5, |v1|
	v_cvt_u32_f32_e32 v3, v3
	v_ashrrev_i32_e32 v1, 31, v1
	v_xor_b32_e32 v5, v5, v1
	v_xor_b32_e32 v3, v3, v1
	v_sub_co_u32_e32 v17, vcc, v3, v1
	v_subb_co_u32_e32 v18, vcc, v5, v1, vcc
.LBB95_2185:
	s_mov_b64 s[4:5], 0
.LBB95_2186:
	s_andn2_b64 vcc, exec, s[4:5]
	s_cbranch_vccnz .LBB95_2188
; %bb.2187:
	global_load_dword v1, v[20:21], off
	s_waitcnt vmcnt(0)
	v_cvt_f32_f16_e32 v1, v1
	v_cvt_i32_f32_e32 v17, v1
	v_ashrrev_i32_e32 v18, 31, v17
.LBB95_2188:
	s_mov_b64 s[4:5], 0
.LBB95_2189:
	s_andn2_b64 vcc, exec, s[4:5]
	s_cbranch_vccnz .LBB95_2200
; %bb.2190:
	s_cmp_lt_i32 s6, 6
	s_cbranch_scc1 .LBB95_2193
; %bb.2191:
	s_cmp_gt_i32 s6, 6
	s_cbranch_scc0 .LBB95_2194
; %bb.2192:
	global_load_dwordx2 v[17:18], v[20:21], off
	s_movk_i32 s4, 0xffe0
	s_waitcnt vmcnt(0)
	v_trunc_f64_e32 v[17:18], v[17:18]
	v_ldexp_f64 v[22:23], v[17:18], s4
	s_mov_b32 s4, 0
	s_mov_b32 s5, 0xc1f00000
	v_floor_f64_e32 v[22:23], v[22:23]
	v_fma_f64 v[24:25], v[22:23], s[4:5], v[17:18]
	v_cvt_i32_f64_e32 v18, v[22:23]
	s_mov_b64 s[4:5], 0
	v_cvt_u32_f64_e32 v17, v[24:25]
	s_branch .LBB95_2195
.LBB95_2193:
	s_mov_b64 s[4:5], -1
                                        ; implicit-def: $vgpr17_vgpr18
	s_branch .LBB95_2198
.LBB95_2194:
	s_mov_b64 s[4:5], -1
                                        ; implicit-def: $vgpr17_vgpr18
.LBB95_2195:
	s_andn2_b64 vcc, exec, s[4:5]
	s_cbranch_vccnz .LBB95_2197
; %bb.2196:
	global_load_dword v1, v[20:21], off
	s_mov_b32 s4, 0x2f800000
	s_mov_b32 s5, 0xcf800000
	s_waitcnt vmcnt(0)
	v_trunc_f32_e32 v1, v1
	v_mul_f32_e64 v3, |v1|, s4
	v_floor_f32_e32 v3, v3
	v_cvt_u32_f32_e32 v5, v3
	v_fma_f32 v3, v3, s5, |v1|
	v_cvt_u32_f32_e32 v3, v3
	v_ashrrev_i32_e32 v1, 31, v1
	v_xor_b32_e32 v5, v5, v1
	v_xor_b32_e32 v3, v3, v1
	v_sub_co_u32_e32 v17, vcc, v3, v1
	v_subb_co_u32_e32 v18, vcc, v5, v1, vcc
.LBB95_2197:
	s_mov_b64 s[4:5], 0
.LBB95_2198:
	s_andn2_b64 vcc, exec, s[4:5]
	s_cbranch_vccnz .LBB95_2200
; %bb.2199:
	global_load_ushort v1, v[20:21], off
	s_waitcnt vmcnt(0)
	v_cvt_f32_f16_e32 v1, v1
	v_cvt_i32_f32_e32 v17, v1
	v_ashrrev_i32_e32 v18, 31, v17
.LBB95_2200:
	s_mov_b64 s[4:5], 0
.LBB95_2201:
	s_andn2_b64 vcc, exec, s[4:5]
	s_cbranch_vccnz .LBB95_2221
; %bb.2202:
	s_cmp_lt_i32 s6, 2
	s_cbranch_scc1 .LBB95_2206
; %bb.2203:
	s_cmp_lt_i32 s6, 3
	s_cbranch_scc1 .LBB95_2207
; %bb.2204:
	s_cmp_gt_i32 s6, 3
	s_cbranch_scc0 .LBB95_2208
; %bb.2205:
	global_load_dwordx2 v[17:18], v[20:21], off
	s_mov_b64 s[4:5], 0
	s_branch .LBB95_2209
.LBB95_2206:
	s_mov_b64 s[4:5], -1
                                        ; implicit-def: $vgpr17_vgpr18
	s_branch .LBB95_2215
.LBB95_2207:
	s_mov_b64 s[4:5], -1
                                        ; implicit-def: $vgpr17_vgpr18
	s_branch .LBB95_2212
.LBB95_2208:
	s_mov_b64 s[4:5], -1
                                        ; implicit-def: $vgpr17_vgpr18
.LBB95_2209:
	s_andn2_b64 vcc, exec, s[4:5]
	s_cbranch_vccnz .LBB95_2211
; %bb.2210:
	global_load_dword v17, v[20:21], off
	s_waitcnt vmcnt(0)
	v_ashrrev_i32_e32 v18, 31, v17
.LBB95_2211:
	s_mov_b64 s[4:5], 0
.LBB95_2212:
	s_andn2_b64 vcc, exec, s[4:5]
	s_cbranch_vccnz .LBB95_2214
; %bb.2213:
	global_load_ushort v1, v[20:21], off
	s_waitcnt vmcnt(0)
	v_bfe_i32 v17, v1, 0, 16
	v_ashrrev_i32_e32 v18, 31, v17
.LBB95_2214:
	s_mov_b64 s[4:5], 0
.LBB95_2215:
	s_andn2_b64 vcc, exec, s[4:5]
	s_cbranch_vccnz .LBB95_2221
; %bb.2216:
	s_cmp_gt_i32 s6, 0
	s_cbranch_scc0 .LBB95_2218
; %bb.2217:
	global_load_sbyte v1, v[20:21], off
	s_mov_b64 s[4:5], 0
	s_waitcnt vmcnt(0)
	v_bfe_i32 v17, v1, 0, 16
	v_ashrrev_i32_e32 v18, 31, v17
	s_branch .LBB95_2219
.LBB95_2218:
	s_mov_b64 s[4:5], -1
                                        ; implicit-def: $vgpr17_vgpr18
.LBB95_2219:
	s_andn2_b64 vcc, exec, s[4:5]
	s_cbranch_vccnz .LBB95_2221
; %bb.2220:
	global_load_ubyte v1, v[20:21], off
	s_mov_b32 s4, 0
	s_waitcnt vmcnt(1)
	v_mov_b32_e32 v18, s4
	s_waitcnt vmcnt(0)
	v_and_b32_e32 v17, 0xffff, v1
.LBB95_2221:
	s_mov_b64 s[18:19], -1
.LBB95_2222:
	s_andn2_b64 vcc, exec, s[18:19]
	s_cbranch_vccnz .LBB95_3036
; %bb.2223:
	v_mov_b32_e32 v1, s1
	v_add_co_u32_e32 v21, vcc, s0, v19
	s_cmp_lt_i32 s23, 11
	v_addc_co_u32_e32 v22, vcc, 0, v1, vcc
	s_cbranch_scc1 .LBB95_2230
; %bb.2224:
	s_and_b32 s24, 0xffff, s23
	s_cmp_gt_i32 s24, 25
	s_mov_b64 s[6:7], 0
	s_cbranch_scc0 .LBB95_2231
; %bb.2225:
	s_cmp_gt_i32 s24, 28
	s_cbranch_scc0 .LBB95_2232
; %bb.2226:
	s_cmp_gt_i32 s24, 43
	;; [unrolled: 3-line block ×3, first 2 shown]
	s_cbranch_scc0 .LBB95_2235
; %bb.2228:
	s_cmp_eq_u32 s24, 46
	s_mov_b64 s[20:21], 0
	s_cbranch_scc0 .LBB95_2238
; %bb.2229:
	global_load_dword v1, v[21:22], off
	s_mov_b32 s4, 0x2f800000
	s_mov_b32 s5, 0xcf800000
	s_mov_b64 s[18:19], -1
	s_waitcnt vmcnt(0)
	v_lshlrev_b32_e32 v1, 16, v1
	v_trunc_f32_e32 v1, v1
	v_mul_f32_e64 v3, |v1|, s4
	v_floor_f32_e32 v3, v3
	v_fma_f32 v5, v3, s5, |v1|
	v_cvt_u32_f32_e32 v5, v5
	v_cvt_u32_f32_e32 v3, v3
	v_ashrrev_i32_e32 v1, 31, v1
	s_mov_b64 s[4:5], 0
	v_xor_b32_e32 v5, v5, v1
	v_xor_b32_e32 v3, v3, v1
	v_sub_co_u32_e32 v19, vcc, v5, v1
	v_subb_co_u32_e32 v20, vcc, v3, v1, vcc
	s_branch .LBB95_2239
.LBB95_2230:
	s_mov_b64 s[4:5], -1
	s_mov_b64 s[18:19], 0
                                        ; implicit-def: $vgpr19_vgpr20
	s_branch .LBB95_2301
.LBB95_2231:
	s_mov_b64 s[20:21], -1
	s_mov_b64 s[18:19], 0
	s_mov_b64 s[4:5], 0
                                        ; implicit-def: $vgpr19_vgpr20
	s_branch .LBB95_2268
.LBB95_2232:
	s_mov_b64 s[20:21], -1
	s_mov_b64 s[18:19], 0
	s_mov_b64 s[4:5], 0
                                        ; implicit-def: $vgpr19_vgpr20
	s_branch .LBB95_2249
.LBB95_2233:
	s_mov_b64 s[20:21], -1
	s_mov_b64 s[18:19], 0
	s_mov_b64 s[4:5], 0
                                        ; implicit-def: $vgpr19_vgpr20
	s_branch .LBB95_2244
.LBB95_2234:
	s_trap 2
	s_or_b64 s[16:17], s[16:17], exec
	s_cbranch_execz .LBB95_2171
	s_branch .LBB95_2172
.LBB95_2235:
	s_mov_b64 s[20:21], -1
	s_mov_b64 s[18:19], 0
	s_mov_b64 s[4:5], 0
                                        ; implicit-def: $vgpr19_vgpr20
	s_branch .LBB95_2239
.LBB95_2236:
	s_andn2_saveexec_b64 s[66:67], s[66:67]
	s_cbranch_execz .LBB95_1095
.LBB95_2237:
	s_mov_b32 s71, 0x42800000
	v_add_f32_e64 v5, |v0|, s71
	v_and_b32_e32 v5, 0xff, v5
	v_cmp_ne_u32_e32 vcc, 0, v5
	s_andn2_b64 s[64:65], s[64:65], exec
	s_and_b64 s[78:79], vcc, exec
	s_or_b64 s[64:65], s[64:65], s[78:79]
	s_or_b64 exec, exec, s[66:67]
	v_mov_b32_e32 v6, 0
	s_and_saveexec_b64 s[66:67], s[64:65]
	s_cbranch_execnz .LBB95_1096
	s_branch .LBB95_1097
.LBB95_2238:
	s_mov_b64 s[4:5], -1
                                        ; implicit-def: $vgpr19_vgpr20
	s_mov_b64 s[18:19], 0
.LBB95_2239:
	s_and_b64 vcc, exec, s[20:21]
	s_cbranch_vccz .LBB95_2243
; %bb.2240:
	s_cmp_eq_u32 s24, 44
	s_cbranch_scc0 .LBB95_2242
; %bb.2241:
	global_load_ubyte v1, v[21:22], off
	s_mov_b32 s4, 0x2f800000
	s_mov_b32 s5, 0xcf800000
	s_mov_b64 s[18:19], -1
	s_waitcnt vmcnt(0)
	v_lshlrev_b32_e32 v3, 23, v1
	v_trunc_f32_e32 v3, v3
	v_mul_f32_e64 v5, |v3|, s4
	v_floor_f32_e32 v5, v5
	v_fma_f32 v19, v5, s5, |v3|
	v_cvt_u32_f32_e32 v19, v19
	v_cvt_u32_f32_e32 v5, v5
	v_ashrrev_i32_e32 v3, 31, v3
	s_mov_b64 s[4:5], 0
	v_xor_b32_e32 v19, v19, v3
	v_xor_b32_e32 v5, v5, v3
	v_sub_co_u32_e32 v19, vcc, v19, v3
	v_subb_co_u32_e32 v3, vcc, v5, v3, vcc
	v_cmp_ne_u32_e32 vcc, 0, v1
	v_cndmask_b32_e32 v20, 0, v3, vcc
	v_cndmask_b32_e32 v19, 0, v19, vcc
	s_branch .LBB95_2243
.LBB95_2242:
	s_mov_b64 s[4:5], -1
                                        ; implicit-def: $vgpr19_vgpr20
.LBB95_2243:
	s_mov_b64 s[20:21], 0
.LBB95_2244:
	s_and_b64 vcc, exec, s[20:21]
	s_cbranch_vccz .LBB95_2248
; %bb.2245:
	s_cmp_eq_u32 s24, 29
	s_cbranch_scc0 .LBB95_2247
; %bb.2246:
	global_load_dwordx2 v[19:20], v[21:22], off
	s_mov_b64 s[4:5], 0
	s_mov_b64 s[18:19], -1
	s_branch .LBB95_2248
.LBB95_2247:
	s_mov_b64 s[4:5], -1
                                        ; implicit-def: $vgpr19_vgpr20
.LBB95_2248:
	s_mov_b64 s[20:21], 0
.LBB95_2249:
	s_and_b64 vcc, exec, s[20:21]
	s_cbranch_vccz .LBB95_2267
; %bb.2250:
	s_cmp_lt_i32 s24, 27
	s_cbranch_scc1 .LBB95_2253
; %bb.2251:
	s_cmp_gt_i32 s24, 27
	s_cbranch_scc0 .LBB95_2254
; %bb.2252:
	global_load_dword v19, v[21:22], off
	s_waitcnt vmcnt(1)
	v_mov_b32_e32 v20, 0
	s_mov_b64 s[18:19], 0
	s_branch .LBB95_2255
.LBB95_2253:
	s_mov_b64 s[18:19], -1
                                        ; implicit-def: $vgpr19_vgpr20
	s_branch .LBB95_2258
.LBB95_2254:
	s_mov_b64 s[18:19], -1
                                        ; implicit-def: $vgpr19_vgpr20
.LBB95_2255:
	s_andn2_b64 vcc, exec, s[18:19]
	s_cbranch_vccnz .LBB95_2257
; %bb.2256:
	global_load_ushort v1, v[21:22], off
	s_mov_b32 s18, 0
	s_waitcnt vmcnt(1)
	v_mov_b32_e32 v20, s18
	s_waitcnt vmcnt(0)
	v_and_b32_e32 v19, 0xffff, v1
.LBB95_2257:
	s_mov_b64 s[18:19], 0
.LBB95_2258:
	s_andn2_b64 vcc, exec, s[18:19]
	s_cbranch_vccnz .LBB95_2266
; %bb.2259:
	global_load_ubyte v1, v[21:22], off
	s_movk_i32 s18, 0x7f
	s_mov_b64 s[20:21], 0
	s_waitcnt vmcnt(0)
	v_cmp_lt_i16_e32 vcc, s18, v1
	s_and_saveexec_b64 s[18:19], vcc
	s_xor_b64 s[18:19], exec, s[18:19]
; %bb.2260:
	s_movk_i32 s20, 0x80
	v_cmp_ne_u16_e32 vcc, s20, v1
	s_and_b64 s[20:21], vcc, exec
; %bb.2261:
	s_andn2_saveexec_b64 s[18:19], s[18:19]
; %bb.2262:
	v_cmp_ne_u16_e32 vcc, 0, v1
	s_andn2_b64 s[20:21], s[20:21], exec
	s_and_b64 s[26:27], vcc, exec
	s_or_b64 s[20:21], s[20:21], s[26:27]
; %bb.2263:
	s_or_b64 exec, exec, s[18:19]
	v_mov_b32_e32 v19, 0
	v_mov_b32_e32 v20, 0
	s_and_saveexec_b64 s[18:19], s[20:21]
	s_cbranch_execz .LBB95_2265
; %bb.2264:
	v_lshlrev_b32_e32 v3, 24, v1
	v_and_b32_e32 v1, 0xffff, v1
	v_and_b32_e32 v5, 7, v1
	v_ffbh_u32_e32 v20, v5
	v_min_u32_e32 v20, 32, v20
	v_subrev_u32_e32 v23, 28, v20
	v_bfe_u32 v19, v1, 3, 4
	v_lshlrev_b32_e32 v1, v23, v1
	v_sub_u32_e32 v20, 29, v20
	v_and_b32_e32 v1, 7, v1
	v_cmp_eq_u32_e32 vcc, 0, v19
	v_cndmask_b32_e32 v19, v19, v20, vcc
	v_cndmask_b32_e32 v1, v5, v1, vcc
	v_mov_b32_e32 v5, 0x3b800000
	v_lshlrev_b32_e32 v1, 20, v1
	v_and_b32_e32 v3, 0x80000000, v3
	v_lshl_add_u32 v5, v19, 23, v5
	v_or3_b32 v1, v3, v5, v1
	v_trunc_f32_e32 v1, v1
	s_mov_b32 s20, 0x2f800000
	v_mul_f32_e64 v3, |v1|, s20
	v_floor_f32_e32 v3, v3
	s_mov_b32 s20, 0xcf800000
	v_fma_f32 v5, v3, s20, |v1|
	v_cvt_u32_f32_e32 v5, v5
	v_cvt_u32_f32_e32 v3, v3
	v_ashrrev_i32_e32 v1, 31, v1
	v_xor_b32_e32 v5, v5, v1
	v_xor_b32_e32 v3, v3, v1
	v_sub_co_u32_e32 v19, vcc, v5, v1
	v_subb_co_u32_e32 v20, vcc, v3, v1, vcc
.LBB95_2265:
	s_or_b64 exec, exec, s[18:19]
.LBB95_2266:
	s_mov_b64 s[18:19], -1
.LBB95_2267:
	s_mov_b64 s[20:21], 0
.LBB95_2268:
	s_and_b64 vcc, exec, s[20:21]
	s_cbranch_vccz .LBB95_2297
; %bb.2269:
	s_cmp_gt_i32 s24, 22
	s_cbranch_scc0 .LBB95_2279
; %bb.2270:
	s_cmp_lt_i32 s24, 24
	s_cbranch_scc1 .LBB95_2280
; %bb.2271:
	s_cmp_gt_i32 s24, 24
	s_cbranch_scc0 .LBB95_2281
; %bb.2272:
	global_load_ubyte v1, v[21:22], off
	s_movk_i32 s6, 0x7f
	s_mov_b64 s[18:19], 0
	s_waitcnt vmcnt(0)
	v_cmp_lt_i16_e32 vcc, s6, v1
	s_and_saveexec_b64 s[6:7], vcc
	s_xor_b64 s[6:7], exec, s[6:7]
; %bb.2273:
	s_movk_i32 s18, 0x80
	v_cmp_ne_u16_e32 vcc, s18, v1
	s_and_b64 s[18:19], vcc, exec
; %bb.2274:
	s_andn2_saveexec_b64 s[6:7], s[6:7]
; %bb.2275:
	v_cmp_ne_u16_e32 vcc, 0, v1
	s_andn2_b64 s[18:19], s[18:19], exec
	s_and_b64 s[20:21], vcc, exec
	s_or_b64 s[18:19], s[18:19], s[20:21]
; %bb.2276:
	s_or_b64 exec, exec, s[6:7]
	v_mov_b32_e32 v19, 0
	v_mov_b32_e32 v20, 0
	s_and_saveexec_b64 s[6:7], s[18:19]
	s_cbranch_execz .LBB95_2278
; %bb.2277:
	v_lshlrev_b32_e32 v3, 24, v1
	v_and_b32_e32 v1, 0xffff, v1
	v_and_b32_e32 v5, 3, v1
	v_ffbh_u32_e32 v20, v5
	v_min_u32_e32 v20, 32, v20
	v_subrev_u32_e32 v23, 29, v20
	v_bfe_u32 v19, v1, 2, 5
	v_lshlrev_b32_e32 v1, v23, v1
	v_sub_u32_e32 v20, 30, v20
	v_and_b32_e32 v1, 3, v1
	v_cmp_eq_u32_e32 vcc, 0, v19
	v_cndmask_b32_e32 v19, v19, v20, vcc
	v_cndmask_b32_e32 v1, v5, v1, vcc
	v_mov_b32_e32 v5, 0x37800000
	v_lshlrev_b32_e32 v1, 21, v1
	v_and_b32_e32 v3, 0x80000000, v3
	v_lshl_add_u32 v5, v19, 23, v5
	v_or3_b32 v1, v3, v5, v1
	v_trunc_f32_e32 v1, v1
	s_mov_b32 s18, 0x2f800000
	v_mul_f32_e64 v3, |v1|, s18
	v_floor_f32_e32 v3, v3
	s_mov_b32 s18, 0xcf800000
	v_fma_f32 v5, v3, s18, |v1|
	v_cvt_u32_f32_e32 v5, v5
	v_cvt_u32_f32_e32 v3, v3
	v_ashrrev_i32_e32 v1, 31, v1
	v_xor_b32_e32 v5, v5, v1
	v_xor_b32_e32 v3, v3, v1
	v_sub_co_u32_e32 v19, vcc, v5, v1
	v_subb_co_u32_e32 v20, vcc, v3, v1, vcc
.LBB95_2278:
	s_or_b64 exec, exec, s[6:7]
	s_mov_b64 s[6:7], 0
	s_branch .LBB95_2282
.LBB95_2279:
	s_mov_b64 s[6:7], -1
                                        ; implicit-def: $vgpr19_vgpr20
	s_branch .LBB95_2288
.LBB95_2280:
	s_mov_b64 s[6:7], -1
                                        ; implicit-def: $vgpr19_vgpr20
	s_branch .LBB95_2285
.LBB95_2281:
	s_mov_b64 s[6:7], -1
                                        ; implicit-def: $vgpr19_vgpr20
.LBB95_2282:
	s_and_b64 vcc, exec, s[6:7]
	s_cbranch_vccz .LBB95_2284
; %bb.2283:
	global_load_ubyte v1, v[21:22], off
	s_mov_b32 s6, 0x7f800000
	s_brev_b32 s7, 1
	s_mov_b32 s18, 0x2f800000
	s_mov_b32 s19, 0xcf800000
	s_waitcnt vmcnt(0)
	v_lshlrev_b32_e32 v1, 24, v1
	v_and_b32_e32 v3, 0x7f000000, v1
	v_ffbh_u32_e32 v5, v3
	v_min_u32_e32 v5, 32, v5
	v_sub_u32_e64 v5, v5, 4 clamp
	v_lshlrev_b32_e32 v20, v5, v3
	v_lshlrev_b32_e32 v5, 23, v5
	v_lshrrev_b32_e32 v20, 4, v20
	v_add_u32_e32 v19, 0x1000000, v3
	v_sub_u32_e32 v5, v20, v5
	v_ashrrev_i32_e32 v19, 8, v19
	v_add_u32_e32 v5, 0x3c000000, v5
	v_and_or_b32 v5, v19, s6, v5
	v_cmp_ne_u32_e32 vcc, 0, v3
	v_cndmask_b32_e32 v3, 0, v5, vcc
	v_and_or_b32 v1, v1, s7, v3
	v_trunc_f32_e32 v1, v1
	v_mul_f32_e64 v3, |v1|, s18
	v_floor_f32_e32 v3, v3
	v_fma_f32 v5, v3, s19, |v1|
	v_cvt_u32_f32_e32 v5, v5
	v_cvt_u32_f32_e32 v3, v3
	v_ashrrev_i32_e32 v1, 31, v1
	v_xor_b32_e32 v5, v5, v1
	v_xor_b32_e32 v3, v3, v1
	v_sub_co_u32_e32 v19, vcc, v5, v1
	v_subb_co_u32_e32 v20, vcc, v3, v1, vcc
.LBB95_2284:
	s_mov_b64 s[6:7], 0
.LBB95_2285:
	s_andn2_b64 vcc, exec, s[6:7]
	s_cbranch_vccnz .LBB95_2287
; %bb.2286:
	global_load_ubyte v1, v[21:22], off
	s_movk_i32 s6, 0x7f00
	s_brev_b32 s7, 16
	s_brev_b32 s18, 1
	s_mov_b32 s19, 0x2f800000
	s_mov_b32 s20, 0xcf800000
	s_waitcnt vmcnt(0)
	v_lshlrev_b16_e32 v3, 8, v1
	v_lshlrev_b32_e32 v1, 25, v1
	v_lshrrev_b32_e32 v5, 4, v1
	v_and_or_b32 v19, v3, s6, 0.5
	v_or_b32_e32 v5, 0x70000000, v5
	v_add_f32_e32 v19, -0.5, v19
	v_mul_f32_e32 v5, 0x7800000, v5
	v_cmp_gt_u32_e32 vcc, s7, v1
	v_bfe_i32 v3, v3, 0, 16
	v_cndmask_b32_e32 v1, v5, v19, vcc
	v_and_or_b32 v1, v3, s18, v1
	v_trunc_f32_e32 v1, v1
	v_mul_f32_e64 v3, |v1|, s19
	v_floor_f32_e32 v3, v3
	v_fma_f32 v5, v3, s20, |v1|
	v_cvt_u32_f32_e32 v5, v5
	v_cvt_u32_f32_e32 v3, v3
	v_ashrrev_i32_e32 v1, 31, v1
	v_xor_b32_e32 v5, v5, v1
	v_xor_b32_e32 v3, v3, v1
	v_sub_co_u32_e32 v19, vcc, v5, v1
	v_subb_co_u32_e32 v20, vcc, v3, v1, vcc
.LBB95_2287:
	s_mov_b64 s[6:7], 0
	s_mov_b64 s[18:19], -1
.LBB95_2288:
	s_andn2_b64 vcc, exec, s[6:7]
	s_mov_b64 s[6:7], 0
	s_cbranch_vccnz .LBB95_2297
; %bb.2289:
	s_cmp_gt_i32 s24, 14
	s_cbranch_scc0 .LBB95_2292
; %bb.2290:
	s_cmp_eq_u32 s24, 15
	s_cbranch_scc0 .LBB95_2293
; %bb.2291:
	global_load_ushort v1, v[21:22], off
	s_mov_b32 s4, 0x2f800000
	s_mov_b32 s5, 0xcf800000
	s_mov_b64 s[18:19], -1
	s_waitcnt vmcnt(0)
	v_lshlrev_b32_e32 v1, 16, v1
	v_trunc_f32_e32 v1, v1
	v_mul_f32_e64 v3, |v1|, s4
	v_floor_f32_e32 v3, v3
	v_fma_f32 v5, v3, s5, |v1|
	v_cvt_u32_f32_e32 v5, v5
	v_cvt_u32_f32_e32 v3, v3
	v_ashrrev_i32_e32 v1, 31, v1
	s_mov_b64 s[4:5], 0
	v_xor_b32_e32 v5, v5, v1
	v_xor_b32_e32 v3, v3, v1
	v_sub_co_u32_e32 v19, vcc, v5, v1
	v_subb_co_u32_e32 v20, vcc, v3, v1, vcc
	s_branch .LBB95_2294
.LBB95_2292:
	s_mov_b64 s[20:21], -1
                                        ; implicit-def: $vgpr19_vgpr20
	s_branch .LBB95_2295
.LBB95_2293:
	s_mov_b64 s[4:5], -1
                                        ; implicit-def: $vgpr19_vgpr20
.LBB95_2294:
	s_mov_b64 s[20:21], 0
.LBB95_2295:
	s_and_b64 vcc, exec, s[20:21]
	s_cbranch_vccz .LBB95_2297
; %bb.2296:
	s_cmp_lg_u32 s24, 11
	s_mov_b64 s[6:7], -1
	s_cselect_b64 s[4:5], -1, 0
.LBB95_2297:
	s_and_b64 vcc, exec, s[4:5]
	s_cbranch_vccnz .LBB95_2362
; %bb.2298:
	s_andn2_b64 vcc, exec, s[6:7]
	s_cbranch_vccnz .LBB95_2300
.LBB95_2299:
	global_load_ubyte v1, v[21:22], off
	s_mov_b32 s4, 0
	s_waitcnt vmcnt(1)
	v_mov_b32_e32 v20, s4
	s_mov_b64 s[18:19], -1
	s_waitcnt vmcnt(0)
	v_cmp_ne_u16_e32 vcc, 0, v1
	v_cndmask_b32_e64 v19, 0, 1, vcc
.LBB95_2300:
	s_mov_b64 s[4:5], 0
.LBB95_2301:
	s_and_b64 vcc, exec, s[4:5]
	s_cbranch_vccz .LBB95_2350
; %bb.2302:
	s_and_b32 s6, 0xffff, s23
	s_cmp_lt_i32 s6, 5
	s_cbranch_scc1 .LBB95_2307
; %bb.2303:
	s_cmp_lt_i32 s6, 8
	s_cbranch_scc1 .LBB95_2308
; %bb.2304:
	;; [unrolled: 3-line block ×3, first 2 shown]
	s_cmp_gt_i32 s6, 9
	s_cbranch_scc0 .LBB95_2310
; %bb.2306:
	global_load_dwordx2 v[19:20], v[21:22], off
	s_movk_i32 s4, 0xffe0
	s_waitcnt vmcnt(0)
	v_trunc_f64_e32 v[19:20], v[19:20]
	v_ldexp_f64 v[23:24], v[19:20], s4
	s_mov_b32 s4, 0
	s_mov_b32 s5, 0xc1f00000
	v_floor_f64_e32 v[23:24], v[23:24]
	v_fma_f64 v[25:26], v[23:24], s[4:5], v[19:20]
	v_cvt_i32_f64_e32 v20, v[23:24]
	s_mov_b64 s[4:5], 0
	v_cvt_u32_f64_e32 v19, v[25:26]
	s_branch .LBB95_2311
.LBB95_2307:
	s_mov_b64 s[4:5], -1
                                        ; implicit-def: $vgpr19_vgpr20
	s_branch .LBB95_2329
.LBB95_2308:
	s_mov_b64 s[4:5], -1
                                        ; implicit-def: $vgpr19_vgpr20
	s_branch .LBB95_2317
.LBB95_2309:
	s_mov_b64 s[4:5], -1
                                        ; implicit-def: $vgpr19_vgpr20
	s_branch .LBB95_2314
.LBB95_2310:
	s_mov_b64 s[4:5], -1
                                        ; implicit-def: $vgpr19_vgpr20
.LBB95_2311:
	s_andn2_b64 vcc, exec, s[4:5]
	s_cbranch_vccnz .LBB95_2313
; %bb.2312:
	global_load_dword v1, v[21:22], off
	s_mov_b32 s4, 0x2f800000
	s_mov_b32 s5, 0xcf800000
	s_waitcnt vmcnt(0)
	v_trunc_f32_e32 v1, v1
	v_mul_f32_e64 v3, |v1|, s4
	v_floor_f32_e32 v3, v3
	v_cvt_u32_f32_e32 v5, v3
	v_fma_f32 v3, v3, s5, |v1|
	v_cvt_u32_f32_e32 v3, v3
	v_ashrrev_i32_e32 v1, 31, v1
	v_xor_b32_e32 v5, v5, v1
	v_xor_b32_e32 v3, v3, v1
	v_sub_co_u32_e32 v19, vcc, v3, v1
	v_subb_co_u32_e32 v20, vcc, v5, v1, vcc
.LBB95_2313:
	s_mov_b64 s[4:5], 0
.LBB95_2314:
	s_andn2_b64 vcc, exec, s[4:5]
	s_cbranch_vccnz .LBB95_2316
; %bb.2315:
	global_load_dword v1, v[21:22], off
	s_waitcnt vmcnt(0)
	v_cvt_f32_f16_e32 v1, v1
	v_cvt_i32_f32_e32 v19, v1
	v_ashrrev_i32_e32 v20, 31, v19
.LBB95_2316:
	s_mov_b64 s[4:5], 0
.LBB95_2317:
	s_andn2_b64 vcc, exec, s[4:5]
	s_cbranch_vccnz .LBB95_2328
; %bb.2318:
	s_cmp_lt_i32 s6, 6
	s_cbranch_scc1 .LBB95_2321
; %bb.2319:
	s_cmp_gt_i32 s6, 6
	s_cbranch_scc0 .LBB95_2322
; %bb.2320:
	global_load_dwordx2 v[19:20], v[21:22], off
	s_movk_i32 s4, 0xffe0
	s_waitcnt vmcnt(0)
	v_trunc_f64_e32 v[19:20], v[19:20]
	v_ldexp_f64 v[23:24], v[19:20], s4
	s_mov_b32 s4, 0
	s_mov_b32 s5, 0xc1f00000
	v_floor_f64_e32 v[23:24], v[23:24]
	v_fma_f64 v[25:26], v[23:24], s[4:5], v[19:20]
	v_cvt_i32_f64_e32 v20, v[23:24]
	s_mov_b64 s[4:5], 0
	v_cvt_u32_f64_e32 v19, v[25:26]
	s_branch .LBB95_2323
.LBB95_2321:
	s_mov_b64 s[4:5], -1
                                        ; implicit-def: $vgpr19_vgpr20
	s_branch .LBB95_2326
.LBB95_2322:
	s_mov_b64 s[4:5], -1
                                        ; implicit-def: $vgpr19_vgpr20
.LBB95_2323:
	s_andn2_b64 vcc, exec, s[4:5]
	s_cbranch_vccnz .LBB95_2325
; %bb.2324:
	global_load_dword v1, v[21:22], off
	s_mov_b32 s4, 0x2f800000
	s_mov_b32 s5, 0xcf800000
	s_waitcnt vmcnt(0)
	v_trunc_f32_e32 v1, v1
	v_mul_f32_e64 v3, |v1|, s4
	v_floor_f32_e32 v3, v3
	v_cvt_u32_f32_e32 v5, v3
	v_fma_f32 v3, v3, s5, |v1|
	v_cvt_u32_f32_e32 v3, v3
	v_ashrrev_i32_e32 v1, 31, v1
	v_xor_b32_e32 v5, v5, v1
	v_xor_b32_e32 v3, v3, v1
	v_sub_co_u32_e32 v19, vcc, v3, v1
	v_subb_co_u32_e32 v20, vcc, v5, v1, vcc
.LBB95_2325:
	s_mov_b64 s[4:5], 0
.LBB95_2326:
	s_andn2_b64 vcc, exec, s[4:5]
	s_cbranch_vccnz .LBB95_2328
; %bb.2327:
	global_load_ushort v1, v[21:22], off
	s_waitcnt vmcnt(0)
	v_cvt_f32_f16_e32 v1, v1
	v_cvt_i32_f32_e32 v19, v1
	v_ashrrev_i32_e32 v20, 31, v19
.LBB95_2328:
	s_mov_b64 s[4:5], 0
.LBB95_2329:
	s_andn2_b64 vcc, exec, s[4:5]
	s_cbranch_vccnz .LBB95_2349
; %bb.2330:
	s_cmp_lt_i32 s6, 2
	s_cbranch_scc1 .LBB95_2334
; %bb.2331:
	s_cmp_lt_i32 s6, 3
	s_cbranch_scc1 .LBB95_2335
; %bb.2332:
	s_cmp_gt_i32 s6, 3
	s_cbranch_scc0 .LBB95_2336
; %bb.2333:
	global_load_dwordx2 v[19:20], v[21:22], off
	s_mov_b64 s[4:5], 0
	s_branch .LBB95_2337
.LBB95_2334:
	s_mov_b64 s[4:5], -1
                                        ; implicit-def: $vgpr19_vgpr20
	s_branch .LBB95_2343
.LBB95_2335:
	s_mov_b64 s[4:5], -1
                                        ; implicit-def: $vgpr19_vgpr20
	s_branch .LBB95_2340
.LBB95_2336:
	s_mov_b64 s[4:5], -1
                                        ; implicit-def: $vgpr19_vgpr20
.LBB95_2337:
	s_andn2_b64 vcc, exec, s[4:5]
	s_cbranch_vccnz .LBB95_2339
; %bb.2338:
	global_load_dword v19, v[21:22], off
	s_waitcnt vmcnt(0)
	v_ashrrev_i32_e32 v20, 31, v19
.LBB95_2339:
	s_mov_b64 s[4:5], 0
.LBB95_2340:
	s_andn2_b64 vcc, exec, s[4:5]
	s_cbranch_vccnz .LBB95_2342
; %bb.2341:
	global_load_ushort v1, v[21:22], off
	s_waitcnt vmcnt(0)
	v_bfe_i32 v19, v1, 0, 16
	v_ashrrev_i32_e32 v20, 31, v19
.LBB95_2342:
	s_mov_b64 s[4:5], 0
.LBB95_2343:
	s_andn2_b64 vcc, exec, s[4:5]
	s_cbranch_vccnz .LBB95_2349
; %bb.2344:
	s_cmp_gt_i32 s6, 0
	s_cbranch_scc0 .LBB95_2346
; %bb.2345:
	global_load_sbyte v1, v[21:22], off
	s_mov_b64 s[4:5], 0
	s_waitcnt vmcnt(0)
	v_bfe_i32 v19, v1, 0, 16
	v_ashrrev_i32_e32 v20, 31, v19
	s_branch .LBB95_2347
.LBB95_2346:
	s_mov_b64 s[4:5], -1
                                        ; implicit-def: $vgpr19_vgpr20
.LBB95_2347:
	s_andn2_b64 vcc, exec, s[4:5]
	s_cbranch_vccnz .LBB95_2349
; %bb.2348:
	global_load_ubyte v1, v[21:22], off
	s_mov_b32 s4, 0
	s_waitcnt vmcnt(1)
	v_mov_b32_e32 v20, s4
	s_waitcnt vmcnt(0)
	v_and_b32_e32 v19, 0xffff, v1
.LBB95_2349:
	s_mov_b64 s[18:19], -1
.LBB95_2350:
	s_andn2_b64 vcc, exec, s[18:19]
	s_cbranch_vccnz .LBB95_3036
; %bb.2351:
	v_mov_b32_e32 v1, s11
	v_add_co_u32_e32 v23, vcc, s10, v14
	s_cmp_lt_i32 s22, 11
	v_addc_co_u32_e32 v24, vcc, 0, v1, vcc
	s_cbranch_scc1 .LBB95_2358
; %bb.2352:
	s_and_b32 s20, 0xffff, s22
	s_cmp_gt_i32 s20, 25
	s_mov_b64 s[6:7], 0
	s_cbranch_scc0 .LBB95_2359
; %bb.2353:
	s_cmp_gt_i32 s20, 28
	s_cbranch_scc0 .LBB95_2360
; %bb.2354:
	s_cmp_gt_i32 s20, 43
	;; [unrolled: 3-line block ×3, first 2 shown]
	s_cbranch_scc0 .LBB95_2363
; %bb.2356:
	s_cmp_eq_u32 s20, 46
	s_mov_b64 s[18:19], 0
	s_cbranch_scc0 .LBB95_2364
; %bb.2357:
	global_load_dword v1, v[23:24], off
	s_mov_b32 s4, 0x2f800000
	s_mov_b32 s5, 0xcf800000
	s_mov_b64 s[10:11], -1
	s_waitcnt vmcnt(0)
	v_lshlrev_b32_e32 v1, 16, v1
	v_trunc_f32_e32 v1, v1
	v_mul_f32_e64 v3, |v1|, s4
	v_floor_f32_e32 v3, v3
	v_fma_f32 v5, v3, s5, |v1|
	v_cvt_u32_f32_e32 v5, v5
	v_cvt_u32_f32_e32 v3, v3
	v_ashrrev_i32_e32 v1, 31, v1
	s_mov_b64 s[4:5], 0
	v_xor_b32_e32 v5, v5, v1
	v_xor_b32_e32 v3, v3, v1
	v_sub_co_u32_e32 v21, vcc, v5, v1
	v_subb_co_u32_e32 v22, vcc, v3, v1, vcc
	s_branch .LBB95_2365
.LBB95_2358:
	s_mov_b64 s[4:5], -1
	s_mov_b64 s[10:11], 0
                                        ; implicit-def: $vgpr21_vgpr22
	s_branch .LBB95_2427
.LBB95_2359:
	s_mov_b64 s[18:19], -1
	s_mov_b64 s[10:11], 0
	s_mov_b64 s[4:5], 0
                                        ; implicit-def: $vgpr21_vgpr22
	s_branch .LBB95_2394
.LBB95_2360:
	s_mov_b64 s[18:19], -1
	s_mov_b64 s[10:11], 0
	s_mov_b64 s[4:5], 0
                                        ; implicit-def: $vgpr21_vgpr22
	s_branch .LBB95_2375
.LBB95_2361:
	s_mov_b64 s[18:19], -1
	s_mov_b64 s[10:11], 0
	s_mov_b64 s[4:5], 0
                                        ; implicit-def: $vgpr21_vgpr22
	s_branch .LBB95_2370
.LBB95_2362:
	s_trap 2
	s_or_b64 s[16:17], s[16:17], exec
	s_cbranch_execz .LBB95_2299
	s_branch .LBB95_2300
.LBB95_2363:
	s_mov_b64 s[18:19], -1
	s_mov_b64 s[10:11], 0
	s_mov_b64 s[4:5], 0
                                        ; implicit-def: $vgpr21_vgpr22
	s_branch .LBB95_2365
.LBB95_2364:
	s_mov_b64 s[4:5], -1
                                        ; implicit-def: $vgpr21_vgpr22
	s_mov_b64 s[10:11], 0
.LBB95_2365:
	s_and_b64 vcc, exec, s[18:19]
	s_cbranch_vccz .LBB95_2369
; %bb.2366:
	s_cmp_eq_u32 s20, 44
	s_cbranch_scc0 .LBB95_2368
; %bb.2367:
	global_load_ubyte v1, v[23:24], off
	s_mov_b32 s4, 0x2f800000
	s_mov_b32 s5, 0xcf800000
	s_mov_b64 s[10:11], -1
	s_waitcnt vmcnt(0)
	v_lshlrev_b32_e32 v3, 23, v1
	v_trunc_f32_e32 v3, v3
	v_mul_f32_e64 v5, |v3|, s4
	v_floor_f32_e32 v5, v5
	v_fma_f32 v14, v5, s5, |v3|
	v_cvt_u32_f32_e32 v14, v14
	v_cvt_u32_f32_e32 v5, v5
	v_ashrrev_i32_e32 v3, 31, v3
	s_mov_b64 s[4:5], 0
	v_xor_b32_e32 v14, v14, v3
	v_xor_b32_e32 v5, v5, v3
	v_sub_co_u32_e32 v14, vcc, v14, v3
	v_subb_co_u32_e32 v3, vcc, v5, v3, vcc
	v_cmp_ne_u32_e32 vcc, 0, v1
	v_cndmask_b32_e32 v22, 0, v3, vcc
	v_cndmask_b32_e32 v21, 0, v14, vcc
	s_branch .LBB95_2369
.LBB95_2368:
	s_mov_b64 s[4:5], -1
                                        ; implicit-def: $vgpr21_vgpr22
.LBB95_2369:
	s_mov_b64 s[18:19], 0
.LBB95_2370:
	s_and_b64 vcc, exec, s[18:19]
	s_cbranch_vccz .LBB95_2374
; %bb.2371:
	s_cmp_eq_u32 s20, 29
	s_cbranch_scc0 .LBB95_2373
; %bb.2372:
	global_load_dwordx2 v[21:22], v[23:24], off
	s_mov_b64 s[4:5], 0
	s_mov_b64 s[10:11], -1
	s_branch .LBB95_2374
.LBB95_2373:
	s_mov_b64 s[4:5], -1
                                        ; implicit-def: $vgpr21_vgpr22
.LBB95_2374:
	s_mov_b64 s[18:19], 0
.LBB95_2375:
	s_and_b64 vcc, exec, s[18:19]
	s_cbranch_vccz .LBB95_2393
; %bb.2376:
	s_cmp_lt_i32 s20, 27
	s_cbranch_scc1 .LBB95_2379
; %bb.2377:
	s_cmp_gt_i32 s20, 27
	s_cbranch_scc0 .LBB95_2380
; %bb.2378:
	global_load_dword v21, v[23:24], off
	s_waitcnt vmcnt(1)
	v_mov_b32_e32 v22, 0
	s_mov_b64 s[10:11], 0
	s_branch .LBB95_2381
.LBB95_2379:
	s_mov_b64 s[10:11], -1
                                        ; implicit-def: $vgpr21_vgpr22
	s_branch .LBB95_2384
.LBB95_2380:
	s_mov_b64 s[10:11], -1
                                        ; implicit-def: $vgpr21_vgpr22
.LBB95_2381:
	s_andn2_b64 vcc, exec, s[10:11]
	s_cbranch_vccnz .LBB95_2383
; %bb.2382:
	global_load_ushort v1, v[23:24], off
	s_mov_b32 s10, 0
	s_waitcnt vmcnt(1)
	v_mov_b32_e32 v22, s10
	s_waitcnt vmcnt(0)
	v_and_b32_e32 v21, 0xffff, v1
.LBB95_2383:
	s_mov_b64 s[10:11], 0
.LBB95_2384:
	s_andn2_b64 vcc, exec, s[10:11]
	s_cbranch_vccnz .LBB95_2392
; %bb.2385:
	global_load_ubyte v1, v[23:24], off
	s_movk_i32 s10, 0x7f
	s_mov_b64 s[18:19], 0
	s_waitcnt vmcnt(0)
	v_cmp_lt_i16_e32 vcc, s10, v1
	s_and_saveexec_b64 s[10:11], vcc
	s_xor_b64 s[10:11], exec, s[10:11]
; %bb.2386:
	s_movk_i32 s18, 0x80
	v_cmp_ne_u16_e32 vcc, s18, v1
	s_and_b64 s[18:19], vcc, exec
; %bb.2387:
	s_andn2_saveexec_b64 s[10:11], s[10:11]
; %bb.2388:
	v_cmp_ne_u16_e32 vcc, 0, v1
	s_andn2_b64 s[18:19], s[18:19], exec
	s_and_b64 s[24:25], vcc, exec
	s_or_b64 s[18:19], s[18:19], s[24:25]
; %bb.2389:
	s_or_b64 exec, exec, s[10:11]
	v_mov_b32_e32 v21, 0
	v_mov_b32_e32 v22, 0
	s_and_saveexec_b64 s[10:11], s[18:19]
	s_cbranch_execz .LBB95_2391
; %bb.2390:
	v_lshlrev_b32_e32 v3, 24, v1
	v_and_b32_e32 v1, 0xffff, v1
	v_and_b32_e32 v5, 7, v1
	v_ffbh_u32_e32 v21, v5
	v_min_u32_e32 v21, 32, v21
	v_subrev_u32_e32 v22, 28, v21
	v_bfe_u32 v14, v1, 3, 4
	v_lshlrev_b32_e32 v1, v22, v1
	v_sub_u32_e32 v21, 29, v21
	v_and_b32_e32 v1, 7, v1
	v_cmp_eq_u32_e32 vcc, 0, v14
	v_cndmask_b32_e32 v14, v14, v21, vcc
	v_cndmask_b32_e32 v1, v5, v1, vcc
	v_mov_b32_e32 v5, 0x3b800000
	v_lshlrev_b32_e32 v1, 20, v1
	v_and_b32_e32 v3, 0x80000000, v3
	v_lshl_add_u32 v5, v14, 23, v5
	v_or3_b32 v1, v3, v5, v1
	v_trunc_f32_e32 v1, v1
	s_mov_b32 s18, 0x2f800000
	v_mul_f32_e64 v3, |v1|, s18
	v_floor_f32_e32 v3, v3
	s_mov_b32 s18, 0xcf800000
	v_fma_f32 v5, v3, s18, |v1|
	v_cvt_u32_f32_e32 v5, v5
	v_cvt_u32_f32_e32 v3, v3
	v_ashrrev_i32_e32 v1, 31, v1
	v_xor_b32_e32 v5, v5, v1
	v_xor_b32_e32 v3, v3, v1
	v_sub_co_u32_e32 v21, vcc, v5, v1
	v_subb_co_u32_e32 v22, vcc, v3, v1, vcc
.LBB95_2391:
	s_or_b64 exec, exec, s[10:11]
.LBB95_2392:
	s_mov_b64 s[10:11], -1
.LBB95_2393:
	s_mov_b64 s[18:19], 0
.LBB95_2394:
	s_and_b64 vcc, exec, s[18:19]
	s_cbranch_vccz .LBB95_2423
; %bb.2395:
	s_cmp_gt_i32 s20, 22
	s_cbranch_scc0 .LBB95_2405
; %bb.2396:
	s_cmp_lt_i32 s20, 24
	s_cbranch_scc1 .LBB95_2406
; %bb.2397:
	s_cmp_gt_i32 s20, 24
	s_cbranch_scc0 .LBB95_2407
; %bb.2398:
	global_load_ubyte v1, v[23:24], off
	s_movk_i32 s6, 0x7f
	s_mov_b64 s[10:11], 0
	s_waitcnt vmcnt(0)
	v_cmp_lt_i16_e32 vcc, s6, v1
	s_and_saveexec_b64 s[6:7], vcc
	s_xor_b64 s[6:7], exec, s[6:7]
; %bb.2399:
	s_movk_i32 s10, 0x80
	v_cmp_ne_u16_e32 vcc, s10, v1
	s_and_b64 s[10:11], vcc, exec
; %bb.2400:
	s_andn2_saveexec_b64 s[6:7], s[6:7]
; %bb.2401:
	v_cmp_ne_u16_e32 vcc, 0, v1
	s_andn2_b64 s[10:11], s[10:11], exec
	s_and_b64 s[18:19], vcc, exec
	s_or_b64 s[10:11], s[10:11], s[18:19]
; %bb.2402:
	s_or_b64 exec, exec, s[6:7]
	v_mov_b32_e32 v21, 0
	v_mov_b32_e32 v22, 0
	s_and_saveexec_b64 s[6:7], s[10:11]
	s_cbranch_execz .LBB95_2404
; %bb.2403:
	v_lshlrev_b32_e32 v3, 24, v1
	v_and_b32_e32 v1, 0xffff, v1
	v_and_b32_e32 v5, 3, v1
	v_ffbh_u32_e32 v21, v5
	v_min_u32_e32 v21, 32, v21
	v_subrev_u32_e32 v22, 29, v21
	v_bfe_u32 v14, v1, 2, 5
	v_lshlrev_b32_e32 v1, v22, v1
	v_sub_u32_e32 v21, 30, v21
	v_and_b32_e32 v1, 3, v1
	v_cmp_eq_u32_e32 vcc, 0, v14
	v_cndmask_b32_e32 v14, v14, v21, vcc
	v_cndmask_b32_e32 v1, v5, v1, vcc
	v_mov_b32_e32 v5, 0x37800000
	v_lshlrev_b32_e32 v1, 21, v1
	v_and_b32_e32 v3, 0x80000000, v3
	v_lshl_add_u32 v5, v14, 23, v5
	v_or3_b32 v1, v3, v5, v1
	v_trunc_f32_e32 v1, v1
	s_mov_b32 s10, 0x2f800000
	v_mul_f32_e64 v3, |v1|, s10
	v_floor_f32_e32 v3, v3
	s_mov_b32 s10, 0xcf800000
	v_fma_f32 v5, v3, s10, |v1|
	v_cvt_u32_f32_e32 v5, v5
	v_cvt_u32_f32_e32 v3, v3
	v_ashrrev_i32_e32 v1, 31, v1
	v_xor_b32_e32 v5, v5, v1
	v_xor_b32_e32 v3, v3, v1
	v_sub_co_u32_e32 v21, vcc, v5, v1
	v_subb_co_u32_e32 v22, vcc, v3, v1, vcc
.LBB95_2404:
	s_or_b64 exec, exec, s[6:7]
	s_mov_b64 s[6:7], 0
	s_branch .LBB95_2408
.LBB95_2405:
	s_mov_b64 s[6:7], -1
                                        ; implicit-def: $vgpr21_vgpr22
	s_branch .LBB95_2414
.LBB95_2406:
	s_mov_b64 s[6:7], -1
                                        ; implicit-def: $vgpr21_vgpr22
	s_branch .LBB95_2411
.LBB95_2407:
	s_mov_b64 s[6:7], -1
                                        ; implicit-def: $vgpr21_vgpr22
.LBB95_2408:
	s_and_b64 vcc, exec, s[6:7]
	s_cbranch_vccz .LBB95_2410
; %bb.2409:
	global_load_ubyte v1, v[23:24], off
	s_mov_b32 s6, 0x7f800000
	s_brev_b32 s7, 1
	s_mov_b32 s10, 0x2f800000
	s_mov_b32 s11, 0xcf800000
	s_waitcnt vmcnt(0)
	v_lshlrev_b32_e32 v1, 24, v1
	v_and_b32_e32 v3, 0x7f000000, v1
	v_ffbh_u32_e32 v5, v3
	v_min_u32_e32 v5, 32, v5
	v_sub_u32_e64 v5, v5, 4 clamp
	v_lshlrev_b32_e32 v21, v5, v3
	v_lshlrev_b32_e32 v5, 23, v5
	v_lshrrev_b32_e32 v21, 4, v21
	v_add_u32_e32 v14, 0x1000000, v3
	v_sub_u32_e32 v5, v21, v5
	v_ashrrev_i32_e32 v14, 8, v14
	v_add_u32_e32 v5, 0x3c000000, v5
	v_and_or_b32 v5, v14, s6, v5
	v_cmp_ne_u32_e32 vcc, 0, v3
	v_cndmask_b32_e32 v3, 0, v5, vcc
	v_and_or_b32 v1, v1, s7, v3
	v_trunc_f32_e32 v1, v1
	v_mul_f32_e64 v3, |v1|, s10
	v_floor_f32_e32 v3, v3
	v_fma_f32 v5, v3, s11, |v1|
	v_cvt_u32_f32_e32 v5, v5
	v_cvt_u32_f32_e32 v3, v3
	v_ashrrev_i32_e32 v1, 31, v1
	v_xor_b32_e32 v5, v5, v1
	v_xor_b32_e32 v3, v3, v1
	v_sub_co_u32_e32 v21, vcc, v5, v1
	v_subb_co_u32_e32 v22, vcc, v3, v1, vcc
.LBB95_2410:
	s_mov_b64 s[6:7], 0
.LBB95_2411:
	s_andn2_b64 vcc, exec, s[6:7]
	s_cbranch_vccnz .LBB95_2413
; %bb.2412:
	global_load_ubyte v1, v[23:24], off
	s_movk_i32 s6, 0x7f00
	s_brev_b32 s7, 16
	s_brev_b32 s10, 1
	s_mov_b32 s11, 0x2f800000
	s_mov_b32 s18, 0xcf800000
	s_waitcnt vmcnt(0)
	v_lshlrev_b16_e32 v3, 8, v1
	v_lshlrev_b32_e32 v1, 25, v1
	v_lshrrev_b32_e32 v5, 4, v1
	v_and_or_b32 v14, v3, s6, 0.5
	v_or_b32_e32 v5, 0x70000000, v5
	v_add_f32_e32 v14, -0.5, v14
	v_mul_f32_e32 v5, 0x7800000, v5
	v_cmp_gt_u32_e32 vcc, s7, v1
	v_bfe_i32 v3, v3, 0, 16
	v_cndmask_b32_e32 v1, v5, v14, vcc
	v_and_or_b32 v1, v3, s10, v1
	v_trunc_f32_e32 v1, v1
	v_mul_f32_e64 v3, |v1|, s11
	v_floor_f32_e32 v3, v3
	v_fma_f32 v5, v3, s18, |v1|
	v_cvt_u32_f32_e32 v5, v5
	v_cvt_u32_f32_e32 v3, v3
	v_ashrrev_i32_e32 v1, 31, v1
	v_xor_b32_e32 v5, v5, v1
	v_xor_b32_e32 v3, v3, v1
	v_sub_co_u32_e32 v21, vcc, v5, v1
	v_subb_co_u32_e32 v22, vcc, v3, v1, vcc
.LBB95_2413:
	s_mov_b64 s[6:7], 0
	s_mov_b64 s[10:11], -1
.LBB95_2414:
	s_andn2_b64 vcc, exec, s[6:7]
	s_mov_b64 s[6:7], 0
	s_cbranch_vccnz .LBB95_2423
; %bb.2415:
	s_cmp_gt_i32 s20, 14
	s_cbranch_scc0 .LBB95_2418
; %bb.2416:
	s_cmp_eq_u32 s20, 15
	s_cbranch_scc0 .LBB95_2419
; %bb.2417:
	global_load_ushort v1, v[23:24], off
	s_mov_b32 s4, 0x2f800000
	s_mov_b32 s5, 0xcf800000
	s_mov_b64 s[10:11], -1
	s_waitcnt vmcnt(0)
	v_lshlrev_b32_e32 v1, 16, v1
	v_trunc_f32_e32 v1, v1
	v_mul_f32_e64 v3, |v1|, s4
	v_floor_f32_e32 v3, v3
	v_fma_f32 v5, v3, s5, |v1|
	v_cvt_u32_f32_e32 v5, v5
	v_cvt_u32_f32_e32 v3, v3
	v_ashrrev_i32_e32 v1, 31, v1
	s_mov_b64 s[4:5], 0
	v_xor_b32_e32 v5, v5, v1
	v_xor_b32_e32 v3, v3, v1
	v_sub_co_u32_e32 v21, vcc, v5, v1
	v_subb_co_u32_e32 v22, vcc, v3, v1, vcc
	s_branch .LBB95_2420
.LBB95_2418:
	s_mov_b64 s[18:19], -1
                                        ; implicit-def: $vgpr21_vgpr22
	s_branch .LBB95_2421
.LBB95_2419:
	s_mov_b64 s[4:5], -1
                                        ; implicit-def: $vgpr21_vgpr22
.LBB95_2420:
	s_mov_b64 s[18:19], 0
.LBB95_2421:
	s_and_b64 vcc, exec, s[18:19]
	s_cbranch_vccz .LBB95_2423
; %bb.2422:
	s_cmp_lg_u32 s20, 11
	s_mov_b64 s[6:7], -1
	s_cselect_b64 s[4:5], -1, 0
.LBB95_2423:
	s_and_b64 vcc, exec, s[4:5]
	s_cbranch_vccnz .LBB95_2488
; %bb.2424:
	s_andn2_b64 vcc, exec, s[6:7]
	s_cbranch_vccnz .LBB95_2426
.LBB95_2425:
	global_load_ubyte v1, v[23:24], off
	s_mov_b32 s4, 0
	s_waitcnt vmcnt(1)
	v_mov_b32_e32 v22, s4
	s_mov_b64 s[10:11], -1
	s_waitcnt vmcnt(0)
	v_cmp_ne_u16_e32 vcc, 0, v1
	v_cndmask_b32_e64 v21, 0, 1, vcc
.LBB95_2426:
	s_mov_b64 s[4:5], 0
.LBB95_2427:
	s_and_b64 vcc, exec, s[4:5]
	s_cbranch_vccz .LBB95_2476
; %bb.2428:
	s_and_b32 s6, 0xffff, s22
	s_cmp_lt_i32 s6, 5
	s_cbranch_scc1 .LBB95_2433
; %bb.2429:
	s_cmp_lt_i32 s6, 8
	s_cbranch_scc1 .LBB95_2434
; %bb.2430:
	;; [unrolled: 3-line block ×3, first 2 shown]
	s_cmp_gt_i32 s6, 9
	s_cbranch_scc0 .LBB95_2436
; %bb.2432:
	global_load_dwordx2 v[21:22], v[23:24], off
	s_movk_i32 s4, 0xffe0
	s_waitcnt vmcnt(0)
	v_trunc_f64_e32 v[21:22], v[21:22]
	v_ldexp_f64 v[25:26], v[21:22], s4
	s_mov_b32 s4, 0
	s_mov_b32 s5, 0xc1f00000
	v_floor_f64_e32 v[25:26], v[25:26]
	v_fma_f64 v[27:28], v[25:26], s[4:5], v[21:22]
	v_cvt_i32_f64_e32 v22, v[25:26]
	s_mov_b64 s[4:5], 0
	v_cvt_u32_f64_e32 v21, v[27:28]
	s_branch .LBB95_2437
.LBB95_2433:
	s_mov_b64 s[4:5], -1
                                        ; implicit-def: $vgpr21_vgpr22
	s_branch .LBB95_2455
.LBB95_2434:
	s_mov_b64 s[4:5], -1
                                        ; implicit-def: $vgpr21_vgpr22
	s_branch .LBB95_2443
.LBB95_2435:
	s_mov_b64 s[4:5], -1
                                        ; implicit-def: $vgpr21_vgpr22
	s_branch .LBB95_2440
.LBB95_2436:
	s_mov_b64 s[4:5], -1
                                        ; implicit-def: $vgpr21_vgpr22
.LBB95_2437:
	s_andn2_b64 vcc, exec, s[4:5]
	s_cbranch_vccnz .LBB95_2439
; %bb.2438:
	global_load_dword v1, v[23:24], off
	s_mov_b32 s4, 0x2f800000
	s_mov_b32 s5, 0xcf800000
	s_waitcnt vmcnt(0)
	v_trunc_f32_e32 v1, v1
	v_mul_f32_e64 v3, |v1|, s4
	v_floor_f32_e32 v3, v3
	v_cvt_u32_f32_e32 v5, v3
	v_fma_f32 v3, v3, s5, |v1|
	v_cvt_u32_f32_e32 v3, v3
	v_ashrrev_i32_e32 v1, 31, v1
	v_xor_b32_e32 v5, v5, v1
	v_xor_b32_e32 v3, v3, v1
	v_sub_co_u32_e32 v21, vcc, v3, v1
	v_subb_co_u32_e32 v22, vcc, v5, v1, vcc
.LBB95_2439:
	s_mov_b64 s[4:5], 0
.LBB95_2440:
	s_andn2_b64 vcc, exec, s[4:5]
	s_cbranch_vccnz .LBB95_2442
; %bb.2441:
	global_load_dword v1, v[23:24], off
	s_waitcnt vmcnt(0)
	v_cvt_f32_f16_e32 v1, v1
	v_cvt_i32_f32_e32 v21, v1
	v_ashrrev_i32_e32 v22, 31, v21
.LBB95_2442:
	s_mov_b64 s[4:5], 0
.LBB95_2443:
	s_andn2_b64 vcc, exec, s[4:5]
	s_cbranch_vccnz .LBB95_2454
; %bb.2444:
	s_cmp_lt_i32 s6, 6
	s_cbranch_scc1 .LBB95_2447
; %bb.2445:
	s_cmp_gt_i32 s6, 6
	s_cbranch_scc0 .LBB95_2448
; %bb.2446:
	global_load_dwordx2 v[21:22], v[23:24], off
	s_movk_i32 s4, 0xffe0
	s_waitcnt vmcnt(0)
	v_trunc_f64_e32 v[21:22], v[21:22]
	v_ldexp_f64 v[25:26], v[21:22], s4
	s_mov_b32 s4, 0
	s_mov_b32 s5, 0xc1f00000
	v_floor_f64_e32 v[25:26], v[25:26]
	v_fma_f64 v[27:28], v[25:26], s[4:5], v[21:22]
	v_cvt_i32_f64_e32 v22, v[25:26]
	s_mov_b64 s[4:5], 0
	v_cvt_u32_f64_e32 v21, v[27:28]
	s_branch .LBB95_2449
.LBB95_2447:
	s_mov_b64 s[4:5], -1
                                        ; implicit-def: $vgpr21_vgpr22
	s_branch .LBB95_2452
.LBB95_2448:
	s_mov_b64 s[4:5], -1
                                        ; implicit-def: $vgpr21_vgpr22
.LBB95_2449:
	s_andn2_b64 vcc, exec, s[4:5]
	s_cbranch_vccnz .LBB95_2451
; %bb.2450:
	global_load_dword v1, v[23:24], off
	s_mov_b32 s4, 0x2f800000
	s_mov_b32 s5, 0xcf800000
	s_waitcnt vmcnt(0)
	v_trunc_f32_e32 v1, v1
	v_mul_f32_e64 v3, |v1|, s4
	v_floor_f32_e32 v3, v3
	v_cvt_u32_f32_e32 v5, v3
	v_fma_f32 v3, v3, s5, |v1|
	v_cvt_u32_f32_e32 v3, v3
	v_ashrrev_i32_e32 v1, 31, v1
	v_xor_b32_e32 v5, v5, v1
	v_xor_b32_e32 v3, v3, v1
	v_sub_co_u32_e32 v21, vcc, v3, v1
	v_subb_co_u32_e32 v22, vcc, v5, v1, vcc
.LBB95_2451:
	s_mov_b64 s[4:5], 0
.LBB95_2452:
	s_andn2_b64 vcc, exec, s[4:5]
	s_cbranch_vccnz .LBB95_2454
; %bb.2453:
	global_load_ushort v1, v[23:24], off
	s_waitcnt vmcnt(0)
	v_cvt_f32_f16_e32 v1, v1
	v_cvt_i32_f32_e32 v21, v1
	v_ashrrev_i32_e32 v22, 31, v21
.LBB95_2454:
	s_mov_b64 s[4:5], 0
.LBB95_2455:
	s_andn2_b64 vcc, exec, s[4:5]
	s_cbranch_vccnz .LBB95_2475
; %bb.2456:
	s_cmp_lt_i32 s6, 2
	s_cbranch_scc1 .LBB95_2460
; %bb.2457:
	s_cmp_lt_i32 s6, 3
	s_cbranch_scc1 .LBB95_2461
; %bb.2458:
	s_cmp_gt_i32 s6, 3
	s_cbranch_scc0 .LBB95_2462
; %bb.2459:
	global_load_dwordx2 v[21:22], v[23:24], off
	s_mov_b64 s[4:5], 0
	s_branch .LBB95_2463
.LBB95_2460:
	s_mov_b64 s[4:5], -1
                                        ; implicit-def: $vgpr21_vgpr22
	s_branch .LBB95_2469
.LBB95_2461:
	s_mov_b64 s[4:5], -1
                                        ; implicit-def: $vgpr21_vgpr22
	s_branch .LBB95_2466
.LBB95_2462:
	s_mov_b64 s[4:5], -1
                                        ; implicit-def: $vgpr21_vgpr22
.LBB95_2463:
	s_andn2_b64 vcc, exec, s[4:5]
	s_cbranch_vccnz .LBB95_2465
; %bb.2464:
	global_load_dword v21, v[23:24], off
	s_waitcnt vmcnt(0)
	v_ashrrev_i32_e32 v22, 31, v21
.LBB95_2465:
	s_mov_b64 s[4:5], 0
.LBB95_2466:
	s_andn2_b64 vcc, exec, s[4:5]
	s_cbranch_vccnz .LBB95_2468
; %bb.2467:
	global_load_ushort v1, v[23:24], off
	s_waitcnt vmcnt(0)
	v_bfe_i32 v21, v1, 0, 16
	v_ashrrev_i32_e32 v22, 31, v21
.LBB95_2468:
	s_mov_b64 s[4:5], 0
.LBB95_2469:
	s_andn2_b64 vcc, exec, s[4:5]
	s_cbranch_vccnz .LBB95_2475
; %bb.2470:
	s_cmp_gt_i32 s6, 0
	s_cbranch_scc0 .LBB95_2472
; %bb.2471:
	global_load_sbyte v1, v[23:24], off
	s_mov_b64 s[4:5], 0
	s_waitcnt vmcnt(0)
	v_bfe_i32 v21, v1, 0, 16
	v_ashrrev_i32_e32 v22, 31, v21
	s_branch .LBB95_2473
.LBB95_2472:
	s_mov_b64 s[4:5], -1
                                        ; implicit-def: $vgpr21_vgpr22
.LBB95_2473:
	s_andn2_b64 vcc, exec, s[4:5]
	s_cbranch_vccnz .LBB95_2475
; %bb.2474:
	global_load_ubyte v1, v[23:24], off
	s_mov_b32 s4, 0
	s_waitcnt vmcnt(1)
	v_mov_b32_e32 v22, s4
	s_waitcnt vmcnt(0)
	v_and_b32_e32 v21, 0xffff, v1
.LBB95_2475:
	s_mov_b64 s[10:11], -1
.LBB95_2476:
	s_andn2_b64 vcc, exec, s[10:11]
	s_cbranch_vccnz .LBB95_3036
; %bb.2477:
	v_mov_b32_e32 v1, s1
	v_add_co_u32_e32 v25, vcc, s0, v9
	s_cmp_lt_i32 s23, 11
	v_addc_co_u32_e32 v26, vcc, 0, v1, vcc
	s_cbranch_scc1 .LBB95_2484
; %bb.2478:
	s_and_b32 s18, 0xffff, s23
	s_cmp_gt_i32 s18, 25
	s_mov_b64 s[4:5], 0
	s_cbranch_scc0 .LBB95_2485
; %bb.2479:
	s_cmp_gt_i32 s18, 28
	s_cbranch_scc0 .LBB95_2486
; %bb.2480:
	s_cmp_gt_i32 s18, 43
	;; [unrolled: 3-line block ×3, first 2 shown]
	s_cbranch_scc0 .LBB95_2489
; %bb.2482:
	s_cmp_eq_u32 s18, 46
	s_mov_b64 s[10:11], 0
	s_cbranch_scc0 .LBB95_2490
; %bb.2483:
	global_load_dword v1, v[25:26], off
	s_mov_b32 s0, 0x2f800000
	s_mov_b32 s1, 0xcf800000
	s_mov_b64 s[6:7], -1
	s_waitcnt vmcnt(0)
	v_lshlrev_b32_e32 v1, 16, v1
	v_trunc_f32_e32 v1, v1
	v_mul_f32_e64 v3, |v1|, s0
	v_floor_f32_e32 v3, v3
	v_fma_f32 v5, v3, s1, |v1|
	v_cvt_u32_f32_e32 v5, v5
	v_cvt_u32_f32_e32 v3, v3
	v_ashrrev_i32_e32 v1, 31, v1
	s_mov_b64 s[0:1], 0
	v_xor_b32_e32 v5, v5, v1
	v_xor_b32_e32 v3, v3, v1
	v_sub_co_u32_e32 v23, vcc, v5, v1
	v_subb_co_u32_e32 v24, vcc, v3, v1, vcc
	s_branch .LBB95_2491
.LBB95_2484:
	s_mov_b64 s[0:1], -1
	s_mov_b64 s[6:7], 0
                                        ; implicit-def: $vgpr23_vgpr24
	s_branch .LBB95_2553
.LBB95_2485:
	s_mov_b64 s[10:11], -1
	s_mov_b64 s[6:7], 0
	s_mov_b64 s[0:1], 0
                                        ; implicit-def: $vgpr23_vgpr24
	s_branch .LBB95_2520
.LBB95_2486:
	s_mov_b64 s[10:11], -1
	s_mov_b64 s[6:7], 0
	s_mov_b64 s[0:1], 0
                                        ; implicit-def: $vgpr23_vgpr24
	s_branch .LBB95_2501
.LBB95_2487:
	s_mov_b64 s[10:11], -1
	s_mov_b64 s[6:7], 0
	s_mov_b64 s[0:1], 0
                                        ; implicit-def: $vgpr23_vgpr24
	s_branch .LBB95_2496
.LBB95_2488:
	s_trap 2
	s_or_b64 s[16:17], s[16:17], exec
	s_cbranch_execz .LBB95_2425
	s_branch .LBB95_2426
.LBB95_2489:
	s_mov_b64 s[10:11], -1
	s_mov_b64 s[6:7], 0
	s_mov_b64 s[0:1], 0
                                        ; implicit-def: $vgpr23_vgpr24
	s_branch .LBB95_2491
.LBB95_2490:
	s_mov_b64 s[0:1], -1
                                        ; implicit-def: $vgpr23_vgpr24
	s_mov_b64 s[6:7], 0
.LBB95_2491:
	s_and_b64 vcc, exec, s[10:11]
	s_cbranch_vccz .LBB95_2495
; %bb.2492:
	s_cmp_eq_u32 s18, 44
	s_cbranch_scc0 .LBB95_2494
; %bb.2493:
	global_load_ubyte v1, v[25:26], off
	s_mov_b32 s0, 0x2f800000
	s_mov_b32 s1, 0xcf800000
	s_mov_b64 s[6:7], -1
	s_waitcnt vmcnt(0)
	v_lshlrev_b32_e32 v3, 23, v1
	v_trunc_f32_e32 v3, v3
	v_mul_f32_e64 v5, |v3|, s0
	v_floor_f32_e32 v5, v5
	v_fma_f32 v9, v5, s1, |v3|
	v_cvt_u32_f32_e32 v9, v9
	v_cvt_u32_f32_e32 v5, v5
	v_ashrrev_i32_e32 v3, 31, v3
	s_mov_b64 s[0:1], 0
	v_xor_b32_e32 v9, v9, v3
	v_xor_b32_e32 v5, v5, v3
	v_sub_co_u32_e32 v9, vcc, v9, v3
	v_subb_co_u32_e32 v3, vcc, v5, v3, vcc
	v_cmp_ne_u32_e32 vcc, 0, v1
	v_cndmask_b32_e32 v24, 0, v3, vcc
	v_cndmask_b32_e32 v23, 0, v9, vcc
	s_branch .LBB95_2495
.LBB95_2494:
	s_mov_b64 s[0:1], -1
                                        ; implicit-def: $vgpr23_vgpr24
.LBB95_2495:
	s_mov_b64 s[10:11], 0
.LBB95_2496:
	s_and_b64 vcc, exec, s[10:11]
	s_cbranch_vccz .LBB95_2500
; %bb.2497:
	s_cmp_eq_u32 s18, 29
	s_cbranch_scc0 .LBB95_2499
; %bb.2498:
	global_load_dwordx2 v[23:24], v[25:26], off
	s_mov_b64 s[0:1], 0
	s_mov_b64 s[6:7], -1
	s_branch .LBB95_2500
.LBB95_2499:
	s_mov_b64 s[0:1], -1
                                        ; implicit-def: $vgpr23_vgpr24
.LBB95_2500:
	s_mov_b64 s[10:11], 0
.LBB95_2501:
	s_and_b64 vcc, exec, s[10:11]
	s_cbranch_vccz .LBB95_2519
; %bb.2502:
	s_cmp_lt_i32 s18, 27
	s_cbranch_scc1 .LBB95_2505
; %bb.2503:
	s_cmp_gt_i32 s18, 27
	s_cbranch_scc0 .LBB95_2506
; %bb.2504:
	global_load_dword v23, v[25:26], off
	s_waitcnt vmcnt(1)
	v_mov_b32_e32 v24, 0
	s_mov_b64 s[6:7], 0
	s_branch .LBB95_2507
.LBB95_2505:
	s_mov_b64 s[6:7], -1
                                        ; implicit-def: $vgpr23_vgpr24
	s_branch .LBB95_2510
.LBB95_2506:
	s_mov_b64 s[6:7], -1
                                        ; implicit-def: $vgpr23_vgpr24
.LBB95_2507:
	s_andn2_b64 vcc, exec, s[6:7]
	s_cbranch_vccnz .LBB95_2509
; %bb.2508:
	global_load_ushort v1, v[25:26], off
	s_mov_b32 s6, 0
	s_waitcnt vmcnt(1)
	v_mov_b32_e32 v24, s6
	s_waitcnt vmcnt(0)
	v_and_b32_e32 v23, 0xffff, v1
.LBB95_2509:
	s_mov_b64 s[6:7], 0
.LBB95_2510:
	s_andn2_b64 vcc, exec, s[6:7]
	s_cbranch_vccnz .LBB95_2518
; %bb.2511:
	global_load_ubyte v1, v[25:26], off
	s_movk_i32 s6, 0x7f
	s_mov_b64 s[10:11], 0
	s_waitcnt vmcnt(0)
	v_cmp_lt_i16_e32 vcc, s6, v1
	s_and_saveexec_b64 s[6:7], vcc
	s_xor_b64 s[6:7], exec, s[6:7]
; %bb.2512:
	s_movk_i32 s10, 0x80
	v_cmp_ne_u16_e32 vcc, s10, v1
	s_and_b64 s[10:11], vcc, exec
; %bb.2513:
	s_andn2_saveexec_b64 s[6:7], s[6:7]
; %bb.2514:
	v_cmp_ne_u16_e32 vcc, 0, v1
	s_andn2_b64 s[10:11], s[10:11], exec
	s_and_b64 s[20:21], vcc, exec
	s_or_b64 s[10:11], s[10:11], s[20:21]
; %bb.2515:
	s_or_b64 exec, exec, s[6:7]
	v_mov_b32_e32 v23, 0
	v_mov_b32_e32 v24, 0
	s_and_saveexec_b64 s[6:7], s[10:11]
	s_cbranch_execz .LBB95_2517
; %bb.2516:
	v_lshlrev_b32_e32 v3, 24, v1
	v_and_b32_e32 v1, 0xffff, v1
	v_and_b32_e32 v5, 7, v1
	v_ffbh_u32_e32 v14, v5
	v_min_u32_e32 v14, 32, v14
	v_subrev_u32_e32 v23, 28, v14
	v_bfe_u32 v9, v1, 3, 4
	v_lshlrev_b32_e32 v1, v23, v1
	v_sub_u32_e32 v14, 29, v14
	v_and_b32_e32 v1, 7, v1
	v_cmp_eq_u32_e32 vcc, 0, v9
	v_cndmask_b32_e32 v9, v9, v14, vcc
	v_cndmask_b32_e32 v1, v5, v1, vcc
	v_mov_b32_e32 v5, 0x3b800000
	v_lshlrev_b32_e32 v1, 20, v1
	v_and_b32_e32 v3, 0x80000000, v3
	v_lshl_add_u32 v5, v9, 23, v5
	v_or3_b32 v1, v3, v5, v1
	v_trunc_f32_e32 v1, v1
	s_mov_b32 s10, 0x2f800000
	v_mul_f32_e64 v3, |v1|, s10
	v_floor_f32_e32 v3, v3
	s_mov_b32 s10, 0xcf800000
	v_fma_f32 v5, v3, s10, |v1|
	v_cvt_u32_f32_e32 v5, v5
	v_cvt_u32_f32_e32 v3, v3
	v_ashrrev_i32_e32 v1, 31, v1
	v_xor_b32_e32 v5, v5, v1
	v_xor_b32_e32 v3, v3, v1
	v_sub_co_u32_e32 v23, vcc, v5, v1
	v_subb_co_u32_e32 v24, vcc, v3, v1, vcc
.LBB95_2517:
	s_or_b64 exec, exec, s[6:7]
.LBB95_2518:
	s_mov_b64 s[6:7], -1
.LBB95_2519:
	s_mov_b64 s[10:11], 0
.LBB95_2520:
	s_and_b64 vcc, exec, s[10:11]
	s_cbranch_vccz .LBB95_2549
; %bb.2521:
	s_cmp_gt_i32 s18, 22
	s_cbranch_scc0 .LBB95_2531
; %bb.2522:
	s_cmp_lt_i32 s18, 24
	s_cbranch_scc1 .LBB95_2532
; %bb.2523:
	s_cmp_gt_i32 s18, 24
	s_cbranch_scc0 .LBB95_2533
; %bb.2524:
	global_load_ubyte v1, v[25:26], off
	s_movk_i32 s4, 0x7f
	s_mov_b64 s[6:7], 0
	s_waitcnt vmcnt(0)
	v_cmp_lt_i16_e32 vcc, s4, v1
	s_and_saveexec_b64 s[4:5], vcc
	s_xor_b64 s[4:5], exec, s[4:5]
; %bb.2525:
	s_movk_i32 s6, 0x80
	v_cmp_ne_u16_e32 vcc, s6, v1
	s_and_b64 s[6:7], vcc, exec
; %bb.2526:
	s_andn2_saveexec_b64 s[4:5], s[4:5]
; %bb.2527:
	v_cmp_ne_u16_e32 vcc, 0, v1
	s_andn2_b64 s[6:7], s[6:7], exec
	s_and_b64 s[10:11], vcc, exec
	s_or_b64 s[6:7], s[6:7], s[10:11]
; %bb.2528:
	s_or_b64 exec, exec, s[4:5]
	v_mov_b32_e32 v23, 0
	v_mov_b32_e32 v24, 0
	s_and_saveexec_b64 s[4:5], s[6:7]
	s_cbranch_execz .LBB95_2530
; %bb.2529:
	v_lshlrev_b32_e32 v3, 24, v1
	v_and_b32_e32 v1, 0xffff, v1
	v_and_b32_e32 v5, 3, v1
	v_ffbh_u32_e32 v14, v5
	v_min_u32_e32 v14, 32, v14
	v_subrev_u32_e32 v23, 29, v14
	v_bfe_u32 v9, v1, 2, 5
	v_lshlrev_b32_e32 v1, v23, v1
	v_sub_u32_e32 v14, 30, v14
	v_and_b32_e32 v1, 3, v1
	v_cmp_eq_u32_e32 vcc, 0, v9
	v_cndmask_b32_e32 v9, v9, v14, vcc
	v_cndmask_b32_e32 v1, v5, v1, vcc
	v_mov_b32_e32 v5, 0x37800000
	v_lshlrev_b32_e32 v1, 21, v1
	v_and_b32_e32 v3, 0x80000000, v3
	v_lshl_add_u32 v5, v9, 23, v5
	v_or3_b32 v1, v3, v5, v1
	v_trunc_f32_e32 v1, v1
	s_mov_b32 s6, 0x2f800000
	v_mul_f32_e64 v3, |v1|, s6
	v_floor_f32_e32 v3, v3
	s_mov_b32 s6, 0xcf800000
	v_fma_f32 v5, v3, s6, |v1|
	v_cvt_u32_f32_e32 v5, v5
	v_cvt_u32_f32_e32 v3, v3
	v_ashrrev_i32_e32 v1, 31, v1
	v_xor_b32_e32 v5, v5, v1
	v_xor_b32_e32 v3, v3, v1
	v_sub_co_u32_e32 v23, vcc, v5, v1
	v_subb_co_u32_e32 v24, vcc, v3, v1, vcc
.LBB95_2530:
	s_or_b64 exec, exec, s[4:5]
	s_mov_b64 s[4:5], 0
	s_branch .LBB95_2534
.LBB95_2531:
	s_mov_b64 s[4:5], -1
                                        ; implicit-def: $vgpr23_vgpr24
	s_branch .LBB95_2540
.LBB95_2532:
	s_mov_b64 s[4:5], -1
                                        ; implicit-def: $vgpr23_vgpr24
	s_branch .LBB95_2537
.LBB95_2533:
	s_mov_b64 s[4:5], -1
                                        ; implicit-def: $vgpr23_vgpr24
.LBB95_2534:
	s_and_b64 vcc, exec, s[4:5]
	s_cbranch_vccz .LBB95_2536
; %bb.2535:
	global_load_ubyte v1, v[25:26], off
	s_mov_b32 s4, 0x7f800000
	s_brev_b32 s5, 1
	s_mov_b32 s6, 0x2f800000
	s_mov_b32 s7, 0xcf800000
	s_waitcnt vmcnt(0)
	v_lshlrev_b32_e32 v1, 24, v1
	v_and_b32_e32 v3, 0x7f000000, v1
	v_ffbh_u32_e32 v5, v3
	v_min_u32_e32 v5, 32, v5
	v_sub_u32_e64 v5, v5, 4 clamp
	v_lshlrev_b32_e32 v14, v5, v3
	v_lshlrev_b32_e32 v5, 23, v5
	v_lshrrev_b32_e32 v14, 4, v14
	v_add_u32_e32 v9, 0x1000000, v3
	v_sub_u32_e32 v5, v14, v5
	v_ashrrev_i32_e32 v9, 8, v9
	v_add_u32_e32 v5, 0x3c000000, v5
	v_and_or_b32 v5, v9, s4, v5
	v_cmp_ne_u32_e32 vcc, 0, v3
	v_cndmask_b32_e32 v3, 0, v5, vcc
	v_and_or_b32 v1, v1, s5, v3
	v_trunc_f32_e32 v1, v1
	v_mul_f32_e64 v3, |v1|, s6
	v_floor_f32_e32 v3, v3
	v_fma_f32 v5, v3, s7, |v1|
	v_cvt_u32_f32_e32 v5, v5
	v_cvt_u32_f32_e32 v3, v3
	v_ashrrev_i32_e32 v1, 31, v1
	v_xor_b32_e32 v5, v5, v1
	v_xor_b32_e32 v3, v3, v1
	v_sub_co_u32_e32 v23, vcc, v5, v1
	v_subb_co_u32_e32 v24, vcc, v3, v1, vcc
.LBB95_2536:
	s_mov_b64 s[4:5], 0
.LBB95_2537:
	s_andn2_b64 vcc, exec, s[4:5]
	s_cbranch_vccnz .LBB95_2539
; %bb.2538:
	global_load_ubyte v1, v[25:26], off
	s_movk_i32 s4, 0x7f00
	s_brev_b32 s5, 16
	s_brev_b32 s6, 1
	s_mov_b32 s7, 0x2f800000
	s_mov_b32 s10, 0xcf800000
	s_waitcnt vmcnt(0)
	v_lshlrev_b16_e32 v3, 8, v1
	v_lshlrev_b32_e32 v1, 25, v1
	v_lshrrev_b32_e32 v5, 4, v1
	v_and_or_b32 v9, v3, s4, 0.5
	v_or_b32_e32 v5, 0x70000000, v5
	v_add_f32_e32 v9, -0.5, v9
	v_mul_f32_e32 v5, 0x7800000, v5
	v_cmp_gt_u32_e32 vcc, s5, v1
	v_bfe_i32 v3, v3, 0, 16
	v_cndmask_b32_e32 v1, v5, v9, vcc
	v_and_or_b32 v1, v3, s6, v1
	v_trunc_f32_e32 v1, v1
	v_mul_f32_e64 v3, |v1|, s7
	v_floor_f32_e32 v3, v3
	v_fma_f32 v5, v3, s10, |v1|
	v_cvt_u32_f32_e32 v5, v5
	v_cvt_u32_f32_e32 v3, v3
	v_ashrrev_i32_e32 v1, 31, v1
	v_xor_b32_e32 v5, v5, v1
	v_xor_b32_e32 v3, v3, v1
	v_sub_co_u32_e32 v23, vcc, v5, v1
	v_subb_co_u32_e32 v24, vcc, v3, v1, vcc
.LBB95_2539:
	s_mov_b64 s[4:5], 0
	s_mov_b64 s[6:7], -1
.LBB95_2540:
	s_andn2_b64 vcc, exec, s[4:5]
	s_mov_b64 s[4:5], 0
	s_cbranch_vccnz .LBB95_2549
; %bb.2541:
	s_cmp_gt_i32 s18, 14
	s_cbranch_scc0 .LBB95_2544
; %bb.2542:
	s_cmp_eq_u32 s18, 15
	s_cbranch_scc0 .LBB95_2545
; %bb.2543:
	global_load_ushort v1, v[25:26], off
	s_mov_b32 s0, 0x2f800000
	s_mov_b32 s1, 0xcf800000
	s_mov_b64 s[6:7], -1
	s_waitcnt vmcnt(0)
	v_lshlrev_b32_e32 v1, 16, v1
	v_trunc_f32_e32 v1, v1
	v_mul_f32_e64 v3, |v1|, s0
	v_floor_f32_e32 v3, v3
	v_fma_f32 v5, v3, s1, |v1|
	v_cvt_u32_f32_e32 v5, v5
	v_cvt_u32_f32_e32 v3, v3
	v_ashrrev_i32_e32 v1, 31, v1
	s_mov_b64 s[0:1], 0
	v_xor_b32_e32 v5, v5, v1
	v_xor_b32_e32 v3, v3, v1
	v_sub_co_u32_e32 v23, vcc, v5, v1
	v_subb_co_u32_e32 v24, vcc, v3, v1, vcc
	s_branch .LBB95_2546
.LBB95_2544:
	s_mov_b64 s[10:11], -1
                                        ; implicit-def: $vgpr23_vgpr24
	s_branch .LBB95_2547
.LBB95_2545:
	s_mov_b64 s[0:1], -1
                                        ; implicit-def: $vgpr23_vgpr24
.LBB95_2546:
	s_mov_b64 s[10:11], 0
.LBB95_2547:
	s_and_b64 vcc, exec, s[10:11]
	s_cbranch_vccz .LBB95_2549
; %bb.2548:
	s_cmp_lg_u32 s18, 11
	s_mov_b64 s[4:5], -1
	s_cselect_b64 s[0:1], -1, 0
.LBB95_2549:
	s_and_b64 vcc, exec, s[0:1]
	s_cbranch_vccnz .LBB95_3082
; %bb.2550:
	s_andn2_b64 vcc, exec, s[4:5]
	s_cbranch_vccnz .LBB95_2552
.LBB95_2551:
	global_load_ubyte v1, v[25:26], off
	s_mov_b32 s0, 0
	s_waitcnt vmcnt(1)
	v_mov_b32_e32 v24, s0
	s_mov_b64 s[6:7], -1
	s_waitcnt vmcnt(0)
	v_cmp_ne_u16_e32 vcc, 0, v1
	v_cndmask_b32_e64 v23, 0, 1, vcc
.LBB95_2552:
	s_mov_b64 s[0:1], 0
.LBB95_2553:
	s_and_b64 vcc, exec, s[0:1]
	s_cbranch_vccz .LBB95_2602
; %bb.2554:
	s_and_b32 s4, 0xffff, s23
	s_cmp_lt_i32 s4, 5
	s_cbranch_scc1 .LBB95_2559
; %bb.2555:
	s_cmp_lt_i32 s4, 8
	s_cbranch_scc1 .LBB95_2560
; %bb.2556:
	;; [unrolled: 3-line block ×3, first 2 shown]
	s_cmp_gt_i32 s4, 9
	s_cbranch_scc0 .LBB95_2562
; %bb.2558:
	global_load_dwordx2 v[23:24], v[25:26], off
	s_movk_i32 s0, 0xffe0
	s_waitcnt vmcnt(0)
	v_trunc_f64_e32 v[23:24], v[23:24]
	v_ldexp_f64 v[27:28], v[23:24], s0
	s_mov_b32 s0, 0
	s_mov_b32 s1, 0xc1f00000
	v_floor_f64_e32 v[27:28], v[27:28]
	v_fma_f64 v[29:30], v[27:28], s[0:1], v[23:24]
	v_cvt_i32_f64_e32 v24, v[27:28]
	s_mov_b64 s[0:1], 0
	v_cvt_u32_f64_e32 v23, v[29:30]
	s_branch .LBB95_2563
.LBB95_2559:
	s_mov_b64 s[0:1], -1
                                        ; implicit-def: $vgpr23_vgpr24
	s_branch .LBB95_2581
.LBB95_2560:
	s_mov_b64 s[0:1], -1
                                        ; implicit-def: $vgpr23_vgpr24
	s_branch .LBB95_2569
.LBB95_2561:
	s_mov_b64 s[0:1], -1
                                        ; implicit-def: $vgpr23_vgpr24
	s_branch .LBB95_2566
.LBB95_2562:
	s_mov_b64 s[0:1], -1
                                        ; implicit-def: $vgpr23_vgpr24
.LBB95_2563:
	s_andn2_b64 vcc, exec, s[0:1]
	s_cbranch_vccnz .LBB95_2565
; %bb.2564:
	global_load_dword v1, v[25:26], off
	s_mov_b32 s0, 0x2f800000
	s_mov_b32 s1, 0xcf800000
	s_waitcnt vmcnt(0)
	v_trunc_f32_e32 v1, v1
	v_mul_f32_e64 v3, |v1|, s0
	v_floor_f32_e32 v3, v3
	v_cvt_u32_f32_e32 v5, v3
	v_fma_f32 v3, v3, s1, |v1|
	v_cvt_u32_f32_e32 v3, v3
	v_ashrrev_i32_e32 v1, 31, v1
	v_xor_b32_e32 v5, v5, v1
	v_xor_b32_e32 v3, v3, v1
	v_sub_co_u32_e32 v23, vcc, v3, v1
	v_subb_co_u32_e32 v24, vcc, v5, v1, vcc
.LBB95_2565:
	s_mov_b64 s[0:1], 0
.LBB95_2566:
	s_andn2_b64 vcc, exec, s[0:1]
	s_cbranch_vccnz .LBB95_2568
; %bb.2567:
	global_load_dword v1, v[25:26], off
	s_waitcnt vmcnt(0)
	v_cvt_f32_f16_e32 v1, v1
	v_cvt_i32_f32_e32 v23, v1
	v_ashrrev_i32_e32 v24, 31, v23
.LBB95_2568:
	s_mov_b64 s[0:1], 0
.LBB95_2569:
	s_andn2_b64 vcc, exec, s[0:1]
	s_cbranch_vccnz .LBB95_2580
; %bb.2570:
	s_cmp_lt_i32 s4, 6
	s_cbranch_scc1 .LBB95_2573
; %bb.2571:
	s_cmp_gt_i32 s4, 6
	s_cbranch_scc0 .LBB95_2574
; %bb.2572:
	global_load_dwordx2 v[23:24], v[25:26], off
	s_movk_i32 s0, 0xffe0
	s_waitcnt vmcnt(0)
	v_trunc_f64_e32 v[23:24], v[23:24]
	v_ldexp_f64 v[27:28], v[23:24], s0
	s_mov_b32 s0, 0
	s_mov_b32 s1, 0xc1f00000
	v_floor_f64_e32 v[27:28], v[27:28]
	v_fma_f64 v[29:30], v[27:28], s[0:1], v[23:24]
	v_cvt_i32_f64_e32 v24, v[27:28]
	s_mov_b64 s[0:1], 0
	v_cvt_u32_f64_e32 v23, v[29:30]
	s_branch .LBB95_2575
.LBB95_2573:
	s_mov_b64 s[0:1], -1
                                        ; implicit-def: $vgpr23_vgpr24
	s_branch .LBB95_2578
.LBB95_2574:
	s_mov_b64 s[0:1], -1
                                        ; implicit-def: $vgpr23_vgpr24
.LBB95_2575:
	s_andn2_b64 vcc, exec, s[0:1]
	s_cbranch_vccnz .LBB95_2577
; %bb.2576:
	global_load_dword v1, v[25:26], off
	s_mov_b32 s0, 0x2f800000
	s_mov_b32 s1, 0xcf800000
	s_waitcnt vmcnt(0)
	v_trunc_f32_e32 v1, v1
	v_mul_f32_e64 v3, |v1|, s0
	v_floor_f32_e32 v3, v3
	v_cvt_u32_f32_e32 v5, v3
	v_fma_f32 v3, v3, s1, |v1|
	v_cvt_u32_f32_e32 v3, v3
	v_ashrrev_i32_e32 v1, 31, v1
	v_xor_b32_e32 v5, v5, v1
	v_xor_b32_e32 v3, v3, v1
	v_sub_co_u32_e32 v23, vcc, v3, v1
	v_subb_co_u32_e32 v24, vcc, v5, v1, vcc
.LBB95_2577:
	s_mov_b64 s[0:1], 0
.LBB95_2578:
	s_andn2_b64 vcc, exec, s[0:1]
	s_cbranch_vccnz .LBB95_2580
; %bb.2579:
	global_load_ushort v1, v[25:26], off
	s_waitcnt vmcnt(0)
	v_cvt_f32_f16_e32 v1, v1
	v_cvt_i32_f32_e32 v23, v1
	v_ashrrev_i32_e32 v24, 31, v23
.LBB95_2580:
	s_mov_b64 s[0:1], 0
.LBB95_2581:
	s_andn2_b64 vcc, exec, s[0:1]
	s_cbranch_vccnz .LBB95_2601
; %bb.2582:
	s_cmp_lt_i32 s4, 2
	s_cbranch_scc1 .LBB95_2586
; %bb.2583:
	s_cmp_lt_i32 s4, 3
	s_cbranch_scc1 .LBB95_2587
; %bb.2584:
	s_cmp_gt_i32 s4, 3
	s_cbranch_scc0 .LBB95_2588
; %bb.2585:
	global_load_dwordx2 v[23:24], v[25:26], off
	s_mov_b64 s[0:1], 0
	s_branch .LBB95_2589
.LBB95_2586:
	s_mov_b64 s[0:1], -1
                                        ; implicit-def: $vgpr23_vgpr24
	s_branch .LBB95_2595
.LBB95_2587:
	s_mov_b64 s[0:1], -1
                                        ; implicit-def: $vgpr23_vgpr24
	s_branch .LBB95_2592
.LBB95_2588:
	s_mov_b64 s[0:1], -1
                                        ; implicit-def: $vgpr23_vgpr24
.LBB95_2589:
	s_andn2_b64 vcc, exec, s[0:1]
	s_cbranch_vccnz .LBB95_2591
; %bb.2590:
	global_load_dword v23, v[25:26], off
	s_waitcnt vmcnt(0)
	v_ashrrev_i32_e32 v24, 31, v23
.LBB95_2591:
	s_mov_b64 s[0:1], 0
.LBB95_2592:
	s_andn2_b64 vcc, exec, s[0:1]
	s_cbranch_vccnz .LBB95_2594
; %bb.2593:
	global_load_ushort v1, v[25:26], off
	s_waitcnt vmcnt(0)
	v_bfe_i32 v23, v1, 0, 16
	v_ashrrev_i32_e32 v24, 31, v23
.LBB95_2594:
	s_mov_b64 s[0:1], 0
.LBB95_2595:
	s_andn2_b64 vcc, exec, s[0:1]
	s_cbranch_vccnz .LBB95_2601
; %bb.2596:
	s_cmp_gt_i32 s4, 0
	s_cbranch_scc0 .LBB95_2598
; %bb.2597:
	global_load_sbyte v1, v[25:26], off
	s_mov_b64 s[0:1], 0
	s_waitcnt vmcnt(0)
	v_bfe_i32 v23, v1, 0, 16
	v_ashrrev_i32_e32 v24, 31, v23
	s_branch .LBB95_2599
.LBB95_2598:
	s_mov_b64 s[0:1], -1
                                        ; implicit-def: $vgpr23_vgpr24
.LBB95_2599:
	s_andn2_b64 vcc, exec, s[0:1]
	s_cbranch_vccnz .LBB95_2601
; %bb.2600:
	global_load_ubyte v1, v[25:26], off
	s_mov_b32 s0, 0
	s_waitcnt vmcnt(1)
	v_mov_b32_e32 v24, s0
	s_waitcnt vmcnt(0)
	v_and_b32_e32 v23, 0xffff, v1
.LBB95_2601:
	s_mov_b64 s[6:7], -1
.LBB95_2602:
	s_andn2_b64 vcc, exec, s[6:7]
	s_cbranch_vccnz .LBB95_3036
; %bb.2603:
	s_load_dword s0, s[2:3], 0x1b0
	s_load_dwordx4 s[4:7], s[2:3], 0x1a0
	s_waitcnt lgkmcnt(0)
	s_and_b32 s22, s0, 0xff
	s_waitcnt vmcnt(0)
	v_cmp_lt_i64_e32 vcc, s[4:5], v[7:8]
	v_mov_b32_e32 v1, s7
	v_mov_b32_e32 v3, s6
	v_cndmask_b32_e32 v8, v1, v11, vcc
	v_cndmask_b32_e32 v7, v3, v10, vcc
	v_mov_b32_e32 v1, s9
	v_add_co_u32_e32 v5, vcc, s8, v6
	s_cmp_lt_i32 s22, 11
	v_addc_co_u32_e32 v6, vcc, 0, v1, vcc
	s_cbranch_scc1 .LBB95_2681
; %bb.2604:
	s_and_b32 s23, 0xffff, s22
	s_mov_b64 s[18:19], -1
	s_mov_b64 s[2:3], 0
	s_cmp_gt_i32 s23, 25
	s_mov_b64 s[10:11], 0
	s_mov_b64 s[0:1], 0
	s_cbranch_scc0 .LBB95_2637
; %bb.2605:
	s_cmp_gt_i32 s23, 28
	s_cbranch_scc0 .LBB95_2620
; %bb.2606:
	s_cmp_gt_i32 s23, 43
	;; [unrolled: 3-line block ×3, first 2 shown]
	s_cbranch_scc0 .LBB95_2610
; %bb.2608:
	s_mov_b64 s[0:1], -1
	s_mov_b64 s[18:19], 0
	s_cmp_eq_u32 s23, 46
	s_cbranch_scc0 .LBB95_2610
; %bb.2609:
	v_xor_b32_e32 v3, v7, v8
	v_ffbh_i32_e32 v1, v8
	v_ashrrev_i32_e32 v3, 31, v3
	v_add_u32_e32 v1, -1, v1
	v_add_u32_e32 v3, 32, v3
	v_min_u32_e32 v1, v1, v3
	v_lshlrev_b64 v[9:10], v1, v[7:8]
	v_sub_u32_e32 v1, 32, v1
	v_min_u32_e32 v3, 1, v9
	v_or_b32_e32 v3, v10, v3
	v_cvt_f32_i32_e32 v3, v3
	s_movk_i32 s0, 0x7fff
	s_mov_b64 s[10:11], -1
	v_ldexp_f32 v1, v3, v1
	v_bfe_u32 v3, v1, 16, 1
	v_add3_u32 v1, v1, v3, s0
	v_lshrrev_b32_e32 v1, 16, v1
	global_store_dword v[5:6], v1, off
	s_mov_b64 s[0:1], 0
.LBB95_2610:
	s_and_b64 vcc, exec, s[18:19]
	s_cbranch_vccz .LBB95_2615
; %bb.2611:
	s_cmp_eq_u32 s23, 44
	s_mov_b64 s[0:1], -1
	s_cbranch_scc0 .LBB95_2615
; %bb.2612:
	v_xor_b32_e32 v3, v7, v8
	v_ffbh_i32_e32 v1, v8
	v_ashrrev_i32_e32 v3, 31, v3
	v_add_u32_e32 v1, -1, v1
	v_add_u32_e32 v3, 32, v3
	v_min_u32_e32 v1, v1, v3
	v_lshlrev_b64 v[9:10], v1, v[7:8]
	v_sub_u32_e32 v1, 32, v1
	v_min_u32_e32 v3, 1, v9
	v_or_b32_e32 v3, v10, v3
	v_cvt_f32_i32_e32 v3, v3
	s_movk_i32 s0, 0xff
	v_mov_b32_e32 v9, 0xff
	v_ldexp_f32 v1, v3, v1
	v_bfe_u32 v3, v1, 23, 8
	v_cmp_ne_u32_e32 vcc, s0, v3
	s_and_saveexec_b64 s[10:11], vcc
; %bb.2613:
	s_mov_b32 s0, 0x3fffff
	v_lshrrev_b32_e32 v9, 23, v1
	v_and_b32_e32 v10, 0x400000, v1
	v_and_or_b32 v1, v1, s0, v3
	v_cmp_ne_u32_e32 vcc, 0, v10
	v_cmp_ne_u32_e64 s[0:1], 0, v1
	s_and_b64 s[0:1], vcc, s[0:1]
	v_cndmask_b32_e64 v1, 0, 1, s[0:1]
	v_add_u32_e32 v9, v9, v1
; %bb.2614:
	s_or_b64 exec, exec, s[10:11]
	s_mov_b64 s[0:1], 0
	s_mov_b64 s[10:11], -1
	global_store_byte v[5:6], v9, off
.LBB95_2615:
	s_mov_b64 s[18:19], 0
.LBB95_2616:
	s_and_b64 vcc, exec, s[18:19]
	s_cbranch_vccz .LBB95_2619
; %bb.2617:
	s_cmp_eq_u32 s23, 29
	s_mov_b64 s[0:1], -1
	s_cbranch_scc0 .LBB95_2619
; %bb.2618:
	global_store_dwordx2 v[5:6], v[7:8], off
	s_mov_b64 s[0:1], 0
	s_mov_b64 s[10:11], -1
.LBB95_2619:
	s_mov_b64 s[18:19], 0
.LBB95_2620:
	s_and_b64 vcc, exec, s[18:19]
	s_cbranch_vccz .LBB95_2636
; %bb.2621:
	s_cmp_lt_i32 s23, 27
	s_mov_b64 s[10:11], -1
	s_cbranch_scc1 .LBB95_2627
; %bb.2622:
	s_cmp_gt_i32 s23, 27
	s_cbranch_scc0 .LBB95_2624
; %bb.2623:
	s_mov_b64 s[10:11], 0
	global_store_dword v[5:6], v7, off
.LBB95_2624:
	s_andn2_b64 vcc, exec, s[10:11]
	s_cbranch_vccnz .LBB95_2626
; %bb.2625:
	global_store_short v[5:6], v7, off
.LBB95_2626:
	s_mov_b64 s[10:11], 0
.LBB95_2627:
	s_andn2_b64 vcc, exec, s[10:11]
	s_cbranch_vccnz .LBB95_2635
; %bb.2628:
	v_xor_b32_e32 v3, v7, v8
	v_ffbh_i32_e32 v1, v8
	v_ashrrev_i32_e32 v3, 31, v3
	v_add_u32_e32 v1, -1, v1
	v_add_u32_e32 v3, 32, v3
	v_min_u32_e32 v1, v1, v3
	v_lshlrev_b64 v[9:10], v1, v[7:8]
	v_sub_u32_e32 v1, 32, v1
	v_min_u32_e32 v3, 1, v9
	v_or_b32_e32 v3, v10, v3
	v_cvt_f32_i32_e32 v3, v3
	s_mov_b32 s10, 0x43800000
	v_mov_b32_e32 v9, 0x80
	v_ldexp_f32 v1, v3, v1
	v_and_b32_e32 v3, 0x7fffffff, v1
	v_cmp_gt_u32_e32 vcc, s10, v3
	s_and_saveexec_b64 s[10:11], vcc
	s_cbranch_execz .LBB95_2634
; %bb.2629:
	s_mov_b32 s18, 0x3bffffff
	v_cmp_lt_u32_e32 vcc, s18, v3
	s_mov_b64 s[18:19], 0
                                        ; implicit-def: $vgpr3
	s_and_saveexec_b64 s[20:21], vcc
	s_xor_b64 s[20:21], exec, s[20:21]
	s_cbranch_execz .LBB95_3083
; %bb.2630:
	v_bfe_u32 v3, v1, 20, 1
	s_mov_b32 s24, 0x487ffff
	v_add3_u32 v3, v1, v3, s24
	s_mov_b64 s[18:19], exec
	v_lshrrev_b32_e32 v3, 20, v3
	s_andn2_saveexec_b64 s[20:21], s[20:21]
	s_cbranch_execnz .LBB95_3084
.LBB95_2631:
	s_or_b64 exec, exec, s[20:21]
	v_mov_b32_e32 v9, 0
	s_and_saveexec_b64 s[20:21], s[18:19]
.LBB95_2632:
	v_lshrrev_b32_e32 v1, 24, v1
	s_movk_i32 s18, 0x80
	v_and_or_b32 v9, v1, s18, v3
.LBB95_2633:
	s_or_b64 exec, exec, s[20:21]
.LBB95_2634:
	s_or_b64 exec, exec, s[10:11]
	global_store_byte v[5:6], v9, off
.LBB95_2635:
	s_mov_b64 s[10:11], -1
.LBB95_2636:
	s_mov_b64 s[18:19], 0
.LBB95_2637:
	s_and_b64 vcc, exec, s[18:19]
	s_cbranch_vccz .LBB95_2677
; %bb.2638:
	s_cmp_gt_i32 s23, 22
	s_mov_b64 s[2:3], -1
	s_cbranch_scc0 .LBB95_2670
; %bb.2639:
	s_cmp_lt_i32 s23, 24
	s_cbranch_scc1 .LBB95_2659
; %bb.2640:
	s_cmp_gt_i32 s23, 24
	s_cbranch_scc0 .LBB95_2648
; %bb.2641:
	v_xor_b32_e32 v3, v7, v8
	v_ffbh_i32_e32 v1, v8
	v_ashrrev_i32_e32 v3, 31, v3
	v_add_u32_e32 v1, -1, v1
	v_add_u32_e32 v3, 32, v3
	v_min_u32_e32 v1, v1, v3
	v_lshlrev_b64 v[9:10], v1, v[7:8]
	v_sub_u32_e32 v1, 32, v1
	v_min_u32_e32 v3, 1, v9
	v_or_b32_e32 v3, v10, v3
	v_cvt_f32_i32_e32 v3, v3
	s_mov_b32 s2, 0x47800000
	v_mov_b32_e32 v9, 0x80
	v_ldexp_f32 v1, v3, v1
	v_and_b32_e32 v3, 0x7fffffff, v1
	v_cmp_gt_u32_e32 vcc, s2, v3
	s_and_saveexec_b64 s[2:3], vcc
	s_cbranch_execz .LBB95_2647
; %bb.2642:
	s_mov_b32 s10, 0x37ffffff
	v_cmp_lt_u32_e32 vcc, s10, v3
	s_mov_b64 s[10:11], 0
                                        ; implicit-def: $vgpr3
	s_and_saveexec_b64 s[18:19], vcc
	s_xor_b64 s[18:19], exec, s[18:19]
	s_cbranch_execz .LBB95_3086
; %bb.2643:
	v_bfe_u32 v3, v1, 21, 1
	s_mov_b32 s20, 0x88fffff
	v_add3_u32 v3, v1, v3, s20
	s_mov_b64 s[10:11], exec
	v_lshrrev_b32_e32 v3, 21, v3
	s_andn2_saveexec_b64 s[18:19], s[18:19]
	s_cbranch_execnz .LBB95_3087
.LBB95_2644:
	s_or_b64 exec, exec, s[18:19]
	v_mov_b32_e32 v9, 0
	s_and_saveexec_b64 s[18:19], s[10:11]
.LBB95_2645:
	v_lshrrev_b32_e32 v1, 24, v1
	s_movk_i32 s10, 0x80
	v_and_or_b32 v9, v1, s10, v3
.LBB95_2646:
	s_or_b64 exec, exec, s[18:19]
.LBB95_2647:
	s_or_b64 exec, exec, s[2:3]
	s_mov_b64 s[2:3], 0
	global_store_byte v[5:6], v9, off
.LBB95_2648:
	s_and_b64 vcc, exec, s[2:3]
	s_cbranch_vccz .LBB95_2658
; %bb.2649:
	v_xor_b32_e32 v3, v7, v8
	v_ffbh_i32_e32 v1, v8
	v_ashrrev_i32_e32 v3, 31, v3
	v_add_u32_e32 v1, -1, v1
	v_add_u32_e32 v3, 32, v3
	v_min_u32_e32 v1, v1, v3
	v_lshlrev_b64 v[9:10], v1, v[7:8]
	v_sub_u32_e32 v1, 32, v1
	v_min_u32_e32 v3, 1, v9
	v_or_b32_e32 v3, v10, v3
	v_cvt_f32_i32_e32 v3, v3
	s_mov_b32 s2, 0x43f00000
	v_ldexp_f32 v1, v3, v1
	v_and_b32_e32 v9, 0x7fffffff, v1
	v_cmp_gt_u32_e32 vcc, s2, v9
                                        ; implicit-def: $vgpr3
	s_and_saveexec_b64 s[2:3], vcc
	s_xor_b64 s[2:3], exec, s[2:3]
	s_cbranch_execz .LBB95_2655
; %bb.2650:
	s_mov_b32 s10, 0x3c7fffff
	v_cmp_lt_u32_e32 vcc, s10, v9
                                        ; implicit-def: $vgpr3
	s_and_saveexec_b64 s[10:11], vcc
	s_xor_b64 s[10:11], exec, s[10:11]
; %bb.2651:
	v_bfe_u32 v3, v1, 20, 1
	s_mov_b32 s18, 0x407ffff
	v_add3_u32 v3, v1, v3, s18
	v_lshrrev_b32_e32 v9, 20, v3
	v_and_b32_e32 v3, 0xff00000, v3
	s_mov_b32 s18, 0x7f00000
	v_mov_b32_e32 v10, 0x7e
	v_cmp_ne_u32_e32 vcc, s18, v3
	v_cndmask_b32_e32 v3, v10, v9, vcc
; %bb.2652:
	s_andn2_saveexec_b64 s[10:11], s[10:11]
; %bb.2653:
	s_mov_b32 s18, 0x46800000
	v_add_f32_e64 v3, |v1|, s18
; %bb.2654:
	s_or_b64 exec, exec, s[10:11]
                                        ; implicit-def: $vgpr9
.LBB95_2655:
	s_andn2_saveexec_b64 s[2:3], s[2:3]
; %bb.2656:
	s_mov_b32 s10, 0x7f800000
	v_mov_b32_e32 v3, 0x7e
	v_mov_b32_e32 v10, 0x7f
	v_cmp_lt_u32_e32 vcc, s10, v9
	v_cndmask_b32_e32 v3, v3, v10, vcc
; %bb.2657:
	s_or_b64 exec, exec, s[2:3]
	v_lshrrev_b32_e32 v1, 24, v1
	s_movk_i32 s2, 0x80
	v_and_or_b32 v1, v1, s2, v3
	global_store_byte v[5:6], v1, off
.LBB95_2658:
	s_mov_b64 s[2:3], 0
.LBB95_2659:
	s_andn2_b64 vcc, exec, s[2:3]
	s_cbranch_vccnz .LBB95_2669
; %bb.2660:
	v_xor_b32_e32 v3, v7, v8
	v_ffbh_i32_e32 v1, v8
	v_ashrrev_i32_e32 v3, 31, v3
	v_add_u32_e32 v1, -1, v1
	v_add_u32_e32 v3, 32, v3
	v_min_u32_e32 v1, v1, v3
	v_lshlrev_b64 v[9:10], v1, v[7:8]
	v_sub_u32_e32 v1, 32, v1
	v_min_u32_e32 v3, 1, v9
	v_or_b32_e32 v3, v10, v3
	v_cvt_f32_i32_e32 v3, v3
	s_mov_b32 s2, 0x47800000
	v_ldexp_f32 v1, v3, v1
	v_and_b32_e32 v9, 0x7fffffff, v1
	v_cmp_gt_u32_e32 vcc, s2, v9
                                        ; implicit-def: $vgpr3
	s_and_saveexec_b64 s[2:3], vcc
	s_xor_b64 s[2:3], exec, s[2:3]
	s_cbranch_execz .LBB95_2666
; %bb.2661:
	s_mov_b32 s10, 0x387fffff
	v_cmp_lt_u32_e32 vcc, s10, v9
                                        ; implicit-def: $vgpr3
	s_and_saveexec_b64 s[10:11], vcc
	s_xor_b64 s[10:11], exec, s[10:11]
; %bb.2662:
	v_bfe_u32 v3, v1, 21, 1
	s_mov_b32 s18, 0x80fffff
	v_add3_u32 v3, v1, v3, s18
	v_lshrrev_b32_e32 v3, 21, v3
; %bb.2663:
	s_andn2_saveexec_b64 s[10:11], s[10:11]
; %bb.2664:
	s_mov_b32 s18, 0x43000000
	v_add_f32_e64 v3, |v1|, s18
; %bb.2665:
	s_or_b64 exec, exec, s[10:11]
                                        ; implicit-def: $vgpr9
.LBB95_2666:
	s_andn2_saveexec_b64 s[2:3], s[2:3]
; %bb.2667:
	s_mov_b32 s10, 0x7f800000
	v_mov_b32_e32 v3, 0x7c
	v_mov_b32_e32 v10, 0x7f
	v_cmp_lt_u32_e32 vcc, s10, v9
	v_cndmask_b32_e32 v3, v3, v10, vcc
; %bb.2668:
	s_or_b64 exec, exec, s[2:3]
	v_lshrrev_b32_e32 v1, 24, v1
	s_movk_i32 s2, 0x80
	v_and_or_b32 v1, v1, s2, v3
	global_store_byte v[5:6], v1, off
.LBB95_2669:
	s_mov_b64 s[2:3], 0
	s_mov_b64 s[10:11], -1
.LBB95_2670:
	s_andn2_b64 vcc, exec, s[2:3]
	s_mov_b64 s[2:3], 0
	s_cbranch_vccnz .LBB95_2677
; %bb.2671:
	s_cmp_gt_i32 s23, 14
	s_mov_b64 s[18:19], -1
	s_cbranch_scc0 .LBB95_2675
; %bb.2672:
	s_cmp_eq_u32 s23, 15
	s_mov_b64 s[0:1], -1
	s_cbranch_scc0 .LBB95_2674
; %bb.2673:
	v_xor_b32_e32 v3, v7, v8
	v_ffbh_i32_e32 v1, v8
	v_ashrrev_i32_e32 v3, 31, v3
	v_add_u32_e32 v1, -1, v1
	v_add_u32_e32 v3, 32, v3
	v_min_u32_e32 v1, v1, v3
	v_lshlrev_b64 v[9:10], v1, v[7:8]
	v_sub_u32_e32 v1, 32, v1
	v_min_u32_e32 v3, 1, v9
	v_or_b32_e32 v3, v10, v3
	v_cvt_f32_i32_e32 v3, v3
	s_movk_i32 s0, 0x7fff
	s_mov_b64 s[10:11], -1
	v_ldexp_f32 v1, v3, v1
	v_bfe_u32 v3, v1, 16, 1
	v_add3_u32 v1, v1, v3, s0
	global_store_short_d16_hi v[5:6], v1, off
	s_mov_b64 s[0:1], 0
.LBB95_2674:
	s_mov_b64 s[18:19], 0
.LBB95_2675:
	s_and_b64 vcc, exec, s[18:19]
	s_cbranch_vccz .LBB95_2677
; %bb.2676:
	s_cmp_lg_u32 s23, 11
	s_mov_b64 s[2:3], -1
	s_cselect_b64 s[0:1], -1, 0
.LBB95_2677:
	s_and_b64 vcc, exec, s[0:1]
	s_cbranch_vccnz .LBB95_3085
; %bb.2678:
	s_andn2_b64 vcc, exec, s[2:3]
	s_cbranch_vccnz .LBB95_2680
.LBB95_2679:
	v_cmp_ne_u64_e32 vcc, 0, v[7:8]
	s_mov_b64 s[10:11], -1
	v_cndmask_b32_e64 v1, 0, 1, vcc
	global_store_byte v[5:6], v1, off
.LBB95_2680:
	s_mov_b64 s[0:1], 0
	s_branch .LBB95_2682
.LBB95_2681:
	s_mov_b64 s[0:1], -1
	s_mov_b64 s[10:11], 0
.LBB95_2682:
	s_and_b64 vcc, exec, s[0:1]
	s_cbranch_vccz .LBB95_2721
; %bb.2683:
	s_and_b32 s2, 0xffff, s22
	s_cmp_lt_i32 s2, 5
	s_mov_b64 s[0:1], -1
	s_cbranch_scc1 .LBB95_2704
; %bb.2684:
	s_cmp_lt_i32 s2, 8
	s_cbranch_scc1 .LBB95_2694
; %bb.2685:
	s_cmp_lt_i32 s2, 9
	s_cbranch_scc1 .LBB95_2691
; %bb.2686:
	s_cmp_gt_i32 s2, 9
	s_cbranch_scc0 .LBB95_2688
; %bb.2687:
	v_cvt_f64_i32_e32 v[9:10], v8
	v_cvt_f64_u32_e32 v[25:26], v7
	v_mov_b32_e32 v27, 0
	v_mov_b32_e32 v28, v27
	v_ldexp_f64 v[9:10], v[9:10], 32
	s_mov_b64 s[0:1], 0
	v_add_f64 v[25:26], v[9:10], v[25:26]
	global_store_dwordx4 v[5:6], v[25:28], off
.LBB95_2688:
	s_andn2_b64 vcc, exec, s[0:1]
	s_cbranch_vccnz .LBB95_2690
; %bb.2689:
	v_xor_b32_e32 v3, v7, v8
	v_ffbh_i32_e32 v1, v8
	v_ashrrev_i32_e32 v3, 31, v3
	v_add_u32_e32 v1, -1, v1
	v_add_u32_e32 v3, 32, v3
	v_min_u32_e32 v1, v1, v3
	v_lshlrev_b64 v[9:10], v1, v[7:8]
	v_sub_u32_e32 v1, 32, v1
	v_min_u32_e32 v3, 1, v9
	v_or_b32_e32 v3, v10, v3
	v_cvt_f32_i32_e32 v3, v3
	v_mov_b32_e32 v10, 0
	v_ldexp_f32 v9, v3, v1
	global_store_dwordx2 v[5:6], v[9:10], off
.LBB95_2690:
	s_mov_b64 s[0:1], 0
.LBB95_2691:
	s_andn2_b64 vcc, exec, s[0:1]
	s_cbranch_vccnz .LBB95_2693
; %bb.2692:
	v_xor_b32_e32 v3, v7, v8
	v_ffbh_i32_e32 v1, v8
	v_ashrrev_i32_e32 v3, 31, v3
	v_add_u32_e32 v1, -1, v1
	v_add_u32_e32 v3, 32, v3
	v_min_u32_e32 v1, v1, v3
	v_lshlrev_b64 v[9:10], v1, v[7:8]
	v_sub_u32_e32 v1, 32, v1
	v_min_u32_e32 v3, 1, v9
	v_or_b32_e32 v3, v10, v3
	v_cvt_f32_i32_e32 v3, v3
	v_ldexp_f32 v1, v3, v1
	v_cvt_f16_f32_e32 v1, v1
	global_store_dword v[5:6], v1, off
.LBB95_2693:
	s_mov_b64 s[0:1], 0
.LBB95_2694:
	s_andn2_b64 vcc, exec, s[0:1]
	s_cbranch_vccnz .LBB95_2703
; %bb.2695:
	s_cmp_lt_i32 s2, 6
	s_mov_b64 s[0:1], -1
	s_cbranch_scc1 .LBB95_2701
; %bb.2696:
	s_cmp_gt_i32 s2, 6
	s_cbranch_scc0 .LBB95_2698
; %bb.2697:
	v_cvt_f64_i32_e32 v[9:10], v8
	v_cvt_f64_u32_e32 v[25:26], v7
	s_mov_b64 s[0:1], 0
	v_ldexp_f64 v[9:10], v[9:10], 32
	v_add_f64 v[9:10], v[9:10], v[25:26]
	global_store_dwordx2 v[5:6], v[9:10], off
.LBB95_2698:
	s_andn2_b64 vcc, exec, s[0:1]
	s_cbranch_vccnz .LBB95_2700
; %bb.2699:
	v_xor_b32_e32 v3, v7, v8
	v_ffbh_i32_e32 v1, v8
	v_ashrrev_i32_e32 v3, 31, v3
	v_add_u32_e32 v1, -1, v1
	v_add_u32_e32 v3, 32, v3
	v_min_u32_e32 v1, v1, v3
	v_lshlrev_b64 v[9:10], v1, v[7:8]
	v_sub_u32_e32 v1, 32, v1
	v_min_u32_e32 v3, 1, v9
	v_or_b32_e32 v3, v10, v3
	v_cvt_f32_i32_e32 v3, v3
	v_ldexp_f32 v1, v3, v1
	global_store_dword v[5:6], v1, off
.LBB95_2700:
	s_mov_b64 s[0:1], 0
.LBB95_2701:
	s_andn2_b64 vcc, exec, s[0:1]
	s_cbranch_vccnz .LBB95_2703
; %bb.2702:
	v_xor_b32_e32 v3, v7, v8
	v_ffbh_i32_e32 v1, v8
	v_ashrrev_i32_e32 v3, 31, v3
	v_add_u32_e32 v1, -1, v1
	v_add_u32_e32 v3, 32, v3
	v_min_u32_e32 v1, v1, v3
	v_lshlrev_b64 v[9:10], v1, v[7:8]
	v_sub_u32_e32 v1, 32, v1
	v_min_u32_e32 v3, 1, v9
	v_or_b32_e32 v3, v10, v3
	v_cvt_f32_i32_e32 v3, v3
	v_ldexp_f32 v1, v3, v1
	v_cvt_f16_f32_e32 v1, v1
	global_store_short v[5:6], v1, off
.LBB95_2703:
	s_mov_b64 s[0:1], 0
.LBB95_2704:
	s_andn2_b64 vcc, exec, s[0:1]
	s_cbranch_vccnz .LBB95_2720
; %bb.2705:
	s_cmp_lt_i32 s2, 2
	s_mov_b64 s[0:1], -1
	s_cbranch_scc1 .LBB95_2715
; %bb.2706:
	s_cmp_lt_i32 s2, 3
	s_cbranch_scc1 .LBB95_2712
; %bb.2707:
	s_cmp_gt_i32 s2, 3
	s_cbranch_scc0 .LBB95_2709
; %bb.2708:
	global_store_dwordx2 v[5:6], v[7:8], off
	s_mov_b64 s[0:1], 0
.LBB95_2709:
	s_andn2_b64 vcc, exec, s[0:1]
	s_cbranch_vccnz .LBB95_2711
; %bb.2710:
	global_store_dword v[5:6], v7, off
.LBB95_2711:
	s_mov_b64 s[0:1], 0
.LBB95_2712:
	s_andn2_b64 vcc, exec, s[0:1]
	s_cbranch_vccnz .LBB95_2714
; %bb.2713:
	global_store_short v[5:6], v7, off
.LBB95_2714:
	s_mov_b64 s[0:1], 0
.LBB95_2715:
	s_andn2_b64 vcc, exec, s[0:1]
	s_cbranch_vccnz .LBB95_2720
; %bb.2716:
	s_cmp_gt_i32 s2, 0
	s_mov_b64 s[0:1], -1
	s_cbranch_scc0 .LBB95_2718
; %bb.2717:
	global_store_byte v[5:6], v7, off
	s_mov_b64 s[0:1], 0
.LBB95_2718:
	s_andn2_b64 vcc, exec, s[0:1]
	s_cbranch_vccnz .LBB95_2720
; %bb.2719:
	global_store_byte v[5:6], v7, off
.LBB95_2720:
	s_mov_b64 s[10:11], -1
.LBB95_2721:
	s_andn2_b64 vcc, exec, s[10:11]
	s_cbranch_vccnz .LBB95_3036
; %bb.2722:
	v_cmp_lt_i64_e32 vcc, s[4:5], v[12:13]
	v_mov_b32_e32 v1, s7
	v_cndmask_b32_e32 v6, v1, v16, vcc
	v_mov_b32_e32 v1, s6
	v_cndmask_b32_e32 v5, v1, v15, vcc
	v_mov_b32_e32 v1, s9
	s_and_b32 s23, 0xffff, s22
	v_add_co_u32_e32 v3, vcc, s8, v4
	s_cmp_lt_i32 s23, 11
	v_addc_co_u32_e32 v4, vcc, 0, v1, vcc
	s_cbranch_scc1 .LBB95_2800
; %bb.2723:
	s_mov_b64 s[18:19], -1
	s_mov_b64 s[2:3], 0
	s_cmp_gt_i32 s23, 25
	s_mov_b64 s[10:11], 0
	s_mov_b64 s[0:1], 0
	s_cbranch_scc0 .LBB95_2756
; %bb.2724:
	s_cmp_gt_i32 s23, 28
	s_cbranch_scc0 .LBB95_2739
; %bb.2725:
	s_cmp_gt_i32 s23, 43
	;; [unrolled: 3-line block ×3, first 2 shown]
	s_cbranch_scc0 .LBB95_2729
; %bb.2727:
	s_mov_b64 s[0:1], -1
	s_mov_b64 s[18:19], 0
	s_cmp_eq_u32 s23, 46
	s_cbranch_scc0 .LBB95_2729
; %bb.2728:
	v_xor_b32_e32 v7, v5, v6
	v_ffbh_i32_e32 v1, v6
	v_ashrrev_i32_e32 v7, 31, v7
	v_add_u32_e32 v1, -1, v1
	v_add_u32_e32 v7, 32, v7
	v_min_u32_e32 v1, v1, v7
	v_lshlrev_b64 v[7:8], v1, v[5:6]
	v_sub_u32_e32 v1, 32, v1
	v_min_u32_e32 v7, 1, v7
	v_or_b32_e32 v7, v8, v7
	v_cvt_f32_i32_e32 v7, v7
	s_movk_i32 s0, 0x7fff
	s_mov_b64 s[10:11], -1
	v_ldexp_f32 v1, v7, v1
	v_bfe_u32 v7, v1, 16, 1
	v_add3_u32 v1, v1, v7, s0
	v_lshrrev_b32_e32 v1, 16, v1
	global_store_dword v[3:4], v1, off
	s_mov_b64 s[0:1], 0
.LBB95_2729:
	s_and_b64 vcc, exec, s[18:19]
	s_cbranch_vccz .LBB95_2734
; %bb.2730:
	s_cmp_eq_u32 s23, 44
	s_mov_b64 s[0:1], -1
	s_cbranch_scc0 .LBB95_2734
; %bb.2731:
	v_xor_b32_e32 v7, v5, v6
	v_ffbh_i32_e32 v1, v6
	v_ashrrev_i32_e32 v7, 31, v7
	v_add_u32_e32 v1, -1, v1
	v_add_u32_e32 v7, 32, v7
	v_min_u32_e32 v1, v1, v7
	v_lshlrev_b64 v[7:8], v1, v[5:6]
	v_sub_u32_e32 v1, 32, v1
	v_min_u32_e32 v7, 1, v7
	v_or_b32_e32 v7, v8, v7
	v_cvt_f32_i32_e32 v7, v7
	s_movk_i32 s0, 0xff
	v_mov_b32_e32 v8, 0xff
	v_ldexp_f32 v1, v7, v1
	v_bfe_u32 v7, v1, 23, 8
	v_cmp_ne_u32_e32 vcc, s0, v7
	s_and_saveexec_b64 s[10:11], vcc
; %bb.2732:
	s_mov_b32 s0, 0x3fffff
	v_lshrrev_b32_e32 v8, 23, v1
	v_and_b32_e32 v9, 0x400000, v1
	v_and_or_b32 v1, v1, s0, v7
	v_cmp_ne_u32_e32 vcc, 0, v9
	v_cmp_ne_u32_e64 s[0:1], 0, v1
	s_and_b64 s[0:1], vcc, s[0:1]
	v_cndmask_b32_e64 v1, 0, 1, s[0:1]
	v_add_u32_e32 v8, v8, v1
; %bb.2733:
	s_or_b64 exec, exec, s[10:11]
	s_mov_b64 s[0:1], 0
	s_mov_b64 s[10:11], -1
	global_store_byte v[3:4], v8, off
.LBB95_2734:
	s_mov_b64 s[18:19], 0
.LBB95_2735:
	s_and_b64 vcc, exec, s[18:19]
	s_cbranch_vccz .LBB95_2738
; %bb.2736:
	s_cmp_eq_u32 s23, 29
	s_mov_b64 s[0:1], -1
	s_cbranch_scc0 .LBB95_2738
; %bb.2737:
	global_store_dwordx2 v[3:4], v[5:6], off
	s_mov_b64 s[0:1], 0
	s_mov_b64 s[10:11], -1
.LBB95_2738:
	s_mov_b64 s[18:19], 0
.LBB95_2739:
	s_and_b64 vcc, exec, s[18:19]
	s_cbranch_vccz .LBB95_2755
; %bb.2740:
	s_cmp_lt_i32 s23, 27
	s_mov_b64 s[10:11], -1
	s_cbranch_scc1 .LBB95_2746
; %bb.2741:
	s_cmp_gt_i32 s23, 27
	s_cbranch_scc0 .LBB95_2743
; %bb.2742:
	s_mov_b64 s[10:11], 0
	global_store_dword v[3:4], v5, off
.LBB95_2743:
	s_andn2_b64 vcc, exec, s[10:11]
	s_cbranch_vccnz .LBB95_2745
; %bb.2744:
	global_store_short v[3:4], v5, off
.LBB95_2745:
	s_mov_b64 s[10:11], 0
.LBB95_2746:
	s_andn2_b64 vcc, exec, s[10:11]
	s_cbranch_vccnz .LBB95_2754
; %bb.2747:
	v_xor_b32_e32 v7, v5, v6
	v_ffbh_i32_e32 v1, v6
	v_ashrrev_i32_e32 v7, 31, v7
	v_add_u32_e32 v1, -1, v1
	v_add_u32_e32 v7, 32, v7
	v_min_u32_e32 v1, v1, v7
	v_lshlrev_b64 v[7:8], v1, v[5:6]
	v_sub_u32_e32 v1, 32, v1
	v_min_u32_e32 v7, 1, v7
	v_or_b32_e32 v7, v8, v7
	v_cvt_f32_i32_e32 v7, v7
	s_mov_b32 s10, 0x43800000
	v_mov_b32_e32 v8, 0x80
	v_ldexp_f32 v1, v7, v1
	v_and_b32_e32 v7, 0x7fffffff, v1
	v_cmp_gt_u32_e32 vcc, s10, v7
	s_and_saveexec_b64 s[10:11], vcc
	s_cbranch_execz .LBB95_2753
; %bb.2748:
	s_mov_b32 s18, 0x3bffffff
	v_cmp_lt_u32_e32 vcc, s18, v7
	s_mov_b64 s[18:19], 0
                                        ; implicit-def: $vgpr7
	s_and_saveexec_b64 s[20:21], vcc
	s_xor_b64 s[20:21], exec, s[20:21]
	s_cbranch_execz .LBB95_3088
; %bb.2749:
	v_bfe_u32 v7, v1, 20, 1
	s_mov_b32 s24, 0x487ffff
	v_add3_u32 v7, v1, v7, s24
	s_mov_b64 s[18:19], exec
	v_lshrrev_b32_e32 v7, 20, v7
	s_andn2_saveexec_b64 s[20:21], s[20:21]
	s_cbranch_execnz .LBB95_3089
.LBB95_2750:
	s_or_b64 exec, exec, s[20:21]
	v_mov_b32_e32 v8, 0
	s_and_saveexec_b64 s[20:21], s[18:19]
.LBB95_2751:
	v_lshrrev_b32_e32 v1, 24, v1
	s_movk_i32 s18, 0x80
	v_and_or_b32 v8, v1, s18, v7
.LBB95_2752:
	s_or_b64 exec, exec, s[20:21]
.LBB95_2753:
	s_or_b64 exec, exec, s[10:11]
	global_store_byte v[3:4], v8, off
.LBB95_2754:
	s_mov_b64 s[10:11], -1
.LBB95_2755:
	s_mov_b64 s[18:19], 0
.LBB95_2756:
	s_and_b64 vcc, exec, s[18:19]
	s_cbranch_vccz .LBB95_2796
; %bb.2757:
	s_cmp_gt_i32 s23, 22
	s_mov_b64 s[2:3], -1
	s_cbranch_scc0 .LBB95_2789
; %bb.2758:
	s_cmp_lt_i32 s23, 24
	s_cbranch_scc1 .LBB95_2778
; %bb.2759:
	s_cmp_gt_i32 s23, 24
	s_cbranch_scc0 .LBB95_2767
; %bb.2760:
	v_xor_b32_e32 v7, v5, v6
	v_ffbh_i32_e32 v1, v6
	v_ashrrev_i32_e32 v7, 31, v7
	v_add_u32_e32 v1, -1, v1
	v_add_u32_e32 v7, 32, v7
	v_min_u32_e32 v1, v1, v7
	v_lshlrev_b64 v[7:8], v1, v[5:6]
	v_sub_u32_e32 v1, 32, v1
	v_min_u32_e32 v7, 1, v7
	v_or_b32_e32 v7, v8, v7
	v_cvt_f32_i32_e32 v7, v7
	s_mov_b32 s2, 0x47800000
	v_mov_b32_e32 v8, 0x80
	v_ldexp_f32 v1, v7, v1
	v_and_b32_e32 v7, 0x7fffffff, v1
	v_cmp_gt_u32_e32 vcc, s2, v7
	s_and_saveexec_b64 s[2:3], vcc
	s_cbranch_execz .LBB95_2766
; %bb.2761:
	s_mov_b32 s10, 0x37ffffff
	v_cmp_lt_u32_e32 vcc, s10, v7
	s_mov_b64 s[10:11], 0
                                        ; implicit-def: $vgpr7
	s_and_saveexec_b64 s[18:19], vcc
	s_xor_b64 s[18:19], exec, s[18:19]
	s_cbranch_execz .LBB95_3091
; %bb.2762:
	v_bfe_u32 v7, v1, 21, 1
	s_mov_b32 s20, 0x88fffff
	v_add3_u32 v7, v1, v7, s20
	s_mov_b64 s[10:11], exec
	v_lshrrev_b32_e32 v7, 21, v7
	s_andn2_saveexec_b64 s[18:19], s[18:19]
	s_cbranch_execnz .LBB95_3092
.LBB95_2763:
	s_or_b64 exec, exec, s[18:19]
	v_mov_b32_e32 v8, 0
	s_and_saveexec_b64 s[18:19], s[10:11]
.LBB95_2764:
	v_lshrrev_b32_e32 v1, 24, v1
	s_movk_i32 s10, 0x80
	v_and_or_b32 v8, v1, s10, v7
.LBB95_2765:
	s_or_b64 exec, exec, s[18:19]
.LBB95_2766:
	s_or_b64 exec, exec, s[2:3]
	s_mov_b64 s[2:3], 0
	global_store_byte v[3:4], v8, off
.LBB95_2767:
	s_and_b64 vcc, exec, s[2:3]
	s_cbranch_vccz .LBB95_2777
; %bb.2768:
	v_xor_b32_e32 v7, v5, v6
	v_ffbh_i32_e32 v1, v6
	v_ashrrev_i32_e32 v7, 31, v7
	v_add_u32_e32 v1, -1, v1
	v_add_u32_e32 v7, 32, v7
	v_min_u32_e32 v1, v1, v7
	v_lshlrev_b64 v[7:8], v1, v[5:6]
	v_sub_u32_e32 v1, 32, v1
	v_min_u32_e32 v7, 1, v7
	v_or_b32_e32 v7, v8, v7
	v_cvt_f32_i32_e32 v7, v7
	s_mov_b32 s2, 0x43f00000
	v_ldexp_f32 v1, v7, v1
	v_and_b32_e32 v8, 0x7fffffff, v1
	v_cmp_gt_u32_e32 vcc, s2, v8
                                        ; implicit-def: $vgpr7
	s_and_saveexec_b64 s[2:3], vcc
	s_xor_b64 s[2:3], exec, s[2:3]
	s_cbranch_execz .LBB95_2774
; %bb.2769:
	s_mov_b32 s10, 0x3c7fffff
	v_cmp_lt_u32_e32 vcc, s10, v8
                                        ; implicit-def: $vgpr7
	s_and_saveexec_b64 s[10:11], vcc
	s_xor_b64 s[10:11], exec, s[10:11]
; %bb.2770:
	v_bfe_u32 v7, v1, 20, 1
	s_mov_b32 s18, 0x407ffff
	v_add3_u32 v7, v1, v7, s18
	v_lshrrev_b32_e32 v8, 20, v7
	v_and_b32_e32 v7, 0xff00000, v7
	s_mov_b32 s18, 0x7f00000
	v_mov_b32_e32 v9, 0x7e
	v_cmp_ne_u32_e32 vcc, s18, v7
	v_cndmask_b32_e32 v7, v9, v8, vcc
; %bb.2771:
	s_andn2_saveexec_b64 s[10:11], s[10:11]
; %bb.2772:
	s_mov_b32 s18, 0x46800000
	v_add_f32_e64 v7, |v1|, s18
; %bb.2773:
	s_or_b64 exec, exec, s[10:11]
                                        ; implicit-def: $vgpr8
.LBB95_2774:
	s_andn2_saveexec_b64 s[2:3], s[2:3]
; %bb.2775:
	s_mov_b32 s10, 0x7f800000
	v_mov_b32_e32 v7, 0x7e
	v_mov_b32_e32 v9, 0x7f
	v_cmp_lt_u32_e32 vcc, s10, v8
	v_cndmask_b32_e32 v7, v7, v9, vcc
; %bb.2776:
	s_or_b64 exec, exec, s[2:3]
	v_lshrrev_b32_e32 v1, 24, v1
	s_movk_i32 s2, 0x80
	v_and_or_b32 v1, v1, s2, v7
	global_store_byte v[3:4], v1, off
.LBB95_2777:
	s_mov_b64 s[2:3], 0
.LBB95_2778:
	s_andn2_b64 vcc, exec, s[2:3]
	s_cbranch_vccnz .LBB95_2788
; %bb.2779:
	v_xor_b32_e32 v7, v5, v6
	v_ffbh_i32_e32 v1, v6
	v_ashrrev_i32_e32 v7, 31, v7
	v_add_u32_e32 v1, -1, v1
	v_add_u32_e32 v7, 32, v7
	v_min_u32_e32 v1, v1, v7
	v_lshlrev_b64 v[7:8], v1, v[5:6]
	v_sub_u32_e32 v1, 32, v1
	v_min_u32_e32 v7, 1, v7
	v_or_b32_e32 v7, v8, v7
	v_cvt_f32_i32_e32 v7, v7
	s_mov_b32 s2, 0x47800000
	v_ldexp_f32 v1, v7, v1
	v_and_b32_e32 v8, 0x7fffffff, v1
	v_cmp_gt_u32_e32 vcc, s2, v8
                                        ; implicit-def: $vgpr7
	s_and_saveexec_b64 s[2:3], vcc
	s_xor_b64 s[2:3], exec, s[2:3]
	s_cbranch_execz .LBB95_2785
; %bb.2780:
	s_mov_b32 s10, 0x387fffff
	v_cmp_lt_u32_e32 vcc, s10, v8
                                        ; implicit-def: $vgpr7
	s_and_saveexec_b64 s[10:11], vcc
	s_xor_b64 s[10:11], exec, s[10:11]
; %bb.2781:
	v_bfe_u32 v7, v1, 21, 1
	s_mov_b32 s18, 0x80fffff
	v_add3_u32 v7, v1, v7, s18
	v_lshrrev_b32_e32 v7, 21, v7
; %bb.2782:
	s_andn2_saveexec_b64 s[10:11], s[10:11]
; %bb.2783:
	s_mov_b32 s18, 0x43000000
	v_add_f32_e64 v7, |v1|, s18
; %bb.2784:
	s_or_b64 exec, exec, s[10:11]
                                        ; implicit-def: $vgpr8
.LBB95_2785:
	s_andn2_saveexec_b64 s[2:3], s[2:3]
; %bb.2786:
	s_mov_b32 s10, 0x7f800000
	v_mov_b32_e32 v7, 0x7c
	v_mov_b32_e32 v9, 0x7f
	v_cmp_lt_u32_e32 vcc, s10, v8
	v_cndmask_b32_e32 v7, v7, v9, vcc
; %bb.2787:
	s_or_b64 exec, exec, s[2:3]
	v_lshrrev_b32_e32 v1, 24, v1
	s_movk_i32 s2, 0x80
	v_and_or_b32 v1, v1, s2, v7
	global_store_byte v[3:4], v1, off
.LBB95_2788:
	s_mov_b64 s[2:3], 0
	s_mov_b64 s[10:11], -1
.LBB95_2789:
	s_andn2_b64 vcc, exec, s[2:3]
	s_mov_b64 s[2:3], 0
	s_cbranch_vccnz .LBB95_2796
; %bb.2790:
	s_cmp_gt_i32 s23, 14
	s_mov_b64 s[18:19], -1
	s_cbranch_scc0 .LBB95_2794
; %bb.2791:
	s_cmp_eq_u32 s23, 15
	s_mov_b64 s[0:1], -1
	s_cbranch_scc0 .LBB95_2793
; %bb.2792:
	v_xor_b32_e32 v7, v5, v6
	v_ffbh_i32_e32 v1, v6
	v_ashrrev_i32_e32 v7, 31, v7
	v_add_u32_e32 v1, -1, v1
	v_add_u32_e32 v7, 32, v7
	v_min_u32_e32 v1, v1, v7
	v_lshlrev_b64 v[7:8], v1, v[5:6]
	v_sub_u32_e32 v1, 32, v1
	v_min_u32_e32 v7, 1, v7
	v_or_b32_e32 v7, v8, v7
	v_cvt_f32_i32_e32 v7, v7
	s_movk_i32 s0, 0x7fff
	s_mov_b64 s[10:11], -1
	v_ldexp_f32 v1, v7, v1
	v_bfe_u32 v7, v1, 16, 1
	v_add3_u32 v1, v1, v7, s0
	global_store_short_d16_hi v[3:4], v1, off
	s_mov_b64 s[0:1], 0
.LBB95_2793:
	s_mov_b64 s[18:19], 0
.LBB95_2794:
	s_and_b64 vcc, exec, s[18:19]
	s_cbranch_vccz .LBB95_2796
; %bb.2795:
	s_cmp_lg_u32 s23, 11
	s_mov_b64 s[2:3], -1
	s_cselect_b64 s[0:1], -1, 0
.LBB95_2796:
	s_and_b64 vcc, exec, s[0:1]
	s_cbranch_vccnz .LBB95_3090
; %bb.2797:
	s_andn2_b64 vcc, exec, s[2:3]
	s_cbranch_vccnz .LBB95_2799
.LBB95_2798:
	v_cmp_ne_u64_e32 vcc, 0, v[5:6]
	s_mov_b64 s[10:11], -1
	v_cndmask_b32_e64 v1, 0, 1, vcc
	global_store_byte v[3:4], v1, off
.LBB95_2799:
	s_mov_b64 s[0:1], 0
	s_branch .LBB95_2801
.LBB95_2800:
	s_mov_b64 s[0:1], -1
	s_mov_b64 s[10:11], 0
.LBB95_2801:
	s_and_b64 vcc, exec, s[0:1]
	s_cbranch_vccz .LBB95_2840
; %bb.2802:
	s_cmp_lt_i32 s23, 5
	s_mov_b64 s[0:1], -1
	s_cbranch_scc1 .LBB95_2823
; %bb.2803:
	s_cmp_lt_i32 s23, 8
	s_cbranch_scc1 .LBB95_2813
; %bb.2804:
	s_cmp_lt_i32 s23, 9
	s_cbranch_scc1 .LBB95_2810
; %bb.2805:
	s_cmp_gt_i32 s23, 9
	s_cbranch_scc0 .LBB95_2807
; %bb.2806:
	v_cvt_f64_i32_e32 v[7:8], v6
	v_cvt_f64_u32_e32 v[9:10], v5
	s_mov_b64 s[0:1], 0
	v_ldexp_f64 v[7:8], v[7:8], 32
	v_add_f64 v[7:8], v[7:8], v[9:10]
	v_mov_b32_e32 v9, 0
	v_mov_b32_e32 v10, v9
	global_store_dwordx4 v[3:4], v[7:10], off
.LBB95_2807:
	s_andn2_b64 vcc, exec, s[0:1]
	s_cbranch_vccnz .LBB95_2809
; %bb.2808:
	v_xor_b32_e32 v7, v5, v6
	v_ffbh_i32_e32 v1, v6
	v_ashrrev_i32_e32 v7, 31, v7
	v_add_u32_e32 v1, -1, v1
	v_add_u32_e32 v7, 32, v7
	v_min_u32_e32 v1, v1, v7
	v_lshlrev_b64 v[7:8], v1, v[5:6]
	v_sub_u32_e32 v1, 32, v1
	v_min_u32_e32 v7, 1, v7
	v_or_b32_e32 v7, v8, v7
	v_cvt_f32_i32_e32 v7, v7
	v_mov_b32_e32 v8, 0
	v_ldexp_f32 v7, v7, v1
	global_store_dwordx2 v[3:4], v[7:8], off
.LBB95_2809:
	s_mov_b64 s[0:1], 0
.LBB95_2810:
	s_andn2_b64 vcc, exec, s[0:1]
	s_cbranch_vccnz .LBB95_2812
; %bb.2811:
	v_xor_b32_e32 v7, v5, v6
	v_ffbh_i32_e32 v1, v6
	v_ashrrev_i32_e32 v7, 31, v7
	v_add_u32_e32 v1, -1, v1
	v_add_u32_e32 v7, 32, v7
	v_min_u32_e32 v1, v1, v7
	v_lshlrev_b64 v[7:8], v1, v[5:6]
	v_sub_u32_e32 v1, 32, v1
	v_min_u32_e32 v7, 1, v7
	v_or_b32_e32 v7, v8, v7
	v_cvt_f32_i32_e32 v7, v7
	v_ldexp_f32 v1, v7, v1
	v_cvt_f16_f32_e32 v1, v1
	global_store_dword v[3:4], v1, off
.LBB95_2812:
	s_mov_b64 s[0:1], 0
.LBB95_2813:
	s_andn2_b64 vcc, exec, s[0:1]
	s_cbranch_vccnz .LBB95_2822
; %bb.2814:
	s_cmp_lt_i32 s23, 6
	s_mov_b64 s[0:1], -1
	s_cbranch_scc1 .LBB95_2820
; %bb.2815:
	s_cmp_gt_i32 s23, 6
	s_cbranch_scc0 .LBB95_2817
; %bb.2816:
	v_cvt_f64_i32_e32 v[7:8], v6
	v_cvt_f64_u32_e32 v[9:10], v5
	s_mov_b64 s[0:1], 0
	v_ldexp_f64 v[7:8], v[7:8], 32
	v_add_f64 v[7:8], v[7:8], v[9:10]
	global_store_dwordx2 v[3:4], v[7:8], off
.LBB95_2817:
	s_andn2_b64 vcc, exec, s[0:1]
	s_cbranch_vccnz .LBB95_2819
; %bb.2818:
	v_xor_b32_e32 v7, v5, v6
	v_ffbh_i32_e32 v1, v6
	v_ashrrev_i32_e32 v7, 31, v7
	v_add_u32_e32 v1, -1, v1
	v_add_u32_e32 v7, 32, v7
	v_min_u32_e32 v1, v1, v7
	v_lshlrev_b64 v[7:8], v1, v[5:6]
	v_sub_u32_e32 v1, 32, v1
	v_min_u32_e32 v7, 1, v7
	v_or_b32_e32 v7, v8, v7
	v_cvt_f32_i32_e32 v7, v7
	v_ldexp_f32 v1, v7, v1
	global_store_dword v[3:4], v1, off
.LBB95_2819:
	s_mov_b64 s[0:1], 0
.LBB95_2820:
	s_andn2_b64 vcc, exec, s[0:1]
	s_cbranch_vccnz .LBB95_2822
; %bb.2821:
	v_xor_b32_e32 v7, v5, v6
	v_ffbh_i32_e32 v1, v6
	v_ashrrev_i32_e32 v7, 31, v7
	v_add_u32_e32 v1, -1, v1
	v_add_u32_e32 v7, 32, v7
	v_min_u32_e32 v1, v1, v7
	v_lshlrev_b64 v[7:8], v1, v[5:6]
	v_sub_u32_e32 v1, 32, v1
	v_min_u32_e32 v7, 1, v7
	v_or_b32_e32 v7, v8, v7
	v_cvt_f32_i32_e32 v7, v7
	v_ldexp_f32 v1, v7, v1
	v_cvt_f16_f32_e32 v1, v1
	global_store_short v[3:4], v1, off
.LBB95_2822:
	s_mov_b64 s[0:1], 0
.LBB95_2823:
	s_andn2_b64 vcc, exec, s[0:1]
	s_cbranch_vccnz .LBB95_2839
; %bb.2824:
	s_cmp_lt_i32 s23, 2
	s_mov_b64 s[0:1], -1
	s_cbranch_scc1 .LBB95_2834
; %bb.2825:
	s_cmp_lt_i32 s23, 3
	s_cbranch_scc1 .LBB95_2831
; %bb.2826:
	s_cmp_gt_i32 s23, 3
	s_cbranch_scc0 .LBB95_2828
; %bb.2827:
	global_store_dwordx2 v[3:4], v[5:6], off
	s_mov_b64 s[0:1], 0
.LBB95_2828:
	s_andn2_b64 vcc, exec, s[0:1]
	s_cbranch_vccnz .LBB95_2830
; %bb.2829:
	global_store_dword v[3:4], v5, off
.LBB95_2830:
	s_mov_b64 s[0:1], 0
.LBB95_2831:
	s_andn2_b64 vcc, exec, s[0:1]
	s_cbranch_vccnz .LBB95_2833
; %bb.2832:
	global_store_short v[3:4], v5, off
.LBB95_2833:
	s_mov_b64 s[0:1], 0
.LBB95_2834:
	s_andn2_b64 vcc, exec, s[0:1]
	s_cbranch_vccnz .LBB95_2839
; %bb.2835:
	s_cmp_gt_i32 s23, 0
	s_mov_b64 s[0:1], -1
	s_cbranch_scc0 .LBB95_2837
; %bb.2836:
	global_store_byte v[3:4], v5, off
	s_mov_b64 s[0:1], 0
.LBB95_2837:
	s_andn2_b64 vcc, exec, s[0:1]
	s_cbranch_vccnz .LBB95_2839
; %bb.2838:
	global_store_byte v[3:4], v5, off
.LBB95_2839:
	s_mov_b64 s[10:11], -1
.LBB95_2840:
	s_andn2_b64 vcc, exec, s[10:11]
	s_cbranch_vccnz .LBB95_3036
; %bb.2841:
	v_cmp_lt_i64_e32 vcc, s[4:5], v[17:18]
	v_mov_b32_e32 v1, s7
	v_cndmask_b32_e32 v4, v1, v20, vcc
	v_mov_b32_e32 v1, s6
	v_cndmask_b32_e32 v3, v1, v19, vcc
	v_mov_b32_e32 v5, s9
	v_add_co_u32_e32 v1, vcc, s8, v2
	s_cmp_lt_i32 s23, 11
	v_addc_co_u32_e32 v2, vcc, 0, v5, vcc
	s_cbranch_scc1 .LBB95_2919
; %bb.2842:
	s_mov_b64 s[18:19], -1
	s_mov_b64 s[2:3], 0
	s_cmp_gt_i32 s23, 25
	s_mov_b64 s[10:11], 0
	s_mov_b64 s[0:1], 0
	s_cbranch_scc0 .LBB95_2875
; %bb.2843:
	s_cmp_gt_i32 s23, 28
	s_cbranch_scc0 .LBB95_2858
; %bb.2844:
	s_cmp_gt_i32 s23, 43
	;; [unrolled: 3-line block ×3, first 2 shown]
	s_cbranch_scc0 .LBB95_2848
; %bb.2846:
	s_mov_b64 s[0:1], -1
	s_mov_b64 s[18:19], 0
	s_cmp_eq_u32 s23, 46
	s_cbranch_scc0 .LBB95_2848
; %bb.2847:
	v_xor_b32_e32 v6, v3, v4
	v_ffbh_i32_e32 v5, v4
	v_ashrrev_i32_e32 v6, 31, v6
	v_add_u32_e32 v5, -1, v5
	v_add_u32_e32 v6, 32, v6
	v_min_u32_e32 v7, v5, v6
	v_lshlrev_b64 v[5:6], v7, v[3:4]
	s_movk_i32 s0, 0x7fff
	v_min_u32_e32 v5, 1, v5
	v_or_b32_e32 v5, v6, v5
	v_cvt_f32_i32_e32 v5, v5
	v_sub_u32_e32 v6, 32, v7
	s_mov_b64 s[10:11], -1
	v_ldexp_f32 v5, v5, v6
	v_bfe_u32 v6, v5, 16, 1
	v_add3_u32 v5, v5, v6, s0
	v_lshrrev_b32_e32 v5, 16, v5
	global_store_dword v[1:2], v5, off
	s_mov_b64 s[0:1], 0
.LBB95_2848:
	s_and_b64 vcc, exec, s[18:19]
	s_cbranch_vccz .LBB95_2853
; %bb.2849:
	s_cmp_eq_u32 s23, 44
	s_mov_b64 s[0:1], -1
	s_cbranch_scc0 .LBB95_2853
; %bb.2850:
	v_xor_b32_e32 v6, v3, v4
	v_ffbh_i32_e32 v5, v4
	v_ashrrev_i32_e32 v6, 31, v6
	v_add_u32_e32 v5, -1, v5
	v_add_u32_e32 v6, 32, v6
	v_min_u32_e32 v7, v5, v6
	v_lshlrev_b64 v[5:6], v7, v[3:4]
	s_movk_i32 s0, 0xff
	v_min_u32_e32 v5, 1, v5
	v_or_b32_e32 v5, v6, v5
	v_cvt_f32_i32_e32 v5, v5
	v_sub_u32_e32 v6, 32, v7
	v_mov_b32_e32 v7, 0xff
	v_ldexp_f32 v5, v5, v6
	v_bfe_u32 v6, v5, 23, 8
	v_cmp_ne_u32_e32 vcc, s0, v6
	s_and_saveexec_b64 s[10:11], vcc
; %bb.2851:
	s_mov_b32 s0, 0x3fffff
	v_lshrrev_b32_e32 v7, 23, v5
	v_and_b32_e32 v8, 0x400000, v5
	v_and_or_b32 v5, v5, s0, v6
	v_cmp_ne_u32_e32 vcc, 0, v8
	v_cmp_ne_u32_e64 s[0:1], 0, v5
	s_and_b64 s[0:1], vcc, s[0:1]
	v_cndmask_b32_e64 v5, 0, 1, s[0:1]
	v_add_u32_e32 v7, v7, v5
; %bb.2852:
	s_or_b64 exec, exec, s[10:11]
	s_mov_b64 s[0:1], 0
	s_mov_b64 s[10:11], -1
	global_store_byte v[1:2], v7, off
.LBB95_2853:
	s_mov_b64 s[18:19], 0
.LBB95_2854:
	s_and_b64 vcc, exec, s[18:19]
	s_cbranch_vccz .LBB95_2857
; %bb.2855:
	s_cmp_eq_u32 s23, 29
	s_mov_b64 s[0:1], -1
	s_cbranch_scc0 .LBB95_2857
; %bb.2856:
	global_store_dwordx2 v[1:2], v[3:4], off
	s_mov_b64 s[0:1], 0
	s_mov_b64 s[10:11], -1
.LBB95_2857:
	s_mov_b64 s[18:19], 0
.LBB95_2858:
	s_and_b64 vcc, exec, s[18:19]
	s_cbranch_vccz .LBB95_2874
; %bb.2859:
	s_cmp_lt_i32 s23, 27
	s_mov_b64 s[10:11], -1
	s_cbranch_scc1 .LBB95_2865
; %bb.2860:
	s_cmp_gt_i32 s23, 27
	s_cbranch_scc0 .LBB95_2862
; %bb.2861:
	s_mov_b64 s[10:11], 0
	global_store_dword v[1:2], v3, off
.LBB95_2862:
	s_andn2_b64 vcc, exec, s[10:11]
	s_cbranch_vccnz .LBB95_2864
; %bb.2863:
	global_store_short v[1:2], v3, off
.LBB95_2864:
	s_mov_b64 s[10:11], 0
.LBB95_2865:
	s_andn2_b64 vcc, exec, s[10:11]
	s_cbranch_vccnz .LBB95_2873
; %bb.2866:
	v_xor_b32_e32 v6, v3, v4
	v_ffbh_i32_e32 v5, v4
	v_ashrrev_i32_e32 v6, 31, v6
	v_add_u32_e32 v5, -1, v5
	v_add_u32_e32 v6, 32, v6
	v_min_u32_e32 v7, v5, v6
	v_lshlrev_b64 v[5:6], v7, v[3:4]
	s_mov_b32 s10, 0x43800000
	v_min_u32_e32 v5, 1, v5
	v_or_b32_e32 v5, v6, v5
	v_cvt_f32_i32_e32 v5, v5
	v_sub_u32_e32 v6, 32, v7
	v_mov_b32_e32 v7, 0x80
	v_ldexp_f32 v5, v5, v6
	v_and_b32_e32 v6, 0x7fffffff, v5
	v_cmp_gt_u32_e32 vcc, s10, v6
	s_and_saveexec_b64 s[10:11], vcc
	s_cbranch_execz .LBB95_2872
; %bb.2867:
	s_mov_b32 s18, 0x3bffffff
	v_cmp_lt_u32_e32 vcc, s18, v6
	s_mov_b64 s[18:19], 0
                                        ; implicit-def: $vgpr6
	s_and_saveexec_b64 s[20:21], vcc
	s_xor_b64 s[20:21], exec, s[20:21]
	s_cbranch_execz .LBB95_3093
; %bb.2868:
	v_bfe_u32 v6, v5, 20, 1
	s_mov_b32 s24, 0x487ffff
	v_add3_u32 v6, v5, v6, s24
	s_mov_b64 s[18:19], exec
	v_lshrrev_b32_e32 v6, 20, v6
	s_andn2_saveexec_b64 s[20:21], s[20:21]
	s_cbranch_execnz .LBB95_3094
.LBB95_2869:
	s_or_b64 exec, exec, s[20:21]
	v_mov_b32_e32 v7, 0
	s_and_saveexec_b64 s[20:21], s[18:19]
.LBB95_2870:
	v_lshrrev_b32_e32 v5, 24, v5
	s_movk_i32 s18, 0x80
	v_and_or_b32 v7, v5, s18, v6
.LBB95_2871:
	s_or_b64 exec, exec, s[20:21]
.LBB95_2872:
	s_or_b64 exec, exec, s[10:11]
	global_store_byte v[1:2], v7, off
.LBB95_2873:
	s_mov_b64 s[10:11], -1
.LBB95_2874:
	s_mov_b64 s[18:19], 0
.LBB95_2875:
	s_and_b64 vcc, exec, s[18:19]
	s_cbranch_vccz .LBB95_2915
; %bb.2876:
	s_cmp_gt_i32 s23, 22
	s_mov_b64 s[2:3], -1
	s_cbranch_scc0 .LBB95_2908
; %bb.2877:
	s_cmp_lt_i32 s23, 24
	s_cbranch_scc1 .LBB95_2897
; %bb.2878:
	s_cmp_gt_i32 s23, 24
	s_cbranch_scc0 .LBB95_2886
; %bb.2879:
	v_xor_b32_e32 v6, v3, v4
	v_ffbh_i32_e32 v5, v4
	v_ashrrev_i32_e32 v6, 31, v6
	v_add_u32_e32 v5, -1, v5
	v_add_u32_e32 v6, 32, v6
	v_min_u32_e32 v7, v5, v6
	v_lshlrev_b64 v[5:6], v7, v[3:4]
	s_mov_b32 s2, 0x47800000
	v_min_u32_e32 v5, 1, v5
	v_or_b32_e32 v5, v6, v5
	v_cvt_f32_i32_e32 v5, v5
	v_sub_u32_e32 v6, 32, v7
	v_mov_b32_e32 v7, 0x80
	v_ldexp_f32 v5, v5, v6
	v_and_b32_e32 v6, 0x7fffffff, v5
	v_cmp_gt_u32_e32 vcc, s2, v6
	s_and_saveexec_b64 s[2:3], vcc
	s_cbranch_execz .LBB95_2885
; %bb.2880:
	s_mov_b32 s10, 0x37ffffff
	v_cmp_lt_u32_e32 vcc, s10, v6
	s_mov_b64 s[10:11], 0
                                        ; implicit-def: $vgpr6
	s_and_saveexec_b64 s[18:19], vcc
	s_xor_b64 s[18:19], exec, s[18:19]
	s_cbranch_execz .LBB95_3096
; %bb.2881:
	v_bfe_u32 v6, v5, 21, 1
	s_mov_b32 s20, 0x88fffff
	v_add3_u32 v6, v5, v6, s20
	s_mov_b64 s[10:11], exec
	v_lshrrev_b32_e32 v6, 21, v6
	s_andn2_saveexec_b64 s[18:19], s[18:19]
	s_cbranch_execnz .LBB95_3097
.LBB95_2882:
	s_or_b64 exec, exec, s[18:19]
	v_mov_b32_e32 v7, 0
	s_and_saveexec_b64 s[18:19], s[10:11]
.LBB95_2883:
	v_lshrrev_b32_e32 v5, 24, v5
	s_movk_i32 s10, 0x80
	v_and_or_b32 v7, v5, s10, v6
.LBB95_2884:
	s_or_b64 exec, exec, s[18:19]
.LBB95_2885:
	s_or_b64 exec, exec, s[2:3]
	s_mov_b64 s[2:3], 0
	global_store_byte v[1:2], v7, off
.LBB95_2886:
	s_and_b64 vcc, exec, s[2:3]
	s_cbranch_vccz .LBB95_2896
; %bb.2887:
	v_xor_b32_e32 v6, v3, v4
	v_ffbh_i32_e32 v5, v4
	v_ashrrev_i32_e32 v6, 31, v6
	v_add_u32_e32 v5, -1, v5
	v_add_u32_e32 v6, 32, v6
	v_min_u32_e32 v7, v5, v6
	v_lshlrev_b64 v[5:6], v7, v[3:4]
	s_mov_b32 s2, 0x43f00000
	v_min_u32_e32 v5, 1, v5
	v_or_b32_e32 v5, v6, v5
	v_cvt_f32_i32_e32 v5, v5
	v_sub_u32_e32 v6, 32, v7
	v_ldexp_f32 v5, v5, v6
	v_and_b32_e32 v7, 0x7fffffff, v5
	v_cmp_gt_u32_e32 vcc, s2, v7
                                        ; implicit-def: $vgpr6
	s_and_saveexec_b64 s[2:3], vcc
	s_xor_b64 s[2:3], exec, s[2:3]
	s_cbranch_execz .LBB95_2893
; %bb.2888:
	s_mov_b32 s10, 0x3c7fffff
	v_cmp_lt_u32_e32 vcc, s10, v7
                                        ; implicit-def: $vgpr6
	s_and_saveexec_b64 s[10:11], vcc
	s_xor_b64 s[10:11], exec, s[10:11]
; %bb.2889:
	v_bfe_u32 v6, v5, 20, 1
	s_mov_b32 s18, 0x407ffff
	v_add3_u32 v6, v5, v6, s18
	v_lshrrev_b32_e32 v7, 20, v6
	v_and_b32_e32 v6, 0xff00000, v6
	s_mov_b32 s18, 0x7f00000
	v_mov_b32_e32 v8, 0x7e
	v_cmp_ne_u32_e32 vcc, s18, v6
	v_cndmask_b32_e32 v6, v8, v7, vcc
; %bb.2890:
	s_andn2_saveexec_b64 s[10:11], s[10:11]
; %bb.2891:
	s_mov_b32 s18, 0x46800000
	v_add_f32_e64 v6, |v5|, s18
; %bb.2892:
	s_or_b64 exec, exec, s[10:11]
                                        ; implicit-def: $vgpr7
.LBB95_2893:
	s_andn2_saveexec_b64 s[2:3], s[2:3]
; %bb.2894:
	s_mov_b32 s10, 0x7f800000
	v_mov_b32_e32 v6, 0x7e
	v_mov_b32_e32 v8, 0x7f
	v_cmp_lt_u32_e32 vcc, s10, v7
	v_cndmask_b32_e32 v6, v6, v8, vcc
; %bb.2895:
	s_or_b64 exec, exec, s[2:3]
	v_lshrrev_b32_e32 v5, 24, v5
	s_movk_i32 s2, 0x80
	v_and_or_b32 v5, v5, s2, v6
	global_store_byte v[1:2], v5, off
.LBB95_2896:
	s_mov_b64 s[2:3], 0
.LBB95_2897:
	s_andn2_b64 vcc, exec, s[2:3]
	s_cbranch_vccnz .LBB95_2907
; %bb.2898:
	v_xor_b32_e32 v6, v3, v4
	v_ffbh_i32_e32 v5, v4
	v_ashrrev_i32_e32 v6, 31, v6
	v_add_u32_e32 v5, -1, v5
	v_add_u32_e32 v6, 32, v6
	v_min_u32_e32 v7, v5, v6
	v_lshlrev_b64 v[5:6], v7, v[3:4]
	s_mov_b32 s2, 0x47800000
	v_min_u32_e32 v5, 1, v5
	v_or_b32_e32 v5, v6, v5
	v_cvt_f32_i32_e32 v5, v5
	v_sub_u32_e32 v6, 32, v7
	v_ldexp_f32 v5, v5, v6
	v_and_b32_e32 v7, 0x7fffffff, v5
	v_cmp_gt_u32_e32 vcc, s2, v7
                                        ; implicit-def: $vgpr6
	s_and_saveexec_b64 s[2:3], vcc
	s_xor_b64 s[2:3], exec, s[2:3]
	s_cbranch_execz .LBB95_2904
; %bb.2899:
	s_mov_b32 s10, 0x387fffff
	v_cmp_lt_u32_e32 vcc, s10, v7
                                        ; implicit-def: $vgpr6
	s_and_saveexec_b64 s[10:11], vcc
	s_xor_b64 s[10:11], exec, s[10:11]
; %bb.2900:
	v_bfe_u32 v6, v5, 21, 1
	s_mov_b32 s18, 0x80fffff
	v_add3_u32 v6, v5, v6, s18
	v_lshrrev_b32_e32 v6, 21, v6
; %bb.2901:
	s_andn2_saveexec_b64 s[10:11], s[10:11]
; %bb.2902:
	s_mov_b32 s18, 0x43000000
	v_add_f32_e64 v6, |v5|, s18
; %bb.2903:
	s_or_b64 exec, exec, s[10:11]
                                        ; implicit-def: $vgpr7
.LBB95_2904:
	s_andn2_saveexec_b64 s[2:3], s[2:3]
; %bb.2905:
	s_mov_b32 s10, 0x7f800000
	v_mov_b32_e32 v6, 0x7c
	v_mov_b32_e32 v8, 0x7f
	v_cmp_lt_u32_e32 vcc, s10, v7
	v_cndmask_b32_e32 v6, v6, v8, vcc
; %bb.2906:
	s_or_b64 exec, exec, s[2:3]
	v_lshrrev_b32_e32 v5, 24, v5
	s_movk_i32 s2, 0x80
	v_and_or_b32 v5, v5, s2, v6
	global_store_byte v[1:2], v5, off
.LBB95_2907:
	s_mov_b64 s[2:3], 0
	s_mov_b64 s[10:11], -1
.LBB95_2908:
	s_andn2_b64 vcc, exec, s[2:3]
	s_mov_b64 s[2:3], 0
	s_cbranch_vccnz .LBB95_2915
; %bb.2909:
	s_cmp_gt_i32 s23, 14
	s_mov_b64 s[18:19], -1
	s_cbranch_scc0 .LBB95_2913
; %bb.2910:
	s_cmp_eq_u32 s23, 15
	s_mov_b64 s[0:1], -1
	s_cbranch_scc0 .LBB95_2912
; %bb.2911:
	v_xor_b32_e32 v6, v3, v4
	v_ffbh_i32_e32 v5, v4
	v_ashrrev_i32_e32 v6, 31, v6
	v_add_u32_e32 v5, -1, v5
	v_add_u32_e32 v6, 32, v6
	v_min_u32_e32 v7, v5, v6
	v_lshlrev_b64 v[5:6], v7, v[3:4]
	s_movk_i32 s0, 0x7fff
	v_min_u32_e32 v5, 1, v5
	v_or_b32_e32 v5, v6, v5
	v_cvt_f32_i32_e32 v5, v5
	v_sub_u32_e32 v6, 32, v7
	s_mov_b64 s[10:11], -1
	v_ldexp_f32 v5, v5, v6
	v_bfe_u32 v6, v5, 16, 1
	v_add3_u32 v5, v5, v6, s0
	global_store_short_d16_hi v[1:2], v5, off
	s_mov_b64 s[0:1], 0
.LBB95_2912:
	s_mov_b64 s[18:19], 0
.LBB95_2913:
	s_and_b64 vcc, exec, s[18:19]
	s_cbranch_vccz .LBB95_2915
; %bb.2914:
	s_cmp_lg_u32 s23, 11
	s_mov_b64 s[2:3], -1
	s_cselect_b64 s[0:1], -1, 0
.LBB95_2915:
	s_and_b64 vcc, exec, s[0:1]
	s_cbranch_vccnz .LBB95_3095
; %bb.2916:
	s_andn2_b64 vcc, exec, s[2:3]
	s_cbranch_vccnz .LBB95_2918
.LBB95_2917:
	v_cmp_ne_u64_e32 vcc, 0, v[3:4]
	s_mov_b64 s[10:11], -1
	v_cndmask_b32_e64 v5, 0, 1, vcc
	global_store_byte v[1:2], v5, off
.LBB95_2918:
	s_mov_b64 s[0:1], 0
	s_branch .LBB95_2920
.LBB95_2919:
	s_mov_b64 s[0:1], -1
	s_mov_b64 s[10:11], 0
.LBB95_2920:
	s_and_b64 vcc, exec, s[0:1]
	s_cbranch_vccz .LBB95_2959
; %bb.2921:
	s_cmp_lt_i32 s23, 5
	s_mov_b64 s[0:1], -1
	s_cbranch_scc1 .LBB95_2942
; %bb.2922:
	s_cmp_lt_i32 s23, 8
	s_cbranch_scc1 .LBB95_2932
; %bb.2923:
	s_cmp_lt_i32 s23, 9
	s_cbranch_scc1 .LBB95_2929
; %bb.2924:
	s_cmp_gt_i32 s23, 9
	s_cbranch_scc0 .LBB95_2926
; %bb.2925:
	v_cvt_f64_i32_e32 v[5:6], v4
	v_cvt_f64_u32_e32 v[7:8], v3
	s_mov_b64 s[0:1], 0
	v_ldexp_f64 v[5:6], v[5:6], 32
	v_add_f64 v[5:6], v[5:6], v[7:8]
	v_mov_b32_e32 v7, 0
	v_mov_b32_e32 v8, v7
	global_store_dwordx4 v[1:2], v[5:8], off
.LBB95_2926:
	s_andn2_b64 vcc, exec, s[0:1]
	s_cbranch_vccnz .LBB95_2928
; %bb.2927:
	v_xor_b32_e32 v6, v3, v4
	v_ffbh_i32_e32 v5, v4
	v_ashrrev_i32_e32 v6, 31, v6
	v_add_u32_e32 v5, -1, v5
	v_add_u32_e32 v6, 32, v6
	v_min_u32_e32 v7, v5, v6
	v_lshlrev_b64 v[5:6], v7, v[3:4]
	v_min_u32_e32 v5, 1, v5
	v_or_b32_e32 v5, v6, v5
	v_cvt_f32_i32_e32 v5, v5
	v_sub_u32_e32 v6, 32, v7
	v_ldexp_f32 v5, v5, v6
	v_mov_b32_e32 v6, 0
	global_store_dwordx2 v[1:2], v[5:6], off
.LBB95_2928:
	s_mov_b64 s[0:1], 0
.LBB95_2929:
	s_andn2_b64 vcc, exec, s[0:1]
	s_cbranch_vccnz .LBB95_2931
; %bb.2930:
	v_xor_b32_e32 v6, v3, v4
	v_ffbh_i32_e32 v5, v4
	v_ashrrev_i32_e32 v6, 31, v6
	v_add_u32_e32 v5, -1, v5
	v_add_u32_e32 v6, 32, v6
	v_min_u32_e32 v7, v5, v6
	v_lshlrev_b64 v[5:6], v7, v[3:4]
	v_min_u32_e32 v5, 1, v5
	v_or_b32_e32 v5, v6, v5
	v_cvt_f32_i32_e32 v5, v5
	v_sub_u32_e32 v6, 32, v7
	v_ldexp_f32 v5, v5, v6
	v_cvt_f16_f32_e32 v5, v5
	global_store_dword v[1:2], v5, off
.LBB95_2931:
	s_mov_b64 s[0:1], 0
.LBB95_2932:
	s_andn2_b64 vcc, exec, s[0:1]
	s_cbranch_vccnz .LBB95_2941
; %bb.2933:
	s_cmp_lt_i32 s23, 6
	s_mov_b64 s[0:1], -1
	s_cbranch_scc1 .LBB95_2939
; %bb.2934:
	s_cmp_gt_i32 s23, 6
	s_cbranch_scc0 .LBB95_2936
; %bb.2935:
	v_cvt_f64_i32_e32 v[5:6], v4
	v_cvt_f64_u32_e32 v[7:8], v3
	s_mov_b64 s[0:1], 0
	v_ldexp_f64 v[5:6], v[5:6], 32
	v_add_f64 v[5:6], v[5:6], v[7:8]
	global_store_dwordx2 v[1:2], v[5:6], off
.LBB95_2936:
	s_andn2_b64 vcc, exec, s[0:1]
	s_cbranch_vccnz .LBB95_2938
; %bb.2937:
	v_xor_b32_e32 v6, v3, v4
	v_ffbh_i32_e32 v5, v4
	v_ashrrev_i32_e32 v6, 31, v6
	v_add_u32_e32 v5, -1, v5
	v_add_u32_e32 v6, 32, v6
	v_min_u32_e32 v7, v5, v6
	v_lshlrev_b64 v[5:6], v7, v[3:4]
	v_min_u32_e32 v5, 1, v5
	v_or_b32_e32 v5, v6, v5
	v_cvt_f32_i32_e32 v5, v5
	v_sub_u32_e32 v6, 32, v7
	v_ldexp_f32 v5, v5, v6
	global_store_dword v[1:2], v5, off
.LBB95_2938:
	s_mov_b64 s[0:1], 0
.LBB95_2939:
	s_andn2_b64 vcc, exec, s[0:1]
	s_cbranch_vccnz .LBB95_2941
; %bb.2940:
	v_xor_b32_e32 v6, v3, v4
	v_ffbh_i32_e32 v5, v4
	v_ashrrev_i32_e32 v6, 31, v6
	v_add_u32_e32 v5, -1, v5
	v_add_u32_e32 v6, 32, v6
	v_min_u32_e32 v7, v5, v6
	v_lshlrev_b64 v[5:6], v7, v[3:4]
	v_min_u32_e32 v5, 1, v5
	v_or_b32_e32 v5, v6, v5
	v_cvt_f32_i32_e32 v5, v5
	v_sub_u32_e32 v6, 32, v7
	v_ldexp_f32 v5, v5, v6
	v_cvt_f16_f32_e32 v5, v5
	global_store_short v[1:2], v5, off
.LBB95_2941:
	s_mov_b64 s[0:1], 0
.LBB95_2942:
	s_andn2_b64 vcc, exec, s[0:1]
	s_cbranch_vccnz .LBB95_2958
; %bb.2943:
	s_cmp_lt_i32 s23, 2
	s_mov_b64 s[0:1], -1
	s_cbranch_scc1 .LBB95_2953
; %bb.2944:
	s_cmp_lt_i32 s23, 3
	s_cbranch_scc1 .LBB95_2950
; %bb.2945:
	s_cmp_gt_i32 s23, 3
	s_cbranch_scc0 .LBB95_2947
; %bb.2946:
	global_store_dwordx2 v[1:2], v[3:4], off
	s_mov_b64 s[0:1], 0
.LBB95_2947:
	s_andn2_b64 vcc, exec, s[0:1]
	s_cbranch_vccnz .LBB95_2949
; %bb.2948:
	global_store_dword v[1:2], v3, off
.LBB95_2949:
	s_mov_b64 s[0:1], 0
.LBB95_2950:
	s_andn2_b64 vcc, exec, s[0:1]
	s_cbranch_vccnz .LBB95_2952
; %bb.2951:
	global_store_short v[1:2], v3, off
.LBB95_2952:
	s_mov_b64 s[0:1], 0
.LBB95_2953:
	s_andn2_b64 vcc, exec, s[0:1]
	s_cbranch_vccnz .LBB95_2958
; %bb.2954:
	s_cmp_gt_i32 s23, 0
	s_mov_b64 s[0:1], -1
	s_cbranch_scc0 .LBB95_2956
; %bb.2955:
	global_store_byte v[1:2], v3, off
	s_mov_b64 s[0:1], 0
.LBB95_2956:
	s_andn2_b64 vcc, exec, s[0:1]
	s_cbranch_vccnz .LBB95_2958
; %bb.2957:
	global_store_byte v[1:2], v3, off
.LBB95_2958:
	s_mov_b64 s[10:11], -1
.LBB95_2959:
	s_andn2_b64 vcc, exec, s[10:11]
	s_cbranch_vccnz .LBB95_3036
; %bb.2960:
	v_cmp_lt_i64_e32 vcc, s[4:5], v[21:22]
	v_mov_b32_e32 v1, s7
	v_cndmask_b32_e32 v3, v1, v24, vcc
	v_mov_b32_e32 v1, s6
	v_cndmask_b32_e32 v2, v1, v23, vcc
	v_mov_b32_e32 v1, s9
	v_add_co_u32_e32 v0, vcc, s8, v0
	s_cmp_lt_i32 s23, 11
	v_addc_co_u32_e32 v1, vcc, 0, v1, vcc
	s_cbranch_scc1 .LBB95_3081
; %bb.2961:
	s_mov_b64 s[4:5], -1
	s_mov_b64 s[2:3], 0
	s_cmp_gt_i32 s23, 25
	s_mov_b64 s[0:1], 0
	s_cbranch_scc0 .LBB95_2994
; %bb.2962:
	s_cmp_gt_i32 s23, 28
	s_cbranch_scc0 .LBB95_2978
; %bb.2963:
	s_cmp_gt_i32 s23, 43
	;; [unrolled: 3-line block ×3, first 2 shown]
	s_cbranch_scc0 .LBB95_2968
; %bb.2965:
	s_cmp_eq_u32 s23, 46
	s_mov_b64 s[0:1], -1
	s_cbranch_scc0 .LBB95_2967
; %bb.2966:
	v_xor_b32_e32 v5, v2, v3
	v_ffbh_i32_e32 v4, v3
	v_ashrrev_i32_e32 v5, 31, v5
	v_add_u32_e32 v4, -1, v4
	v_add_u32_e32 v5, 32, v5
	v_min_u32_e32 v6, v4, v5
	v_lshlrev_b64 v[4:5], v6, v[2:3]
	s_movk_i32 s0, 0x7fff
	v_min_u32_e32 v4, 1, v4
	v_or_b32_e32 v4, v5, v4
	v_cvt_f32_i32_e32 v4, v4
	v_sub_u32_e32 v5, 32, v6
	v_ldexp_f32 v4, v4, v5
	v_bfe_u32 v5, v4, 16, 1
	v_add3_u32 v4, v4, v5, s0
	v_lshrrev_b32_e32 v4, 16, v4
	global_store_dword v[0:1], v4, off
	s_mov_b64 s[0:1], 0
.LBB95_2967:
	s_mov_b64 s[4:5], 0
.LBB95_2968:
	s_and_b64 vcc, exec, s[4:5]
	s_cbranch_vccz .LBB95_2973
; %bb.2969:
	s_cmp_eq_u32 s23, 44
	s_mov_b64 s[0:1], -1
	s_cbranch_scc0 .LBB95_2973
; %bb.2970:
	v_xor_b32_e32 v5, v2, v3
	v_ffbh_i32_e32 v4, v3
	v_ashrrev_i32_e32 v5, 31, v5
	v_add_u32_e32 v4, -1, v4
	v_add_u32_e32 v5, 32, v5
	v_min_u32_e32 v6, v4, v5
	v_lshlrev_b64 v[4:5], v6, v[2:3]
	s_movk_i32 s0, 0xff
	v_min_u32_e32 v4, 1, v4
	v_or_b32_e32 v4, v5, v4
	v_cvt_f32_i32_e32 v4, v4
	v_sub_u32_e32 v5, 32, v6
	v_mov_b32_e32 v6, 0xff
	v_ldexp_f32 v4, v4, v5
	v_bfe_u32 v5, v4, 23, 8
	v_cmp_ne_u32_e32 vcc, s0, v5
	s_and_saveexec_b64 s[4:5], vcc
; %bb.2971:
	s_mov_b32 s0, 0x3fffff
	v_lshrrev_b32_e32 v6, 23, v4
	v_and_b32_e32 v7, 0x400000, v4
	v_and_or_b32 v4, v4, s0, v5
	v_cmp_ne_u32_e32 vcc, 0, v7
	v_cmp_ne_u32_e64 s[0:1], 0, v4
	s_and_b64 s[0:1], vcc, s[0:1]
	v_cndmask_b32_e64 v4, 0, 1, s[0:1]
	v_add_u32_e32 v6, v6, v4
; %bb.2972:
	s_or_b64 exec, exec, s[4:5]
	s_mov_b64 s[0:1], 0
	global_store_byte v[0:1], v6, off
.LBB95_2973:
	s_mov_b64 s[4:5], 0
.LBB95_2974:
	s_and_b64 vcc, exec, s[4:5]
	s_cbranch_vccz .LBB95_2977
; %bb.2975:
	s_cmp_eq_u32 s23, 29
	s_mov_b64 s[0:1], -1
	s_cbranch_scc0 .LBB95_2977
; %bb.2976:
	global_store_dwordx2 v[0:1], v[2:3], off
	s_mov_b64 s[0:1], 0
.LBB95_2977:
	s_mov_b64 s[4:5], 0
.LBB95_2978:
	s_and_b64 vcc, exec, s[4:5]
	s_cbranch_vccz .LBB95_2993
; %bb.2979:
	s_cmp_lt_i32 s23, 27
	s_mov_b64 s[4:5], -1
	s_cbranch_scc1 .LBB95_2985
; %bb.2980:
	s_cmp_gt_i32 s23, 27
	s_cbranch_scc0 .LBB95_2982
; %bb.2981:
	global_store_dword v[0:1], v2, off
	s_mov_b64 s[4:5], 0
.LBB95_2982:
	s_andn2_b64 vcc, exec, s[4:5]
	s_cbranch_vccnz .LBB95_2984
; %bb.2983:
	global_store_short v[0:1], v2, off
.LBB95_2984:
	s_mov_b64 s[4:5], 0
.LBB95_2985:
	s_andn2_b64 vcc, exec, s[4:5]
	s_cbranch_vccnz .LBB95_2993
; %bb.2986:
	v_xor_b32_e32 v5, v2, v3
	v_ffbh_i32_e32 v4, v3
	v_ashrrev_i32_e32 v5, 31, v5
	v_add_u32_e32 v4, -1, v4
	v_add_u32_e32 v5, 32, v5
	v_min_u32_e32 v6, v4, v5
	v_lshlrev_b64 v[4:5], v6, v[2:3]
	s_mov_b32 s4, 0x43800000
	v_min_u32_e32 v4, 1, v4
	v_or_b32_e32 v4, v5, v4
	v_cvt_f32_i32_e32 v4, v4
	v_sub_u32_e32 v5, 32, v6
	v_mov_b32_e32 v6, 0x80
	v_ldexp_f32 v4, v4, v5
	v_and_b32_e32 v5, 0x7fffffff, v4
	v_cmp_gt_u32_e32 vcc, s4, v5
	s_and_saveexec_b64 s[4:5], vcc
	s_cbranch_execz .LBB95_2992
; %bb.2987:
	s_mov_b32 s6, 0x3bffffff
	v_cmp_lt_u32_e32 vcc, s6, v5
	s_mov_b64 s[6:7], 0
                                        ; implicit-def: $vgpr5
	s_and_saveexec_b64 s[8:9], vcc
	s_xor_b64 s[8:9], exec, s[8:9]
	s_cbranch_execz .LBB95_3098
; %bb.2988:
	v_bfe_u32 v5, v4, 20, 1
	s_mov_b32 s10, 0x487ffff
	v_add3_u32 v5, v4, v5, s10
	s_mov_b64 s[6:7], exec
	v_lshrrev_b32_e32 v5, 20, v5
	s_andn2_saveexec_b64 s[8:9], s[8:9]
	s_cbranch_execnz .LBB95_3099
.LBB95_2989:
	s_or_b64 exec, exec, s[8:9]
	v_mov_b32_e32 v6, 0
	s_and_saveexec_b64 s[8:9], s[6:7]
.LBB95_2990:
	v_lshrrev_b32_e32 v4, 24, v4
	s_movk_i32 s6, 0x80
	v_and_or_b32 v6, v4, s6, v5
.LBB95_2991:
	s_or_b64 exec, exec, s[8:9]
.LBB95_2992:
	s_or_b64 exec, exec, s[4:5]
	global_store_byte v[0:1], v6, off
.LBB95_2993:
	s_mov_b64 s[4:5], 0
.LBB95_2994:
	s_and_b64 vcc, exec, s[4:5]
	s_cbranch_vccz .LBB95_3034
; %bb.2995:
	s_cmp_gt_i32 s23, 22
	s_mov_b64 s[2:3], -1
	s_cbranch_scc0 .LBB95_3027
; %bb.2996:
	s_cmp_lt_i32 s23, 24
	s_cbranch_scc1 .LBB95_3016
; %bb.2997:
	s_cmp_gt_i32 s23, 24
	s_cbranch_scc0 .LBB95_3005
; %bb.2998:
	v_xor_b32_e32 v5, v2, v3
	v_ffbh_i32_e32 v4, v3
	v_ashrrev_i32_e32 v5, 31, v5
	v_add_u32_e32 v4, -1, v4
	v_add_u32_e32 v5, 32, v5
	v_min_u32_e32 v6, v4, v5
	v_lshlrev_b64 v[4:5], v6, v[2:3]
	s_mov_b32 s2, 0x47800000
	v_min_u32_e32 v4, 1, v4
	v_or_b32_e32 v4, v5, v4
	v_cvt_f32_i32_e32 v4, v4
	v_sub_u32_e32 v5, 32, v6
	v_mov_b32_e32 v6, 0x80
	v_ldexp_f32 v4, v4, v5
	v_and_b32_e32 v5, 0x7fffffff, v4
	v_cmp_gt_u32_e32 vcc, s2, v5
	s_and_saveexec_b64 s[2:3], vcc
	s_cbranch_execz .LBB95_3004
; %bb.2999:
	s_mov_b32 s4, 0x37ffffff
	v_cmp_lt_u32_e32 vcc, s4, v5
	s_mov_b64 s[4:5], 0
                                        ; implicit-def: $vgpr5
	s_and_saveexec_b64 s[6:7], vcc
	s_xor_b64 s[6:7], exec, s[6:7]
	s_cbranch_execz .LBB95_3101
; %bb.3000:
	v_bfe_u32 v5, v4, 21, 1
	s_mov_b32 s8, 0x88fffff
	v_add3_u32 v5, v4, v5, s8
	s_mov_b64 s[4:5], exec
	v_lshrrev_b32_e32 v5, 21, v5
	s_andn2_saveexec_b64 s[6:7], s[6:7]
	s_cbranch_execnz .LBB95_3102
.LBB95_3001:
	s_or_b64 exec, exec, s[6:7]
	v_mov_b32_e32 v6, 0
	s_and_saveexec_b64 s[6:7], s[4:5]
.LBB95_3002:
	v_lshrrev_b32_e32 v4, 24, v4
	s_movk_i32 s4, 0x80
	v_and_or_b32 v6, v4, s4, v5
.LBB95_3003:
	s_or_b64 exec, exec, s[6:7]
.LBB95_3004:
	s_or_b64 exec, exec, s[2:3]
	s_mov_b64 s[2:3], 0
	global_store_byte v[0:1], v6, off
.LBB95_3005:
	s_and_b64 vcc, exec, s[2:3]
	s_cbranch_vccz .LBB95_3015
; %bb.3006:
	v_xor_b32_e32 v5, v2, v3
	v_ffbh_i32_e32 v4, v3
	v_ashrrev_i32_e32 v5, 31, v5
	v_add_u32_e32 v4, -1, v4
	v_add_u32_e32 v5, 32, v5
	v_min_u32_e32 v6, v4, v5
	v_lshlrev_b64 v[4:5], v6, v[2:3]
	s_mov_b32 s2, 0x43f00000
	v_min_u32_e32 v4, 1, v4
	v_or_b32_e32 v4, v5, v4
	v_cvt_f32_i32_e32 v4, v4
	v_sub_u32_e32 v5, 32, v6
	v_ldexp_f32 v4, v4, v5
	v_and_b32_e32 v6, 0x7fffffff, v4
	v_cmp_gt_u32_e32 vcc, s2, v6
                                        ; implicit-def: $vgpr5
	s_and_saveexec_b64 s[2:3], vcc
	s_xor_b64 s[2:3], exec, s[2:3]
	s_cbranch_execz .LBB95_3012
; %bb.3007:
	s_mov_b32 s4, 0x3c7fffff
	v_cmp_lt_u32_e32 vcc, s4, v6
                                        ; implicit-def: $vgpr5
	s_and_saveexec_b64 s[4:5], vcc
	s_xor_b64 s[4:5], exec, s[4:5]
; %bb.3008:
	v_bfe_u32 v5, v4, 20, 1
	s_mov_b32 s6, 0x407ffff
	v_add3_u32 v5, v4, v5, s6
	v_lshrrev_b32_e32 v6, 20, v5
	v_and_b32_e32 v5, 0xff00000, v5
	s_mov_b32 s6, 0x7f00000
	v_mov_b32_e32 v7, 0x7e
	v_cmp_ne_u32_e32 vcc, s6, v5
	v_cndmask_b32_e32 v5, v7, v6, vcc
; %bb.3009:
	s_andn2_saveexec_b64 s[4:5], s[4:5]
; %bb.3010:
	s_mov_b32 s6, 0x46800000
	v_add_f32_e64 v5, |v4|, s6
; %bb.3011:
	s_or_b64 exec, exec, s[4:5]
                                        ; implicit-def: $vgpr6
.LBB95_3012:
	s_andn2_saveexec_b64 s[2:3], s[2:3]
; %bb.3013:
	s_mov_b32 s4, 0x7f800000
	v_mov_b32_e32 v5, 0x7e
	v_mov_b32_e32 v7, 0x7f
	v_cmp_lt_u32_e32 vcc, s4, v6
	v_cndmask_b32_e32 v5, v5, v7, vcc
; %bb.3014:
	s_or_b64 exec, exec, s[2:3]
	v_lshrrev_b32_e32 v4, 24, v4
	s_movk_i32 s2, 0x80
	v_and_or_b32 v4, v4, s2, v5
	global_store_byte v[0:1], v4, off
.LBB95_3015:
	s_mov_b64 s[2:3], 0
.LBB95_3016:
	s_andn2_b64 vcc, exec, s[2:3]
	s_cbranch_vccnz .LBB95_3026
; %bb.3017:
	v_xor_b32_e32 v5, v2, v3
	v_ffbh_i32_e32 v4, v3
	v_ashrrev_i32_e32 v5, 31, v5
	v_add_u32_e32 v4, -1, v4
	v_add_u32_e32 v5, 32, v5
	v_min_u32_e32 v6, v4, v5
	v_lshlrev_b64 v[4:5], v6, v[2:3]
	s_mov_b32 s2, 0x47800000
	v_min_u32_e32 v4, 1, v4
	v_or_b32_e32 v4, v5, v4
	v_cvt_f32_i32_e32 v4, v4
	v_sub_u32_e32 v5, 32, v6
	v_ldexp_f32 v4, v4, v5
	v_and_b32_e32 v6, 0x7fffffff, v4
	v_cmp_gt_u32_e32 vcc, s2, v6
                                        ; implicit-def: $vgpr5
	s_and_saveexec_b64 s[2:3], vcc
	s_xor_b64 s[2:3], exec, s[2:3]
	s_cbranch_execz .LBB95_3023
; %bb.3018:
	s_mov_b32 s4, 0x387fffff
	v_cmp_lt_u32_e32 vcc, s4, v6
                                        ; implicit-def: $vgpr5
	s_and_saveexec_b64 s[4:5], vcc
	s_xor_b64 s[4:5], exec, s[4:5]
; %bb.3019:
	v_bfe_u32 v5, v4, 21, 1
	s_mov_b32 s6, 0x80fffff
	v_add3_u32 v5, v4, v5, s6
	v_lshrrev_b32_e32 v5, 21, v5
; %bb.3020:
	s_andn2_saveexec_b64 s[4:5], s[4:5]
; %bb.3021:
	s_mov_b32 s6, 0x43000000
	v_add_f32_e64 v5, |v4|, s6
; %bb.3022:
	s_or_b64 exec, exec, s[4:5]
                                        ; implicit-def: $vgpr6
.LBB95_3023:
	s_andn2_saveexec_b64 s[2:3], s[2:3]
; %bb.3024:
	s_mov_b32 s4, 0x7f800000
	v_mov_b32_e32 v5, 0x7c
	v_mov_b32_e32 v7, 0x7f
	v_cmp_lt_u32_e32 vcc, s4, v6
	v_cndmask_b32_e32 v5, v5, v7, vcc
; %bb.3025:
	s_or_b64 exec, exec, s[2:3]
	v_lshrrev_b32_e32 v4, 24, v4
	s_movk_i32 s2, 0x80
	v_and_or_b32 v4, v4, s2, v5
	global_store_byte v[0:1], v4, off
.LBB95_3026:
	s_mov_b64 s[2:3], 0
.LBB95_3027:
	s_andn2_b64 vcc, exec, s[2:3]
	s_mov_b64 s[2:3], 0
	s_cbranch_vccnz .LBB95_3034
; %bb.3028:
	s_cmp_gt_i32 s23, 14
	s_mov_b64 s[4:5], -1
	s_cbranch_scc0 .LBB95_3032
; %bb.3029:
	s_cmp_eq_u32 s23, 15
	s_mov_b64 s[0:1], -1
	s_cbranch_scc0 .LBB95_3031
; %bb.3030:
	v_xor_b32_e32 v5, v2, v3
	v_ffbh_i32_e32 v4, v3
	v_ashrrev_i32_e32 v5, 31, v5
	v_add_u32_e32 v4, -1, v4
	v_add_u32_e32 v5, 32, v5
	v_min_u32_e32 v6, v4, v5
	v_lshlrev_b64 v[4:5], v6, v[2:3]
	s_movk_i32 s0, 0x7fff
	v_min_u32_e32 v4, 1, v4
	v_or_b32_e32 v4, v5, v4
	v_cvt_f32_i32_e32 v4, v4
	v_sub_u32_e32 v5, 32, v6
	v_ldexp_f32 v4, v4, v5
	v_bfe_u32 v5, v4, 16, 1
	v_add3_u32 v4, v4, v5, s0
	global_store_short_d16_hi v[0:1], v4, off
	s_mov_b64 s[0:1], 0
.LBB95_3031:
	s_mov_b64 s[4:5], 0
.LBB95_3032:
	s_and_b64 vcc, exec, s[4:5]
	s_cbranch_vccz .LBB95_3034
; %bb.3033:
	s_cmp_lg_u32 s23, 11
	s_mov_b64 s[2:3], -1
	s_cselect_b64 s[0:1], -1, 0
.LBB95_3034:
	s_and_b64 vcc, exec, s[0:1]
	s_cbranch_vccnz .LBB95_3100
.LBB95_3035:
	s_mov_b64 s[0:1], 0
	s_branch .LBB95_3037
.LBB95_3036:
	s_mov_b64 s[0:1], 0
	s_mov_b64 s[2:3], 0
                                        ; implicit-def: $vgpr0_vgpr1
                                        ; implicit-def: $sgpr22
                                        ; implicit-def: $vgpr2_vgpr3
.LBB95_3037:
	s_and_b64 s[6:7], s[2:3], exec
	s_andn2_b64 s[2:3], s[12:13], exec
	s_and_b64 s[4:5], s[16:17], exec
	s_and_b64 s[0:1], s[0:1], exec
	s_or_b64 s[12:13], s[2:3], s[4:5]
.LBB95_3038:
	s_or_b64 exec, exec, s[14:15]
	s_and_saveexec_b64 s[2:3], s[12:13]
	s_cbranch_execz .LBB95_3041
; %bb.3039:
	; divergent unreachable
	s_or_b64 exec, exec, s[2:3]
	s_and_saveexec_b64 s[2:3], s[6:7]
	s_xor_b64 s[2:3], exec, s[2:3]
	s_cbranch_execnz .LBB95_3042
.LBB95_3040:
	s_or_b64 exec, exec, s[2:3]
	s_and_saveexec_b64 s[2:3], s[0:1]
	s_cbranch_execnz .LBB95_3043
	s_branch .LBB95_3080
.LBB95_3041:
	s_or_b64 exec, exec, s[2:3]
	s_and_saveexec_b64 s[2:3], s[6:7]
	s_xor_b64 s[2:3], exec, s[2:3]
	s_cbranch_execz .LBB95_3040
.LBB95_3042:
	s_waitcnt vmcnt(0)
	v_cmp_ne_u64_e32 vcc, 0, v[2:3]
	v_cndmask_b32_e64 v4, 0, 1, vcc
	global_store_byte v[0:1], v4, off
	s_or_b64 exec, exec, s[2:3]
	s_and_saveexec_b64 s[2:3], s[0:1]
	s_cbranch_execz .LBB95_3080
.LBB95_3043:
	s_sext_i32_i16 s2, s22
	s_cmp_lt_i32 s2, 5
	s_mov_b64 s[0:1], -1
	s_cbranch_scc1 .LBB95_3064
; %bb.3044:
	s_cmp_lt_i32 s2, 8
	s_cbranch_scc1 .LBB95_3054
; %bb.3045:
	s_cmp_lt_i32 s2, 9
	s_cbranch_scc1 .LBB95_3051
; %bb.3046:
	s_cmp_gt_i32 s2, 9
	s_cbranch_scc0 .LBB95_3048
; %bb.3047:
	s_waitcnt vmcnt(0)
	v_cvt_f64_i32_e32 v[4:5], v3
	v_cvt_f64_u32_e32 v[6:7], v2
	s_mov_b64 s[0:1], 0
	v_ldexp_f64 v[4:5], v[4:5], 32
	v_add_f64 v[4:5], v[4:5], v[6:7]
	v_mov_b32_e32 v6, 0
	v_mov_b32_e32 v7, v6
	global_store_dwordx4 v[0:1], v[4:7], off
.LBB95_3048:
	s_andn2_b64 vcc, exec, s[0:1]
	s_cbranch_vccnz .LBB95_3050
; %bb.3049:
	s_waitcnt vmcnt(0)
	v_xor_b32_e32 v5, v2, v3
	v_ffbh_i32_e32 v4, v3
	v_ashrrev_i32_e32 v5, 31, v5
	v_add_u32_e32 v4, -1, v4
	v_add_u32_e32 v5, 32, v5
	v_min_u32_e32 v6, v4, v5
	v_lshlrev_b64 v[4:5], v6, v[2:3]
	v_min_u32_e32 v4, 1, v4
	v_or_b32_e32 v4, v5, v4
	v_cvt_f32_i32_e32 v4, v4
	v_sub_u32_e32 v5, 32, v6
	v_ldexp_f32 v4, v4, v5
	v_mov_b32_e32 v5, 0
	global_store_dwordx2 v[0:1], v[4:5], off
.LBB95_3050:
	s_mov_b64 s[0:1], 0
.LBB95_3051:
	s_andn2_b64 vcc, exec, s[0:1]
	s_cbranch_vccnz .LBB95_3053
; %bb.3052:
	s_waitcnt vmcnt(0)
	v_xor_b32_e32 v5, v2, v3
	v_ffbh_i32_e32 v4, v3
	v_ashrrev_i32_e32 v5, 31, v5
	v_add_u32_e32 v4, -1, v4
	v_add_u32_e32 v5, 32, v5
	v_min_u32_e32 v6, v4, v5
	v_lshlrev_b64 v[4:5], v6, v[2:3]
	v_min_u32_e32 v4, 1, v4
	v_or_b32_e32 v4, v5, v4
	v_cvt_f32_i32_e32 v4, v4
	v_sub_u32_e32 v5, 32, v6
	v_ldexp_f32 v4, v4, v5
	v_cvt_f16_f32_e32 v4, v4
	global_store_dword v[0:1], v4, off
.LBB95_3053:
	s_mov_b64 s[0:1], 0
.LBB95_3054:
	s_andn2_b64 vcc, exec, s[0:1]
	s_cbranch_vccnz .LBB95_3063
; %bb.3055:
	s_sext_i32_i16 s2, s22
	s_cmp_lt_i32 s2, 6
	s_mov_b64 s[0:1], -1
	s_cbranch_scc1 .LBB95_3061
; %bb.3056:
	s_cmp_gt_i32 s2, 6
	s_cbranch_scc0 .LBB95_3058
; %bb.3057:
	s_waitcnt vmcnt(0)
	v_cvt_f64_i32_e32 v[4:5], v3
	v_cvt_f64_u32_e32 v[6:7], v2
	s_mov_b64 s[0:1], 0
	v_ldexp_f64 v[4:5], v[4:5], 32
	v_add_f64 v[4:5], v[4:5], v[6:7]
	global_store_dwordx2 v[0:1], v[4:5], off
.LBB95_3058:
	s_andn2_b64 vcc, exec, s[0:1]
	s_cbranch_vccnz .LBB95_3060
; %bb.3059:
	s_waitcnt vmcnt(0)
	v_xor_b32_e32 v5, v2, v3
	v_ffbh_i32_e32 v4, v3
	v_ashrrev_i32_e32 v5, 31, v5
	v_add_u32_e32 v4, -1, v4
	v_add_u32_e32 v5, 32, v5
	v_min_u32_e32 v6, v4, v5
	v_lshlrev_b64 v[4:5], v6, v[2:3]
	v_min_u32_e32 v4, 1, v4
	v_or_b32_e32 v4, v5, v4
	v_cvt_f32_i32_e32 v4, v4
	v_sub_u32_e32 v5, 32, v6
	v_ldexp_f32 v4, v4, v5
	global_store_dword v[0:1], v4, off
.LBB95_3060:
	s_mov_b64 s[0:1], 0
.LBB95_3061:
	s_andn2_b64 vcc, exec, s[0:1]
	s_cbranch_vccnz .LBB95_3063
; %bb.3062:
	s_waitcnt vmcnt(0)
	v_xor_b32_e32 v5, v2, v3
	v_ffbh_i32_e32 v4, v3
	v_ashrrev_i32_e32 v5, 31, v5
	v_add_u32_e32 v4, -1, v4
	v_add_u32_e32 v5, 32, v5
	v_min_u32_e32 v6, v4, v5
	v_lshlrev_b64 v[4:5], v6, v[2:3]
	v_min_u32_e32 v4, 1, v4
	v_or_b32_e32 v4, v5, v4
	v_cvt_f32_i32_e32 v4, v4
	v_sub_u32_e32 v5, 32, v6
	v_ldexp_f32 v4, v4, v5
	v_cvt_f16_f32_e32 v4, v4
	global_store_short v[0:1], v4, off
.LBB95_3063:
	s_mov_b64 s[0:1], 0
.LBB95_3064:
	s_andn2_b64 vcc, exec, s[0:1]
	s_cbranch_vccnz .LBB95_3080
; %bb.3065:
	s_sext_i32_i16 s2, s22
	s_cmp_lt_i32 s2, 2
	s_mov_b64 s[0:1], -1
	s_cbranch_scc1 .LBB95_3075
; %bb.3066:
	s_cmp_lt_i32 s2, 3
	s_cbranch_scc1 .LBB95_3072
; %bb.3067:
	s_cmp_gt_i32 s2, 3
	s_cbranch_scc0 .LBB95_3069
; %bb.3068:
	s_waitcnt vmcnt(0)
	global_store_dwordx2 v[0:1], v[2:3], off
	s_mov_b64 s[0:1], 0
.LBB95_3069:
	s_andn2_b64 vcc, exec, s[0:1]
	s_cbranch_vccnz .LBB95_3071
; %bb.3070:
	s_waitcnt vmcnt(0)
	global_store_dword v[0:1], v2, off
.LBB95_3071:
	s_mov_b64 s[0:1], 0
.LBB95_3072:
	s_andn2_b64 vcc, exec, s[0:1]
	s_cbranch_vccnz .LBB95_3074
; %bb.3073:
	s_waitcnt vmcnt(0)
	global_store_short v[0:1], v2, off
.LBB95_3074:
	s_mov_b64 s[0:1], 0
.LBB95_3075:
	s_andn2_b64 vcc, exec, s[0:1]
	s_cbranch_vccnz .LBB95_3080
; %bb.3076:
	s_sext_i32_i16 s0, s22
	s_cmp_gt_i32 s0, 0
	s_mov_b64 s[0:1], -1
	s_cbranch_scc0 .LBB95_3078
; %bb.3077:
	s_waitcnt vmcnt(0)
	global_store_byte v[0:1], v2, off
	s_mov_b64 s[0:1], 0
.LBB95_3078:
	s_andn2_b64 vcc, exec, s[0:1]
	s_cbranch_vccnz .LBB95_3080
; %bb.3079:
	s_waitcnt vmcnt(0)
	global_store_byte v[0:1], v2, off
	s_endpgm
.LBB95_3080:
	s_endpgm
.LBB95_3081:
	s_mov_b64 s[2:3], 0
	s_mov_b64 s[0:1], -1
	s_branch .LBB95_3037
.LBB95_3082:
	s_trap 2
	s_or_b64 s[16:17], s[16:17], exec
	s_cbranch_execz .LBB95_2551
	s_branch .LBB95_2552
.LBB95_3083:
	s_andn2_saveexec_b64 s[20:21], s[20:21]
	s_cbranch_execz .LBB95_2631
.LBB95_3084:
	s_mov_b32 s24, 0x46000000
	v_add_f32_e64 v3, |v1|, s24
	v_and_b32_e32 v3, 0xff, v3
	v_cmp_ne_u32_e32 vcc, 0, v3
	s_andn2_b64 s[18:19], s[18:19], exec
	s_and_b64 s[24:25], vcc, exec
	s_or_b64 s[18:19], s[18:19], s[24:25]
	s_or_b64 exec, exec, s[20:21]
	v_mov_b32_e32 v9, 0
	s_and_saveexec_b64 s[20:21], s[18:19]
	s_cbranch_execnz .LBB95_2632
	s_branch .LBB95_2633
.LBB95_3085:
	s_trap 2
	s_or_b64 s[16:17], s[16:17], exec
	s_cbranch_execz .LBB95_2679
	s_branch .LBB95_2680
.LBB95_3086:
	s_andn2_saveexec_b64 s[18:19], s[18:19]
	s_cbranch_execz .LBB95_2644
.LBB95_3087:
	s_mov_b32 s20, 0x42800000
	v_add_f32_e64 v3, |v1|, s20
	v_and_b32_e32 v3, 0xff, v3
	v_cmp_ne_u32_e32 vcc, 0, v3
	s_andn2_b64 s[10:11], s[10:11], exec
	s_and_b64 s[20:21], vcc, exec
	s_or_b64 s[10:11], s[10:11], s[20:21]
	s_or_b64 exec, exec, s[18:19]
	v_mov_b32_e32 v9, 0
	s_and_saveexec_b64 s[18:19], s[10:11]
	s_cbranch_execnz .LBB95_2645
	s_branch .LBB95_2646
.LBB95_3088:
	s_andn2_saveexec_b64 s[20:21], s[20:21]
	s_cbranch_execz .LBB95_2750
.LBB95_3089:
	s_mov_b32 s24, 0x46000000
	v_add_f32_e64 v7, |v1|, s24
	v_and_b32_e32 v7, 0xff, v7
	v_cmp_ne_u32_e32 vcc, 0, v7
	s_andn2_b64 s[18:19], s[18:19], exec
	s_and_b64 s[24:25], vcc, exec
	s_or_b64 s[18:19], s[18:19], s[24:25]
	s_or_b64 exec, exec, s[20:21]
	v_mov_b32_e32 v8, 0
	s_and_saveexec_b64 s[20:21], s[18:19]
	s_cbranch_execnz .LBB95_2751
	s_branch .LBB95_2752
.LBB95_3090:
	s_trap 2
	s_or_b64 s[16:17], s[16:17], exec
	s_cbranch_execz .LBB95_2798
	s_branch .LBB95_2799
.LBB95_3091:
	s_andn2_saveexec_b64 s[18:19], s[18:19]
	s_cbranch_execz .LBB95_2763
.LBB95_3092:
	s_mov_b32 s20, 0x42800000
	v_add_f32_e64 v7, |v1|, s20
	v_and_b32_e32 v7, 0xff, v7
	v_cmp_ne_u32_e32 vcc, 0, v7
	s_andn2_b64 s[10:11], s[10:11], exec
	s_and_b64 s[20:21], vcc, exec
	s_or_b64 s[10:11], s[10:11], s[20:21]
	s_or_b64 exec, exec, s[18:19]
	v_mov_b32_e32 v8, 0
	s_and_saveexec_b64 s[18:19], s[10:11]
	s_cbranch_execnz .LBB95_2764
	s_branch .LBB95_2765
.LBB95_3093:
	s_andn2_saveexec_b64 s[20:21], s[20:21]
	s_cbranch_execz .LBB95_2869
.LBB95_3094:
	s_mov_b32 s24, 0x46000000
	v_add_f32_e64 v6, |v5|, s24
	v_and_b32_e32 v6, 0xff, v6
	v_cmp_ne_u32_e32 vcc, 0, v6
	s_andn2_b64 s[18:19], s[18:19], exec
	s_and_b64 s[24:25], vcc, exec
	s_or_b64 s[18:19], s[18:19], s[24:25]
	s_or_b64 exec, exec, s[20:21]
	v_mov_b32_e32 v7, 0
	s_and_saveexec_b64 s[20:21], s[18:19]
	s_cbranch_execnz .LBB95_2870
	s_branch .LBB95_2871
.LBB95_3095:
	s_trap 2
	s_or_b64 s[16:17], s[16:17], exec
	s_cbranch_execz .LBB95_2917
	s_branch .LBB95_2918
.LBB95_3096:
	s_andn2_saveexec_b64 s[18:19], s[18:19]
	s_cbranch_execz .LBB95_2882
.LBB95_3097:
	s_mov_b32 s20, 0x42800000
	v_add_f32_e64 v6, |v5|, s20
	v_and_b32_e32 v6, 0xff, v6
	v_cmp_ne_u32_e32 vcc, 0, v6
	s_andn2_b64 s[10:11], s[10:11], exec
	s_and_b64 s[20:21], vcc, exec
	s_or_b64 s[10:11], s[10:11], s[20:21]
	s_or_b64 exec, exec, s[18:19]
	v_mov_b32_e32 v7, 0
	s_and_saveexec_b64 s[18:19], s[10:11]
	s_cbranch_execnz .LBB95_2883
	s_branch .LBB95_2884
.LBB95_3098:
	s_andn2_saveexec_b64 s[8:9], s[8:9]
	s_cbranch_execz .LBB95_2989
.LBB95_3099:
	s_mov_b32 s10, 0x46000000
	v_add_f32_e64 v5, |v4|, s10
	v_and_b32_e32 v5, 0xff, v5
	v_cmp_ne_u32_e32 vcc, 0, v5
	s_andn2_b64 s[6:7], s[6:7], exec
	s_and_b64 s[10:11], vcc, exec
	s_or_b64 s[6:7], s[6:7], s[10:11]
	s_or_b64 exec, exec, s[8:9]
	v_mov_b32_e32 v6, 0
	s_and_saveexec_b64 s[8:9], s[6:7]
	s_cbranch_execnz .LBB95_2990
	s_branch .LBB95_2991
.LBB95_3100:
	s_mov_b64 s[2:3], 0
	s_or_b64 s[16:17], s[16:17], exec
	s_trap 2
	s_branch .LBB95_3035
.LBB95_3101:
	s_andn2_saveexec_b64 s[6:7], s[6:7]
	s_cbranch_execz .LBB95_3001
.LBB95_3102:
	s_mov_b32 s8, 0x42800000
	v_add_f32_e64 v5, |v4|, s8
	v_and_b32_e32 v5, 0xff, v5
	v_cmp_ne_u32_e32 vcc, 0, v5
	s_andn2_b64 s[4:5], s[4:5], exec
	s_and_b64 s[8:9], vcc, exec
	s_or_b64 s[4:5], s[4:5], s[8:9]
	s_or_b64 exec, exec, s[6:7]
	v_mov_b32_e32 v6, 0
	s_and_saveexec_b64 s[6:7], s[4:5]
	s_cbranch_execnz .LBB95_3002
	s_branch .LBB95_3003
	.section	.rodata,"a",@progbits
	.p2align	6, 0x0
	.amdhsa_kernel _ZN2at6native32elementwise_kernel_manual_unrollILi128ELi4EZNS0_15gpu_kernel_implINS0_13BinaryFunctorIlllZNS0_12_GLOBAL__N_121threshold_kernel_implIlEEvRNS_18TensorIteratorBaseET_S8_EUlllE_EEEEvS7_RKS8_EUlibE0_EEviT1_
		.amdhsa_group_segment_fixed_size 0
		.amdhsa_private_segment_fixed_size 0
		.amdhsa_kernarg_size 448
		.amdhsa_user_sgpr_count 6
		.amdhsa_user_sgpr_private_segment_buffer 1
		.amdhsa_user_sgpr_dispatch_ptr 0
		.amdhsa_user_sgpr_queue_ptr 0
		.amdhsa_user_sgpr_kernarg_segment_ptr 1
		.amdhsa_user_sgpr_dispatch_id 0
		.amdhsa_user_sgpr_flat_scratch_init 0
		.amdhsa_user_sgpr_private_segment_size 0
		.amdhsa_uses_dynamic_stack 0
		.amdhsa_system_sgpr_private_segment_wavefront_offset 0
		.amdhsa_system_sgpr_workgroup_id_x 1
		.amdhsa_system_sgpr_workgroup_id_y 0
		.amdhsa_system_sgpr_workgroup_id_z 0
		.amdhsa_system_sgpr_workgroup_info 0
		.amdhsa_system_vgpr_workitem_id 0
		.amdhsa_next_free_vgpr 31
		.amdhsa_next_free_sgpr 84
		.amdhsa_reserve_vcc 1
		.amdhsa_reserve_flat_scratch 0
		.amdhsa_float_round_mode_32 0
		.amdhsa_float_round_mode_16_64 0
		.amdhsa_float_denorm_mode_32 3
		.amdhsa_float_denorm_mode_16_64 3
		.amdhsa_dx10_clamp 1
		.amdhsa_ieee_mode 1
		.amdhsa_fp16_overflow 0
		.amdhsa_exception_fp_ieee_invalid_op 0
		.amdhsa_exception_fp_denorm_src 0
		.amdhsa_exception_fp_ieee_div_zero 0
		.amdhsa_exception_fp_ieee_overflow 0
		.amdhsa_exception_fp_ieee_underflow 0
		.amdhsa_exception_fp_ieee_inexact 0
		.amdhsa_exception_int_div_zero 0
	.end_amdhsa_kernel
	.section	.text._ZN2at6native32elementwise_kernel_manual_unrollILi128ELi4EZNS0_15gpu_kernel_implINS0_13BinaryFunctorIlllZNS0_12_GLOBAL__N_121threshold_kernel_implIlEEvRNS_18TensorIteratorBaseET_S8_EUlllE_EEEEvS7_RKS8_EUlibE0_EEviT1_,"axG",@progbits,_ZN2at6native32elementwise_kernel_manual_unrollILi128ELi4EZNS0_15gpu_kernel_implINS0_13BinaryFunctorIlllZNS0_12_GLOBAL__N_121threshold_kernel_implIlEEvRNS_18TensorIteratorBaseET_S8_EUlllE_EEEEvS7_RKS8_EUlibE0_EEviT1_,comdat
.Lfunc_end95:
	.size	_ZN2at6native32elementwise_kernel_manual_unrollILi128ELi4EZNS0_15gpu_kernel_implINS0_13BinaryFunctorIlllZNS0_12_GLOBAL__N_121threshold_kernel_implIlEEvRNS_18TensorIteratorBaseET_S8_EUlllE_EEEEvS7_RKS8_EUlibE0_EEviT1_, .Lfunc_end95-_ZN2at6native32elementwise_kernel_manual_unrollILi128ELi4EZNS0_15gpu_kernel_implINS0_13BinaryFunctorIlllZNS0_12_GLOBAL__N_121threshold_kernel_implIlEEvRNS_18TensorIteratorBaseET_S8_EUlllE_EEEEvS7_RKS8_EUlibE0_EEviT1_
                                        ; -- End function
	.set _ZN2at6native32elementwise_kernel_manual_unrollILi128ELi4EZNS0_15gpu_kernel_implINS0_13BinaryFunctorIlllZNS0_12_GLOBAL__N_121threshold_kernel_implIlEEvRNS_18TensorIteratorBaseET_S8_EUlllE_EEEEvS7_RKS8_EUlibE0_EEviT1_.num_vgpr, 31
	.set _ZN2at6native32elementwise_kernel_manual_unrollILi128ELi4EZNS0_15gpu_kernel_implINS0_13BinaryFunctorIlllZNS0_12_GLOBAL__N_121threshold_kernel_implIlEEvRNS_18TensorIteratorBaseET_S8_EUlllE_EEEEvS7_RKS8_EUlibE0_EEviT1_.num_agpr, 0
	.set _ZN2at6native32elementwise_kernel_manual_unrollILi128ELi4EZNS0_15gpu_kernel_implINS0_13BinaryFunctorIlllZNS0_12_GLOBAL__N_121threshold_kernel_implIlEEvRNS_18TensorIteratorBaseET_S8_EUlllE_EEEEvS7_RKS8_EUlibE0_EEviT1_.numbered_sgpr, 84
	.set _ZN2at6native32elementwise_kernel_manual_unrollILi128ELi4EZNS0_15gpu_kernel_implINS0_13BinaryFunctorIlllZNS0_12_GLOBAL__N_121threshold_kernel_implIlEEvRNS_18TensorIteratorBaseET_S8_EUlllE_EEEEvS7_RKS8_EUlibE0_EEviT1_.num_named_barrier, 0
	.set _ZN2at6native32elementwise_kernel_manual_unrollILi128ELi4EZNS0_15gpu_kernel_implINS0_13BinaryFunctorIlllZNS0_12_GLOBAL__N_121threshold_kernel_implIlEEvRNS_18TensorIteratorBaseET_S8_EUlllE_EEEEvS7_RKS8_EUlibE0_EEviT1_.private_seg_size, 0
	.set _ZN2at6native32elementwise_kernel_manual_unrollILi128ELi4EZNS0_15gpu_kernel_implINS0_13BinaryFunctorIlllZNS0_12_GLOBAL__N_121threshold_kernel_implIlEEvRNS_18TensorIteratorBaseET_S8_EUlllE_EEEEvS7_RKS8_EUlibE0_EEviT1_.uses_vcc, 1
	.set _ZN2at6native32elementwise_kernel_manual_unrollILi128ELi4EZNS0_15gpu_kernel_implINS0_13BinaryFunctorIlllZNS0_12_GLOBAL__N_121threshold_kernel_implIlEEvRNS_18TensorIteratorBaseET_S8_EUlllE_EEEEvS7_RKS8_EUlibE0_EEviT1_.uses_flat_scratch, 0
	.set _ZN2at6native32elementwise_kernel_manual_unrollILi128ELi4EZNS0_15gpu_kernel_implINS0_13BinaryFunctorIlllZNS0_12_GLOBAL__N_121threshold_kernel_implIlEEvRNS_18TensorIteratorBaseET_S8_EUlllE_EEEEvS7_RKS8_EUlibE0_EEviT1_.has_dyn_sized_stack, 0
	.set _ZN2at6native32elementwise_kernel_manual_unrollILi128ELi4EZNS0_15gpu_kernel_implINS0_13BinaryFunctorIlllZNS0_12_GLOBAL__N_121threshold_kernel_implIlEEvRNS_18TensorIteratorBaseET_S8_EUlllE_EEEEvS7_RKS8_EUlibE0_EEviT1_.has_recursion, 0
	.set _ZN2at6native32elementwise_kernel_manual_unrollILi128ELi4EZNS0_15gpu_kernel_implINS0_13BinaryFunctorIlllZNS0_12_GLOBAL__N_121threshold_kernel_implIlEEvRNS_18TensorIteratorBaseET_S8_EUlllE_EEEEvS7_RKS8_EUlibE0_EEviT1_.has_indirect_call, 0
	.section	.AMDGPU.csdata,"",@progbits
; Kernel info:
; codeLenInByte = 64188
; TotalNumSgprs: 88
; NumVgprs: 31
; ScratchSize: 0
; MemoryBound: 1
; FloatMode: 240
; IeeeMode: 1
; LDSByteSize: 0 bytes/workgroup (compile time only)
; SGPRBlocks: 10
; VGPRBlocks: 7
; NumSGPRsForWavesPerEU: 88
; NumVGPRsForWavesPerEU: 31
; Occupancy: 8
; WaveLimiterHint : 1
; COMPUTE_PGM_RSRC2:SCRATCH_EN: 0
; COMPUTE_PGM_RSRC2:USER_SGPR: 6
; COMPUTE_PGM_RSRC2:TRAP_HANDLER: 0
; COMPUTE_PGM_RSRC2:TGID_X_EN: 1
; COMPUTE_PGM_RSRC2:TGID_Y_EN: 0
; COMPUTE_PGM_RSRC2:TGID_Z_EN: 0
; COMPUTE_PGM_RSRC2:TIDIG_COMP_CNT: 0
	.section	.text._ZN2at6native29vectorized_elementwise_kernelILi16ENS0_13AUnaryFunctorIsssZNS0_12_GLOBAL__N_121threshold_kernel_implIsEEvRNS_18TensorIteratorBaseET_S7_EUlssE_EESt5arrayIPcLm2EEEEviT0_T1_,"axG",@progbits,_ZN2at6native29vectorized_elementwise_kernelILi16ENS0_13AUnaryFunctorIsssZNS0_12_GLOBAL__N_121threshold_kernel_implIsEEvRNS_18TensorIteratorBaseET_S7_EUlssE_EESt5arrayIPcLm2EEEEviT0_T1_,comdat
	.globl	_ZN2at6native29vectorized_elementwise_kernelILi16ENS0_13AUnaryFunctorIsssZNS0_12_GLOBAL__N_121threshold_kernel_implIsEEvRNS_18TensorIteratorBaseET_S7_EUlssE_EESt5arrayIPcLm2EEEEviT0_T1_ ; -- Begin function _ZN2at6native29vectorized_elementwise_kernelILi16ENS0_13AUnaryFunctorIsssZNS0_12_GLOBAL__N_121threshold_kernel_implIsEEvRNS_18TensorIteratorBaseET_S7_EUlssE_EESt5arrayIPcLm2EEEEviT0_T1_
	.p2align	8
	.type	_ZN2at6native29vectorized_elementwise_kernelILi16ENS0_13AUnaryFunctorIsssZNS0_12_GLOBAL__N_121threshold_kernel_implIsEEvRNS_18TensorIteratorBaseET_S7_EUlssE_EESt5arrayIPcLm2EEEEviT0_T1_,@function
_ZN2at6native29vectorized_elementwise_kernelILi16ENS0_13AUnaryFunctorIsssZNS0_12_GLOBAL__N_121threshold_kernel_implIsEEvRNS_18TensorIteratorBaseET_S7_EUlssE_EESt5arrayIPcLm2EEEEviT0_T1_: ; @_ZN2at6native29vectorized_elementwise_kernelILi16ENS0_13AUnaryFunctorIsssZNS0_12_GLOBAL__N_121threshold_kernel_implIsEEvRNS_18TensorIteratorBaseET_S7_EUlssE_EESt5arrayIPcLm2EEEEviT0_T1_
; %bb.0:
	s_load_dwordx2 s[2:3], s[4:5], 0x0
	s_load_dword s7, s[4:5], 0x8
	s_load_dwordx4 s[8:11], s[4:5], 0x10
	s_lshl_b32 s4, s6, 11
	s_mov_b64 s[0:1], -1
	s_waitcnt lgkmcnt(0)
	s_sub_i32 s12, s2, s4
	s_cmpk_gt_i32 s12, 0x7ff
	s_sext_i32_i16 s2, s3
	s_sext_i32_i16 s13, s7
	s_cbranch_scc0 .LBB96_2
; %bb.1:
	s_ashr_i32 s5, s4, 31
	s_lshr_b32 s14, s3, 16
	s_lshl_b64 s[0:1], s[4:5], 1
	s_add_u32 s6, s10, s0
	s_addc_u32 s7, s11, s1
	v_lshlrev_b32_e32 v5, 4, v0
	global_load_dwordx4 v[1:4], v5, s[6:7]
	s_cmp_gt_i32 s13, s2
	v_mov_b32_e32 v6, s14
	s_cselect_b64 vcc, -1, 0
	s_mov_b32 s5, 0x5040100
	s_add_u32 s0, s8, s0
	s_addc_u32 s1, s9, s1
	s_waitcnt vmcnt(0)
	v_lshrrev_b32_e32 v7, 16, v1
	v_lshrrev_b32_e32 v8, 16, v2
	;; [unrolled: 1-line block ×4, first 2 shown]
	v_cndmask_b32_e32 v1, v6, v1, vcc
	v_cndmask_b32_e32 v2, v6, v2, vcc
	;; [unrolled: 1-line block ×8, first 2 shown]
	v_perm_b32 v4, v6, v4, s5
	v_perm_b32 v3, v9, v3, s5
	;; [unrolled: 1-line block ×4, first 2 shown]
	global_store_dwordx4 v5, v[1:4], s[0:1]
	s_mov_b64 s[0:1], 0
.LBB96_2:
	s_andn2_b64 vcc, exec, s[0:1]
	s_cbranch_vccnz .LBB96_28
; %bb.3:
	v_cmp_gt_i32_e64 s[0:1], s12, v0
	v_mov_b32_e32 v3, 0
	v_or_b32_e32 v1, s4, v0
	v_mov_b32_e32 v2, 0
	v_mov_b32_e32 v4, v0
	s_and_saveexec_b64 s[6:7], s[0:1]
	s_cbranch_execz .LBB96_5
; %bb.4:
	v_mov_b32_e32 v2, 0
	v_lshlrev_b64 v[4:5], 1, v[1:2]
	v_mov_b32_e32 v2, s11
	v_add_co_u32_e32 v4, vcc, s10, v4
	v_addc_co_u32_e32 v5, vcc, v2, v5, vcc
	global_load_ushort v2, v[4:5], off
	v_or_b32_e32 v4, 0x100, v0
.LBB96_5:
	s_or_b64 exec, exec, s[6:7]
	v_cmp_gt_i32_e32 vcc, s12, v4
	s_and_saveexec_b64 s[6:7], vcc
	s_cbranch_execz .LBB96_7
; %bb.6:
	v_add_u32_e32 v5, s4, v4
	v_mov_b32_e32 v6, 0
	v_lshlrev_b64 v[5:6], 1, v[5:6]
	v_mov_b32_e32 v3, s11
	v_add_co_u32_e32 v5, vcc, s10, v5
	v_addc_co_u32_e32 v6, vcc, v3, v6, vcc
	global_load_ushort v3, v[5:6], off
	v_add_u32_e32 v4, 0x100, v4
.LBB96_7:
	s_or_b64 exec, exec, s[6:7]
	v_cmp_gt_i32_e32 vcc, s12, v4
	v_mov_b32_e32 v5, 0
	v_mov_b32_e32 v6, 0
	s_and_saveexec_b64 s[6:7], vcc
	s_cbranch_execz .LBB96_9
; %bb.8:
	v_add_u32_e32 v6, s4, v4
	v_mov_b32_e32 v7, 0
	v_lshlrev_b64 v[6:7], 1, v[6:7]
	v_mov_b32_e32 v8, s11
	v_add_co_u32_e32 v6, vcc, s10, v6
	v_addc_co_u32_e32 v7, vcc, v8, v7, vcc
	global_load_ushort v6, v[6:7], off
	v_add_u32_e32 v4, 0x100, v4
.LBB96_9:
	s_or_b64 exec, exec, s[6:7]
	v_cmp_gt_i32_e32 vcc, s12, v4
	s_and_saveexec_b64 s[6:7], vcc
	s_cbranch_execz .LBB96_11
; %bb.10:
	v_add_u32_e32 v7, s4, v4
	v_mov_b32_e32 v8, 0
	v_lshlrev_b64 v[7:8], 1, v[7:8]
	v_mov_b32_e32 v5, s11
	v_add_co_u32_e32 v7, vcc, s10, v7
	v_addc_co_u32_e32 v8, vcc, v5, v8, vcc
	global_load_ushort v5, v[7:8], off
	v_add_u32_e32 v4, 0x100, v4
.LBB96_11:
	s_or_b64 exec, exec, s[6:7]
	v_cmp_gt_i32_e32 vcc, s12, v4
	v_mov_b32_e32 v7, 0
	v_mov_b32_e32 v8, 0
	s_and_saveexec_b64 s[6:7], vcc
	s_cbranch_execz .LBB96_13
; %bb.12:
	v_add_u32_e32 v8, s4, v4
	v_mov_b32_e32 v9, 0
	v_lshlrev_b64 v[8:9], 1, v[8:9]
	v_mov_b32_e32 v10, s11
	v_add_co_u32_e32 v8, vcc, s10, v8
	v_addc_co_u32_e32 v9, vcc, v10, v9, vcc
	global_load_ushort v8, v[8:9], off
	v_add_u32_e32 v4, 0x100, v4
.LBB96_13:
	s_or_b64 exec, exec, s[6:7]
	v_cmp_gt_i32_e32 vcc, s12, v4
	s_and_saveexec_b64 s[6:7], vcc
	s_cbranch_execz .LBB96_15
; %bb.14:
	v_add_u32_e32 v9, s4, v4
	v_mov_b32_e32 v10, 0
	v_lshlrev_b64 v[9:10], 1, v[9:10]
	v_mov_b32_e32 v7, s11
	v_add_co_u32_e32 v9, vcc, s10, v9
	v_addc_co_u32_e32 v10, vcc, v7, v10, vcc
	global_load_ushort v7, v[9:10], off
	v_add_u32_e32 v4, 0x100, v4
.LBB96_15:
	s_or_b64 exec, exec, s[6:7]
	v_cmp_gt_i32_e32 vcc, s12, v4
	v_mov_b32_e32 v9, 0
	v_mov_b32_e32 v10, 0
	s_and_saveexec_b64 s[6:7], vcc
	s_cbranch_execz .LBB96_17
; %bb.16:
	v_add_u32_e32 v10, s4, v4
	v_mov_b32_e32 v11, 0
	v_lshlrev_b64 v[10:11], 1, v[10:11]
	v_mov_b32_e32 v12, s11
	v_add_co_u32_e32 v10, vcc, s10, v10
	v_addc_co_u32_e32 v11, vcc, v12, v11, vcc
	global_load_ushort v10, v[10:11], off
	v_add_u32_e32 v4, 0x100, v4
.LBB96_17:
	s_or_b64 exec, exec, s[6:7]
	v_cmp_gt_i32_e32 vcc, s12, v4
	s_and_saveexec_b64 s[6:7], vcc
	s_cbranch_execz .LBB96_19
; %bb.18:
	v_add_u32_e32 v11, s4, v4
	v_mov_b32_e32 v12, 0
	v_lshlrev_b64 v[11:12], 1, v[11:12]
	v_mov_b32_e32 v4, s11
	v_add_co_u32_e32 v11, vcc, s10, v11
	v_addc_co_u32_e32 v12, vcc, v4, v12, vcc
	global_load_ushort v9, v[11:12], off
.LBB96_19:
	s_or_b64 exec, exec, s[6:7]
	s_lshr_b32 s3, s3, 16
	s_cmp_gt_i32 s13, s2
	v_mov_b32_e32 v13, s3
	s_cselect_b64 s[2:3], -1, 0
	s_mov_b64 vcc, s[0:1]
	s_waitcnt vmcnt(0)
	v_cndmask_b32_e64 v4, v13, v2, s[2:3]
	v_mov_b32_e32 v2, 0
	v_cndmask_b32_sdwa v4, v2, v4, vcc dst_sel:DWORD dst_unused:UNUSED_PAD src0_sel:DWORD src1_sel:WORD_0
	v_or_b32_e32 v12, 0x100, v0
	v_cndmask_b32_e64 v3, v13, v3, s[2:3]
	s_mov_b32 s5, 0x5040100
	v_perm_b32 v3, v3, v4, s5
	v_cmp_gt_i32_e32 vcc, s12, v12
	v_cndmask_b32_e32 v11, v4, v3, vcc
	v_or_b32_e32 v3, 0x200, v0
	v_cndmask_b32_e64 v4, v13, v6, s[2:3]
	v_and_b32_e32 v4, 0xffff, v4
	v_cmp_gt_i32_e32 vcc, s12, v3
	v_cndmask_b32_e32 v3, 0, v4, vcc
	v_or_b32_e32 v4, 0x300, v0
	v_cndmask_b32_e64 v5, v13, v5, s[2:3]
	v_perm_b32 v5, v5, v3, s5
	v_cmp_gt_i32_e32 vcc, s12, v4
	v_cndmask_b32_e32 v5, v3, v5, vcc
	v_or_b32_e32 v3, 0x400, v0
	v_cndmask_b32_e64 v4, v13, v8, s[2:3]
	v_and_b32_e32 v4, 0xffff, v4
	v_cmp_gt_i32_e32 vcc, s12, v3
	v_cndmask_b32_e32 v3, 0, v4, vcc
	v_or_b32_e32 v4, 0x500, v0
	v_cndmask_b32_e64 v6, v13, v7, s[2:3]
	v_perm_b32 v6, v6, v3, s5
	v_cmp_gt_i32_e32 vcc, s12, v4
	v_cndmask_b32_e32 v4, v3, v6, vcc
	v_or_b32_e32 v3, 0x600, v0
	v_cmp_gt_i32_e32 vcc, s12, v3
	v_cndmask_b32_e64 v3, v13, v10, s[2:3]
	v_cndmask_b32_sdwa v3, v2, v3, vcc dst_sel:DWORD dst_unused:UNUSED_PAD src0_sel:DWORD src1_sel:WORD_0
	v_or_b32_e32 v6, 0x700, v0
	v_cndmask_b32_e64 v7, v13, v9, s[2:3]
	v_perm_b32 v7, v7, v3, s5
	v_cmp_gt_i32_e32 vcc, s12, v6
	v_cndmask_b32_e32 v3, v3, v7, vcc
	s_and_saveexec_b64 s[2:3], s[0:1]
	s_cbranch_execnz .LBB96_29
; %bb.20:
	s_or_b64 exec, exec, s[2:3]
	v_cmp_gt_i32_e32 vcc, s12, v0
	s_and_saveexec_b64 s[0:1], vcc
	s_cbranch_execnz .LBB96_30
.LBB96_21:
	s_or_b64 exec, exec, s[0:1]
	v_cmp_gt_i32_e32 vcc, s12, v0
	s_and_saveexec_b64 s[0:1], vcc
	s_cbranch_execnz .LBB96_31
.LBB96_22:
	s_or_b64 exec, exec, s[0:1]
	v_cmp_gt_i32_e32 vcc, s12, v0
	s_and_saveexec_b64 s[0:1], vcc
	s_cbranch_execnz .LBB96_32
.LBB96_23:
	s_or_b64 exec, exec, s[0:1]
	v_cmp_gt_i32_e32 vcc, s12, v0
	s_and_saveexec_b64 s[0:1], vcc
	s_cbranch_execnz .LBB96_33
.LBB96_24:
	s_or_b64 exec, exec, s[0:1]
	v_cmp_gt_i32_e32 vcc, s12, v0
	s_and_saveexec_b64 s[0:1], vcc
	s_cbranch_execnz .LBB96_34
.LBB96_25:
	s_or_b64 exec, exec, s[0:1]
	v_cmp_gt_i32_e32 vcc, s12, v0
	s_and_saveexec_b64 s[0:1], vcc
	s_cbranch_execnz .LBB96_35
.LBB96_26:
	s_or_b64 exec, exec, s[0:1]
	v_cmp_gt_i32_e32 vcc, s12, v0
	s_and_saveexec_b64 s[0:1], vcc
	s_cbranch_execz .LBB96_28
.LBB96_27:
	v_add_u32_e32 v0, s4, v0
	v_mov_b32_e32 v1, 0
	v_lshlrev_b64 v[0:1], 1, v[0:1]
	v_mov_b32_e32 v2, s9
	v_add_co_u32_e32 v0, vcc, s8, v0
	v_addc_co_u32_e32 v1, vcc, v2, v1, vcc
	global_store_short_d16_hi v[0:1], v3, off
.LBB96_28:
	s_endpgm
.LBB96_29:
	v_lshlrev_b64 v[0:1], 1, v[1:2]
	v_mov_b32_e32 v2, s9
	v_add_co_u32_e32 v0, vcc, s8, v0
	v_addc_co_u32_e32 v1, vcc, v2, v1, vcc
	global_store_short v[0:1], v11, off
	v_mov_b32_e32 v0, v12
	s_or_b64 exec, exec, s[2:3]
	v_cmp_gt_i32_e32 vcc, s12, v0
	s_and_saveexec_b64 s[0:1], vcc
	s_cbranch_execz .LBB96_21
.LBB96_30:
	v_add_u32_e32 v1, s4, v0
	v_mov_b32_e32 v2, 0
	v_lshlrev_b64 v[1:2], 1, v[1:2]
	v_mov_b32_e32 v6, s9
	v_add_co_u32_e32 v1, vcc, s8, v1
	v_addc_co_u32_e32 v2, vcc, v6, v2, vcc
	v_add_u32_e32 v0, 0x100, v0
	global_store_short_d16_hi v[1:2], v11, off
	s_or_b64 exec, exec, s[0:1]
	v_cmp_gt_i32_e32 vcc, s12, v0
	s_and_saveexec_b64 s[0:1], vcc
	s_cbranch_execz .LBB96_22
.LBB96_31:
	v_add_u32_e32 v1, s4, v0
	v_mov_b32_e32 v2, 0
	v_lshlrev_b64 v[1:2], 1, v[1:2]
	v_mov_b32_e32 v6, s9
	v_add_co_u32_e32 v1, vcc, s8, v1
	v_addc_co_u32_e32 v2, vcc, v6, v2, vcc
	v_add_u32_e32 v0, 0x100, v0
	global_store_short v[1:2], v5, off
	s_or_b64 exec, exec, s[0:1]
	v_cmp_gt_i32_e32 vcc, s12, v0
	s_and_saveexec_b64 s[0:1], vcc
	s_cbranch_execz .LBB96_23
.LBB96_32:
	v_add_u32_e32 v1, s4, v0
	v_mov_b32_e32 v2, 0
	v_lshlrev_b64 v[1:2], 1, v[1:2]
	v_mov_b32_e32 v6, s9
	v_add_co_u32_e32 v1, vcc, s8, v1
	v_addc_co_u32_e32 v2, vcc, v6, v2, vcc
	v_add_u32_e32 v0, 0x100, v0
	global_store_short_d16_hi v[1:2], v5, off
	s_or_b64 exec, exec, s[0:1]
	v_cmp_gt_i32_e32 vcc, s12, v0
	s_and_saveexec_b64 s[0:1], vcc
	s_cbranch_execz .LBB96_24
.LBB96_33:
	v_add_u32_e32 v1, s4, v0
	v_mov_b32_e32 v2, 0
	v_lshlrev_b64 v[1:2], 1, v[1:2]
	v_mov_b32_e32 v5, s9
	v_add_co_u32_e32 v1, vcc, s8, v1
	v_addc_co_u32_e32 v2, vcc, v5, v2, vcc
	v_add_u32_e32 v0, 0x100, v0
	global_store_short v[1:2], v4, off
	s_or_b64 exec, exec, s[0:1]
	v_cmp_gt_i32_e32 vcc, s12, v0
	s_and_saveexec_b64 s[0:1], vcc
	s_cbranch_execz .LBB96_25
.LBB96_34:
	v_add_u32_e32 v1, s4, v0
	v_mov_b32_e32 v2, 0
	v_lshlrev_b64 v[1:2], 1, v[1:2]
	v_mov_b32_e32 v5, s9
	v_add_co_u32_e32 v1, vcc, s8, v1
	v_addc_co_u32_e32 v2, vcc, v5, v2, vcc
	v_add_u32_e32 v0, 0x100, v0
	global_store_short_d16_hi v[1:2], v4, off
	s_or_b64 exec, exec, s[0:1]
	v_cmp_gt_i32_e32 vcc, s12, v0
	s_and_saveexec_b64 s[0:1], vcc
	s_cbranch_execz .LBB96_26
.LBB96_35:
	v_add_u32_e32 v1, s4, v0
	v_mov_b32_e32 v2, 0
	v_lshlrev_b64 v[1:2], 1, v[1:2]
	v_mov_b32_e32 v4, s9
	v_add_co_u32_e32 v1, vcc, s8, v1
	v_addc_co_u32_e32 v2, vcc, v4, v2, vcc
	v_add_u32_e32 v0, 0x100, v0
	global_store_short v[1:2], v3, off
	s_or_b64 exec, exec, s[0:1]
	v_cmp_gt_i32_e32 vcc, s12, v0
	s_and_saveexec_b64 s[0:1], vcc
	s_cbranch_execnz .LBB96_27
	s_branch .LBB96_28
	.section	.rodata,"a",@progbits
	.p2align	6, 0x0
	.amdhsa_kernel _ZN2at6native29vectorized_elementwise_kernelILi16ENS0_13AUnaryFunctorIsssZNS0_12_GLOBAL__N_121threshold_kernel_implIsEEvRNS_18TensorIteratorBaseET_S7_EUlssE_EESt5arrayIPcLm2EEEEviT0_T1_
		.amdhsa_group_segment_fixed_size 0
		.amdhsa_private_segment_fixed_size 0
		.amdhsa_kernarg_size 32
		.amdhsa_user_sgpr_count 6
		.amdhsa_user_sgpr_private_segment_buffer 1
		.amdhsa_user_sgpr_dispatch_ptr 0
		.amdhsa_user_sgpr_queue_ptr 0
		.amdhsa_user_sgpr_kernarg_segment_ptr 1
		.amdhsa_user_sgpr_dispatch_id 0
		.amdhsa_user_sgpr_flat_scratch_init 0
		.amdhsa_user_sgpr_private_segment_size 0
		.amdhsa_uses_dynamic_stack 0
		.amdhsa_system_sgpr_private_segment_wavefront_offset 0
		.amdhsa_system_sgpr_workgroup_id_x 1
		.amdhsa_system_sgpr_workgroup_id_y 0
		.amdhsa_system_sgpr_workgroup_id_z 0
		.amdhsa_system_sgpr_workgroup_info 0
		.amdhsa_system_vgpr_workitem_id 0
		.amdhsa_next_free_vgpr 14
		.amdhsa_next_free_sgpr 15
		.amdhsa_reserve_vcc 1
		.amdhsa_reserve_flat_scratch 0
		.amdhsa_float_round_mode_32 0
		.amdhsa_float_round_mode_16_64 0
		.amdhsa_float_denorm_mode_32 3
		.amdhsa_float_denorm_mode_16_64 3
		.amdhsa_dx10_clamp 1
		.amdhsa_ieee_mode 1
		.amdhsa_fp16_overflow 0
		.amdhsa_exception_fp_ieee_invalid_op 0
		.amdhsa_exception_fp_denorm_src 0
		.amdhsa_exception_fp_ieee_div_zero 0
		.amdhsa_exception_fp_ieee_overflow 0
		.amdhsa_exception_fp_ieee_underflow 0
		.amdhsa_exception_fp_ieee_inexact 0
		.amdhsa_exception_int_div_zero 0
	.end_amdhsa_kernel
	.section	.text._ZN2at6native29vectorized_elementwise_kernelILi16ENS0_13AUnaryFunctorIsssZNS0_12_GLOBAL__N_121threshold_kernel_implIsEEvRNS_18TensorIteratorBaseET_S7_EUlssE_EESt5arrayIPcLm2EEEEviT0_T1_,"axG",@progbits,_ZN2at6native29vectorized_elementwise_kernelILi16ENS0_13AUnaryFunctorIsssZNS0_12_GLOBAL__N_121threshold_kernel_implIsEEvRNS_18TensorIteratorBaseET_S7_EUlssE_EESt5arrayIPcLm2EEEEviT0_T1_,comdat
.Lfunc_end96:
	.size	_ZN2at6native29vectorized_elementwise_kernelILi16ENS0_13AUnaryFunctorIsssZNS0_12_GLOBAL__N_121threshold_kernel_implIsEEvRNS_18TensorIteratorBaseET_S7_EUlssE_EESt5arrayIPcLm2EEEEviT0_T1_, .Lfunc_end96-_ZN2at6native29vectorized_elementwise_kernelILi16ENS0_13AUnaryFunctorIsssZNS0_12_GLOBAL__N_121threshold_kernel_implIsEEvRNS_18TensorIteratorBaseET_S7_EUlssE_EESt5arrayIPcLm2EEEEviT0_T1_
                                        ; -- End function
	.set _ZN2at6native29vectorized_elementwise_kernelILi16ENS0_13AUnaryFunctorIsssZNS0_12_GLOBAL__N_121threshold_kernel_implIsEEvRNS_18TensorIteratorBaseET_S7_EUlssE_EESt5arrayIPcLm2EEEEviT0_T1_.num_vgpr, 14
	.set _ZN2at6native29vectorized_elementwise_kernelILi16ENS0_13AUnaryFunctorIsssZNS0_12_GLOBAL__N_121threshold_kernel_implIsEEvRNS_18TensorIteratorBaseET_S7_EUlssE_EESt5arrayIPcLm2EEEEviT0_T1_.num_agpr, 0
	.set _ZN2at6native29vectorized_elementwise_kernelILi16ENS0_13AUnaryFunctorIsssZNS0_12_GLOBAL__N_121threshold_kernel_implIsEEvRNS_18TensorIteratorBaseET_S7_EUlssE_EESt5arrayIPcLm2EEEEviT0_T1_.numbered_sgpr, 15
	.set _ZN2at6native29vectorized_elementwise_kernelILi16ENS0_13AUnaryFunctorIsssZNS0_12_GLOBAL__N_121threshold_kernel_implIsEEvRNS_18TensorIteratorBaseET_S7_EUlssE_EESt5arrayIPcLm2EEEEviT0_T1_.num_named_barrier, 0
	.set _ZN2at6native29vectorized_elementwise_kernelILi16ENS0_13AUnaryFunctorIsssZNS0_12_GLOBAL__N_121threshold_kernel_implIsEEvRNS_18TensorIteratorBaseET_S7_EUlssE_EESt5arrayIPcLm2EEEEviT0_T1_.private_seg_size, 0
	.set _ZN2at6native29vectorized_elementwise_kernelILi16ENS0_13AUnaryFunctorIsssZNS0_12_GLOBAL__N_121threshold_kernel_implIsEEvRNS_18TensorIteratorBaseET_S7_EUlssE_EESt5arrayIPcLm2EEEEviT0_T1_.uses_vcc, 1
	.set _ZN2at6native29vectorized_elementwise_kernelILi16ENS0_13AUnaryFunctorIsssZNS0_12_GLOBAL__N_121threshold_kernel_implIsEEvRNS_18TensorIteratorBaseET_S7_EUlssE_EESt5arrayIPcLm2EEEEviT0_T1_.uses_flat_scratch, 0
	.set _ZN2at6native29vectorized_elementwise_kernelILi16ENS0_13AUnaryFunctorIsssZNS0_12_GLOBAL__N_121threshold_kernel_implIsEEvRNS_18TensorIteratorBaseET_S7_EUlssE_EESt5arrayIPcLm2EEEEviT0_T1_.has_dyn_sized_stack, 0
	.set _ZN2at6native29vectorized_elementwise_kernelILi16ENS0_13AUnaryFunctorIsssZNS0_12_GLOBAL__N_121threshold_kernel_implIsEEvRNS_18TensorIteratorBaseET_S7_EUlssE_EESt5arrayIPcLm2EEEEviT0_T1_.has_recursion, 0
	.set _ZN2at6native29vectorized_elementwise_kernelILi16ENS0_13AUnaryFunctorIsssZNS0_12_GLOBAL__N_121threshold_kernel_implIsEEvRNS_18TensorIteratorBaseET_S7_EUlssE_EESt5arrayIPcLm2EEEEviT0_T1_.has_indirect_call, 0
	.section	.AMDGPU.csdata,"",@progbits
; Kernel info:
; codeLenInByte = 1576
; TotalNumSgprs: 19
; NumVgprs: 14
; ScratchSize: 0
; MemoryBound: 0
; FloatMode: 240
; IeeeMode: 1
; LDSByteSize: 0 bytes/workgroup (compile time only)
; SGPRBlocks: 2
; VGPRBlocks: 3
; NumSGPRsForWavesPerEU: 19
; NumVGPRsForWavesPerEU: 14
; Occupancy: 10
; WaveLimiterHint : 0
; COMPUTE_PGM_RSRC2:SCRATCH_EN: 0
; COMPUTE_PGM_RSRC2:USER_SGPR: 6
; COMPUTE_PGM_RSRC2:TRAP_HANDLER: 0
; COMPUTE_PGM_RSRC2:TGID_X_EN: 1
; COMPUTE_PGM_RSRC2:TGID_Y_EN: 0
; COMPUTE_PGM_RSRC2:TGID_Z_EN: 0
; COMPUTE_PGM_RSRC2:TIDIG_COMP_CNT: 0
	.section	.text._ZN2at6native29vectorized_elementwise_kernelILi8ENS0_13AUnaryFunctorIsssZNS0_12_GLOBAL__N_121threshold_kernel_implIsEEvRNS_18TensorIteratorBaseET_S7_EUlssE_EESt5arrayIPcLm2EEEEviT0_T1_,"axG",@progbits,_ZN2at6native29vectorized_elementwise_kernelILi8ENS0_13AUnaryFunctorIsssZNS0_12_GLOBAL__N_121threshold_kernel_implIsEEvRNS_18TensorIteratorBaseET_S7_EUlssE_EESt5arrayIPcLm2EEEEviT0_T1_,comdat
	.globl	_ZN2at6native29vectorized_elementwise_kernelILi8ENS0_13AUnaryFunctorIsssZNS0_12_GLOBAL__N_121threshold_kernel_implIsEEvRNS_18TensorIteratorBaseET_S7_EUlssE_EESt5arrayIPcLm2EEEEviT0_T1_ ; -- Begin function _ZN2at6native29vectorized_elementwise_kernelILi8ENS0_13AUnaryFunctorIsssZNS0_12_GLOBAL__N_121threshold_kernel_implIsEEvRNS_18TensorIteratorBaseET_S7_EUlssE_EESt5arrayIPcLm2EEEEviT0_T1_
	.p2align	8
	.type	_ZN2at6native29vectorized_elementwise_kernelILi8ENS0_13AUnaryFunctorIsssZNS0_12_GLOBAL__N_121threshold_kernel_implIsEEvRNS_18TensorIteratorBaseET_S7_EUlssE_EESt5arrayIPcLm2EEEEviT0_T1_,@function
_ZN2at6native29vectorized_elementwise_kernelILi8ENS0_13AUnaryFunctorIsssZNS0_12_GLOBAL__N_121threshold_kernel_implIsEEvRNS_18TensorIteratorBaseET_S7_EUlssE_EESt5arrayIPcLm2EEEEviT0_T1_: ; @_ZN2at6native29vectorized_elementwise_kernelILi8ENS0_13AUnaryFunctorIsssZNS0_12_GLOBAL__N_121threshold_kernel_implIsEEvRNS_18TensorIteratorBaseET_S7_EUlssE_EESt5arrayIPcLm2EEEEviT0_T1_
; %bb.0:
	s_load_dwordx2 s[2:3], s[4:5], 0x0
	s_load_dword s7, s[4:5], 0x8
	s_load_dwordx4 s[8:11], s[4:5], 0x10
	s_lshl_b32 s4, s6, 11
	s_mov_b64 s[0:1], -1
	s_waitcnt lgkmcnt(0)
	s_sub_i32 s12, s2, s4
	s_cmpk_gt_i32 s12, 0x7ff
	s_sext_i32_i16 s2, s3
	s_sext_i32_i16 s13, s7
	s_cbranch_scc0 .LBB97_2
; %bb.1:
	s_ashr_i32 s5, s4, 31
	s_lshr_b32 s14, s3, 16
	s_lshl_b64 s[0:1], s[4:5], 1
	s_add_u32 s6, s10, s0
	s_addc_u32 s7, s11, s1
	v_lshlrev_b32_e32 v5, 4, v0
	global_load_dwordx4 v[1:4], v5, s[6:7]
	s_cmp_gt_i32 s13, s2
	v_mov_b32_e32 v6, s14
	s_cselect_b64 vcc, -1, 0
	s_mov_b32 s5, 0x5040100
	s_add_u32 s0, s8, s0
	s_addc_u32 s1, s9, s1
	s_waitcnt vmcnt(0)
	v_lshrrev_b32_e32 v7, 16, v1
	v_lshrrev_b32_e32 v8, 16, v2
	;; [unrolled: 1-line block ×4, first 2 shown]
	v_cndmask_b32_e32 v1, v6, v1, vcc
	v_cndmask_b32_e32 v2, v6, v2, vcc
	;; [unrolled: 1-line block ×8, first 2 shown]
	v_perm_b32 v4, v6, v4, s5
	v_perm_b32 v3, v9, v3, s5
	;; [unrolled: 1-line block ×4, first 2 shown]
	global_store_dwordx4 v5, v[1:4], s[0:1]
	s_mov_b64 s[0:1], 0
.LBB97_2:
	s_andn2_b64 vcc, exec, s[0:1]
	s_cbranch_vccnz .LBB97_28
; %bb.3:
	v_cmp_gt_i32_e64 s[0:1], s12, v0
	v_mov_b32_e32 v3, 0
	v_or_b32_e32 v1, s4, v0
	v_mov_b32_e32 v2, 0
	v_mov_b32_e32 v4, v0
	s_and_saveexec_b64 s[6:7], s[0:1]
	s_cbranch_execz .LBB97_5
; %bb.4:
	v_mov_b32_e32 v2, 0
	v_lshlrev_b64 v[4:5], 1, v[1:2]
	v_mov_b32_e32 v2, s11
	v_add_co_u32_e32 v4, vcc, s10, v4
	v_addc_co_u32_e32 v5, vcc, v2, v5, vcc
	global_load_ushort v2, v[4:5], off
	v_or_b32_e32 v4, 0x100, v0
.LBB97_5:
	s_or_b64 exec, exec, s[6:7]
	v_cmp_gt_i32_e32 vcc, s12, v4
	s_and_saveexec_b64 s[6:7], vcc
	s_cbranch_execz .LBB97_7
; %bb.6:
	v_add_u32_e32 v5, s4, v4
	v_mov_b32_e32 v6, 0
	v_lshlrev_b64 v[5:6], 1, v[5:6]
	v_mov_b32_e32 v3, s11
	v_add_co_u32_e32 v5, vcc, s10, v5
	v_addc_co_u32_e32 v6, vcc, v3, v6, vcc
	global_load_ushort v3, v[5:6], off
	v_add_u32_e32 v4, 0x100, v4
.LBB97_7:
	s_or_b64 exec, exec, s[6:7]
	v_cmp_gt_i32_e32 vcc, s12, v4
	v_mov_b32_e32 v5, 0
	v_mov_b32_e32 v6, 0
	s_and_saveexec_b64 s[6:7], vcc
	s_cbranch_execz .LBB97_9
; %bb.8:
	v_add_u32_e32 v6, s4, v4
	v_mov_b32_e32 v7, 0
	v_lshlrev_b64 v[6:7], 1, v[6:7]
	v_mov_b32_e32 v8, s11
	v_add_co_u32_e32 v6, vcc, s10, v6
	v_addc_co_u32_e32 v7, vcc, v8, v7, vcc
	global_load_ushort v6, v[6:7], off
	v_add_u32_e32 v4, 0x100, v4
.LBB97_9:
	s_or_b64 exec, exec, s[6:7]
	v_cmp_gt_i32_e32 vcc, s12, v4
	s_and_saveexec_b64 s[6:7], vcc
	s_cbranch_execz .LBB97_11
; %bb.10:
	v_add_u32_e32 v7, s4, v4
	v_mov_b32_e32 v8, 0
	v_lshlrev_b64 v[7:8], 1, v[7:8]
	v_mov_b32_e32 v5, s11
	v_add_co_u32_e32 v7, vcc, s10, v7
	v_addc_co_u32_e32 v8, vcc, v5, v8, vcc
	global_load_ushort v5, v[7:8], off
	v_add_u32_e32 v4, 0x100, v4
.LBB97_11:
	s_or_b64 exec, exec, s[6:7]
	v_cmp_gt_i32_e32 vcc, s12, v4
	v_mov_b32_e32 v7, 0
	v_mov_b32_e32 v8, 0
	s_and_saveexec_b64 s[6:7], vcc
	s_cbranch_execz .LBB97_13
; %bb.12:
	v_add_u32_e32 v8, s4, v4
	v_mov_b32_e32 v9, 0
	v_lshlrev_b64 v[8:9], 1, v[8:9]
	v_mov_b32_e32 v10, s11
	v_add_co_u32_e32 v8, vcc, s10, v8
	v_addc_co_u32_e32 v9, vcc, v10, v9, vcc
	global_load_ushort v8, v[8:9], off
	v_add_u32_e32 v4, 0x100, v4
.LBB97_13:
	;; [unrolled: 30-line block ×3, first 2 shown]
	s_or_b64 exec, exec, s[6:7]
	v_cmp_gt_i32_e32 vcc, s12, v4
	s_and_saveexec_b64 s[6:7], vcc
	s_cbranch_execz .LBB97_19
; %bb.18:
	v_add_u32_e32 v11, s4, v4
	v_mov_b32_e32 v12, 0
	v_lshlrev_b64 v[11:12], 1, v[11:12]
	v_mov_b32_e32 v4, s11
	v_add_co_u32_e32 v11, vcc, s10, v11
	v_addc_co_u32_e32 v12, vcc, v4, v12, vcc
	global_load_ushort v9, v[11:12], off
.LBB97_19:
	s_or_b64 exec, exec, s[6:7]
	s_lshr_b32 s3, s3, 16
	s_cmp_gt_i32 s13, s2
	v_mov_b32_e32 v13, s3
	s_cselect_b64 s[2:3], -1, 0
	s_mov_b64 vcc, s[0:1]
	s_waitcnt vmcnt(0)
	v_cndmask_b32_e64 v4, v13, v2, s[2:3]
	v_mov_b32_e32 v2, 0
	v_cndmask_b32_sdwa v4, v2, v4, vcc dst_sel:DWORD dst_unused:UNUSED_PAD src0_sel:DWORD src1_sel:WORD_0
	v_or_b32_e32 v12, 0x100, v0
	v_cndmask_b32_e64 v3, v13, v3, s[2:3]
	s_mov_b32 s5, 0x5040100
	v_perm_b32 v3, v3, v4, s5
	v_cmp_gt_i32_e32 vcc, s12, v12
	v_cndmask_b32_e32 v11, v4, v3, vcc
	v_or_b32_e32 v3, 0x200, v0
	v_cndmask_b32_e64 v4, v13, v6, s[2:3]
	v_and_b32_e32 v4, 0xffff, v4
	v_cmp_gt_i32_e32 vcc, s12, v3
	v_cndmask_b32_e32 v3, 0, v4, vcc
	v_or_b32_e32 v4, 0x300, v0
	v_cndmask_b32_e64 v5, v13, v5, s[2:3]
	v_perm_b32 v5, v5, v3, s5
	v_cmp_gt_i32_e32 vcc, s12, v4
	v_cndmask_b32_e32 v5, v3, v5, vcc
	v_or_b32_e32 v3, 0x400, v0
	v_cndmask_b32_e64 v4, v13, v8, s[2:3]
	v_and_b32_e32 v4, 0xffff, v4
	v_cmp_gt_i32_e32 vcc, s12, v3
	v_cndmask_b32_e32 v3, 0, v4, vcc
	v_or_b32_e32 v4, 0x500, v0
	v_cndmask_b32_e64 v6, v13, v7, s[2:3]
	v_perm_b32 v6, v6, v3, s5
	v_cmp_gt_i32_e32 vcc, s12, v4
	v_cndmask_b32_e32 v4, v3, v6, vcc
	v_or_b32_e32 v3, 0x600, v0
	v_cmp_gt_i32_e32 vcc, s12, v3
	v_cndmask_b32_e64 v3, v13, v10, s[2:3]
	v_cndmask_b32_sdwa v3, v2, v3, vcc dst_sel:DWORD dst_unused:UNUSED_PAD src0_sel:DWORD src1_sel:WORD_0
	v_or_b32_e32 v6, 0x700, v0
	v_cndmask_b32_e64 v7, v13, v9, s[2:3]
	v_perm_b32 v7, v7, v3, s5
	v_cmp_gt_i32_e32 vcc, s12, v6
	v_cndmask_b32_e32 v3, v3, v7, vcc
	s_and_saveexec_b64 s[2:3], s[0:1]
	s_cbranch_execnz .LBB97_29
; %bb.20:
	s_or_b64 exec, exec, s[2:3]
	v_cmp_gt_i32_e32 vcc, s12, v0
	s_and_saveexec_b64 s[0:1], vcc
	s_cbranch_execnz .LBB97_30
.LBB97_21:
	s_or_b64 exec, exec, s[0:1]
	v_cmp_gt_i32_e32 vcc, s12, v0
	s_and_saveexec_b64 s[0:1], vcc
	s_cbranch_execnz .LBB97_31
.LBB97_22:
	s_or_b64 exec, exec, s[0:1]
	v_cmp_gt_i32_e32 vcc, s12, v0
	s_and_saveexec_b64 s[0:1], vcc
	s_cbranch_execnz .LBB97_32
.LBB97_23:
	s_or_b64 exec, exec, s[0:1]
	v_cmp_gt_i32_e32 vcc, s12, v0
	s_and_saveexec_b64 s[0:1], vcc
	s_cbranch_execnz .LBB97_33
.LBB97_24:
	s_or_b64 exec, exec, s[0:1]
	v_cmp_gt_i32_e32 vcc, s12, v0
	s_and_saveexec_b64 s[0:1], vcc
	s_cbranch_execnz .LBB97_34
.LBB97_25:
	s_or_b64 exec, exec, s[0:1]
	v_cmp_gt_i32_e32 vcc, s12, v0
	s_and_saveexec_b64 s[0:1], vcc
	s_cbranch_execnz .LBB97_35
.LBB97_26:
	s_or_b64 exec, exec, s[0:1]
	v_cmp_gt_i32_e32 vcc, s12, v0
	s_and_saveexec_b64 s[0:1], vcc
	s_cbranch_execz .LBB97_28
.LBB97_27:
	v_add_u32_e32 v0, s4, v0
	v_mov_b32_e32 v1, 0
	v_lshlrev_b64 v[0:1], 1, v[0:1]
	v_mov_b32_e32 v2, s9
	v_add_co_u32_e32 v0, vcc, s8, v0
	v_addc_co_u32_e32 v1, vcc, v2, v1, vcc
	global_store_short_d16_hi v[0:1], v3, off
.LBB97_28:
	s_endpgm
.LBB97_29:
	v_lshlrev_b64 v[0:1], 1, v[1:2]
	v_mov_b32_e32 v2, s9
	v_add_co_u32_e32 v0, vcc, s8, v0
	v_addc_co_u32_e32 v1, vcc, v2, v1, vcc
	global_store_short v[0:1], v11, off
	v_mov_b32_e32 v0, v12
	s_or_b64 exec, exec, s[2:3]
	v_cmp_gt_i32_e32 vcc, s12, v0
	s_and_saveexec_b64 s[0:1], vcc
	s_cbranch_execz .LBB97_21
.LBB97_30:
	v_add_u32_e32 v1, s4, v0
	v_mov_b32_e32 v2, 0
	v_lshlrev_b64 v[1:2], 1, v[1:2]
	v_mov_b32_e32 v6, s9
	v_add_co_u32_e32 v1, vcc, s8, v1
	v_addc_co_u32_e32 v2, vcc, v6, v2, vcc
	v_add_u32_e32 v0, 0x100, v0
	global_store_short_d16_hi v[1:2], v11, off
	s_or_b64 exec, exec, s[0:1]
	v_cmp_gt_i32_e32 vcc, s12, v0
	s_and_saveexec_b64 s[0:1], vcc
	s_cbranch_execz .LBB97_22
.LBB97_31:
	v_add_u32_e32 v1, s4, v0
	v_mov_b32_e32 v2, 0
	v_lshlrev_b64 v[1:2], 1, v[1:2]
	v_mov_b32_e32 v6, s9
	v_add_co_u32_e32 v1, vcc, s8, v1
	v_addc_co_u32_e32 v2, vcc, v6, v2, vcc
	v_add_u32_e32 v0, 0x100, v0
	global_store_short v[1:2], v5, off
	s_or_b64 exec, exec, s[0:1]
	v_cmp_gt_i32_e32 vcc, s12, v0
	s_and_saveexec_b64 s[0:1], vcc
	s_cbranch_execz .LBB97_23
.LBB97_32:
	v_add_u32_e32 v1, s4, v0
	v_mov_b32_e32 v2, 0
	v_lshlrev_b64 v[1:2], 1, v[1:2]
	v_mov_b32_e32 v6, s9
	v_add_co_u32_e32 v1, vcc, s8, v1
	v_addc_co_u32_e32 v2, vcc, v6, v2, vcc
	v_add_u32_e32 v0, 0x100, v0
	global_store_short_d16_hi v[1:2], v5, off
	s_or_b64 exec, exec, s[0:1]
	v_cmp_gt_i32_e32 vcc, s12, v0
	s_and_saveexec_b64 s[0:1], vcc
	s_cbranch_execz .LBB97_24
.LBB97_33:
	v_add_u32_e32 v1, s4, v0
	v_mov_b32_e32 v2, 0
	v_lshlrev_b64 v[1:2], 1, v[1:2]
	v_mov_b32_e32 v5, s9
	v_add_co_u32_e32 v1, vcc, s8, v1
	v_addc_co_u32_e32 v2, vcc, v5, v2, vcc
	v_add_u32_e32 v0, 0x100, v0
	global_store_short v[1:2], v4, off
	s_or_b64 exec, exec, s[0:1]
	v_cmp_gt_i32_e32 vcc, s12, v0
	s_and_saveexec_b64 s[0:1], vcc
	s_cbranch_execz .LBB97_25
.LBB97_34:
	v_add_u32_e32 v1, s4, v0
	v_mov_b32_e32 v2, 0
	v_lshlrev_b64 v[1:2], 1, v[1:2]
	v_mov_b32_e32 v5, s9
	v_add_co_u32_e32 v1, vcc, s8, v1
	v_addc_co_u32_e32 v2, vcc, v5, v2, vcc
	v_add_u32_e32 v0, 0x100, v0
	global_store_short_d16_hi v[1:2], v4, off
	s_or_b64 exec, exec, s[0:1]
	v_cmp_gt_i32_e32 vcc, s12, v0
	s_and_saveexec_b64 s[0:1], vcc
	s_cbranch_execz .LBB97_26
.LBB97_35:
	v_add_u32_e32 v1, s4, v0
	v_mov_b32_e32 v2, 0
	v_lshlrev_b64 v[1:2], 1, v[1:2]
	v_mov_b32_e32 v4, s9
	v_add_co_u32_e32 v1, vcc, s8, v1
	v_addc_co_u32_e32 v2, vcc, v4, v2, vcc
	v_add_u32_e32 v0, 0x100, v0
	global_store_short v[1:2], v3, off
	s_or_b64 exec, exec, s[0:1]
	v_cmp_gt_i32_e32 vcc, s12, v0
	s_and_saveexec_b64 s[0:1], vcc
	s_cbranch_execnz .LBB97_27
	s_branch .LBB97_28
	.section	.rodata,"a",@progbits
	.p2align	6, 0x0
	.amdhsa_kernel _ZN2at6native29vectorized_elementwise_kernelILi8ENS0_13AUnaryFunctorIsssZNS0_12_GLOBAL__N_121threshold_kernel_implIsEEvRNS_18TensorIteratorBaseET_S7_EUlssE_EESt5arrayIPcLm2EEEEviT0_T1_
		.amdhsa_group_segment_fixed_size 0
		.amdhsa_private_segment_fixed_size 0
		.amdhsa_kernarg_size 32
		.amdhsa_user_sgpr_count 6
		.amdhsa_user_sgpr_private_segment_buffer 1
		.amdhsa_user_sgpr_dispatch_ptr 0
		.amdhsa_user_sgpr_queue_ptr 0
		.amdhsa_user_sgpr_kernarg_segment_ptr 1
		.amdhsa_user_sgpr_dispatch_id 0
		.amdhsa_user_sgpr_flat_scratch_init 0
		.amdhsa_user_sgpr_private_segment_size 0
		.amdhsa_uses_dynamic_stack 0
		.amdhsa_system_sgpr_private_segment_wavefront_offset 0
		.amdhsa_system_sgpr_workgroup_id_x 1
		.amdhsa_system_sgpr_workgroup_id_y 0
		.amdhsa_system_sgpr_workgroup_id_z 0
		.amdhsa_system_sgpr_workgroup_info 0
		.amdhsa_system_vgpr_workitem_id 0
		.amdhsa_next_free_vgpr 14
		.amdhsa_next_free_sgpr 15
		.amdhsa_reserve_vcc 1
		.amdhsa_reserve_flat_scratch 0
		.amdhsa_float_round_mode_32 0
		.amdhsa_float_round_mode_16_64 0
		.amdhsa_float_denorm_mode_32 3
		.amdhsa_float_denorm_mode_16_64 3
		.amdhsa_dx10_clamp 1
		.amdhsa_ieee_mode 1
		.amdhsa_fp16_overflow 0
		.amdhsa_exception_fp_ieee_invalid_op 0
		.amdhsa_exception_fp_denorm_src 0
		.amdhsa_exception_fp_ieee_div_zero 0
		.amdhsa_exception_fp_ieee_overflow 0
		.amdhsa_exception_fp_ieee_underflow 0
		.amdhsa_exception_fp_ieee_inexact 0
		.amdhsa_exception_int_div_zero 0
	.end_amdhsa_kernel
	.section	.text._ZN2at6native29vectorized_elementwise_kernelILi8ENS0_13AUnaryFunctorIsssZNS0_12_GLOBAL__N_121threshold_kernel_implIsEEvRNS_18TensorIteratorBaseET_S7_EUlssE_EESt5arrayIPcLm2EEEEviT0_T1_,"axG",@progbits,_ZN2at6native29vectorized_elementwise_kernelILi8ENS0_13AUnaryFunctorIsssZNS0_12_GLOBAL__N_121threshold_kernel_implIsEEvRNS_18TensorIteratorBaseET_S7_EUlssE_EESt5arrayIPcLm2EEEEviT0_T1_,comdat
.Lfunc_end97:
	.size	_ZN2at6native29vectorized_elementwise_kernelILi8ENS0_13AUnaryFunctorIsssZNS0_12_GLOBAL__N_121threshold_kernel_implIsEEvRNS_18TensorIteratorBaseET_S7_EUlssE_EESt5arrayIPcLm2EEEEviT0_T1_, .Lfunc_end97-_ZN2at6native29vectorized_elementwise_kernelILi8ENS0_13AUnaryFunctorIsssZNS0_12_GLOBAL__N_121threshold_kernel_implIsEEvRNS_18TensorIteratorBaseET_S7_EUlssE_EESt5arrayIPcLm2EEEEviT0_T1_
                                        ; -- End function
	.set _ZN2at6native29vectorized_elementwise_kernelILi8ENS0_13AUnaryFunctorIsssZNS0_12_GLOBAL__N_121threshold_kernel_implIsEEvRNS_18TensorIteratorBaseET_S7_EUlssE_EESt5arrayIPcLm2EEEEviT0_T1_.num_vgpr, 14
	.set _ZN2at6native29vectorized_elementwise_kernelILi8ENS0_13AUnaryFunctorIsssZNS0_12_GLOBAL__N_121threshold_kernel_implIsEEvRNS_18TensorIteratorBaseET_S7_EUlssE_EESt5arrayIPcLm2EEEEviT0_T1_.num_agpr, 0
	.set _ZN2at6native29vectorized_elementwise_kernelILi8ENS0_13AUnaryFunctorIsssZNS0_12_GLOBAL__N_121threshold_kernel_implIsEEvRNS_18TensorIteratorBaseET_S7_EUlssE_EESt5arrayIPcLm2EEEEviT0_T1_.numbered_sgpr, 15
	.set _ZN2at6native29vectorized_elementwise_kernelILi8ENS0_13AUnaryFunctorIsssZNS0_12_GLOBAL__N_121threshold_kernel_implIsEEvRNS_18TensorIteratorBaseET_S7_EUlssE_EESt5arrayIPcLm2EEEEviT0_T1_.num_named_barrier, 0
	.set _ZN2at6native29vectorized_elementwise_kernelILi8ENS0_13AUnaryFunctorIsssZNS0_12_GLOBAL__N_121threshold_kernel_implIsEEvRNS_18TensorIteratorBaseET_S7_EUlssE_EESt5arrayIPcLm2EEEEviT0_T1_.private_seg_size, 0
	.set _ZN2at6native29vectorized_elementwise_kernelILi8ENS0_13AUnaryFunctorIsssZNS0_12_GLOBAL__N_121threshold_kernel_implIsEEvRNS_18TensorIteratorBaseET_S7_EUlssE_EESt5arrayIPcLm2EEEEviT0_T1_.uses_vcc, 1
	.set _ZN2at6native29vectorized_elementwise_kernelILi8ENS0_13AUnaryFunctorIsssZNS0_12_GLOBAL__N_121threshold_kernel_implIsEEvRNS_18TensorIteratorBaseET_S7_EUlssE_EESt5arrayIPcLm2EEEEviT0_T1_.uses_flat_scratch, 0
	.set _ZN2at6native29vectorized_elementwise_kernelILi8ENS0_13AUnaryFunctorIsssZNS0_12_GLOBAL__N_121threshold_kernel_implIsEEvRNS_18TensorIteratorBaseET_S7_EUlssE_EESt5arrayIPcLm2EEEEviT0_T1_.has_dyn_sized_stack, 0
	.set _ZN2at6native29vectorized_elementwise_kernelILi8ENS0_13AUnaryFunctorIsssZNS0_12_GLOBAL__N_121threshold_kernel_implIsEEvRNS_18TensorIteratorBaseET_S7_EUlssE_EESt5arrayIPcLm2EEEEviT0_T1_.has_recursion, 0
	.set _ZN2at6native29vectorized_elementwise_kernelILi8ENS0_13AUnaryFunctorIsssZNS0_12_GLOBAL__N_121threshold_kernel_implIsEEvRNS_18TensorIteratorBaseET_S7_EUlssE_EESt5arrayIPcLm2EEEEviT0_T1_.has_indirect_call, 0
	.section	.AMDGPU.csdata,"",@progbits
; Kernel info:
; codeLenInByte = 1576
; TotalNumSgprs: 19
; NumVgprs: 14
; ScratchSize: 0
; MemoryBound: 0
; FloatMode: 240
; IeeeMode: 1
; LDSByteSize: 0 bytes/workgroup (compile time only)
; SGPRBlocks: 2
; VGPRBlocks: 3
; NumSGPRsForWavesPerEU: 19
; NumVGPRsForWavesPerEU: 14
; Occupancy: 10
; WaveLimiterHint : 0
; COMPUTE_PGM_RSRC2:SCRATCH_EN: 0
; COMPUTE_PGM_RSRC2:USER_SGPR: 6
; COMPUTE_PGM_RSRC2:TRAP_HANDLER: 0
; COMPUTE_PGM_RSRC2:TGID_X_EN: 1
; COMPUTE_PGM_RSRC2:TGID_Y_EN: 0
; COMPUTE_PGM_RSRC2:TGID_Z_EN: 0
; COMPUTE_PGM_RSRC2:TIDIG_COMP_CNT: 0
	.section	.text._ZN2at6native29vectorized_elementwise_kernelILi4ENS0_13AUnaryFunctorIsssZNS0_12_GLOBAL__N_121threshold_kernel_implIsEEvRNS_18TensorIteratorBaseET_S7_EUlssE_EESt5arrayIPcLm2EEEEviT0_T1_,"axG",@progbits,_ZN2at6native29vectorized_elementwise_kernelILi4ENS0_13AUnaryFunctorIsssZNS0_12_GLOBAL__N_121threshold_kernel_implIsEEvRNS_18TensorIteratorBaseET_S7_EUlssE_EESt5arrayIPcLm2EEEEviT0_T1_,comdat
	.globl	_ZN2at6native29vectorized_elementwise_kernelILi4ENS0_13AUnaryFunctorIsssZNS0_12_GLOBAL__N_121threshold_kernel_implIsEEvRNS_18TensorIteratorBaseET_S7_EUlssE_EESt5arrayIPcLm2EEEEviT0_T1_ ; -- Begin function _ZN2at6native29vectorized_elementwise_kernelILi4ENS0_13AUnaryFunctorIsssZNS0_12_GLOBAL__N_121threshold_kernel_implIsEEvRNS_18TensorIteratorBaseET_S7_EUlssE_EESt5arrayIPcLm2EEEEviT0_T1_
	.p2align	8
	.type	_ZN2at6native29vectorized_elementwise_kernelILi4ENS0_13AUnaryFunctorIsssZNS0_12_GLOBAL__N_121threshold_kernel_implIsEEvRNS_18TensorIteratorBaseET_S7_EUlssE_EESt5arrayIPcLm2EEEEviT0_T1_,@function
_ZN2at6native29vectorized_elementwise_kernelILi4ENS0_13AUnaryFunctorIsssZNS0_12_GLOBAL__N_121threshold_kernel_implIsEEvRNS_18TensorIteratorBaseET_S7_EUlssE_EESt5arrayIPcLm2EEEEviT0_T1_: ; @_ZN2at6native29vectorized_elementwise_kernelILi4ENS0_13AUnaryFunctorIsssZNS0_12_GLOBAL__N_121threshold_kernel_implIsEEvRNS_18TensorIteratorBaseET_S7_EUlssE_EESt5arrayIPcLm2EEEEviT0_T1_
; %bb.0:
	s_load_dwordx2 s[2:3], s[4:5], 0x0
	s_load_dword s7, s[4:5], 0x8
	s_load_dwordx4 s[8:11], s[4:5], 0x10
	s_lshl_b32 s4, s6, 11
	s_mov_b64 s[0:1], -1
	s_waitcnt lgkmcnt(0)
	s_sub_i32 s12, s2, s4
	s_cmpk_gt_i32 s12, 0x7ff
	s_sext_i32_i16 s2, s3
	s_sext_i32_i16 s13, s7
	s_cbranch_scc0 .LBB98_2
; %bb.1:
	s_ashr_i32 s5, s4, 31
	s_lshr_b32 s14, s3, 16
	s_lshl_b64 s[0:1], s[4:5], 1
	s_add_u32 s6, s10, s0
	s_addc_u32 s7, s11, s1
	v_lshlrev_b32_e32 v5, 3, v0
	global_load_dwordx2 v[1:2], v5, s[6:7]
	global_load_dwordx2 v[3:4], v5, s[6:7] offset:2048
	s_cmp_gt_i32 s13, s2
	v_mov_b32_e32 v6, s14
	s_cselect_b64 vcc, -1, 0
	s_mov_b32 s5, 0x5040100
	s_add_u32 s0, s8, s0
	s_addc_u32 s1, s9, s1
	s_waitcnt vmcnt(1)
	v_cndmask_b32_e32 v7, v6, v1, vcc
	v_lshrrev_b32_e32 v1, 16, v1
	v_cndmask_b32_e32 v8, v6, v2, vcc
	v_lshrrev_b32_e32 v2, 16, v2
	s_waitcnt vmcnt(0)
	v_cndmask_b32_e32 v9, v6, v3, vcc
	v_lshrrev_b32_e32 v3, 16, v3
	v_cndmask_b32_e32 v10, v6, v4, vcc
	v_lshrrev_b32_e32 v4, 16, v4
	v_cndmask_b32_e32 v11, v6, v1, vcc
	v_cndmask_b32_e32 v12, v6, v2, vcc
	;; [unrolled: 1-line block ×4, first 2 shown]
	v_perm_b32 v4, v12, v8, s5
	v_perm_b32 v3, v11, v7, s5
	v_perm_b32 v2, v2, v10, s5
	v_perm_b32 v1, v1, v9, s5
	global_store_dwordx2 v5, v[3:4], s[0:1]
	global_store_dwordx2 v5, v[1:2], s[0:1] offset:2048
	s_mov_b64 s[0:1], 0
.LBB98_2:
	s_andn2_b64 vcc, exec, s[0:1]
	s_cbranch_vccnz .LBB98_28
; %bb.3:
	v_cmp_gt_i32_e64 s[0:1], s12, v0
	v_mov_b32_e32 v3, 0
	v_or_b32_e32 v1, s4, v0
	v_mov_b32_e32 v2, 0
	v_mov_b32_e32 v4, v0
	s_and_saveexec_b64 s[6:7], s[0:1]
	s_cbranch_execz .LBB98_5
; %bb.4:
	v_mov_b32_e32 v2, 0
	v_lshlrev_b64 v[4:5], 1, v[1:2]
	v_mov_b32_e32 v2, s11
	v_add_co_u32_e32 v4, vcc, s10, v4
	v_addc_co_u32_e32 v5, vcc, v2, v5, vcc
	global_load_ushort v2, v[4:5], off
	v_or_b32_e32 v4, 0x100, v0
.LBB98_5:
	s_or_b64 exec, exec, s[6:7]
	v_cmp_gt_i32_e32 vcc, s12, v4
	s_and_saveexec_b64 s[6:7], vcc
	s_cbranch_execz .LBB98_7
; %bb.6:
	v_add_u32_e32 v5, s4, v4
	v_mov_b32_e32 v6, 0
	v_lshlrev_b64 v[5:6], 1, v[5:6]
	v_mov_b32_e32 v3, s11
	v_add_co_u32_e32 v5, vcc, s10, v5
	v_addc_co_u32_e32 v6, vcc, v3, v6, vcc
	global_load_ushort v3, v[5:6], off
	v_add_u32_e32 v4, 0x100, v4
.LBB98_7:
	s_or_b64 exec, exec, s[6:7]
	v_cmp_gt_i32_e32 vcc, s12, v4
	v_mov_b32_e32 v5, 0
	v_mov_b32_e32 v6, 0
	s_and_saveexec_b64 s[6:7], vcc
	s_cbranch_execz .LBB98_9
; %bb.8:
	v_add_u32_e32 v6, s4, v4
	v_mov_b32_e32 v7, 0
	v_lshlrev_b64 v[6:7], 1, v[6:7]
	v_mov_b32_e32 v8, s11
	v_add_co_u32_e32 v6, vcc, s10, v6
	v_addc_co_u32_e32 v7, vcc, v8, v7, vcc
	global_load_ushort v6, v[6:7], off
	v_add_u32_e32 v4, 0x100, v4
.LBB98_9:
	s_or_b64 exec, exec, s[6:7]
	v_cmp_gt_i32_e32 vcc, s12, v4
	s_and_saveexec_b64 s[6:7], vcc
	s_cbranch_execz .LBB98_11
; %bb.10:
	v_add_u32_e32 v7, s4, v4
	v_mov_b32_e32 v8, 0
	v_lshlrev_b64 v[7:8], 1, v[7:8]
	v_mov_b32_e32 v5, s11
	v_add_co_u32_e32 v7, vcc, s10, v7
	v_addc_co_u32_e32 v8, vcc, v5, v8, vcc
	global_load_ushort v5, v[7:8], off
	v_add_u32_e32 v4, 0x100, v4
.LBB98_11:
	s_or_b64 exec, exec, s[6:7]
	v_cmp_gt_i32_e32 vcc, s12, v4
	v_mov_b32_e32 v7, 0
	v_mov_b32_e32 v8, 0
	s_and_saveexec_b64 s[6:7], vcc
	s_cbranch_execz .LBB98_13
; %bb.12:
	v_add_u32_e32 v8, s4, v4
	v_mov_b32_e32 v9, 0
	v_lshlrev_b64 v[8:9], 1, v[8:9]
	v_mov_b32_e32 v10, s11
	v_add_co_u32_e32 v8, vcc, s10, v8
	v_addc_co_u32_e32 v9, vcc, v10, v9, vcc
	global_load_ushort v8, v[8:9], off
	v_add_u32_e32 v4, 0x100, v4
.LBB98_13:
	;; [unrolled: 30-line block ×3, first 2 shown]
	s_or_b64 exec, exec, s[6:7]
	v_cmp_gt_i32_e32 vcc, s12, v4
	s_and_saveexec_b64 s[6:7], vcc
	s_cbranch_execz .LBB98_19
; %bb.18:
	v_add_u32_e32 v11, s4, v4
	v_mov_b32_e32 v12, 0
	v_lshlrev_b64 v[11:12], 1, v[11:12]
	v_mov_b32_e32 v4, s11
	v_add_co_u32_e32 v11, vcc, s10, v11
	v_addc_co_u32_e32 v12, vcc, v4, v12, vcc
	global_load_ushort v9, v[11:12], off
.LBB98_19:
	s_or_b64 exec, exec, s[6:7]
	s_lshr_b32 s3, s3, 16
	s_cmp_gt_i32 s13, s2
	v_mov_b32_e32 v13, s3
	s_cselect_b64 s[2:3], -1, 0
	s_mov_b64 vcc, s[0:1]
	s_waitcnt vmcnt(0)
	v_cndmask_b32_e64 v4, v13, v2, s[2:3]
	v_mov_b32_e32 v2, 0
	v_cndmask_b32_sdwa v4, v2, v4, vcc dst_sel:DWORD dst_unused:UNUSED_PAD src0_sel:DWORD src1_sel:WORD_0
	v_or_b32_e32 v12, 0x100, v0
	v_cndmask_b32_e64 v3, v13, v3, s[2:3]
	s_mov_b32 s5, 0x5040100
	v_perm_b32 v3, v3, v4, s5
	v_cmp_gt_i32_e32 vcc, s12, v12
	v_cndmask_b32_e32 v11, v4, v3, vcc
	v_or_b32_e32 v3, 0x200, v0
	v_cndmask_b32_e64 v4, v13, v6, s[2:3]
	v_and_b32_e32 v4, 0xffff, v4
	v_cmp_gt_i32_e32 vcc, s12, v3
	v_cndmask_b32_e32 v3, 0, v4, vcc
	v_or_b32_e32 v4, 0x300, v0
	v_cndmask_b32_e64 v5, v13, v5, s[2:3]
	v_perm_b32 v5, v5, v3, s5
	v_cmp_gt_i32_e32 vcc, s12, v4
	v_cndmask_b32_e32 v5, v3, v5, vcc
	v_or_b32_e32 v3, 0x400, v0
	v_cndmask_b32_e64 v4, v13, v8, s[2:3]
	v_and_b32_e32 v4, 0xffff, v4
	v_cmp_gt_i32_e32 vcc, s12, v3
	v_cndmask_b32_e32 v3, 0, v4, vcc
	v_or_b32_e32 v4, 0x500, v0
	v_cndmask_b32_e64 v6, v13, v7, s[2:3]
	v_perm_b32 v6, v6, v3, s5
	v_cmp_gt_i32_e32 vcc, s12, v4
	v_cndmask_b32_e32 v4, v3, v6, vcc
	v_or_b32_e32 v3, 0x600, v0
	v_cmp_gt_i32_e32 vcc, s12, v3
	v_cndmask_b32_e64 v3, v13, v10, s[2:3]
	v_cndmask_b32_sdwa v3, v2, v3, vcc dst_sel:DWORD dst_unused:UNUSED_PAD src0_sel:DWORD src1_sel:WORD_0
	v_or_b32_e32 v6, 0x700, v0
	v_cndmask_b32_e64 v7, v13, v9, s[2:3]
	v_perm_b32 v7, v7, v3, s5
	v_cmp_gt_i32_e32 vcc, s12, v6
	v_cndmask_b32_e32 v3, v3, v7, vcc
	s_and_saveexec_b64 s[2:3], s[0:1]
	s_cbranch_execnz .LBB98_29
; %bb.20:
	s_or_b64 exec, exec, s[2:3]
	v_cmp_gt_i32_e32 vcc, s12, v0
	s_and_saveexec_b64 s[0:1], vcc
	s_cbranch_execnz .LBB98_30
.LBB98_21:
	s_or_b64 exec, exec, s[0:1]
	v_cmp_gt_i32_e32 vcc, s12, v0
	s_and_saveexec_b64 s[0:1], vcc
	s_cbranch_execnz .LBB98_31
.LBB98_22:
	s_or_b64 exec, exec, s[0:1]
	v_cmp_gt_i32_e32 vcc, s12, v0
	s_and_saveexec_b64 s[0:1], vcc
	s_cbranch_execnz .LBB98_32
.LBB98_23:
	s_or_b64 exec, exec, s[0:1]
	v_cmp_gt_i32_e32 vcc, s12, v0
	s_and_saveexec_b64 s[0:1], vcc
	s_cbranch_execnz .LBB98_33
.LBB98_24:
	s_or_b64 exec, exec, s[0:1]
	v_cmp_gt_i32_e32 vcc, s12, v0
	s_and_saveexec_b64 s[0:1], vcc
	s_cbranch_execnz .LBB98_34
.LBB98_25:
	s_or_b64 exec, exec, s[0:1]
	v_cmp_gt_i32_e32 vcc, s12, v0
	s_and_saveexec_b64 s[0:1], vcc
	s_cbranch_execnz .LBB98_35
.LBB98_26:
	s_or_b64 exec, exec, s[0:1]
	v_cmp_gt_i32_e32 vcc, s12, v0
	s_and_saveexec_b64 s[0:1], vcc
	s_cbranch_execz .LBB98_28
.LBB98_27:
	v_add_u32_e32 v0, s4, v0
	v_mov_b32_e32 v1, 0
	v_lshlrev_b64 v[0:1], 1, v[0:1]
	v_mov_b32_e32 v2, s9
	v_add_co_u32_e32 v0, vcc, s8, v0
	v_addc_co_u32_e32 v1, vcc, v2, v1, vcc
	global_store_short_d16_hi v[0:1], v3, off
.LBB98_28:
	s_endpgm
.LBB98_29:
	v_lshlrev_b64 v[0:1], 1, v[1:2]
	v_mov_b32_e32 v2, s9
	v_add_co_u32_e32 v0, vcc, s8, v0
	v_addc_co_u32_e32 v1, vcc, v2, v1, vcc
	global_store_short v[0:1], v11, off
	v_mov_b32_e32 v0, v12
	s_or_b64 exec, exec, s[2:3]
	v_cmp_gt_i32_e32 vcc, s12, v0
	s_and_saveexec_b64 s[0:1], vcc
	s_cbranch_execz .LBB98_21
.LBB98_30:
	v_add_u32_e32 v1, s4, v0
	v_mov_b32_e32 v2, 0
	v_lshlrev_b64 v[1:2], 1, v[1:2]
	v_mov_b32_e32 v6, s9
	v_add_co_u32_e32 v1, vcc, s8, v1
	v_addc_co_u32_e32 v2, vcc, v6, v2, vcc
	v_add_u32_e32 v0, 0x100, v0
	global_store_short_d16_hi v[1:2], v11, off
	s_or_b64 exec, exec, s[0:1]
	v_cmp_gt_i32_e32 vcc, s12, v0
	s_and_saveexec_b64 s[0:1], vcc
	s_cbranch_execz .LBB98_22
.LBB98_31:
	v_add_u32_e32 v1, s4, v0
	v_mov_b32_e32 v2, 0
	v_lshlrev_b64 v[1:2], 1, v[1:2]
	v_mov_b32_e32 v6, s9
	v_add_co_u32_e32 v1, vcc, s8, v1
	v_addc_co_u32_e32 v2, vcc, v6, v2, vcc
	v_add_u32_e32 v0, 0x100, v0
	global_store_short v[1:2], v5, off
	s_or_b64 exec, exec, s[0:1]
	v_cmp_gt_i32_e32 vcc, s12, v0
	s_and_saveexec_b64 s[0:1], vcc
	s_cbranch_execz .LBB98_23
.LBB98_32:
	v_add_u32_e32 v1, s4, v0
	v_mov_b32_e32 v2, 0
	v_lshlrev_b64 v[1:2], 1, v[1:2]
	v_mov_b32_e32 v6, s9
	v_add_co_u32_e32 v1, vcc, s8, v1
	v_addc_co_u32_e32 v2, vcc, v6, v2, vcc
	v_add_u32_e32 v0, 0x100, v0
	global_store_short_d16_hi v[1:2], v5, off
	s_or_b64 exec, exec, s[0:1]
	v_cmp_gt_i32_e32 vcc, s12, v0
	s_and_saveexec_b64 s[0:1], vcc
	s_cbranch_execz .LBB98_24
.LBB98_33:
	v_add_u32_e32 v1, s4, v0
	v_mov_b32_e32 v2, 0
	v_lshlrev_b64 v[1:2], 1, v[1:2]
	v_mov_b32_e32 v5, s9
	v_add_co_u32_e32 v1, vcc, s8, v1
	v_addc_co_u32_e32 v2, vcc, v5, v2, vcc
	v_add_u32_e32 v0, 0x100, v0
	global_store_short v[1:2], v4, off
	s_or_b64 exec, exec, s[0:1]
	v_cmp_gt_i32_e32 vcc, s12, v0
	s_and_saveexec_b64 s[0:1], vcc
	s_cbranch_execz .LBB98_25
.LBB98_34:
	v_add_u32_e32 v1, s4, v0
	v_mov_b32_e32 v2, 0
	v_lshlrev_b64 v[1:2], 1, v[1:2]
	v_mov_b32_e32 v5, s9
	v_add_co_u32_e32 v1, vcc, s8, v1
	v_addc_co_u32_e32 v2, vcc, v5, v2, vcc
	v_add_u32_e32 v0, 0x100, v0
	global_store_short_d16_hi v[1:2], v4, off
	s_or_b64 exec, exec, s[0:1]
	v_cmp_gt_i32_e32 vcc, s12, v0
	s_and_saveexec_b64 s[0:1], vcc
	s_cbranch_execz .LBB98_26
.LBB98_35:
	v_add_u32_e32 v1, s4, v0
	v_mov_b32_e32 v2, 0
	v_lshlrev_b64 v[1:2], 1, v[1:2]
	v_mov_b32_e32 v4, s9
	v_add_co_u32_e32 v1, vcc, s8, v1
	v_addc_co_u32_e32 v2, vcc, v4, v2, vcc
	v_add_u32_e32 v0, 0x100, v0
	global_store_short v[1:2], v3, off
	s_or_b64 exec, exec, s[0:1]
	v_cmp_gt_i32_e32 vcc, s12, v0
	s_and_saveexec_b64 s[0:1], vcc
	s_cbranch_execnz .LBB98_27
	s_branch .LBB98_28
	.section	.rodata,"a",@progbits
	.p2align	6, 0x0
	.amdhsa_kernel _ZN2at6native29vectorized_elementwise_kernelILi4ENS0_13AUnaryFunctorIsssZNS0_12_GLOBAL__N_121threshold_kernel_implIsEEvRNS_18TensorIteratorBaseET_S7_EUlssE_EESt5arrayIPcLm2EEEEviT0_T1_
		.amdhsa_group_segment_fixed_size 0
		.amdhsa_private_segment_fixed_size 0
		.amdhsa_kernarg_size 32
		.amdhsa_user_sgpr_count 6
		.amdhsa_user_sgpr_private_segment_buffer 1
		.amdhsa_user_sgpr_dispatch_ptr 0
		.amdhsa_user_sgpr_queue_ptr 0
		.amdhsa_user_sgpr_kernarg_segment_ptr 1
		.amdhsa_user_sgpr_dispatch_id 0
		.amdhsa_user_sgpr_flat_scratch_init 0
		.amdhsa_user_sgpr_private_segment_size 0
		.amdhsa_uses_dynamic_stack 0
		.amdhsa_system_sgpr_private_segment_wavefront_offset 0
		.amdhsa_system_sgpr_workgroup_id_x 1
		.amdhsa_system_sgpr_workgroup_id_y 0
		.amdhsa_system_sgpr_workgroup_id_z 0
		.amdhsa_system_sgpr_workgroup_info 0
		.amdhsa_system_vgpr_workitem_id 0
		.amdhsa_next_free_vgpr 14
		.amdhsa_next_free_sgpr 15
		.amdhsa_reserve_vcc 1
		.amdhsa_reserve_flat_scratch 0
		.amdhsa_float_round_mode_32 0
		.amdhsa_float_round_mode_16_64 0
		.amdhsa_float_denorm_mode_32 3
		.amdhsa_float_denorm_mode_16_64 3
		.amdhsa_dx10_clamp 1
		.amdhsa_ieee_mode 1
		.amdhsa_fp16_overflow 0
		.amdhsa_exception_fp_ieee_invalid_op 0
		.amdhsa_exception_fp_denorm_src 0
		.amdhsa_exception_fp_ieee_div_zero 0
		.amdhsa_exception_fp_ieee_overflow 0
		.amdhsa_exception_fp_ieee_underflow 0
		.amdhsa_exception_fp_ieee_inexact 0
		.amdhsa_exception_int_div_zero 0
	.end_amdhsa_kernel
	.section	.text._ZN2at6native29vectorized_elementwise_kernelILi4ENS0_13AUnaryFunctorIsssZNS0_12_GLOBAL__N_121threshold_kernel_implIsEEvRNS_18TensorIteratorBaseET_S7_EUlssE_EESt5arrayIPcLm2EEEEviT0_T1_,"axG",@progbits,_ZN2at6native29vectorized_elementwise_kernelILi4ENS0_13AUnaryFunctorIsssZNS0_12_GLOBAL__N_121threshold_kernel_implIsEEvRNS_18TensorIteratorBaseET_S7_EUlssE_EESt5arrayIPcLm2EEEEviT0_T1_,comdat
.Lfunc_end98:
	.size	_ZN2at6native29vectorized_elementwise_kernelILi4ENS0_13AUnaryFunctorIsssZNS0_12_GLOBAL__N_121threshold_kernel_implIsEEvRNS_18TensorIteratorBaseET_S7_EUlssE_EESt5arrayIPcLm2EEEEviT0_T1_, .Lfunc_end98-_ZN2at6native29vectorized_elementwise_kernelILi4ENS0_13AUnaryFunctorIsssZNS0_12_GLOBAL__N_121threshold_kernel_implIsEEvRNS_18TensorIteratorBaseET_S7_EUlssE_EESt5arrayIPcLm2EEEEviT0_T1_
                                        ; -- End function
	.set _ZN2at6native29vectorized_elementwise_kernelILi4ENS0_13AUnaryFunctorIsssZNS0_12_GLOBAL__N_121threshold_kernel_implIsEEvRNS_18TensorIteratorBaseET_S7_EUlssE_EESt5arrayIPcLm2EEEEviT0_T1_.num_vgpr, 14
	.set _ZN2at6native29vectorized_elementwise_kernelILi4ENS0_13AUnaryFunctorIsssZNS0_12_GLOBAL__N_121threshold_kernel_implIsEEvRNS_18TensorIteratorBaseET_S7_EUlssE_EESt5arrayIPcLm2EEEEviT0_T1_.num_agpr, 0
	.set _ZN2at6native29vectorized_elementwise_kernelILi4ENS0_13AUnaryFunctorIsssZNS0_12_GLOBAL__N_121threshold_kernel_implIsEEvRNS_18TensorIteratorBaseET_S7_EUlssE_EESt5arrayIPcLm2EEEEviT0_T1_.numbered_sgpr, 15
	.set _ZN2at6native29vectorized_elementwise_kernelILi4ENS0_13AUnaryFunctorIsssZNS0_12_GLOBAL__N_121threshold_kernel_implIsEEvRNS_18TensorIteratorBaseET_S7_EUlssE_EESt5arrayIPcLm2EEEEviT0_T1_.num_named_barrier, 0
	.set _ZN2at6native29vectorized_elementwise_kernelILi4ENS0_13AUnaryFunctorIsssZNS0_12_GLOBAL__N_121threshold_kernel_implIsEEvRNS_18TensorIteratorBaseET_S7_EUlssE_EESt5arrayIPcLm2EEEEviT0_T1_.private_seg_size, 0
	.set _ZN2at6native29vectorized_elementwise_kernelILi4ENS0_13AUnaryFunctorIsssZNS0_12_GLOBAL__N_121threshold_kernel_implIsEEvRNS_18TensorIteratorBaseET_S7_EUlssE_EESt5arrayIPcLm2EEEEviT0_T1_.uses_vcc, 1
	.set _ZN2at6native29vectorized_elementwise_kernelILi4ENS0_13AUnaryFunctorIsssZNS0_12_GLOBAL__N_121threshold_kernel_implIsEEvRNS_18TensorIteratorBaseET_S7_EUlssE_EESt5arrayIPcLm2EEEEviT0_T1_.uses_flat_scratch, 0
	.set _ZN2at6native29vectorized_elementwise_kernelILi4ENS0_13AUnaryFunctorIsssZNS0_12_GLOBAL__N_121threshold_kernel_implIsEEvRNS_18TensorIteratorBaseET_S7_EUlssE_EESt5arrayIPcLm2EEEEviT0_T1_.has_dyn_sized_stack, 0
	.set _ZN2at6native29vectorized_elementwise_kernelILi4ENS0_13AUnaryFunctorIsssZNS0_12_GLOBAL__N_121threshold_kernel_implIsEEvRNS_18TensorIteratorBaseET_S7_EUlssE_EESt5arrayIPcLm2EEEEviT0_T1_.has_recursion, 0
	.set _ZN2at6native29vectorized_elementwise_kernelILi4ENS0_13AUnaryFunctorIsssZNS0_12_GLOBAL__N_121threshold_kernel_implIsEEvRNS_18TensorIteratorBaseET_S7_EUlssE_EESt5arrayIPcLm2EEEEviT0_T1_.has_indirect_call, 0
	.section	.AMDGPU.csdata,"",@progbits
; Kernel info:
; codeLenInByte = 1596
; TotalNumSgprs: 19
; NumVgprs: 14
; ScratchSize: 0
; MemoryBound: 0
; FloatMode: 240
; IeeeMode: 1
; LDSByteSize: 0 bytes/workgroup (compile time only)
; SGPRBlocks: 2
; VGPRBlocks: 3
; NumSGPRsForWavesPerEU: 19
; NumVGPRsForWavesPerEU: 14
; Occupancy: 10
; WaveLimiterHint : 1
; COMPUTE_PGM_RSRC2:SCRATCH_EN: 0
; COMPUTE_PGM_RSRC2:USER_SGPR: 6
; COMPUTE_PGM_RSRC2:TRAP_HANDLER: 0
; COMPUTE_PGM_RSRC2:TGID_X_EN: 1
; COMPUTE_PGM_RSRC2:TGID_Y_EN: 0
; COMPUTE_PGM_RSRC2:TGID_Z_EN: 0
; COMPUTE_PGM_RSRC2:TIDIG_COMP_CNT: 0
	.section	.text._ZN2at6native29vectorized_elementwise_kernelILi2ENS0_13AUnaryFunctorIsssZNS0_12_GLOBAL__N_121threshold_kernel_implIsEEvRNS_18TensorIteratorBaseET_S7_EUlssE_EESt5arrayIPcLm2EEEEviT0_T1_,"axG",@progbits,_ZN2at6native29vectorized_elementwise_kernelILi2ENS0_13AUnaryFunctorIsssZNS0_12_GLOBAL__N_121threshold_kernel_implIsEEvRNS_18TensorIteratorBaseET_S7_EUlssE_EESt5arrayIPcLm2EEEEviT0_T1_,comdat
	.globl	_ZN2at6native29vectorized_elementwise_kernelILi2ENS0_13AUnaryFunctorIsssZNS0_12_GLOBAL__N_121threshold_kernel_implIsEEvRNS_18TensorIteratorBaseET_S7_EUlssE_EESt5arrayIPcLm2EEEEviT0_T1_ ; -- Begin function _ZN2at6native29vectorized_elementwise_kernelILi2ENS0_13AUnaryFunctorIsssZNS0_12_GLOBAL__N_121threshold_kernel_implIsEEvRNS_18TensorIteratorBaseET_S7_EUlssE_EESt5arrayIPcLm2EEEEviT0_T1_
	.p2align	8
	.type	_ZN2at6native29vectorized_elementwise_kernelILi2ENS0_13AUnaryFunctorIsssZNS0_12_GLOBAL__N_121threshold_kernel_implIsEEvRNS_18TensorIteratorBaseET_S7_EUlssE_EESt5arrayIPcLm2EEEEviT0_T1_,@function
_ZN2at6native29vectorized_elementwise_kernelILi2ENS0_13AUnaryFunctorIsssZNS0_12_GLOBAL__N_121threshold_kernel_implIsEEvRNS_18TensorIteratorBaseET_S7_EUlssE_EESt5arrayIPcLm2EEEEviT0_T1_: ; @_ZN2at6native29vectorized_elementwise_kernelILi2ENS0_13AUnaryFunctorIsssZNS0_12_GLOBAL__N_121threshold_kernel_implIsEEvRNS_18TensorIteratorBaseET_S7_EUlssE_EESt5arrayIPcLm2EEEEviT0_T1_
; %bb.0:
	s_load_dwordx2 s[2:3], s[4:5], 0x0
	s_load_dword s7, s[4:5], 0x8
	s_load_dwordx4 s[8:11], s[4:5], 0x10
	s_lshl_b32 s4, s6, 11
	s_mov_b64 s[0:1], -1
	s_waitcnt lgkmcnt(0)
	s_sub_i32 s12, s2, s4
	s_cmpk_gt_i32 s12, 0x7ff
	s_sext_i32_i16 s2, s3
	s_sext_i32_i16 s13, s7
	s_cbranch_scc0 .LBB99_2
; %bb.1:
	s_ashr_i32 s5, s4, 31
	s_lshr_b32 s14, s3, 16
	s_lshl_b64 s[0:1], s[4:5], 1
	s_add_u32 s6, s10, s0
	s_addc_u32 s7, s11, s1
	v_lshlrev_b32_e32 v1, 2, v0
	global_load_dword v2, v1, s[6:7]
	global_load_dword v3, v1, s[6:7] offset:1024
	global_load_dword v4, v1, s[6:7] offset:2048
	;; [unrolled: 1-line block ×3, first 2 shown]
	s_cmp_gt_i32 s13, s2
	v_mov_b32_e32 v6, s14
	s_cselect_b64 vcc, -1, 0
	s_mov_b32 s5, 0x5040100
	s_add_u32 s0, s8, s0
	s_addc_u32 s1, s9, s1
	s_waitcnt vmcnt(3)
	v_cndmask_b32_e32 v7, v6, v2, vcc
	v_lshrrev_b32_e32 v2, 16, v2
	s_waitcnt vmcnt(2)
	v_cndmask_b32_e32 v8, v6, v3, vcc
	v_lshrrev_b32_e32 v3, 16, v3
	;; [unrolled: 3-line block ×4, first 2 shown]
	v_cndmask_b32_e32 v2, v6, v2, vcc
	v_cndmask_b32_e32 v3, v6, v3, vcc
	;; [unrolled: 1-line block ×4, first 2 shown]
	v_perm_b32 v2, v2, v7, s5
	v_perm_b32 v5, v5, v10, s5
	;; [unrolled: 1-line block ×4, first 2 shown]
	global_store_dword v1, v2, s[0:1]
	global_store_dword v1, v3, s[0:1] offset:1024
	global_store_dword v1, v4, s[0:1] offset:2048
	;; [unrolled: 1-line block ×3, first 2 shown]
	s_mov_b64 s[0:1], 0
.LBB99_2:
	s_andn2_b64 vcc, exec, s[0:1]
	s_cbranch_vccnz .LBB99_28
; %bb.3:
	v_cmp_gt_i32_e64 s[0:1], s12, v0
	v_mov_b32_e32 v3, 0
	v_or_b32_e32 v1, s4, v0
	v_mov_b32_e32 v2, 0
	v_mov_b32_e32 v4, v0
	s_and_saveexec_b64 s[6:7], s[0:1]
	s_cbranch_execz .LBB99_5
; %bb.4:
	v_mov_b32_e32 v2, 0
	v_lshlrev_b64 v[4:5], 1, v[1:2]
	v_mov_b32_e32 v2, s11
	v_add_co_u32_e32 v4, vcc, s10, v4
	v_addc_co_u32_e32 v5, vcc, v2, v5, vcc
	global_load_ushort v2, v[4:5], off
	v_or_b32_e32 v4, 0x100, v0
.LBB99_5:
	s_or_b64 exec, exec, s[6:7]
	v_cmp_gt_i32_e32 vcc, s12, v4
	s_and_saveexec_b64 s[6:7], vcc
	s_cbranch_execz .LBB99_7
; %bb.6:
	v_add_u32_e32 v5, s4, v4
	v_mov_b32_e32 v6, 0
	v_lshlrev_b64 v[5:6], 1, v[5:6]
	v_mov_b32_e32 v3, s11
	v_add_co_u32_e32 v5, vcc, s10, v5
	v_addc_co_u32_e32 v6, vcc, v3, v6, vcc
	global_load_ushort v3, v[5:6], off
	v_add_u32_e32 v4, 0x100, v4
.LBB99_7:
	s_or_b64 exec, exec, s[6:7]
	v_cmp_gt_i32_e32 vcc, s12, v4
	v_mov_b32_e32 v5, 0
	v_mov_b32_e32 v6, 0
	s_and_saveexec_b64 s[6:7], vcc
	s_cbranch_execz .LBB99_9
; %bb.8:
	v_add_u32_e32 v6, s4, v4
	v_mov_b32_e32 v7, 0
	v_lshlrev_b64 v[6:7], 1, v[6:7]
	v_mov_b32_e32 v8, s11
	v_add_co_u32_e32 v6, vcc, s10, v6
	v_addc_co_u32_e32 v7, vcc, v8, v7, vcc
	global_load_ushort v6, v[6:7], off
	v_add_u32_e32 v4, 0x100, v4
.LBB99_9:
	s_or_b64 exec, exec, s[6:7]
	v_cmp_gt_i32_e32 vcc, s12, v4
	s_and_saveexec_b64 s[6:7], vcc
	s_cbranch_execz .LBB99_11
; %bb.10:
	v_add_u32_e32 v7, s4, v4
	v_mov_b32_e32 v8, 0
	v_lshlrev_b64 v[7:8], 1, v[7:8]
	v_mov_b32_e32 v5, s11
	v_add_co_u32_e32 v7, vcc, s10, v7
	v_addc_co_u32_e32 v8, vcc, v5, v8, vcc
	global_load_ushort v5, v[7:8], off
	v_add_u32_e32 v4, 0x100, v4
.LBB99_11:
	s_or_b64 exec, exec, s[6:7]
	v_cmp_gt_i32_e32 vcc, s12, v4
	v_mov_b32_e32 v7, 0
	v_mov_b32_e32 v8, 0
	s_and_saveexec_b64 s[6:7], vcc
	s_cbranch_execz .LBB99_13
; %bb.12:
	v_add_u32_e32 v8, s4, v4
	v_mov_b32_e32 v9, 0
	v_lshlrev_b64 v[8:9], 1, v[8:9]
	v_mov_b32_e32 v10, s11
	v_add_co_u32_e32 v8, vcc, s10, v8
	v_addc_co_u32_e32 v9, vcc, v10, v9, vcc
	global_load_ushort v8, v[8:9], off
	v_add_u32_e32 v4, 0x100, v4
.LBB99_13:
	;; [unrolled: 30-line block ×3, first 2 shown]
	s_or_b64 exec, exec, s[6:7]
	v_cmp_gt_i32_e32 vcc, s12, v4
	s_and_saveexec_b64 s[6:7], vcc
	s_cbranch_execz .LBB99_19
; %bb.18:
	v_add_u32_e32 v11, s4, v4
	v_mov_b32_e32 v12, 0
	v_lshlrev_b64 v[11:12], 1, v[11:12]
	v_mov_b32_e32 v4, s11
	v_add_co_u32_e32 v11, vcc, s10, v11
	v_addc_co_u32_e32 v12, vcc, v4, v12, vcc
	global_load_ushort v9, v[11:12], off
.LBB99_19:
	s_or_b64 exec, exec, s[6:7]
	s_lshr_b32 s3, s3, 16
	s_cmp_gt_i32 s13, s2
	v_mov_b32_e32 v13, s3
	s_cselect_b64 s[2:3], -1, 0
	s_mov_b64 vcc, s[0:1]
	s_waitcnt vmcnt(0)
	v_cndmask_b32_e64 v4, v13, v2, s[2:3]
	v_mov_b32_e32 v2, 0
	v_cndmask_b32_sdwa v4, v2, v4, vcc dst_sel:DWORD dst_unused:UNUSED_PAD src0_sel:DWORD src1_sel:WORD_0
	v_or_b32_e32 v12, 0x100, v0
	v_cndmask_b32_e64 v3, v13, v3, s[2:3]
	s_mov_b32 s5, 0x5040100
	v_perm_b32 v3, v3, v4, s5
	v_cmp_gt_i32_e32 vcc, s12, v12
	v_cndmask_b32_e32 v11, v4, v3, vcc
	v_or_b32_e32 v3, 0x200, v0
	v_cndmask_b32_e64 v4, v13, v6, s[2:3]
	v_and_b32_e32 v4, 0xffff, v4
	v_cmp_gt_i32_e32 vcc, s12, v3
	v_cndmask_b32_e32 v3, 0, v4, vcc
	v_or_b32_e32 v4, 0x300, v0
	v_cndmask_b32_e64 v5, v13, v5, s[2:3]
	v_perm_b32 v5, v5, v3, s5
	v_cmp_gt_i32_e32 vcc, s12, v4
	v_cndmask_b32_e32 v5, v3, v5, vcc
	v_or_b32_e32 v3, 0x400, v0
	v_cndmask_b32_e64 v4, v13, v8, s[2:3]
	v_and_b32_e32 v4, 0xffff, v4
	v_cmp_gt_i32_e32 vcc, s12, v3
	v_cndmask_b32_e32 v3, 0, v4, vcc
	v_or_b32_e32 v4, 0x500, v0
	v_cndmask_b32_e64 v6, v13, v7, s[2:3]
	v_perm_b32 v6, v6, v3, s5
	v_cmp_gt_i32_e32 vcc, s12, v4
	v_cndmask_b32_e32 v4, v3, v6, vcc
	v_or_b32_e32 v3, 0x600, v0
	v_cmp_gt_i32_e32 vcc, s12, v3
	v_cndmask_b32_e64 v3, v13, v10, s[2:3]
	v_cndmask_b32_sdwa v3, v2, v3, vcc dst_sel:DWORD dst_unused:UNUSED_PAD src0_sel:DWORD src1_sel:WORD_0
	v_or_b32_e32 v6, 0x700, v0
	v_cndmask_b32_e64 v7, v13, v9, s[2:3]
	v_perm_b32 v7, v7, v3, s5
	v_cmp_gt_i32_e32 vcc, s12, v6
	v_cndmask_b32_e32 v3, v3, v7, vcc
	s_and_saveexec_b64 s[2:3], s[0:1]
	s_cbranch_execnz .LBB99_29
; %bb.20:
	s_or_b64 exec, exec, s[2:3]
	v_cmp_gt_i32_e32 vcc, s12, v0
	s_and_saveexec_b64 s[0:1], vcc
	s_cbranch_execnz .LBB99_30
.LBB99_21:
	s_or_b64 exec, exec, s[0:1]
	v_cmp_gt_i32_e32 vcc, s12, v0
	s_and_saveexec_b64 s[0:1], vcc
	s_cbranch_execnz .LBB99_31
.LBB99_22:
	s_or_b64 exec, exec, s[0:1]
	v_cmp_gt_i32_e32 vcc, s12, v0
	s_and_saveexec_b64 s[0:1], vcc
	s_cbranch_execnz .LBB99_32
.LBB99_23:
	s_or_b64 exec, exec, s[0:1]
	v_cmp_gt_i32_e32 vcc, s12, v0
	s_and_saveexec_b64 s[0:1], vcc
	s_cbranch_execnz .LBB99_33
.LBB99_24:
	s_or_b64 exec, exec, s[0:1]
	v_cmp_gt_i32_e32 vcc, s12, v0
	s_and_saveexec_b64 s[0:1], vcc
	s_cbranch_execnz .LBB99_34
.LBB99_25:
	s_or_b64 exec, exec, s[0:1]
	v_cmp_gt_i32_e32 vcc, s12, v0
	s_and_saveexec_b64 s[0:1], vcc
	s_cbranch_execnz .LBB99_35
.LBB99_26:
	s_or_b64 exec, exec, s[0:1]
	v_cmp_gt_i32_e32 vcc, s12, v0
	s_and_saveexec_b64 s[0:1], vcc
	s_cbranch_execz .LBB99_28
.LBB99_27:
	v_add_u32_e32 v0, s4, v0
	v_mov_b32_e32 v1, 0
	v_lshlrev_b64 v[0:1], 1, v[0:1]
	v_mov_b32_e32 v2, s9
	v_add_co_u32_e32 v0, vcc, s8, v0
	v_addc_co_u32_e32 v1, vcc, v2, v1, vcc
	global_store_short_d16_hi v[0:1], v3, off
.LBB99_28:
	s_endpgm
.LBB99_29:
	v_lshlrev_b64 v[0:1], 1, v[1:2]
	v_mov_b32_e32 v2, s9
	v_add_co_u32_e32 v0, vcc, s8, v0
	v_addc_co_u32_e32 v1, vcc, v2, v1, vcc
	global_store_short v[0:1], v11, off
	v_mov_b32_e32 v0, v12
	s_or_b64 exec, exec, s[2:3]
	v_cmp_gt_i32_e32 vcc, s12, v0
	s_and_saveexec_b64 s[0:1], vcc
	s_cbranch_execz .LBB99_21
.LBB99_30:
	v_add_u32_e32 v1, s4, v0
	v_mov_b32_e32 v2, 0
	v_lshlrev_b64 v[1:2], 1, v[1:2]
	v_mov_b32_e32 v6, s9
	v_add_co_u32_e32 v1, vcc, s8, v1
	v_addc_co_u32_e32 v2, vcc, v6, v2, vcc
	v_add_u32_e32 v0, 0x100, v0
	global_store_short_d16_hi v[1:2], v11, off
	s_or_b64 exec, exec, s[0:1]
	v_cmp_gt_i32_e32 vcc, s12, v0
	s_and_saveexec_b64 s[0:1], vcc
	s_cbranch_execz .LBB99_22
.LBB99_31:
	v_add_u32_e32 v1, s4, v0
	v_mov_b32_e32 v2, 0
	v_lshlrev_b64 v[1:2], 1, v[1:2]
	v_mov_b32_e32 v6, s9
	v_add_co_u32_e32 v1, vcc, s8, v1
	v_addc_co_u32_e32 v2, vcc, v6, v2, vcc
	v_add_u32_e32 v0, 0x100, v0
	global_store_short v[1:2], v5, off
	s_or_b64 exec, exec, s[0:1]
	v_cmp_gt_i32_e32 vcc, s12, v0
	s_and_saveexec_b64 s[0:1], vcc
	s_cbranch_execz .LBB99_23
.LBB99_32:
	v_add_u32_e32 v1, s4, v0
	v_mov_b32_e32 v2, 0
	v_lshlrev_b64 v[1:2], 1, v[1:2]
	v_mov_b32_e32 v6, s9
	v_add_co_u32_e32 v1, vcc, s8, v1
	v_addc_co_u32_e32 v2, vcc, v6, v2, vcc
	v_add_u32_e32 v0, 0x100, v0
	global_store_short_d16_hi v[1:2], v5, off
	s_or_b64 exec, exec, s[0:1]
	v_cmp_gt_i32_e32 vcc, s12, v0
	s_and_saveexec_b64 s[0:1], vcc
	s_cbranch_execz .LBB99_24
.LBB99_33:
	v_add_u32_e32 v1, s4, v0
	v_mov_b32_e32 v2, 0
	v_lshlrev_b64 v[1:2], 1, v[1:2]
	v_mov_b32_e32 v5, s9
	v_add_co_u32_e32 v1, vcc, s8, v1
	v_addc_co_u32_e32 v2, vcc, v5, v2, vcc
	v_add_u32_e32 v0, 0x100, v0
	global_store_short v[1:2], v4, off
	s_or_b64 exec, exec, s[0:1]
	v_cmp_gt_i32_e32 vcc, s12, v0
	s_and_saveexec_b64 s[0:1], vcc
	s_cbranch_execz .LBB99_25
.LBB99_34:
	v_add_u32_e32 v1, s4, v0
	v_mov_b32_e32 v2, 0
	v_lshlrev_b64 v[1:2], 1, v[1:2]
	v_mov_b32_e32 v5, s9
	v_add_co_u32_e32 v1, vcc, s8, v1
	v_addc_co_u32_e32 v2, vcc, v5, v2, vcc
	v_add_u32_e32 v0, 0x100, v0
	global_store_short_d16_hi v[1:2], v4, off
	s_or_b64 exec, exec, s[0:1]
	v_cmp_gt_i32_e32 vcc, s12, v0
	s_and_saveexec_b64 s[0:1], vcc
	s_cbranch_execz .LBB99_26
.LBB99_35:
	v_add_u32_e32 v1, s4, v0
	v_mov_b32_e32 v2, 0
	v_lshlrev_b64 v[1:2], 1, v[1:2]
	v_mov_b32_e32 v4, s9
	v_add_co_u32_e32 v1, vcc, s8, v1
	v_addc_co_u32_e32 v2, vcc, v4, v2, vcc
	v_add_u32_e32 v0, 0x100, v0
	global_store_short v[1:2], v3, off
	s_or_b64 exec, exec, s[0:1]
	v_cmp_gt_i32_e32 vcc, s12, v0
	s_and_saveexec_b64 s[0:1], vcc
	s_cbranch_execnz .LBB99_27
	s_branch .LBB99_28
	.section	.rodata,"a",@progbits
	.p2align	6, 0x0
	.amdhsa_kernel _ZN2at6native29vectorized_elementwise_kernelILi2ENS0_13AUnaryFunctorIsssZNS0_12_GLOBAL__N_121threshold_kernel_implIsEEvRNS_18TensorIteratorBaseET_S7_EUlssE_EESt5arrayIPcLm2EEEEviT0_T1_
		.amdhsa_group_segment_fixed_size 0
		.amdhsa_private_segment_fixed_size 0
		.amdhsa_kernarg_size 32
		.amdhsa_user_sgpr_count 6
		.amdhsa_user_sgpr_private_segment_buffer 1
		.amdhsa_user_sgpr_dispatch_ptr 0
		.amdhsa_user_sgpr_queue_ptr 0
		.amdhsa_user_sgpr_kernarg_segment_ptr 1
		.amdhsa_user_sgpr_dispatch_id 0
		.amdhsa_user_sgpr_flat_scratch_init 0
		.amdhsa_user_sgpr_private_segment_size 0
		.amdhsa_uses_dynamic_stack 0
		.amdhsa_system_sgpr_private_segment_wavefront_offset 0
		.amdhsa_system_sgpr_workgroup_id_x 1
		.amdhsa_system_sgpr_workgroup_id_y 0
		.amdhsa_system_sgpr_workgroup_id_z 0
		.amdhsa_system_sgpr_workgroup_info 0
		.amdhsa_system_vgpr_workitem_id 0
		.amdhsa_next_free_vgpr 14
		.amdhsa_next_free_sgpr 15
		.amdhsa_reserve_vcc 1
		.amdhsa_reserve_flat_scratch 0
		.amdhsa_float_round_mode_32 0
		.amdhsa_float_round_mode_16_64 0
		.amdhsa_float_denorm_mode_32 3
		.amdhsa_float_denorm_mode_16_64 3
		.amdhsa_dx10_clamp 1
		.amdhsa_ieee_mode 1
		.amdhsa_fp16_overflow 0
		.amdhsa_exception_fp_ieee_invalid_op 0
		.amdhsa_exception_fp_denorm_src 0
		.amdhsa_exception_fp_ieee_div_zero 0
		.amdhsa_exception_fp_ieee_overflow 0
		.amdhsa_exception_fp_ieee_underflow 0
		.amdhsa_exception_fp_ieee_inexact 0
		.amdhsa_exception_int_div_zero 0
	.end_amdhsa_kernel
	.section	.text._ZN2at6native29vectorized_elementwise_kernelILi2ENS0_13AUnaryFunctorIsssZNS0_12_GLOBAL__N_121threshold_kernel_implIsEEvRNS_18TensorIteratorBaseET_S7_EUlssE_EESt5arrayIPcLm2EEEEviT0_T1_,"axG",@progbits,_ZN2at6native29vectorized_elementwise_kernelILi2ENS0_13AUnaryFunctorIsssZNS0_12_GLOBAL__N_121threshold_kernel_implIsEEvRNS_18TensorIteratorBaseET_S7_EUlssE_EESt5arrayIPcLm2EEEEviT0_T1_,comdat
.Lfunc_end99:
	.size	_ZN2at6native29vectorized_elementwise_kernelILi2ENS0_13AUnaryFunctorIsssZNS0_12_GLOBAL__N_121threshold_kernel_implIsEEvRNS_18TensorIteratorBaseET_S7_EUlssE_EESt5arrayIPcLm2EEEEviT0_T1_, .Lfunc_end99-_ZN2at6native29vectorized_elementwise_kernelILi2ENS0_13AUnaryFunctorIsssZNS0_12_GLOBAL__N_121threshold_kernel_implIsEEvRNS_18TensorIteratorBaseET_S7_EUlssE_EESt5arrayIPcLm2EEEEviT0_T1_
                                        ; -- End function
	.set _ZN2at6native29vectorized_elementwise_kernelILi2ENS0_13AUnaryFunctorIsssZNS0_12_GLOBAL__N_121threshold_kernel_implIsEEvRNS_18TensorIteratorBaseET_S7_EUlssE_EESt5arrayIPcLm2EEEEviT0_T1_.num_vgpr, 14
	.set _ZN2at6native29vectorized_elementwise_kernelILi2ENS0_13AUnaryFunctorIsssZNS0_12_GLOBAL__N_121threshold_kernel_implIsEEvRNS_18TensorIteratorBaseET_S7_EUlssE_EESt5arrayIPcLm2EEEEviT0_T1_.num_agpr, 0
	.set _ZN2at6native29vectorized_elementwise_kernelILi2ENS0_13AUnaryFunctorIsssZNS0_12_GLOBAL__N_121threshold_kernel_implIsEEvRNS_18TensorIteratorBaseET_S7_EUlssE_EESt5arrayIPcLm2EEEEviT0_T1_.numbered_sgpr, 15
	.set _ZN2at6native29vectorized_elementwise_kernelILi2ENS0_13AUnaryFunctorIsssZNS0_12_GLOBAL__N_121threshold_kernel_implIsEEvRNS_18TensorIteratorBaseET_S7_EUlssE_EESt5arrayIPcLm2EEEEviT0_T1_.num_named_barrier, 0
	.set _ZN2at6native29vectorized_elementwise_kernelILi2ENS0_13AUnaryFunctorIsssZNS0_12_GLOBAL__N_121threshold_kernel_implIsEEvRNS_18TensorIteratorBaseET_S7_EUlssE_EESt5arrayIPcLm2EEEEviT0_T1_.private_seg_size, 0
	.set _ZN2at6native29vectorized_elementwise_kernelILi2ENS0_13AUnaryFunctorIsssZNS0_12_GLOBAL__N_121threshold_kernel_implIsEEvRNS_18TensorIteratorBaseET_S7_EUlssE_EESt5arrayIPcLm2EEEEviT0_T1_.uses_vcc, 1
	.set _ZN2at6native29vectorized_elementwise_kernelILi2ENS0_13AUnaryFunctorIsssZNS0_12_GLOBAL__N_121threshold_kernel_implIsEEvRNS_18TensorIteratorBaseET_S7_EUlssE_EESt5arrayIPcLm2EEEEviT0_T1_.uses_flat_scratch, 0
	.set _ZN2at6native29vectorized_elementwise_kernelILi2ENS0_13AUnaryFunctorIsssZNS0_12_GLOBAL__N_121threshold_kernel_implIsEEvRNS_18TensorIteratorBaseET_S7_EUlssE_EESt5arrayIPcLm2EEEEviT0_T1_.has_dyn_sized_stack, 0
	.set _ZN2at6native29vectorized_elementwise_kernelILi2ENS0_13AUnaryFunctorIsssZNS0_12_GLOBAL__N_121threshold_kernel_implIsEEvRNS_18TensorIteratorBaseET_S7_EUlssE_EESt5arrayIPcLm2EEEEviT0_T1_.has_recursion, 0
	.set _ZN2at6native29vectorized_elementwise_kernelILi2ENS0_13AUnaryFunctorIsssZNS0_12_GLOBAL__N_121threshold_kernel_implIsEEvRNS_18TensorIteratorBaseET_S7_EUlssE_EESt5arrayIPcLm2EEEEviT0_T1_.has_indirect_call, 0
	.section	.AMDGPU.csdata,"",@progbits
; Kernel info:
; codeLenInByte = 1636
; TotalNumSgprs: 19
; NumVgprs: 14
; ScratchSize: 0
; MemoryBound: 0
; FloatMode: 240
; IeeeMode: 1
; LDSByteSize: 0 bytes/workgroup (compile time only)
; SGPRBlocks: 2
; VGPRBlocks: 3
; NumSGPRsForWavesPerEU: 19
; NumVGPRsForWavesPerEU: 14
; Occupancy: 10
; WaveLimiterHint : 1
; COMPUTE_PGM_RSRC2:SCRATCH_EN: 0
; COMPUTE_PGM_RSRC2:USER_SGPR: 6
; COMPUTE_PGM_RSRC2:TRAP_HANDLER: 0
; COMPUTE_PGM_RSRC2:TGID_X_EN: 1
; COMPUTE_PGM_RSRC2:TGID_Y_EN: 0
; COMPUTE_PGM_RSRC2:TGID_Z_EN: 0
; COMPUTE_PGM_RSRC2:TIDIG_COMP_CNT: 0
	.section	.text._ZN2at6native27unrolled_elementwise_kernelINS0_13AUnaryFunctorIsssZNS0_12_GLOBAL__N_121threshold_kernel_implIsEEvRNS_18TensorIteratorBaseET_S7_EUlssE_EESt5arrayIPcLm2EELi4E23TrivialOffsetCalculatorILi1EjESE_NS0_6memory15LoadWithoutCastENSF_16StoreWithoutCastEEEviS7_T0_T2_T3_T4_T5_,"axG",@progbits,_ZN2at6native27unrolled_elementwise_kernelINS0_13AUnaryFunctorIsssZNS0_12_GLOBAL__N_121threshold_kernel_implIsEEvRNS_18TensorIteratorBaseET_S7_EUlssE_EESt5arrayIPcLm2EELi4E23TrivialOffsetCalculatorILi1EjESE_NS0_6memory15LoadWithoutCastENSF_16StoreWithoutCastEEEviS7_T0_T2_T3_T4_T5_,comdat
	.globl	_ZN2at6native27unrolled_elementwise_kernelINS0_13AUnaryFunctorIsssZNS0_12_GLOBAL__N_121threshold_kernel_implIsEEvRNS_18TensorIteratorBaseET_S7_EUlssE_EESt5arrayIPcLm2EELi4E23TrivialOffsetCalculatorILi1EjESE_NS0_6memory15LoadWithoutCastENSF_16StoreWithoutCastEEEviS7_T0_T2_T3_T4_T5_ ; -- Begin function _ZN2at6native27unrolled_elementwise_kernelINS0_13AUnaryFunctorIsssZNS0_12_GLOBAL__N_121threshold_kernel_implIsEEvRNS_18TensorIteratorBaseET_S7_EUlssE_EESt5arrayIPcLm2EELi4E23TrivialOffsetCalculatorILi1EjESE_NS0_6memory15LoadWithoutCastENSF_16StoreWithoutCastEEEviS7_T0_T2_T3_T4_T5_
	.p2align	8
	.type	_ZN2at6native27unrolled_elementwise_kernelINS0_13AUnaryFunctorIsssZNS0_12_GLOBAL__N_121threshold_kernel_implIsEEvRNS_18TensorIteratorBaseET_S7_EUlssE_EESt5arrayIPcLm2EELi4E23TrivialOffsetCalculatorILi1EjESE_NS0_6memory15LoadWithoutCastENSF_16StoreWithoutCastEEEviS7_T0_T2_T3_T4_T5_,@function
_ZN2at6native27unrolled_elementwise_kernelINS0_13AUnaryFunctorIsssZNS0_12_GLOBAL__N_121threshold_kernel_implIsEEvRNS_18TensorIteratorBaseET_S7_EUlssE_EESt5arrayIPcLm2EELi4E23TrivialOffsetCalculatorILi1EjESE_NS0_6memory15LoadWithoutCastENSF_16StoreWithoutCastEEEviS7_T0_T2_T3_T4_T5_: ; @_ZN2at6native27unrolled_elementwise_kernelINS0_13AUnaryFunctorIsssZNS0_12_GLOBAL__N_121threshold_kernel_implIsEEvRNS_18TensorIteratorBaseET_S7_EUlssE_EESt5arrayIPcLm2EELi4E23TrivialOffsetCalculatorILi1EjESE_NS0_6memory15LoadWithoutCastENSF_16StoreWithoutCastEEEviS7_T0_T2_T3_T4_T5_
; %bb.0:
	s_load_dwordx2 s[2:3], s[4:5], 0x0
	s_load_dwordx4 s[8:11], s[4:5], 0x10
	s_lshl_b32 s12, s6, 10
	v_mov_b32_e32 v3, 0
	v_or_b32_e32 v1, s12, v0
	s_waitcnt lgkmcnt(0)
	s_sub_i32 s13, s2, s12
	v_cmp_gt_i32_e64 s[0:1], s13, v0
	v_mov_b32_e32 v2, 0
	v_mov_b32_e32 v4, v0
	s_and_saveexec_b64 s[6:7], s[0:1]
	s_cbranch_execz .LBB100_2
; %bb.1:
	v_mov_b32_e32 v2, 0
	v_lshlrev_b64 v[4:5], 1, v[1:2]
	v_mov_b32_e32 v2, s11
	v_add_co_u32_e32 v4, vcc, s10, v4
	v_addc_co_u32_e32 v5, vcc, v2, v5, vcc
	global_load_ushort v2, v[4:5], off
	v_or_b32_e32 v4, 0x100, v0
.LBB100_2:
	s_or_b64 exec, exec, s[6:7]
	v_cmp_gt_i32_e32 vcc, s13, v4
	s_and_saveexec_b64 s[6:7], vcc
	s_cbranch_execz .LBB100_4
; %bb.3:
	v_add_u32_e32 v5, s12, v4
	v_mov_b32_e32 v6, 0
	v_lshlrev_b64 v[5:6], 1, v[5:6]
	v_mov_b32_e32 v3, s11
	v_add_co_u32_e32 v5, vcc, s10, v5
	v_addc_co_u32_e32 v6, vcc, v3, v6, vcc
	global_load_ushort v3, v[5:6], off
	v_add_u32_e32 v4, 0x100, v4
.LBB100_4:
	s_or_b64 exec, exec, s[6:7]
	v_cmp_gt_i32_e32 vcc, s13, v4
	v_mov_b32_e32 v5, 0
	v_mov_b32_e32 v6, 0
	s_and_saveexec_b64 s[6:7], vcc
	s_cbranch_execz .LBB100_6
; %bb.5:
	v_add_u32_e32 v6, s12, v4
	v_mov_b32_e32 v7, 0
	v_lshlrev_b64 v[6:7], 1, v[6:7]
	v_mov_b32_e32 v8, s11
	v_add_co_u32_e32 v6, vcc, s10, v6
	v_addc_co_u32_e32 v7, vcc, v8, v7, vcc
	global_load_ushort v6, v[6:7], off
	v_add_u32_e32 v4, 0x100, v4
.LBB100_6:
	s_or_b64 exec, exec, s[6:7]
	s_load_dword s2, s[4:5], 0x8
	v_cmp_gt_i32_e32 vcc, s13, v4
	s_and_saveexec_b64 s[4:5], vcc
	s_cbranch_execz .LBB100_8
; %bb.7:
	v_add_u32_e32 v4, s12, v4
	v_mov_b32_e32 v5, 0
	v_lshlrev_b64 v[4:5], 1, v[4:5]
	v_mov_b32_e32 v7, s11
	v_add_co_u32_e32 v4, vcc, s10, v4
	v_addc_co_u32_e32 v5, vcc, v7, v5, vcc
	global_load_ushort v5, v[4:5], off
.LBB100_8:
	s_or_b64 exec, exec, s[4:5]
	s_lshr_b32 s4, s3, 16
	s_waitcnt lgkmcnt(0)
	s_sext_i32_i16 s2, s2
	s_sext_i32_i16 s3, s3
	s_cmp_gt_i32 s2, s3
	v_mov_b32_e32 v8, s4
	s_cselect_b64 s[2:3], -1, 0
	s_waitcnt vmcnt(0)
	v_cndmask_b32_e64 v2, v8, v2, s[2:3]
	v_and_b32_e32 v2, 0xffff, v2
	v_cndmask_b32_e64 v2, 0, v2, s[0:1]
	v_or_b32_e32 v7, 0x100, v0
	v_cndmask_b32_e64 v3, v8, v3, s[2:3]
	s_mov_b32 s4, 0x5040100
	v_perm_b32 v3, v3, v2, s4
	v_cmp_gt_i32_e32 vcc, s13, v7
	v_cndmask_b32_e32 v4, v2, v3, vcc
	v_or_b32_e32 v2, 0x200, v0
	v_cmp_gt_i32_e32 vcc, s13, v2
	v_cndmask_b32_e64 v3, v8, v6, s[2:3]
	v_mov_b32_e32 v2, 0
	v_cndmask_b32_sdwa v3, v2, v3, vcc dst_sel:DWORD dst_unused:UNUSED_PAD src0_sel:DWORD src1_sel:WORD_0
	v_or_b32_e32 v6, 0x300, v0
	v_cndmask_b32_e64 v5, v8, v5, s[2:3]
	v_perm_b32 v5, v5, v3, s4
	v_cmp_gt_i32_e32 vcc, s13, v6
	v_cndmask_b32_e32 v3, v3, v5, vcc
	s_and_saveexec_b64 s[2:3], s[0:1]
	s_cbranch_execnz .LBB100_13
; %bb.9:
	s_or_b64 exec, exec, s[2:3]
	v_cmp_gt_i32_e32 vcc, s13, v0
	s_and_saveexec_b64 s[0:1], vcc
	s_cbranch_execnz .LBB100_14
.LBB100_10:
	s_or_b64 exec, exec, s[0:1]
	v_cmp_gt_i32_e32 vcc, s13, v0
	s_and_saveexec_b64 s[0:1], vcc
	s_cbranch_execnz .LBB100_15
.LBB100_11:
	s_or_b64 exec, exec, s[0:1]
	v_cmp_gt_i32_e32 vcc, s13, v0
	s_and_saveexec_b64 s[0:1], vcc
	s_cbranch_execnz .LBB100_16
.LBB100_12:
	s_endpgm
.LBB100_13:
	v_lshlrev_b64 v[0:1], 1, v[1:2]
	v_mov_b32_e32 v2, s9
	v_add_co_u32_e32 v0, vcc, s8, v0
	v_addc_co_u32_e32 v1, vcc, v2, v1, vcc
	global_store_short v[0:1], v4, off
	v_mov_b32_e32 v0, v7
	s_or_b64 exec, exec, s[2:3]
	v_cmp_gt_i32_e32 vcc, s13, v0
	s_and_saveexec_b64 s[0:1], vcc
	s_cbranch_execz .LBB100_10
.LBB100_14:
	v_add_u32_e32 v2, 0x100, v0
	v_add_u32_e32 v0, s12, v0
	v_mov_b32_e32 v1, 0
	v_lshlrev_b64 v[0:1], 1, v[0:1]
	v_mov_b32_e32 v5, s9
	v_add_co_u32_e32 v0, vcc, s8, v0
	v_addc_co_u32_e32 v1, vcc, v5, v1, vcc
	global_store_short_d16_hi v[0:1], v4, off
	v_mov_b32_e32 v0, v2
	s_or_b64 exec, exec, s[0:1]
	v_cmp_gt_i32_e32 vcc, s13, v0
	s_and_saveexec_b64 s[0:1], vcc
	s_cbranch_execz .LBB100_11
.LBB100_15:
	v_add_u32_e32 v2, 0x100, v0
	v_add_u32_e32 v0, s12, v0
	v_mov_b32_e32 v1, 0
	v_lshlrev_b64 v[0:1], 1, v[0:1]
	v_mov_b32_e32 v4, s9
	v_add_co_u32_e32 v0, vcc, s8, v0
	v_addc_co_u32_e32 v1, vcc, v4, v1, vcc
	global_store_short v[0:1], v3, off
	v_mov_b32_e32 v0, v2
	s_or_b64 exec, exec, s[0:1]
	v_cmp_gt_i32_e32 vcc, s13, v0
	s_and_saveexec_b64 s[0:1], vcc
	s_cbranch_execz .LBB100_12
.LBB100_16:
	v_add_u32_e32 v0, s12, v0
	v_mov_b32_e32 v1, 0
	v_lshlrev_b64 v[0:1], 1, v[0:1]
	v_mov_b32_e32 v2, s9
	v_add_co_u32_e32 v0, vcc, s8, v0
	v_addc_co_u32_e32 v1, vcc, v2, v1, vcc
	global_store_short_d16_hi v[0:1], v3, off
	s_endpgm
	.section	.rodata,"a",@progbits
	.p2align	6, 0x0
	.amdhsa_kernel _ZN2at6native27unrolled_elementwise_kernelINS0_13AUnaryFunctorIsssZNS0_12_GLOBAL__N_121threshold_kernel_implIsEEvRNS_18TensorIteratorBaseET_S7_EUlssE_EESt5arrayIPcLm2EELi4E23TrivialOffsetCalculatorILi1EjESE_NS0_6memory15LoadWithoutCastENSF_16StoreWithoutCastEEEviS7_T0_T2_T3_T4_T5_
		.amdhsa_group_segment_fixed_size 0
		.amdhsa_private_segment_fixed_size 0
		.amdhsa_kernarg_size 36
		.amdhsa_user_sgpr_count 6
		.amdhsa_user_sgpr_private_segment_buffer 1
		.amdhsa_user_sgpr_dispatch_ptr 0
		.amdhsa_user_sgpr_queue_ptr 0
		.amdhsa_user_sgpr_kernarg_segment_ptr 1
		.amdhsa_user_sgpr_dispatch_id 0
		.amdhsa_user_sgpr_flat_scratch_init 0
		.amdhsa_user_sgpr_private_segment_size 0
		.amdhsa_uses_dynamic_stack 0
		.amdhsa_system_sgpr_private_segment_wavefront_offset 0
		.amdhsa_system_sgpr_workgroup_id_x 1
		.amdhsa_system_sgpr_workgroup_id_y 0
		.amdhsa_system_sgpr_workgroup_id_z 0
		.amdhsa_system_sgpr_workgroup_info 0
		.amdhsa_system_vgpr_workitem_id 0
		.amdhsa_next_free_vgpr 9
		.amdhsa_next_free_sgpr 14
		.amdhsa_reserve_vcc 1
		.amdhsa_reserve_flat_scratch 0
		.amdhsa_float_round_mode_32 0
		.amdhsa_float_round_mode_16_64 0
		.amdhsa_float_denorm_mode_32 3
		.amdhsa_float_denorm_mode_16_64 3
		.amdhsa_dx10_clamp 1
		.amdhsa_ieee_mode 1
		.amdhsa_fp16_overflow 0
		.amdhsa_exception_fp_ieee_invalid_op 0
		.amdhsa_exception_fp_denorm_src 0
		.amdhsa_exception_fp_ieee_div_zero 0
		.amdhsa_exception_fp_ieee_overflow 0
		.amdhsa_exception_fp_ieee_underflow 0
		.amdhsa_exception_fp_ieee_inexact 0
		.amdhsa_exception_int_div_zero 0
	.end_amdhsa_kernel
	.section	.text._ZN2at6native27unrolled_elementwise_kernelINS0_13AUnaryFunctorIsssZNS0_12_GLOBAL__N_121threshold_kernel_implIsEEvRNS_18TensorIteratorBaseET_S7_EUlssE_EESt5arrayIPcLm2EELi4E23TrivialOffsetCalculatorILi1EjESE_NS0_6memory15LoadWithoutCastENSF_16StoreWithoutCastEEEviS7_T0_T2_T3_T4_T5_,"axG",@progbits,_ZN2at6native27unrolled_elementwise_kernelINS0_13AUnaryFunctorIsssZNS0_12_GLOBAL__N_121threshold_kernel_implIsEEvRNS_18TensorIteratorBaseET_S7_EUlssE_EESt5arrayIPcLm2EELi4E23TrivialOffsetCalculatorILi1EjESE_NS0_6memory15LoadWithoutCastENSF_16StoreWithoutCastEEEviS7_T0_T2_T3_T4_T5_,comdat
.Lfunc_end100:
	.size	_ZN2at6native27unrolled_elementwise_kernelINS0_13AUnaryFunctorIsssZNS0_12_GLOBAL__N_121threshold_kernel_implIsEEvRNS_18TensorIteratorBaseET_S7_EUlssE_EESt5arrayIPcLm2EELi4E23TrivialOffsetCalculatorILi1EjESE_NS0_6memory15LoadWithoutCastENSF_16StoreWithoutCastEEEviS7_T0_T2_T3_T4_T5_, .Lfunc_end100-_ZN2at6native27unrolled_elementwise_kernelINS0_13AUnaryFunctorIsssZNS0_12_GLOBAL__N_121threshold_kernel_implIsEEvRNS_18TensorIteratorBaseET_S7_EUlssE_EESt5arrayIPcLm2EELi4E23TrivialOffsetCalculatorILi1EjESE_NS0_6memory15LoadWithoutCastENSF_16StoreWithoutCastEEEviS7_T0_T2_T3_T4_T5_
                                        ; -- End function
	.set _ZN2at6native27unrolled_elementwise_kernelINS0_13AUnaryFunctorIsssZNS0_12_GLOBAL__N_121threshold_kernel_implIsEEvRNS_18TensorIteratorBaseET_S7_EUlssE_EESt5arrayIPcLm2EELi4E23TrivialOffsetCalculatorILi1EjESE_NS0_6memory15LoadWithoutCastENSF_16StoreWithoutCastEEEviS7_T0_T2_T3_T4_T5_.num_vgpr, 9
	.set _ZN2at6native27unrolled_elementwise_kernelINS0_13AUnaryFunctorIsssZNS0_12_GLOBAL__N_121threshold_kernel_implIsEEvRNS_18TensorIteratorBaseET_S7_EUlssE_EESt5arrayIPcLm2EELi4E23TrivialOffsetCalculatorILi1EjESE_NS0_6memory15LoadWithoutCastENSF_16StoreWithoutCastEEEviS7_T0_T2_T3_T4_T5_.num_agpr, 0
	.set _ZN2at6native27unrolled_elementwise_kernelINS0_13AUnaryFunctorIsssZNS0_12_GLOBAL__N_121threshold_kernel_implIsEEvRNS_18TensorIteratorBaseET_S7_EUlssE_EESt5arrayIPcLm2EELi4E23TrivialOffsetCalculatorILi1EjESE_NS0_6memory15LoadWithoutCastENSF_16StoreWithoutCastEEEviS7_T0_T2_T3_T4_T5_.numbered_sgpr, 14
	.set _ZN2at6native27unrolled_elementwise_kernelINS0_13AUnaryFunctorIsssZNS0_12_GLOBAL__N_121threshold_kernel_implIsEEvRNS_18TensorIteratorBaseET_S7_EUlssE_EESt5arrayIPcLm2EELi4E23TrivialOffsetCalculatorILi1EjESE_NS0_6memory15LoadWithoutCastENSF_16StoreWithoutCastEEEviS7_T0_T2_T3_T4_T5_.num_named_barrier, 0
	.set _ZN2at6native27unrolled_elementwise_kernelINS0_13AUnaryFunctorIsssZNS0_12_GLOBAL__N_121threshold_kernel_implIsEEvRNS_18TensorIteratorBaseET_S7_EUlssE_EESt5arrayIPcLm2EELi4E23TrivialOffsetCalculatorILi1EjESE_NS0_6memory15LoadWithoutCastENSF_16StoreWithoutCastEEEviS7_T0_T2_T3_T4_T5_.private_seg_size, 0
	.set _ZN2at6native27unrolled_elementwise_kernelINS0_13AUnaryFunctorIsssZNS0_12_GLOBAL__N_121threshold_kernel_implIsEEvRNS_18TensorIteratorBaseET_S7_EUlssE_EESt5arrayIPcLm2EELi4E23TrivialOffsetCalculatorILi1EjESE_NS0_6memory15LoadWithoutCastENSF_16StoreWithoutCastEEEviS7_T0_T2_T3_T4_T5_.uses_vcc, 1
	.set _ZN2at6native27unrolled_elementwise_kernelINS0_13AUnaryFunctorIsssZNS0_12_GLOBAL__N_121threshold_kernel_implIsEEvRNS_18TensorIteratorBaseET_S7_EUlssE_EESt5arrayIPcLm2EELi4E23TrivialOffsetCalculatorILi1EjESE_NS0_6memory15LoadWithoutCastENSF_16StoreWithoutCastEEEviS7_T0_T2_T3_T4_T5_.uses_flat_scratch, 0
	.set _ZN2at6native27unrolled_elementwise_kernelINS0_13AUnaryFunctorIsssZNS0_12_GLOBAL__N_121threshold_kernel_implIsEEvRNS_18TensorIteratorBaseET_S7_EUlssE_EESt5arrayIPcLm2EELi4E23TrivialOffsetCalculatorILi1EjESE_NS0_6memory15LoadWithoutCastENSF_16StoreWithoutCastEEEviS7_T0_T2_T3_T4_T5_.has_dyn_sized_stack, 0
	.set _ZN2at6native27unrolled_elementwise_kernelINS0_13AUnaryFunctorIsssZNS0_12_GLOBAL__N_121threshold_kernel_implIsEEvRNS_18TensorIteratorBaseET_S7_EUlssE_EESt5arrayIPcLm2EELi4E23TrivialOffsetCalculatorILi1EjESE_NS0_6memory15LoadWithoutCastENSF_16StoreWithoutCastEEEviS7_T0_T2_T3_T4_T5_.has_recursion, 0
	.set _ZN2at6native27unrolled_elementwise_kernelINS0_13AUnaryFunctorIsssZNS0_12_GLOBAL__N_121threshold_kernel_implIsEEvRNS_18TensorIteratorBaseET_S7_EUlssE_EESt5arrayIPcLm2EELi4E23TrivialOffsetCalculatorILi1EjESE_NS0_6memory15LoadWithoutCastENSF_16StoreWithoutCastEEEviS7_T0_T2_T3_T4_T5_.has_indirect_call, 0
	.section	.AMDGPU.csdata,"",@progbits
; Kernel info:
; codeLenInByte = 728
; TotalNumSgprs: 18
; NumVgprs: 9
; ScratchSize: 0
; MemoryBound: 0
; FloatMode: 240
; IeeeMode: 1
; LDSByteSize: 0 bytes/workgroup (compile time only)
; SGPRBlocks: 2
; VGPRBlocks: 2
; NumSGPRsForWavesPerEU: 18
; NumVGPRsForWavesPerEU: 9
; Occupancy: 10
; WaveLimiterHint : 0
; COMPUTE_PGM_RSRC2:SCRATCH_EN: 0
; COMPUTE_PGM_RSRC2:USER_SGPR: 6
; COMPUTE_PGM_RSRC2:TRAP_HANDLER: 0
; COMPUTE_PGM_RSRC2:TGID_X_EN: 1
; COMPUTE_PGM_RSRC2:TGID_Y_EN: 0
; COMPUTE_PGM_RSRC2:TGID_Z_EN: 0
; COMPUTE_PGM_RSRC2:TIDIG_COMP_CNT: 0
	.section	.text._ZN2at6native32elementwise_kernel_manual_unrollILi128ELi8EZNS0_22gpu_kernel_impl_nocastINS0_13AUnaryFunctorIsssZNS0_12_GLOBAL__N_121threshold_kernel_implIsEEvRNS_18TensorIteratorBaseET_S8_EUlssE_EEEEvS7_RKS8_EUlibE_EEviT1_,"axG",@progbits,_ZN2at6native32elementwise_kernel_manual_unrollILi128ELi8EZNS0_22gpu_kernel_impl_nocastINS0_13AUnaryFunctorIsssZNS0_12_GLOBAL__N_121threshold_kernel_implIsEEvRNS_18TensorIteratorBaseET_S8_EUlssE_EEEEvS7_RKS8_EUlibE_EEviT1_,comdat
	.globl	_ZN2at6native32elementwise_kernel_manual_unrollILi128ELi8EZNS0_22gpu_kernel_impl_nocastINS0_13AUnaryFunctorIsssZNS0_12_GLOBAL__N_121threshold_kernel_implIsEEvRNS_18TensorIteratorBaseET_S8_EUlssE_EEEEvS7_RKS8_EUlibE_EEviT1_ ; -- Begin function _ZN2at6native32elementwise_kernel_manual_unrollILi128ELi8EZNS0_22gpu_kernel_impl_nocastINS0_13AUnaryFunctorIsssZNS0_12_GLOBAL__N_121threshold_kernel_implIsEEvRNS_18TensorIteratorBaseET_S8_EUlssE_EEEEvS7_RKS8_EUlibE_EEviT1_
	.p2align	8
	.type	_ZN2at6native32elementwise_kernel_manual_unrollILi128ELi8EZNS0_22gpu_kernel_impl_nocastINS0_13AUnaryFunctorIsssZNS0_12_GLOBAL__N_121threshold_kernel_implIsEEvRNS_18TensorIteratorBaseET_S8_EUlssE_EEEEvS7_RKS8_EUlibE_EEviT1_,@function
_ZN2at6native32elementwise_kernel_manual_unrollILi128ELi8EZNS0_22gpu_kernel_impl_nocastINS0_13AUnaryFunctorIsssZNS0_12_GLOBAL__N_121threshold_kernel_implIsEEvRNS_18TensorIteratorBaseET_S8_EUlssE_EEEEvS7_RKS8_EUlibE_EEviT1_: ; @_ZN2at6native32elementwise_kernel_manual_unrollILi128ELi8EZNS0_22gpu_kernel_impl_nocastINS0_13AUnaryFunctorIsssZNS0_12_GLOBAL__N_121threshold_kernel_implIsEEvRNS_18TensorIteratorBaseET_S8_EUlssE_EEEEvS7_RKS8_EUlibE_EEviT1_
; %bb.0:
	s_load_dword s58, s[4:5], 0x0
	s_load_dword s33, s[4:5], 0x8
	s_add_u32 s34, s4, 8
	s_addc_u32 s35, s5, 0
	v_lshl_or_b32 v19, s6, 10, v0
	v_or_b32_e32 v25, 0x380, v19
	s_waitcnt lgkmcnt(0)
	s_add_i32 s56, s33, -1
	s_cmp_gt_u32 s56, 1
	v_cmp_le_i32_e32 vcc, s58, v25
	s_cselect_b64 s[2:3], -1, 0
	s_and_saveexec_b64 s[0:1], vcc
	s_xor_b64 s[40:41], exec, s[0:1]
	s_cbranch_execz .LBB101_7
; %bb.1:
	s_load_dwordx4 s[24:27], s[34:35], 0x4
	s_load_dwordx2 s[42:43], s[34:35], 0x14
	s_load_dwordx2 s[0:1], s[34:35], 0x158
	s_cmp_lg_u32 s33, 0
	s_cselect_b64 s[48:49], -1, 0
	s_add_u32 s46, s34, 0xc4
	s_addc_u32 s47, s35, 0
	s_min_u32 s59, s56, 15
	s_load_dwordx4 s[28:31], s[34:35], 0xc4
	s_load_dwordx4 s[20:23], s[34:35], 0x148
	s_cmp_gt_u32 s33, 1
	s_cselect_b64 s[44:45], -1, 0
	s_waitcnt lgkmcnt(0)
	s_lshr_b32 s57, s0, 16
	s_sext_i32_i16 s0, s0
	s_sext_i32_i16 s1, s1
	s_cmp_gt_i32 s1, s0
	s_cselect_b64 s[0:1], -1, 0
	v_cmp_gt_i32_e32 vcc, s58, v19
	s_and_saveexec_b64 s[50:51], vcc
	s_cbranch_execz .LBB101_14
; %bb.2:
	s_andn2_b64 vcc, exec, s[2:3]
	s_cbranch_vccnz .LBB101_21
; %bb.3:
	s_andn2_b64 vcc, exec, s[48:49]
	s_cbranch_vccnz .LBB101_129
; %bb.4:
	s_add_i32 s61, s59, 1
	s_cmp_eq_u32 s56, 2
	s_cbranch_scc1 .LBB101_131
; %bb.5:
	s_and_b32 s60, s61, 28
	v_mov_b32_e32 v2, 0
	s_mov_b32 s62, 0
	s_mov_b64 s[52:53], s[34:35]
	s_mov_b64 s[54:55], s[46:47]
	v_mov_b32_e32 v0, 0
	v_mov_b32_e32 v1, v19
.LBB101_6:                              ; =>This Inner Loop Header: Depth=1
	s_load_dwordx8 s[12:19], s[52:53], 0x4
	s_load_dwordx4 s[36:39], s[52:53], 0x24
	s_load_dwordx8 s[4:11], s[54:55], 0x0
	s_add_u32 s52, s52, 48
	s_addc_u32 s53, s53, 0
	s_waitcnt lgkmcnt(0)
	v_mul_hi_u32 v3, s13, v1
	s_add_i32 s62, s62, 4
	s_add_u32 s54, s54, 32
	s_addc_u32 s55, s55, 0
	v_add_u32_e32 v3, v1, v3
	v_lshrrev_b32_e32 v3, s14, v3
	v_mul_lo_u32 v4, v3, s12
	v_mul_hi_u32 v5, s16, v3
	s_cmp_lg_u32 s60, s62
	v_sub_u32_e32 v1, v1, v4
	v_add_u32_e32 v4, v3, v5
	v_mul_lo_u32 v5, v1, s4
	v_mul_lo_u32 v6, v1, s5
	v_lshrrev_b32_e32 v1, s17, v4
	v_mul_lo_u32 v4, v1, s15
	v_mul_hi_u32 v7, s19, v1
	v_sub_u32_e32 v3, v3, v4
	v_add_u32_e32 v4, v1, v7
	v_lshrrev_b32_e32 v4, s36, v4
	v_mul_hi_u32 v8, s38, v4
	v_mul_lo_u32 v9, v4, s18
	v_mul_lo_u32 v7, v3, s6
	;; [unrolled: 1-line block ×3, first 2 shown]
	v_sub_u32_e32 v9, v1, v9
	v_add_u32_e32 v1, v4, v8
	v_lshrrev_b32_e32 v1, s39, v1
	v_mul_lo_u32 v8, v1, s37
	v_mul_lo_u32 v10, v9, s8
	;; [unrolled: 1-line block ×3, first 2 shown]
	v_add3_u32 v0, v5, v0, v7
	v_sub_u32_e32 v4, v4, v8
	v_mul_lo_u32 v8, v4, s10
	v_mul_lo_u32 v4, v4, s11
	v_add3_u32 v2, v6, v2, v3
	v_add3_u32 v0, v10, v0, v8
	;; [unrolled: 1-line block ×3, first 2 shown]
	s_cbranch_scc1 .LBB101_6
	s_branch .LBB101_132
.LBB101_7:
	s_andn2_saveexec_b64 s[0:1], s[40:41]
	s_cbranch_execz .LBB101_221
.LBB101_8:
	v_cndmask_b32_e64 v0, 0, 1, s[2:3]
	v_cmp_ne_u32_e64 s[0:1], 1, v0
	s_andn2_b64 vcc, exec, s[2:3]
	s_cbranch_vccnz .LBB101_20
; %bb.9:
	s_cmp_lg_u32 s33, 0
	s_mov_b32 s26, 0
	s_cbranch_scc0 .LBB101_23
; %bb.10:
	s_min_u32 s27, s56, 15
	s_add_i32 s27, s27, 1
	s_cmp_eq_u32 s56, 2
	s_cbranch_scc1 .LBB101_24
; %bb.11:
	s_and_b32 s26, s27, 28
	s_add_u32 s2, s34, 0xc4
	s_addc_u32 s3, s35, 0
	v_mov_b32_e32 v2, 0
	s_mov_b32 s28, 0
	s_mov_b64 s[24:25], s[34:35]
	v_mov_b32_e32 v0, 0
	v_mov_b32_e32 v1, v19
.LBB101_12:                             ; =>This Inner Loop Header: Depth=1
	s_load_dwordx8 s[12:19], s[24:25], 0x4
	s_load_dwordx4 s[20:23], s[24:25], 0x24
	s_load_dwordx8 s[4:11], s[2:3], 0x0
	s_add_u32 s24, s24, 48
	s_addc_u32 s25, s25, 0
	s_waitcnt lgkmcnt(0)
	v_mul_hi_u32 v3, s13, v1
	s_add_i32 s28, s28, 4
	s_add_u32 s2, s2, 32
	s_addc_u32 s3, s3, 0
	v_add_u32_e32 v3, v1, v3
	v_lshrrev_b32_e32 v3, s14, v3
	v_mul_lo_u32 v4, v3, s12
	v_mul_hi_u32 v5, s16, v3
	s_cmp_lg_u32 s26, s28
	v_sub_u32_e32 v1, v1, v4
	v_add_u32_e32 v4, v3, v5
	v_mul_lo_u32 v5, v1, s4
	v_mul_lo_u32 v6, v1, s5
	v_lshrrev_b32_e32 v1, s17, v4
	v_mul_lo_u32 v4, v1, s15
	v_mul_hi_u32 v7, s19, v1
	v_sub_u32_e32 v3, v3, v4
	v_add_u32_e32 v4, v1, v7
	v_lshrrev_b32_e32 v4, s20, v4
	v_mul_hi_u32 v8, s22, v4
	v_mul_lo_u32 v9, v4, s18
	v_mul_lo_u32 v7, v3, s6
	;; [unrolled: 1-line block ×3, first 2 shown]
	v_sub_u32_e32 v9, v1, v9
	v_add_u32_e32 v1, v4, v8
	v_lshrrev_b32_e32 v1, s23, v1
	v_mul_lo_u32 v8, v1, s21
	v_mul_lo_u32 v10, v9, s8
	;; [unrolled: 1-line block ×3, first 2 shown]
	v_add3_u32 v0, v5, v0, v7
	v_sub_u32_e32 v4, v4, v8
	v_mul_lo_u32 v8, v4, s10
	v_mul_lo_u32 v4, v4, s11
	v_add3_u32 v2, v6, v2, v3
	v_add3_u32 v0, v10, v0, v8
	;; [unrolled: 1-line block ×3, first 2 shown]
	s_cbranch_scc1 .LBB101_12
; %bb.13:
	s_and_b32 s6, s27, 3
	s_cmp_eq_u32 s6, 0
	s_cbranch_scc0 .LBB101_25
	s_branch .LBB101_27
.LBB101_14:
	s_or_b64 exec, exec, s[50:51]
	v_cmp_gt_i32_e32 vcc, s58, v19
	s_and_saveexec_b64 s[50:51], vcc
	s_cbranch_execz .LBB101_139
.LBB101_15:
	s_andn2_b64 vcc, exec, s[2:3]
	s_cbranch_vccnz .LBB101_22
; %bb.16:
	s_andn2_b64 vcc, exec, s[48:49]
	s_cbranch_vccnz .LBB101_130
; %bb.17:
	s_add_i32 s61, s59, 1
	s_cmp_eq_u32 s56, 2
	s_cbranch_scc1 .LBB101_147
; %bb.18:
	s_and_b32 s60, s61, 28
	v_mov_b32_e32 v2, 0
	s_mov_b32 s62, 0
	s_mov_b64 s[52:53], s[34:35]
	s_mov_b64 s[54:55], s[46:47]
	v_mov_b32_e32 v0, 0
	v_mov_b32_e32 v1, v19
.LBB101_19:                             ; =>This Inner Loop Header: Depth=1
	s_load_dwordx8 s[12:19], s[52:53], 0x4
	s_load_dwordx4 s[36:39], s[52:53], 0x24
	s_load_dwordx8 s[4:11], s[54:55], 0x0
	s_add_u32 s52, s52, 48
	s_addc_u32 s53, s53, 0
	s_waitcnt lgkmcnt(0)
	v_mul_hi_u32 v3, s13, v1
	s_add_i32 s62, s62, 4
	s_add_u32 s54, s54, 32
	s_addc_u32 s55, s55, 0
	v_add_u32_e32 v3, v1, v3
	v_lshrrev_b32_e32 v3, s14, v3
	v_mul_lo_u32 v4, v3, s12
	v_mul_hi_u32 v5, s16, v3
	s_cmp_eq_u32 s60, s62
	v_sub_u32_e32 v1, v1, v4
	v_add_u32_e32 v4, v3, v5
	v_mul_lo_u32 v5, v1, s4
	v_mul_lo_u32 v6, v1, s5
	v_lshrrev_b32_e32 v1, s17, v4
	v_mul_lo_u32 v4, v1, s15
	v_mul_hi_u32 v7, s19, v1
	v_sub_u32_e32 v3, v3, v4
	v_add_u32_e32 v4, v1, v7
	v_lshrrev_b32_e32 v4, s36, v4
	v_mul_hi_u32 v8, s38, v4
	v_mul_lo_u32 v9, v4, s18
	v_mul_lo_u32 v7, v3, s6
	;; [unrolled: 1-line block ×3, first 2 shown]
	v_sub_u32_e32 v9, v1, v9
	v_add_u32_e32 v1, v4, v8
	v_lshrrev_b32_e32 v1, s39, v1
	v_mul_lo_u32 v8, v1, s37
	v_mul_lo_u32 v10, v9, s8
	;; [unrolled: 1-line block ×3, first 2 shown]
	v_add3_u32 v0, v5, v0, v7
	v_sub_u32_e32 v4, v4, v8
	v_mul_lo_u32 v8, v4, s10
	v_mul_lo_u32 v4, v4, s11
	v_add3_u32 v2, v6, v2, v3
	v_add3_u32 v0, v10, v0, v8
	;; [unrolled: 1-line block ×3, first 2 shown]
	s_cbranch_scc0 .LBB101_19
	s_branch .LBB101_148
.LBB101_20:
                                        ; implicit-def: $vgpr0
                                        ; implicit-def: $vgpr2
	s_branch .LBB101_28
.LBB101_21:
                                        ; implicit-def: $vgpr0
                                        ; implicit-def: $vgpr2
	s_branch .LBB101_136
.LBB101_22:
                                        ; implicit-def: $vgpr0
                                        ; implicit-def: $vgpr2
	s_branch .LBB101_152
.LBB101_23:
	v_mov_b32_e32 v0, 0
	v_mov_b32_e32 v2, 0
	s_branch .LBB101_27
.LBB101_24:
	v_mov_b32_e32 v0, 0
	v_mov_b32_e32 v2, 0
	;; [unrolled: 1-line block ×3, first 2 shown]
	s_and_b32 s6, s27, 3
	s_cmp_eq_u32 s6, 0
	s_cbranch_scc1 .LBB101_27
.LBB101_25:
	s_lshl_b32 s2, s26, 3
	s_add_u32 s2, s34, s2
	s_addc_u32 s3, s35, 0
	s_add_u32 s2, s2, 0xc4
	s_addc_u32 s3, s3, 0
	s_mul_i32 s4, s26, 12
	s_add_u32 s4, s34, s4
	s_addc_u32 s5, s35, 0
.LBB101_26:                             ; =>This Inner Loop Header: Depth=1
	s_load_dwordx2 s[8:9], s[4:5], 0x4
	s_load_dword s7, s[4:5], 0xc
	s_load_dwordx2 s[10:11], s[2:3], 0x0
	s_add_u32 s4, s4, 12
	s_addc_u32 s5, s5, 0
	s_waitcnt lgkmcnt(0)
	v_mul_hi_u32 v4, s9, v1
	s_add_u32 s2, s2, 8
	s_addc_u32 s3, s3, 0
	s_add_i32 s6, s6, -1
	v_add_u32_e32 v4, v1, v4
	v_lshrrev_b32_e32 v4, s7, v4
	v_mul_lo_u32 v5, v4, s8
	s_cmp_lg_u32 s6, 0
	v_sub_u32_e32 v5, v1, v5
	v_mad_u64_u32 v[0:1], s[8:9], v5, s10, v[0:1]
	v_mad_u64_u32 v[2:3], s[8:9], v5, s11, v[2:3]
	v_mov_b32_e32 v1, v4
	s_cbranch_scc1 .LBB101_26
.LBB101_27:
	s_cbranch_execnz .LBB101_30
.LBB101_28:
	s_load_dwordx4 s[4:7], s[34:35], 0x4
	s_load_dwordx2 s[2:3], s[34:35], 0xc4
	s_cmp_lt_u32 s33, 2
	s_waitcnt lgkmcnt(0)
	v_mul_hi_u32 v0, s5, v19
	v_add_u32_e32 v0, v19, v0
	v_lshrrev_b32_e32 v1, s6, v0
	v_mul_lo_u32 v0, v1, s4
	v_sub_u32_e32 v2, v19, v0
	v_mul_lo_u32 v0, v2, s2
	v_mul_lo_u32 v2, v2, s3
	s_cbranch_scc1 .LBB101_30
; %bb.29:
	s_load_dwordx4 s[4:7], s[34:35], 0x10
	s_load_dwordx2 s[2:3], s[34:35], 0xcc
	s_waitcnt lgkmcnt(0)
	v_mul_hi_u32 v3, s5, v1
	v_add_u32_e32 v3, v1, v3
	v_lshrrev_b32_e32 v3, s6, v3
	v_mul_lo_u32 v3, v3, s4
	v_sub_u32_e32 v3, v1, v3
	v_mad_u64_u32 v[0:1], s[4:5], v3, s2, v[0:1]
	v_mad_u64_u32 v[2:3], s[2:3], v3, s3, v[2:3]
.LBB101_30:
	s_and_b64 vcc, exec, s[0:1]
	v_add_u32_e32 v1, 0x80, v19
	s_cbranch_vccnz .LBB101_36
; %bb.31:
	s_cmp_lg_u32 s33, 0
	s_mov_b32 s26, 0
	s_cbranch_scc0 .LBB101_37
; %bb.32:
	s_min_u32 s27, s56, 15
	s_add_i32 s27, s27, 1
	s_cmp_eq_u32 s56, 2
	s_cbranch_scc1 .LBB101_38
; %bb.33:
	s_and_b32 s26, s27, 28
	s_add_u32 s2, s34, 0xc4
	s_addc_u32 s3, s35, 0
	v_mov_b32_e32 v5, 0
	s_mov_b32 s28, 0
	s_mov_b64 s[24:25], s[34:35]
	v_mov_b32_e32 v3, 0
	v_mov_b32_e32 v4, v1
.LBB101_34:                             ; =>This Inner Loop Header: Depth=1
	s_load_dwordx8 s[12:19], s[24:25], 0x4
	s_load_dwordx4 s[20:23], s[24:25], 0x24
	s_load_dwordx8 s[4:11], s[2:3], 0x0
	s_add_u32 s24, s24, 48
	s_addc_u32 s25, s25, 0
	s_waitcnt lgkmcnt(0)
	v_mul_hi_u32 v6, s13, v4
	s_add_i32 s28, s28, 4
	s_add_u32 s2, s2, 32
	s_addc_u32 s3, s3, 0
	v_add_u32_e32 v6, v4, v6
	v_lshrrev_b32_e32 v6, s14, v6
	v_mul_lo_u32 v7, v6, s12
	v_mul_hi_u32 v8, s16, v6
	s_cmp_lg_u32 s26, s28
	v_sub_u32_e32 v4, v4, v7
	v_add_u32_e32 v7, v6, v8
	v_mul_lo_u32 v8, v4, s4
	v_mul_lo_u32 v9, v4, s5
	v_lshrrev_b32_e32 v4, s17, v7
	v_mul_lo_u32 v7, v4, s15
	v_mul_hi_u32 v10, s19, v4
	v_sub_u32_e32 v6, v6, v7
	v_add_u32_e32 v7, v4, v10
	v_lshrrev_b32_e32 v7, s20, v7
	v_mul_hi_u32 v11, s22, v7
	v_mul_lo_u32 v12, v7, s18
	v_mul_lo_u32 v10, v6, s6
	;; [unrolled: 1-line block ×3, first 2 shown]
	v_sub_u32_e32 v12, v4, v12
	v_add_u32_e32 v4, v7, v11
	v_lshrrev_b32_e32 v4, s23, v4
	v_mul_lo_u32 v11, v4, s21
	v_mul_lo_u32 v13, v12, s8
	v_mul_lo_u32 v12, v12, s9
	v_add3_u32 v3, v8, v3, v10
	v_sub_u32_e32 v7, v7, v11
	v_mul_lo_u32 v11, v7, s10
	v_mul_lo_u32 v7, v7, s11
	v_add3_u32 v5, v9, v5, v6
	v_add3_u32 v3, v13, v3, v11
	v_add3_u32 v5, v12, v5, v7
	s_cbranch_scc1 .LBB101_34
; %bb.35:
	s_and_b32 s6, s27, 3
	s_cmp_eq_u32 s6, 0
	s_cbranch_scc0 .LBB101_39
	s_branch .LBB101_41
.LBB101_36:
                                        ; implicit-def: $vgpr3
                                        ; implicit-def: $vgpr5
	s_branch .LBB101_42
.LBB101_37:
	v_mov_b32_e32 v3, 0
	v_mov_b32_e32 v5, 0
	s_branch .LBB101_41
.LBB101_38:
	v_mov_b32_e32 v3, 0
	v_mov_b32_e32 v5, 0
	;; [unrolled: 1-line block ×3, first 2 shown]
	s_and_b32 s6, s27, 3
	s_cmp_eq_u32 s6, 0
	s_cbranch_scc1 .LBB101_41
.LBB101_39:
	s_lshl_b32 s2, s26, 3
	s_add_u32 s2, s34, s2
	s_addc_u32 s3, s35, 0
	s_add_u32 s2, s2, 0xc4
	s_addc_u32 s3, s3, 0
	s_mul_i32 s4, s26, 12
	s_add_u32 s4, s34, s4
	s_addc_u32 s5, s35, 0
.LBB101_40:                             ; =>This Inner Loop Header: Depth=1
	s_load_dwordx2 s[8:9], s[4:5], 0x4
	s_load_dword s7, s[4:5], 0xc
	s_load_dwordx2 s[10:11], s[2:3], 0x0
	s_add_u32 s4, s4, 12
	s_addc_u32 s5, s5, 0
	s_waitcnt lgkmcnt(0)
	v_mul_hi_u32 v7, s9, v4
	s_add_u32 s2, s2, 8
	s_addc_u32 s3, s3, 0
	s_add_i32 s6, s6, -1
	v_add_u32_e32 v7, v4, v7
	v_lshrrev_b32_e32 v7, s7, v7
	v_mul_lo_u32 v8, v7, s8
	s_cmp_lg_u32 s6, 0
	v_sub_u32_e32 v8, v4, v8
	v_mad_u64_u32 v[3:4], s[8:9], v8, s10, v[3:4]
	v_mad_u64_u32 v[5:6], s[8:9], v8, s11, v[5:6]
	v_mov_b32_e32 v4, v7
	s_cbranch_scc1 .LBB101_40
.LBB101_41:
	s_cbranch_execnz .LBB101_44
.LBB101_42:
	s_load_dwordx4 s[4:7], s[34:35], 0x4
	s_load_dwordx2 s[2:3], s[34:35], 0xc4
	s_cmp_lt_u32 s33, 2
	s_waitcnt lgkmcnt(0)
	v_mul_hi_u32 v3, s5, v1
	v_add_u32_e32 v3, v1, v3
	v_lshrrev_b32_e32 v4, s6, v3
	v_mul_lo_u32 v3, v4, s4
	v_sub_u32_e32 v1, v1, v3
	v_mul_lo_u32 v3, v1, s2
	v_mul_lo_u32 v5, v1, s3
	s_cbranch_scc1 .LBB101_44
; %bb.43:
	s_load_dwordx4 s[4:7], s[34:35], 0x10
	s_load_dwordx2 s[2:3], s[34:35], 0xcc
	s_waitcnt lgkmcnt(0)
	v_mul_hi_u32 v1, s5, v4
	v_add_u32_e32 v1, v4, v1
	v_lshrrev_b32_e32 v1, s6, v1
	v_mul_lo_u32 v1, v1, s4
	v_sub_u32_e32 v1, v4, v1
	v_mad_u64_u32 v[3:4], s[4:5], v1, s2, v[3:4]
	v_mad_u64_u32 v[5:6], s[2:3], v1, s3, v[5:6]
.LBB101_44:
	s_and_b64 vcc, exec, s[0:1]
	v_add_u32_e32 v1, 0x100, v19
	s_cbranch_vccnz .LBB101_50
; %bb.45:
	s_cmp_lg_u32 s33, 0
	s_mov_b32 s26, 0
	s_cbranch_scc0 .LBB101_51
; %bb.46:
	s_min_u32 s27, s56, 15
	s_add_i32 s27, s27, 1
	s_cmp_eq_u32 s56, 2
	s_cbranch_scc1 .LBB101_52
; %bb.47:
	s_and_b32 s26, s27, 28
	s_add_u32 s2, s34, 0xc4
	s_addc_u32 s3, s35, 0
	v_mov_b32_e32 v8, 0
	s_mov_b32 s28, 0
	s_mov_b64 s[24:25], s[34:35]
	v_mov_b32_e32 v6, 0
	v_mov_b32_e32 v4, v1
.LBB101_48:                             ; =>This Inner Loop Header: Depth=1
	s_load_dwordx8 s[12:19], s[24:25], 0x4
	s_load_dwordx4 s[20:23], s[24:25], 0x24
	s_load_dwordx8 s[4:11], s[2:3], 0x0
	s_add_u32 s24, s24, 48
	s_addc_u32 s25, s25, 0
	s_waitcnt lgkmcnt(0)
	v_mul_hi_u32 v7, s13, v4
	s_add_i32 s28, s28, 4
	s_add_u32 s2, s2, 32
	s_addc_u32 s3, s3, 0
	v_add_u32_e32 v7, v4, v7
	v_lshrrev_b32_e32 v7, s14, v7
	v_mul_lo_u32 v9, v7, s12
	v_mul_hi_u32 v10, s16, v7
	s_cmp_lg_u32 s26, s28
	v_sub_u32_e32 v4, v4, v9
	v_add_u32_e32 v9, v7, v10
	v_mul_lo_u32 v10, v4, s4
	v_mul_lo_u32 v11, v4, s5
	v_lshrrev_b32_e32 v4, s17, v9
	v_mul_lo_u32 v9, v4, s15
	v_mul_hi_u32 v12, s19, v4
	v_sub_u32_e32 v7, v7, v9
	v_add_u32_e32 v9, v4, v12
	v_lshrrev_b32_e32 v9, s20, v9
	v_mul_hi_u32 v13, s22, v9
	v_mul_lo_u32 v14, v9, s18
	v_mul_lo_u32 v12, v7, s6
	;; [unrolled: 1-line block ×3, first 2 shown]
	v_sub_u32_e32 v14, v4, v14
	v_add_u32_e32 v4, v9, v13
	v_lshrrev_b32_e32 v4, s23, v4
	v_mul_lo_u32 v13, v4, s21
	v_mul_lo_u32 v15, v14, s8
	;; [unrolled: 1-line block ×3, first 2 shown]
	v_add3_u32 v6, v10, v6, v12
	v_sub_u32_e32 v9, v9, v13
	v_mul_lo_u32 v13, v9, s10
	v_mul_lo_u32 v9, v9, s11
	v_add3_u32 v7, v11, v8, v7
	v_add3_u32 v6, v15, v6, v13
	;; [unrolled: 1-line block ×3, first 2 shown]
	s_cbranch_scc1 .LBB101_48
; %bb.49:
	s_and_b32 s6, s27, 3
	s_cmp_eq_u32 s6, 0
	s_cbranch_scc0 .LBB101_53
	s_branch .LBB101_55
.LBB101_50:
                                        ; implicit-def: $vgpr6
                                        ; implicit-def: $vgpr8
	s_branch .LBB101_56
.LBB101_51:
	v_mov_b32_e32 v6, 0
	v_mov_b32_e32 v8, 0
	s_branch .LBB101_55
.LBB101_52:
	v_mov_b32_e32 v6, 0
	v_mov_b32_e32 v8, 0
	;; [unrolled: 1-line block ×3, first 2 shown]
	s_and_b32 s6, s27, 3
	s_cmp_eq_u32 s6, 0
	s_cbranch_scc1 .LBB101_55
.LBB101_53:
	s_lshl_b32 s2, s26, 3
	s_add_u32 s2, s34, s2
	s_addc_u32 s3, s35, 0
	s_add_u32 s2, s2, 0xc4
	s_addc_u32 s3, s3, 0
	s_mul_i32 s4, s26, 12
	s_add_u32 s4, s34, s4
	s_addc_u32 s5, s35, 0
.LBB101_54:                             ; =>This Inner Loop Header: Depth=1
	s_load_dwordx2 s[8:9], s[4:5], 0x4
	s_load_dword s7, s[4:5], 0xc
	s_load_dwordx2 s[10:11], s[2:3], 0x0
	s_add_u32 s4, s4, 12
	s_addc_u32 s5, s5, 0
	s_waitcnt lgkmcnt(0)
	v_mul_hi_u32 v7, s9, v4
	s_add_u32 s2, s2, 8
	s_addc_u32 s3, s3, 0
	s_add_i32 s6, s6, -1
	v_add_u32_e32 v7, v4, v7
	v_lshrrev_b32_e32 v10, s7, v7
	v_mul_lo_u32 v7, v10, s8
	s_cmp_lg_u32 s6, 0
	v_sub_u32_e32 v4, v4, v7
	v_mad_u64_u32 v[6:7], s[8:9], v4, s10, v[6:7]
	v_mad_u64_u32 v[8:9], s[8:9], v4, s11, v[8:9]
	v_mov_b32_e32 v4, v10
	s_cbranch_scc1 .LBB101_54
.LBB101_55:
	s_cbranch_execnz .LBB101_58
.LBB101_56:
	s_load_dwordx4 s[4:7], s[34:35], 0x4
	s_load_dwordx2 s[2:3], s[34:35], 0xc4
	s_cmp_lt_u32 s33, 2
	s_waitcnt lgkmcnt(0)
	v_mul_hi_u32 v4, s5, v1
	v_add_u32_e32 v4, v1, v4
	v_lshrrev_b32_e32 v4, s6, v4
	v_mul_lo_u32 v6, v4, s4
	v_sub_u32_e32 v1, v1, v6
	v_mul_lo_u32 v6, v1, s2
	v_mul_lo_u32 v8, v1, s3
	s_cbranch_scc1 .LBB101_58
; %bb.57:
	s_load_dwordx4 s[4:7], s[34:35], 0x10
	s_load_dwordx2 s[2:3], s[34:35], 0xcc
	s_waitcnt lgkmcnt(0)
	v_mul_hi_u32 v1, s5, v4
	v_add_u32_e32 v1, v4, v1
	v_lshrrev_b32_e32 v1, s6, v1
	v_mul_lo_u32 v1, v1, s4
	v_sub_u32_e32 v1, v4, v1
	v_mad_u64_u32 v[6:7], s[4:5], v1, s2, v[6:7]
	v_mad_u64_u32 v[8:9], s[2:3], v1, s3, v[8:9]
.LBB101_58:
	s_and_b64 vcc, exec, s[0:1]
	v_add_u32_e32 v1, 0x180, v19
	s_cbranch_vccnz .LBB101_64
; %bb.59:
	s_cmp_lg_u32 s33, 0
	s_mov_b32 s26, 0
	s_cbranch_scc0 .LBB101_65
; %bb.60:
	s_min_u32 s27, s56, 15
	s_add_i32 s27, s27, 1
	s_cmp_eq_u32 s56, 2
	s_cbranch_scc1 .LBB101_66
; %bb.61:
	s_and_b32 s26, s27, 28
	s_add_u32 s2, s34, 0xc4
	s_addc_u32 s3, s35, 0
	v_mov_b32_e32 v11, 0
	s_mov_b32 s28, 0
	s_mov_b64 s[24:25], s[34:35]
	v_mov_b32_e32 v9, 0
	v_mov_b32_e32 v4, v1
.LBB101_62:                             ; =>This Inner Loop Header: Depth=1
	s_load_dwordx8 s[12:19], s[24:25], 0x4
	s_load_dwordx4 s[20:23], s[24:25], 0x24
	s_load_dwordx8 s[4:11], s[2:3], 0x0
	s_add_u32 s24, s24, 48
	s_addc_u32 s25, s25, 0
	s_waitcnt lgkmcnt(0)
	v_mul_hi_u32 v7, s13, v4
	s_add_i32 s28, s28, 4
	s_add_u32 s2, s2, 32
	s_addc_u32 s3, s3, 0
	v_add_u32_e32 v7, v4, v7
	v_lshrrev_b32_e32 v7, s14, v7
	v_mul_lo_u32 v10, v7, s12
	v_mul_hi_u32 v12, s16, v7
	s_cmp_lg_u32 s26, s28
	v_sub_u32_e32 v4, v4, v10
	v_add_u32_e32 v10, v7, v12
	v_mul_lo_u32 v12, v4, s4
	v_mul_lo_u32 v13, v4, s5
	v_lshrrev_b32_e32 v4, s17, v10
	v_mul_lo_u32 v10, v4, s15
	v_mul_hi_u32 v14, s19, v4
	v_sub_u32_e32 v7, v7, v10
	v_add_u32_e32 v10, v4, v14
	v_lshrrev_b32_e32 v10, s20, v10
	v_mul_hi_u32 v15, s22, v10
	v_mul_lo_u32 v16, v10, s18
	v_mul_lo_u32 v14, v7, s6
	;; [unrolled: 1-line block ×3, first 2 shown]
	v_sub_u32_e32 v16, v4, v16
	v_add_u32_e32 v4, v10, v15
	v_lshrrev_b32_e32 v4, s23, v4
	v_mul_lo_u32 v15, v4, s21
	v_mul_lo_u32 v17, v16, s8
	;; [unrolled: 1-line block ×3, first 2 shown]
	v_add3_u32 v9, v12, v9, v14
	v_sub_u32_e32 v10, v10, v15
	v_mul_lo_u32 v15, v10, s10
	v_mul_lo_u32 v10, v10, s11
	v_add3_u32 v7, v13, v11, v7
	v_add3_u32 v9, v17, v9, v15
	;; [unrolled: 1-line block ×3, first 2 shown]
	s_cbranch_scc1 .LBB101_62
; %bb.63:
	s_and_b32 s6, s27, 3
	s_cmp_eq_u32 s6, 0
	s_cbranch_scc0 .LBB101_67
	s_branch .LBB101_69
.LBB101_64:
                                        ; implicit-def: $vgpr9
                                        ; implicit-def: $vgpr11
	s_branch .LBB101_70
.LBB101_65:
	v_mov_b32_e32 v9, 0
	v_mov_b32_e32 v11, 0
	s_branch .LBB101_69
.LBB101_66:
	v_mov_b32_e32 v9, 0
	v_mov_b32_e32 v11, 0
	;; [unrolled: 1-line block ×3, first 2 shown]
	s_and_b32 s6, s27, 3
	s_cmp_eq_u32 s6, 0
	s_cbranch_scc1 .LBB101_69
.LBB101_67:
	s_lshl_b32 s2, s26, 3
	s_add_u32 s2, s34, s2
	s_addc_u32 s3, s35, 0
	s_add_u32 s2, s2, 0xc4
	s_addc_u32 s3, s3, 0
	s_mul_i32 s4, s26, 12
	s_add_u32 s4, s34, s4
	s_addc_u32 s5, s35, 0
.LBB101_68:                             ; =>This Inner Loop Header: Depth=1
	s_load_dwordx2 s[8:9], s[4:5], 0x4
	s_load_dword s7, s[4:5], 0xc
	s_load_dwordx2 s[10:11], s[2:3], 0x0
	s_add_u32 s4, s4, 12
	s_addc_u32 s5, s5, 0
	s_waitcnt lgkmcnt(0)
	v_mul_hi_u32 v7, s9, v4
	s_add_u32 s2, s2, 8
	s_addc_u32 s3, s3, 0
	s_add_i32 s6, s6, -1
	v_add_u32_e32 v7, v4, v7
	v_lshrrev_b32_e32 v7, s7, v7
	v_mul_lo_u32 v10, v7, s8
	s_cmp_lg_u32 s6, 0
	v_sub_u32_e32 v4, v4, v10
	v_mad_u64_u32 v[9:10], s[8:9], v4, s10, v[9:10]
	v_mad_u64_u32 v[11:12], s[8:9], v4, s11, v[11:12]
	v_mov_b32_e32 v4, v7
	s_cbranch_scc1 .LBB101_68
.LBB101_69:
	s_cbranch_execnz .LBB101_72
.LBB101_70:
	s_load_dwordx4 s[4:7], s[34:35], 0x4
	s_load_dwordx2 s[2:3], s[34:35], 0xc4
	s_cmp_lt_u32 s33, 2
	s_waitcnt lgkmcnt(0)
	v_mul_hi_u32 v4, s5, v1
	v_add_u32_e32 v4, v1, v4
	v_lshrrev_b32_e32 v4, s6, v4
	v_mul_lo_u32 v7, v4, s4
	v_sub_u32_e32 v1, v1, v7
	v_mul_lo_u32 v9, v1, s2
	v_mul_lo_u32 v11, v1, s3
	s_cbranch_scc1 .LBB101_72
; %bb.71:
	s_load_dwordx4 s[4:7], s[34:35], 0x10
	s_load_dwordx2 s[2:3], s[34:35], 0xcc
	s_waitcnt lgkmcnt(0)
	v_mul_hi_u32 v1, s5, v4
	v_add_u32_e32 v1, v4, v1
	v_lshrrev_b32_e32 v1, s6, v1
	v_mul_lo_u32 v1, v1, s4
	v_sub_u32_e32 v1, v4, v1
	v_mad_u64_u32 v[9:10], s[4:5], v1, s2, v[9:10]
	v_mad_u64_u32 v[11:12], s[2:3], v1, s3, v[11:12]
.LBB101_72:
	s_and_b64 vcc, exec, s[0:1]
	v_add_u32_e32 v1, 0x200, v19
	s_cbranch_vccnz .LBB101_78
; %bb.73:
	s_cmp_lg_u32 s33, 0
	s_mov_b32 s26, 0
	s_cbranch_scc0 .LBB101_79
; %bb.74:
	s_min_u32 s27, s56, 15
	s_add_i32 s27, s27, 1
	s_cmp_eq_u32 s56, 2
	s_cbranch_scc1 .LBB101_80
; %bb.75:
	s_and_b32 s26, s27, 28
	s_add_u32 s2, s34, 0xc4
	s_addc_u32 s3, s35, 0
	v_mov_b32_e32 v14, 0
	s_mov_b32 s28, 0
	s_mov_b64 s[24:25], s[34:35]
	v_mov_b32_e32 v12, 0
	v_mov_b32_e32 v4, v1
.LBB101_76:                             ; =>This Inner Loop Header: Depth=1
	s_load_dwordx8 s[12:19], s[24:25], 0x4
	s_load_dwordx4 s[20:23], s[24:25], 0x24
	s_load_dwordx8 s[4:11], s[2:3], 0x0
	s_add_u32 s24, s24, 48
	s_addc_u32 s25, s25, 0
	s_waitcnt lgkmcnt(0)
	v_mul_hi_u32 v7, s13, v4
	s_add_i32 s28, s28, 4
	s_add_u32 s2, s2, 32
	s_addc_u32 s3, s3, 0
	v_add_u32_e32 v7, v4, v7
	v_lshrrev_b32_e32 v7, s14, v7
	v_mul_lo_u32 v10, v7, s12
	v_mul_hi_u32 v13, s16, v7
	s_cmp_lg_u32 s26, s28
	v_sub_u32_e32 v4, v4, v10
	v_add_u32_e32 v10, v7, v13
	v_mul_lo_u32 v13, v4, s4
	v_mul_lo_u32 v15, v4, s5
	v_lshrrev_b32_e32 v4, s17, v10
	v_mul_lo_u32 v10, v4, s15
	v_mul_hi_u32 v16, s19, v4
	v_sub_u32_e32 v7, v7, v10
	v_add_u32_e32 v10, v4, v16
	v_lshrrev_b32_e32 v10, s20, v10
	v_mul_hi_u32 v17, s22, v10
	v_mul_lo_u32 v18, v10, s18
	v_mul_lo_u32 v16, v7, s6
	;; [unrolled: 1-line block ×3, first 2 shown]
	v_sub_u32_e32 v18, v4, v18
	v_add_u32_e32 v4, v10, v17
	v_lshrrev_b32_e32 v4, s23, v4
	v_mul_lo_u32 v17, v4, s21
	v_mul_lo_u32 v20, v18, s8
	v_mul_lo_u32 v18, v18, s9
	v_add3_u32 v12, v13, v12, v16
	v_sub_u32_e32 v10, v10, v17
	v_mul_lo_u32 v17, v10, s10
	v_mul_lo_u32 v10, v10, s11
	v_add3_u32 v7, v15, v14, v7
	v_add3_u32 v12, v20, v12, v17
	;; [unrolled: 1-line block ×3, first 2 shown]
	s_cbranch_scc1 .LBB101_76
; %bb.77:
	s_and_b32 s6, s27, 3
	s_cmp_eq_u32 s6, 0
	s_cbranch_scc0 .LBB101_81
	s_branch .LBB101_83
.LBB101_78:
                                        ; implicit-def: $vgpr12
                                        ; implicit-def: $vgpr14
	s_branch .LBB101_84
.LBB101_79:
	v_mov_b32_e32 v12, 0
	v_mov_b32_e32 v14, 0
	s_branch .LBB101_83
.LBB101_80:
	v_mov_b32_e32 v12, 0
	v_mov_b32_e32 v14, 0
	;; [unrolled: 1-line block ×3, first 2 shown]
	s_and_b32 s6, s27, 3
	s_cmp_eq_u32 s6, 0
	s_cbranch_scc1 .LBB101_83
.LBB101_81:
	s_lshl_b32 s2, s26, 3
	s_add_u32 s2, s34, s2
	s_addc_u32 s3, s35, 0
	s_add_u32 s2, s2, 0xc4
	s_addc_u32 s3, s3, 0
	s_mul_i32 s4, s26, 12
	s_add_u32 s4, s34, s4
	s_addc_u32 s5, s35, 0
.LBB101_82:                             ; =>This Inner Loop Header: Depth=1
	s_load_dwordx2 s[8:9], s[4:5], 0x4
	s_load_dword s7, s[4:5], 0xc
	s_load_dwordx2 s[10:11], s[2:3], 0x0
	s_add_u32 s4, s4, 12
	s_addc_u32 s5, s5, 0
	s_waitcnt lgkmcnt(0)
	v_mul_hi_u32 v7, s9, v4
	s_add_u32 s2, s2, 8
	s_addc_u32 s3, s3, 0
	s_add_i32 s6, s6, -1
	v_add_u32_e32 v7, v4, v7
	v_lshrrev_b32_e32 v7, s7, v7
	v_mul_lo_u32 v10, v7, s8
	s_cmp_lg_u32 s6, 0
	v_sub_u32_e32 v4, v4, v10
	v_mad_u64_u32 v[12:13], s[8:9], v4, s10, v[12:13]
	v_mad_u64_u32 v[14:15], s[8:9], v4, s11, v[14:15]
	v_mov_b32_e32 v4, v7
	s_cbranch_scc1 .LBB101_82
.LBB101_83:
	s_cbranch_execnz .LBB101_86
.LBB101_84:
	s_load_dwordx4 s[4:7], s[34:35], 0x4
	s_load_dwordx2 s[2:3], s[34:35], 0xc4
	s_cmp_lt_u32 s33, 2
	s_waitcnt lgkmcnt(0)
	v_mul_hi_u32 v4, s5, v1
	v_add_u32_e32 v4, v1, v4
	v_lshrrev_b32_e32 v4, s6, v4
	v_mul_lo_u32 v7, v4, s4
	v_sub_u32_e32 v1, v1, v7
	v_mul_lo_u32 v12, v1, s2
	v_mul_lo_u32 v14, v1, s3
	s_cbranch_scc1 .LBB101_86
; %bb.85:
	s_load_dwordx4 s[4:7], s[34:35], 0x10
	s_load_dwordx2 s[2:3], s[34:35], 0xcc
	s_waitcnt lgkmcnt(0)
	v_mul_hi_u32 v1, s5, v4
	v_add_u32_e32 v1, v4, v1
	v_lshrrev_b32_e32 v1, s6, v1
	v_mul_lo_u32 v1, v1, s4
	v_sub_u32_e32 v1, v4, v1
	v_mad_u64_u32 v[12:13], s[4:5], v1, s2, v[12:13]
	v_mad_u64_u32 v[14:15], s[2:3], v1, s3, v[14:15]
.LBB101_86:
	s_and_b64 vcc, exec, s[0:1]
	v_add_u32_e32 v1, 0x280, v19
	s_cbranch_vccnz .LBB101_92
; %bb.87:
	s_cmp_lg_u32 s33, 0
	s_mov_b32 s26, 0
	s_cbranch_scc0 .LBB101_93
; %bb.88:
	s_min_u32 s27, s56, 15
	s_add_i32 s27, s27, 1
	s_cmp_eq_u32 s56, 2
	s_cbranch_scc1 .LBB101_94
; %bb.89:
	s_and_b32 s26, s27, 28
	s_add_u32 s2, s34, 0xc4
	s_addc_u32 s3, s35, 0
	v_mov_b32_e32 v17, 0
	s_mov_b32 s28, 0
	s_mov_b64 s[24:25], s[34:35]
	v_mov_b32_e32 v15, 0
	v_mov_b32_e32 v4, v1
.LBB101_90:                             ; =>This Inner Loop Header: Depth=1
	s_load_dwordx8 s[12:19], s[24:25], 0x4
	s_load_dwordx4 s[20:23], s[24:25], 0x24
	s_load_dwordx8 s[4:11], s[2:3], 0x0
	s_add_u32 s24, s24, 48
	s_addc_u32 s25, s25, 0
	s_waitcnt lgkmcnt(0)
	v_mul_hi_u32 v7, s13, v4
	s_add_i32 s28, s28, 4
	s_add_u32 s2, s2, 32
	s_addc_u32 s3, s3, 0
	v_add_u32_e32 v7, v4, v7
	v_lshrrev_b32_e32 v7, s14, v7
	v_mul_lo_u32 v10, v7, s12
	v_mul_hi_u32 v13, s16, v7
	s_cmp_lg_u32 s26, s28
	v_sub_u32_e32 v4, v4, v10
	v_add_u32_e32 v10, v7, v13
	v_mul_lo_u32 v13, v4, s4
	v_mul_lo_u32 v16, v4, s5
	v_lshrrev_b32_e32 v4, s17, v10
	v_mul_lo_u32 v10, v4, s15
	v_mul_hi_u32 v18, s19, v4
	v_sub_u32_e32 v7, v7, v10
	v_add_u32_e32 v10, v4, v18
	v_lshrrev_b32_e32 v10, s20, v10
	v_mul_hi_u32 v20, s22, v10
	v_mul_lo_u32 v21, v10, s18
	v_mul_lo_u32 v18, v7, s6
	;; [unrolled: 1-line block ×3, first 2 shown]
	v_sub_u32_e32 v21, v4, v21
	v_add_u32_e32 v4, v10, v20
	v_lshrrev_b32_e32 v4, s23, v4
	v_mul_lo_u32 v20, v4, s21
	v_mul_lo_u32 v22, v21, s8
	;; [unrolled: 1-line block ×3, first 2 shown]
	v_add3_u32 v13, v13, v15, v18
	v_sub_u32_e32 v10, v10, v20
	v_mul_lo_u32 v20, v10, s10
	v_mul_lo_u32 v10, v10, s11
	v_add3_u32 v7, v16, v17, v7
	v_add3_u32 v15, v22, v13, v20
	v_add3_u32 v17, v21, v7, v10
	s_cbranch_scc1 .LBB101_90
; %bb.91:
	s_and_b32 s6, s27, 3
	s_cmp_eq_u32 s6, 0
	s_cbranch_scc0 .LBB101_95
	s_branch .LBB101_97
.LBB101_92:
                                        ; implicit-def: $vgpr15
                                        ; implicit-def: $vgpr17
	s_branch .LBB101_98
.LBB101_93:
	v_mov_b32_e32 v15, 0
	v_mov_b32_e32 v17, 0
	s_branch .LBB101_97
.LBB101_94:
	v_mov_b32_e32 v15, 0
	v_mov_b32_e32 v17, 0
	;; [unrolled: 1-line block ×3, first 2 shown]
	s_and_b32 s6, s27, 3
	s_cmp_eq_u32 s6, 0
	s_cbranch_scc1 .LBB101_97
.LBB101_95:
	s_lshl_b32 s2, s26, 3
	s_add_u32 s2, s34, s2
	s_addc_u32 s3, s35, 0
	s_add_u32 s2, s2, 0xc4
	s_addc_u32 s3, s3, 0
	s_mul_i32 s4, s26, 12
	s_add_u32 s4, s34, s4
	s_addc_u32 s5, s35, 0
.LBB101_96:                             ; =>This Inner Loop Header: Depth=1
	s_load_dwordx2 s[8:9], s[4:5], 0x4
	s_load_dword s7, s[4:5], 0xc
	s_load_dwordx2 s[10:11], s[2:3], 0x0
	s_add_u32 s4, s4, 12
	s_addc_u32 s5, s5, 0
	s_waitcnt lgkmcnt(0)
	v_mul_hi_u32 v7, s9, v4
	s_add_u32 s2, s2, 8
	s_addc_u32 s3, s3, 0
	s_add_i32 s6, s6, -1
	v_add_u32_e32 v7, v4, v7
	v_lshrrev_b32_e32 v7, s7, v7
	v_mul_lo_u32 v10, v7, s8
	s_cmp_lg_u32 s6, 0
	v_sub_u32_e32 v4, v4, v10
	v_mad_u64_u32 v[15:16], s[8:9], v4, s10, v[15:16]
	v_mad_u64_u32 v[17:18], s[8:9], v4, s11, v[17:18]
	v_mov_b32_e32 v4, v7
	s_cbranch_scc1 .LBB101_96
.LBB101_97:
	s_cbranch_execnz .LBB101_100
.LBB101_98:
	s_load_dwordx4 s[4:7], s[34:35], 0x4
	s_load_dwordx2 s[2:3], s[34:35], 0xc4
	s_cmp_lt_u32 s33, 2
	s_waitcnt lgkmcnt(0)
	v_mul_hi_u32 v4, s5, v1
	v_add_u32_e32 v4, v1, v4
	v_lshrrev_b32_e32 v4, s6, v4
	v_mul_lo_u32 v7, v4, s4
	v_sub_u32_e32 v1, v1, v7
	v_mul_lo_u32 v15, v1, s2
	v_mul_lo_u32 v17, v1, s3
	s_cbranch_scc1 .LBB101_100
; %bb.99:
	s_load_dwordx4 s[4:7], s[34:35], 0x10
	s_load_dwordx2 s[2:3], s[34:35], 0xcc
	s_waitcnt lgkmcnt(0)
	v_mul_hi_u32 v1, s5, v4
	v_add_u32_e32 v1, v4, v1
	v_lshrrev_b32_e32 v1, s6, v1
	v_mul_lo_u32 v1, v1, s4
	v_sub_u32_e32 v1, v4, v1
	v_mad_u64_u32 v[15:16], s[4:5], v1, s2, v[15:16]
	v_mad_u64_u32 v[17:18], s[2:3], v1, s3, v[17:18]
.LBB101_100:
	s_and_b64 vcc, exec, s[0:1]
	v_add_u32_e32 v1, 0x300, v19
	s_cbranch_vccnz .LBB101_106
; %bb.101:
	s_cmp_lg_u32 s33, 0
	s_mov_b32 s26, 0
	s_cbranch_scc0 .LBB101_107
; %bb.102:
	s_min_u32 s27, s56, 15
	s_add_i32 s27, s27, 1
	s_cmp_eq_u32 s56, 2
	s_cbranch_scc1 .LBB101_108
; %bb.103:
	s_and_b32 s26, s27, 28
	s_add_u32 s2, s34, 0xc4
	s_addc_u32 s3, s35, 0
	v_mov_b32_e32 v20, 0
	s_mov_b32 s28, 0
	s_mov_b64 s[24:25], s[34:35]
	v_mov_b32_e32 v18, 0
	v_mov_b32_e32 v4, v1
.LBB101_104:                            ; =>This Inner Loop Header: Depth=1
	s_load_dwordx8 s[12:19], s[24:25], 0x4
	s_load_dwordx4 s[20:23], s[24:25], 0x24
	s_load_dwordx8 s[4:11], s[2:3], 0x0
	s_add_u32 s24, s24, 48
	s_addc_u32 s25, s25, 0
	s_waitcnt lgkmcnt(0)
	v_mul_hi_u32 v7, s13, v4
	s_add_i32 s28, s28, 4
	s_add_u32 s2, s2, 32
	s_addc_u32 s3, s3, 0
	v_add_u32_e32 v7, v4, v7
	v_lshrrev_b32_e32 v7, s14, v7
	v_mul_lo_u32 v10, v7, s12
	v_mul_hi_u32 v13, s16, v7
	s_cmp_lg_u32 s26, s28
	v_sub_u32_e32 v4, v4, v10
	v_add_u32_e32 v10, v7, v13
	v_mul_lo_u32 v13, v4, s4
	v_mul_lo_u32 v16, v4, s5
	v_lshrrev_b32_e32 v4, s17, v10
	v_mul_lo_u32 v10, v4, s15
	v_mul_hi_u32 v19, s19, v4
	v_sub_u32_e32 v7, v7, v10
	v_add_u32_e32 v10, v4, v19
	v_lshrrev_b32_e32 v10, s20, v10
	v_mul_hi_u32 v21, s22, v10
	v_mul_lo_u32 v22, v10, s18
	v_mul_lo_u32 v19, v7, s6
	v_mul_lo_u32 v7, v7, s7
	v_sub_u32_e32 v22, v4, v22
	v_add_u32_e32 v4, v10, v21
	v_lshrrev_b32_e32 v4, s23, v4
	v_mul_lo_u32 v21, v4, s21
	v_mul_lo_u32 v23, v22, s8
	v_mul_lo_u32 v22, v22, s9
	v_add3_u32 v13, v13, v18, v19
	v_sub_u32_e32 v10, v10, v21
	v_mul_lo_u32 v21, v10, s10
	v_mul_lo_u32 v10, v10, s11
	v_add3_u32 v7, v16, v20, v7
	v_add3_u32 v18, v23, v13, v21
	;; [unrolled: 1-line block ×3, first 2 shown]
	s_cbranch_scc1 .LBB101_104
; %bb.105:
	s_and_b32 s6, s27, 3
	s_cmp_eq_u32 s6, 0
	s_cbranch_scc0 .LBB101_109
	s_branch .LBB101_111
.LBB101_106:
                                        ; implicit-def: $vgpr18
                                        ; implicit-def: $vgpr20
	s_branch .LBB101_112
.LBB101_107:
	v_mov_b32_e32 v18, 0
	v_mov_b32_e32 v20, 0
	s_branch .LBB101_111
.LBB101_108:
	v_mov_b32_e32 v18, 0
	v_mov_b32_e32 v20, 0
	;; [unrolled: 1-line block ×3, first 2 shown]
	s_and_b32 s6, s27, 3
	s_cmp_eq_u32 s6, 0
	s_cbranch_scc1 .LBB101_111
.LBB101_109:
	s_lshl_b32 s2, s26, 3
	s_add_u32 s2, s34, s2
	s_addc_u32 s3, s35, 0
	s_add_u32 s2, s2, 0xc4
	s_addc_u32 s3, s3, 0
	s_mul_i32 s4, s26, 12
	s_add_u32 s4, s34, s4
	s_addc_u32 s5, s35, 0
.LBB101_110:                            ; =>This Inner Loop Header: Depth=1
	s_load_dwordx2 s[8:9], s[4:5], 0x4
	s_load_dword s7, s[4:5], 0xc
	s_load_dwordx2 s[10:11], s[2:3], 0x0
	s_add_u32 s4, s4, 12
	s_addc_u32 s5, s5, 0
	s_waitcnt lgkmcnt(0)
	v_mul_hi_u32 v7, s9, v4
	s_add_u32 s2, s2, 8
	s_addc_u32 s3, s3, 0
	s_add_i32 s6, s6, -1
	v_add_u32_e32 v7, v4, v7
	v_lshrrev_b32_e32 v7, s7, v7
	v_mul_lo_u32 v10, v7, s8
	s_cmp_lg_u32 s6, 0
	v_sub_u32_e32 v4, v4, v10
	v_mad_u64_u32 v[18:19], s[8:9], v4, s10, v[18:19]
	v_mad_u64_u32 v[20:21], s[8:9], v4, s11, v[20:21]
	v_mov_b32_e32 v4, v7
	s_cbranch_scc1 .LBB101_110
.LBB101_111:
	s_cbranch_execnz .LBB101_114
.LBB101_112:
	s_load_dwordx4 s[4:7], s[34:35], 0x4
	s_load_dwordx2 s[2:3], s[34:35], 0xc4
	s_cmp_lt_u32 s33, 2
	s_waitcnt lgkmcnt(0)
	v_mul_hi_u32 v4, s5, v1
	v_add_u32_e32 v4, v1, v4
	v_lshrrev_b32_e32 v4, s6, v4
	v_mul_lo_u32 v7, v4, s4
	v_sub_u32_e32 v1, v1, v7
	v_mul_lo_u32 v18, v1, s2
	v_mul_lo_u32 v20, v1, s3
	s_cbranch_scc1 .LBB101_114
; %bb.113:
	s_load_dwordx4 s[4:7], s[34:35], 0x10
	s_load_dwordx2 s[2:3], s[34:35], 0xcc
	s_waitcnt lgkmcnt(0)
	v_mul_hi_u32 v1, s5, v4
	v_add_u32_e32 v1, v4, v1
	v_lshrrev_b32_e32 v1, s6, v1
	v_mul_lo_u32 v1, v1, s4
	v_sub_u32_e32 v1, v4, v1
	v_mad_u64_u32 v[18:19], s[4:5], v1, s2, v[18:19]
	v_mad_u64_u32 v[20:21], s[2:3], v1, s3, v[20:21]
.LBB101_114:
	s_and_b64 vcc, exec, s[0:1]
	s_cbranch_vccnz .LBB101_120
; %bb.115:
	s_cmp_lg_u32 s33, 0
	s_mov_b32 s24, 0
	s_cbranch_scc0 .LBB101_121
; %bb.116:
	s_min_u32 s25, s56, 15
	s_add_i32 s25, s25, 1
	s_cmp_eq_u32 s56, 2
	s_cbranch_scc1 .LBB101_122
; %bb.117:
	s_and_b32 s24, s25, 28
	s_add_u32 s20, s34, 0xc4
	s_addc_u32 s21, s35, 0
	v_mov_b32_e32 v23, 0
	s_mov_b32 s26, 0
	s_mov_b64 s[22:23], s[34:35]
	v_mov_b32_e32 v21, 0
	v_mov_b32_e32 v1, v25
.LBB101_118:                            ; =>This Inner Loop Header: Depth=1
	s_load_dwordx8 s[8:15], s[22:23], 0x4
	s_load_dwordx4 s[16:19], s[22:23], 0x24
	s_load_dwordx8 s[0:7], s[20:21], 0x0
	s_add_u32 s22, s22, 48
	s_addc_u32 s23, s23, 0
	s_waitcnt lgkmcnt(0)
	v_mul_hi_u32 v4, s9, v1
	s_add_i32 s26, s26, 4
	s_add_u32 s20, s20, 32
	s_addc_u32 s21, s21, 0
	v_add_u32_e32 v4, v1, v4
	v_lshrrev_b32_e32 v4, s10, v4
	v_mul_lo_u32 v7, v4, s8
	v_mul_hi_u32 v10, s12, v4
	s_cmp_lg_u32 s24, s26
	v_sub_u32_e32 v1, v1, v7
	v_add_u32_e32 v7, v4, v10
	v_mul_lo_u32 v10, v1, s0
	v_mul_lo_u32 v13, v1, s1
	v_lshrrev_b32_e32 v1, s13, v7
	v_mul_lo_u32 v7, v1, s11
	v_mul_hi_u32 v16, s15, v1
	v_sub_u32_e32 v4, v4, v7
	v_add_u32_e32 v7, v1, v16
	v_lshrrev_b32_e32 v7, s16, v7
	v_mul_hi_u32 v19, s18, v7
	v_mul_lo_u32 v22, v7, s14
	v_mul_lo_u32 v16, v4, s2
	;; [unrolled: 1-line block ×3, first 2 shown]
	v_sub_u32_e32 v22, v1, v22
	v_add_u32_e32 v1, v7, v19
	v_lshrrev_b32_e32 v1, s19, v1
	v_mul_lo_u32 v19, v1, s17
	v_mul_lo_u32 v24, v22, s4
	;; [unrolled: 1-line block ×3, first 2 shown]
	v_add3_u32 v10, v10, v21, v16
	v_sub_u32_e32 v7, v7, v19
	v_mul_lo_u32 v19, v7, s6
	v_mul_lo_u32 v7, v7, s7
	v_add3_u32 v4, v13, v23, v4
	v_add3_u32 v21, v24, v10, v19
	;; [unrolled: 1-line block ×3, first 2 shown]
	s_cbranch_scc1 .LBB101_118
; %bb.119:
	s_and_b32 s4, s25, 3
	s_cmp_eq_u32 s4, 0
	s_cbranch_scc0 .LBB101_123
	s_branch .LBB101_125
.LBB101_120:
                                        ; implicit-def: $vgpr21
                                        ; implicit-def: $vgpr23
	s_branch .LBB101_126
.LBB101_121:
	v_mov_b32_e32 v21, 0
	v_mov_b32_e32 v23, 0
	s_branch .LBB101_125
.LBB101_122:
	v_mov_b32_e32 v21, 0
	v_mov_b32_e32 v23, 0
	;; [unrolled: 1-line block ×3, first 2 shown]
	s_and_b32 s4, s25, 3
	s_cmp_eq_u32 s4, 0
	s_cbranch_scc1 .LBB101_125
.LBB101_123:
	s_lshl_b32 s0, s24, 3
	s_add_u32 s0, s34, s0
	s_addc_u32 s1, s35, 0
	s_add_u32 s0, s0, 0xc4
	s_addc_u32 s1, s1, 0
	s_mul_i32 s2, s24, 12
	s_add_u32 s2, s34, s2
	s_addc_u32 s3, s35, 0
.LBB101_124:                            ; =>This Inner Loop Header: Depth=1
	s_load_dwordx2 s[6:7], s[2:3], 0x4
	s_load_dword s5, s[2:3], 0xc
	s_load_dwordx2 s[8:9], s[0:1], 0x0
	s_add_u32 s2, s2, 12
	s_addc_u32 s3, s3, 0
	s_waitcnt lgkmcnt(0)
	v_mul_hi_u32 v4, s7, v1
	s_add_u32 s0, s0, 8
	s_addc_u32 s1, s1, 0
	s_add_i32 s4, s4, -1
	v_add_u32_e32 v4, v1, v4
	v_lshrrev_b32_e32 v4, s5, v4
	v_mul_lo_u32 v7, v4, s6
	s_cmp_lg_u32 s4, 0
	v_sub_u32_e32 v1, v1, v7
	v_mad_u64_u32 v[21:22], s[6:7], v1, s8, v[21:22]
	v_mad_u64_u32 v[23:24], s[6:7], v1, s9, v[23:24]
	v_mov_b32_e32 v1, v4
	s_cbranch_scc1 .LBB101_124
.LBB101_125:
	s_cbranch_execnz .LBB101_128
.LBB101_126:
	s_load_dwordx4 s[0:3], s[34:35], 0x4
	s_load_dwordx2 s[4:5], s[34:35], 0xc4
	s_cmp_lt_u32 s33, 2
	s_waitcnt lgkmcnt(0)
	v_mul_hi_u32 v1, s1, v25
	v_add_u32_e32 v1, v25, v1
	v_lshrrev_b32_e32 v1, s2, v1
	v_mul_lo_u32 v4, v1, s0
	v_sub_u32_e32 v4, v25, v4
	v_mul_lo_u32 v21, v4, s4
	v_mul_lo_u32 v23, v4, s5
	s_cbranch_scc1 .LBB101_128
; %bb.127:
	s_load_dwordx4 s[0:3], s[34:35], 0x10
	s_load_dwordx2 s[4:5], s[34:35], 0xcc
	s_waitcnt lgkmcnt(0)
	v_mul_hi_u32 v4, s1, v1
	v_add_u32_e32 v4, v1, v4
	v_lshrrev_b32_e32 v4, s2, v4
	v_mul_lo_u32 v4, v4, s0
	v_sub_u32_e32 v1, v1, v4
	v_mad_u64_u32 v[21:22], s[0:1], v1, s4, v[21:22]
	v_mad_u64_u32 v[23:24], s[0:1], v1, s5, v[23:24]
.LBB101_128:
	s_load_dwordx4 s[0:3], s[34:35], 0x148
	s_load_dwordx2 s[4:5], s[34:35], 0x158
	s_waitcnt lgkmcnt(0)
	global_load_ushort v1, v2, s[2:3]
	global_load_ushort v4, v5, s[2:3]
	;; [unrolled: 1-line block ×8, first 2 shown]
	s_lshr_b32 s2, s4, 16
	s_sext_i32_i16 s3, s4
	s_sext_i32_i16 s4, s5
	s_cmp_gt_i32 s4, s3
	v_mov_b32_e32 v2, s2
	s_cselect_b64 vcc, -1, 0
	s_waitcnt vmcnt(7)
	v_cndmask_b32_e32 v1, v2, v1, vcc
	s_waitcnt vmcnt(6)
	v_cndmask_b32_e32 v4, v2, v4, vcc
	;; [unrolled: 2-line block ×8, first 2 shown]
	global_store_short v0, v1, s[0:1]
	global_store_short v3, v4, s[0:1]
	;; [unrolled: 1-line block ×8, first 2 shown]
	s_endpgm
.LBB101_129:
	v_mov_b32_e32 v0, 0
	v_mov_b32_e32 v2, 0
	s_branch .LBB101_135
.LBB101_130:
	v_mov_b32_e32 v0, 0
	v_mov_b32_e32 v2, 0
	s_branch .LBB101_151
.LBB101_131:
	s_mov_b32 s60, 0
	v_mov_b32_e32 v0, 0
	v_mov_b32_e32 v2, 0
	;; [unrolled: 1-line block ×3, first 2 shown]
.LBB101_132:
	s_and_b32 s8, s61, 3
	s_cmp_eq_u32 s8, 0
	s_cbranch_scc1 .LBB101_135
; %bb.133:
	s_lshl_b32 s4, s60, 3
	s_add_u32 s4, s34, s4
	s_addc_u32 s5, s35, 0
	s_add_u32 s4, s4, 0xc4
	s_addc_u32 s5, s5, 0
	s_mul_i32 s6, s60, 12
	s_add_u32 s6, s34, s6
	s_addc_u32 s7, s35, 0
.LBB101_134:                            ; =>This Inner Loop Header: Depth=1
	s_load_dwordx2 s[10:11], s[6:7], 0x4
	s_load_dword s9, s[6:7], 0xc
	s_load_dwordx2 s[12:13], s[4:5], 0x0
	s_add_u32 s6, s6, 12
	s_addc_u32 s7, s7, 0
	s_waitcnt lgkmcnt(0)
	v_mul_hi_u32 v3, s11, v1
	s_add_u32 s4, s4, 8
	s_addc_u32 s5, s5, 0
	s_add_i32 s8, s8, -1
	v_add_u32_e32 v3, v1, v3
	v_lshrrev_b32_e32 v4, s9, v3
	v_mul_lo_u32 v3, v4, s10
	s_cmp_lg_u32 s8, 0
	v_sub_u32_e32 v3, v1, v3
	v_mad_u64_u32 v[0:1], s[10:11], v3, s12, v[0:1]
	v_mad_u64_u32 v[2:3], s[10:11], v3, s13, v[2:3]
	v_mov_b32_e32 v1, v4
	s_cbranch_scc1 .LBB101_134
.LBB101_135:
	s_cbranch_execnz .LBB101_138
.LBB101_136:
	v_mul_hi_u32 v0, s25, v19
	s_andn2_b64 vcc, exec, s[44:45]
	v_add_u32_e32 v0, v19, v0
	v_lshrrev_b32_e32 v1, s26, v0
	v_mul_lo_u32 v0, v1, s24
	v_sub_u32_e32 v2, v19, v0
	v_mul_lo_u32 v0, v2, s28
	v_mul_lo_u32 v2, v2, s29
	s_cbranch_vccnz .LBB101_138
; %bb.137:
	v_mul_hi_u32 v3, s42, v1
	v_add_u32_e32 v3, v1, v3
	v_lshrrev_b32_e32 v3, s43, v3
	v_mul_lo_u32 v3, v3, s27
	v_sub_u32_e32 v3, v1, v3
	v_mad_u64_u32 v[0:1], s[4:5], v3, s30, v[0:1]
	v_mad_u64_u32 v[2:3], s[4:5], v3, s31, v[2:3]
.LBB101_138:
	global_load_ushort v1, v2, s[22:23]
	v_mov_b32_e32 v2, s57
	v_add_u32_e32 v19, 0x80, v19
	s_waitcnt vmcnt(0)
	v_cndmask_b32_e64 v1, v2, v1, s[0:1]
	global_store_short v0, v1, s[20:21]
	s_or_b64 exec, exec, s[50:51]
	v_cmp_gt_i32_e32 vcc, s58, v19
	s_and_saveexec_b64 s[50:51], vcc
	s_cbranch_execnz .LBB101_15
.LBB101_139:
	s_or_b64 exec, exec, s[50:51]
	v_cmp_gt_i32_e32 vcc, s58, v19
	s_and_saveexec_b64 s[50:51], vcc
	s_cbranch_execz .LBB101_155
.LBB101_140:
	s_andn2_b64 vcc, exec, s[2:3]
	s_cbranch_vccnz .LBB101_145
; %bb.141:
	s_andn2_b64 vcc, exec, s[48:49]
	s_cbranch_vccnz .LBB101_146
; %bb.142:
	s_add_i32 s61, s59, 1
	s_cmp_eq_u32 s56, 2
	s_cbranch_scc1 .LBB101_163
; %bb.143:
	s_and_b32 s60, s61, 28
	v_mov_b32_e32 v2, 0
	s_mov_b32 s62, 0
	s_mov_b64 s[52:53], s[34:35]
	s_mov_b64 s[54:55], s[46:47]
	v_mov_b32_e32 v0, 0
	v_mov_b32_e32 v1, v19
.LBB101_144:                            ; =>This Inner Loop Header: Depth=1
	s_load_dwordx8 s[12:19], s[52:53], 0x4
	s_load_dwordx4 s[36:39], s[52:53], 0x24
	s_load_dwordx8 s[4:11], s[54:55], 0x0
	s_add_u32 s52, s52, 48
	s_addc_u32 s53, s53, 0
	s_waitcnt lgkmcnt(0)
	v_mul_hi_u32 v3, s13, v1
	s_add_i32 s62, s62, 4
	s_add_u32 s54, s54, 32
	s_addc_u32 s55, s55, 0
	v_add_u32_e32 v3, v1, v3
	v_lshrrev_b32_e32 v3, s14, v3
	v_mul_lo_u32 v4, v3, s12
	v_mul_hi_u32 v5, s16, v3
	s_cmp_eq_u32 s60, s62
	v_sub_u32_e32 v1, v1, v4
	v_add_u32_e32 v4, v3, v5
	v_mul_lo_u32 v5, v1, s4
	v_mul_lo_u32 v6, v1, s5
	v_lshrrev_b32_e32 v1, s17, v4
	v_mul_lo_u32 v4, v1, s15
	v_mul_hi_u32 v7, s19, v1
	v_sub_u32_e32 v3, v3, v4
	v_add_u32_e32 v4, v1, v7
	v_lshrrev_b32_e32 v4, s36, v4
	v_mul_hi_u32 v8, s38, v4
	v_mul_lo_u32 v9, v4, s18
	v_mul_lo_u32 v7, v3, s6
	;; [unrolled: 1-line block ×3, first 2 shown]
	v_sub_u32_e32 v9, v1, v9
	v_add_u32_e32 v1, v4, v8
	v_lshrrev_b32_e32 v1, s39, v1
	v_mul_lo_u32 v8, v1, s37
	v_mul_lo_u32 v10, v9, s8
	;; [unrolled: 1-line block ×3, first 2 shown]
	v_add3_u32 v0, v5, v0, v7
	v_sub_u32_e32 v4, v4, v8
	v_mul_lo_u32 v8, v4, s10
	v_mul_lo_u32 v4, v4, s11
	v_add3_u32 v2, v6, v2, v3
	v_add3_u32 v0, v10, v0, v8
	;; [unrolled: 1-line block ×3, first 2 shown]
	s_cbranch_scc0 .LBB101_144
	s_branch .LBB101_164
.LBB101_145:
                                        ; implicit-def: $vgpr0
                                        ; implicit-def: $vgpr2
	s_branch .LBB101_168
.LBB101_146:
	v_mov_b32_e32 v0, 0
	v_mov_b32_e32 v2, 0
	s_branch .LBB101_167
.LBB101_147:
	s_mov_b32 s60, 0
	v_mov_b32_e32 v0, 0
	v_mov_b32_e32 v2, 0
	;; [unrolled: 1-line block ×3, first 2 shown]
.LBB101_148:
	s_and_b32 s8, s61, 3
	s_cmp_eq_u32 s8, 0
	s_cbranch_scc1 .LBB101_151
; %bb.149:
	s_lshl_b32 s4, s60, 3
	s_add_u32 s4, s34, s4
	s_addc_u32 s5, s35, 0
	s_add_u32 s4, s4, 0xc4
	s_addc_u32 s5, s5, 0
	s_mul_i32 s6, s60, 12
	s_add_u32 s6, s34, s6
	s_addc_u32 s7, s35, 0
.LBB101_150:                            ; =>This Inner Loop Header: Depth=1
	s_load_dwordx2 s[10:11], s[6:7], 0x4
	s_load_dword s9, s[6:7], 0xc
	s_load_dwordx2 s[12:13], s[4:5], 0x0
	s_add_u32 s6, s6, 12
	s_addc_u32 s7, s7, 0
	s_waitcnt lgkmcnt(0)
	v_mul_hi_u32 v3, s11, v1
	s_add_u32 s4, s4, 8
	s_addc_u32 s5, s5, 0
	s_add_i32 s8, s8, -1
	v_add_u32_e32 v3, v1, v3
	v_lshrrev_b32_e32 v4, s9, v3
	v_mul_lo_u32 v3, v4, s10
	s_cmp_lg_u32 s8, 0
	v_sub_u32_e32 v3, v1, v3
	v_mad_u64_u32 v[0:1], s[10:11], v3, s12, v[0:1]
	v_mad_u64_u32 v[2:3], s[10:11], v3, s13, v[2:3]
	v_mov_b32_e32 v1, v4
	s_cbranch_scc1 .LBB101_150
.LBB101_151:
	s_cbranch_execnz .LBB101_154
.LBB101_152:
	v_mul_hi_u32 v0, s25, v19
	s_andn2_b64 vcc, exec, s[44:45]
	v_add_u32_e32 v0, v19, v0
	v_lshrrev_b32_e32 v1, s26, v0
	v_mul_lo_u32 v0, v1, s24
	v_sub_u32_e32 v2, v19, v0
	v_mul_lo_u32 v0, v2, s28
	v_mul_lo_u32 v2, v2, s29
	s_cbranch_vccnz .LBB101_154
; %bb.153:
	v_mul_hi_u32 v3, s42, v1
	v_add_u32_e32 v3, v1, v3
	v_lshrrev_b32_e32 v3, s43, v3
	v_mul_lo_u32 v3, v3, s27
	v_sub_u32_e32 v3, v1, v3
	v_mad_u64_u32 v[0:1], s[4:5], v3, s30, v[0:1]
	v_mad_u64_u32 v[2:3], s[4:5], v3, s31, v[2:3]
.LBB101_154:
	global_load_ushort v1, v2, s[22:23]
	v_mov_b32_e32 v2, s57
	v_add_u32_e32 v19, 0x80, v19
	s_waitcnt vmcnt(0)
	v_cndmask_b32_e64 v1, v2, v1, s[0:1]
	global_store_short v0, v1, s[20:21]
	s_or_b64 exec, exec, s[50:51]
	v_cmp_gt_i32_e32 vcc, s58, v19
	s_and_saveexec_b64 s[50:51], vcc
	s_cbranch_execnz .LBB101_140
.LBB101_155:
	s_or_b64 exec, exec, s[50:51]
	v_cmp_gt_i32_e32 vcc, s58, v19
	s_and_saveexec_b64 s[50:51], vcc
	s_cbranch_execz .LBB101_171
.LBB101_156:
	s_andn2_b64 vcc, exec, s[2:3]
	s_cbranch_vccnz .LBB101_161
; %bb.157:
	s_andn2_b64 vcc, exec, s[48:49]
	s_cbranch_vccnz .LBB101_162
; %bb.158:
	s_add_i32 s61, s59, 1
	s_cmp_eq_u32 s56, 2
	s_cbranch_scc1 .LBB101_179
; %bb.159:
	s_and_b32 s60, s61, 28
	v_mov_b32_e32 v2, 0
	s_mov_b32 s62, 0
	s_mov_b64 s[52:53], s[34:35]
	s_mov_b64 s[54:55], s[46:47]
	v_mov_b32_e32 v0, 0
	v_mov_b32_e32 v1, v19
.LBB101_160:                            ; =>This Inner Loop Header: Depth=1
	s_load_dwordx8 s[12:19], s[52:53], 0x4
	s_load_dwordx4 s[36:39], s[52:53], 0x24
	s_load_dwordx8 s[4:11], s[54:55], 0x0
	s_add_u32 s52, s52, 48
	s_addc_u32 s53, s53, 0
	s_waitcnt lgkmcnt(0)
	v_mul_hi_u32 v3, s13, v1
	s_add_i32 s62, s62, 4
	s_add_u32 s54, s54, 32
	s_addc_u32 s55, s55, 0
	v_add_u32_e32 v3, v1, v3
	v_lshrrev_b32_e32 v3, s14, v3
	v_mul_lo_u32 v4, v3, s12
	v_mul_hi_u32 v5, s16, v3
	s_cmp_eq_u32 s60, s62
	v_sub_u32_e32 v1, v1, v4
	v_add_u32_e32 v4, v3, v5
	v_mul_lo_u32 v5, v1, s4
	v_mul_lo_u32 v6, v1, s5
	v_lshrrev_b32_e32 v1, s17, v4
	v_mul_lo_u32 v4, v1, s15
	v_mul_hi_u32 v7, s19, v1
	v_sub_u32_e32 v3, v3, v4
	v_add_u32_e32 v4, v1, v7
	v_lshrrev_b32_e32 v4, s36, v4
	v_mul_hi_u32 v8, s38, v4
	v_mul_lo_u32 v9, v4, s18
	v_mul_lo_u32 v7, v3, s6
	;; [unrolled: 1-line block ×3, first 2 shown]
	v_sub_u32_e32 v9, v1, v9
	v_add_u32_e32 v1, v4, v8
	v_lshrrev_b32_e32 v1, s39, v1
	v_mul_lo_u32 v8, v1, s37
	v_mul_lo_u32 v10, v9, s8
	;; [unrolled: 1-line block ×3, first 2 shown]
	v_add3_u32 v0, v5, v0, v7
	v_sub_u32_e32 v4, v4, v8
	v_mul_lo_u32 v8, v4, s10
	v_mul_lo_u32 v4, v4, s11
	v_add3_u32 v2, v6, v2, v3
	v_add3_u32 v0, v10, v0, v8
	;; [unrolled: 1-line block ×3, first 2 shown]
	s_cbranch_scc0 .LBB101_160
	s_branch .LBB101_180
.LBB101_161:
                                        ; implicit-def: $vgpr0
                                        ; implicit-def: $vgpr2
	s_branch .LBB101_184
.LBB101_162:
	v_mov_b32_e32 v0, 0
	v_mov_b32_e32 v2, 0
	s_branch .LBB101_183
.LBB101_163:
	s_mov_b32 s60, 0
	v_mov_b32_e32 v0, 0
	v_mov_b32_e32 v2, 0
	;; [unrolled: 1-line block ×3, first 2 shown]
.LBB101_164:
	s_and_b32 s8, s61, 3
	s_cmp_eq_u32 s8, 0
	s_cbranch_scc1 .LBB101_167
; %bb.165:
	s_lshl_b32 s4, s60, 3
	s_add_u32 s4, s34, s4
	s_addc_u32 s5, s35, 0
	s_add_u32 s4, s4, 0xc4
	s_addc_u32 s5, s5, 0
	s_mul_i32 s6, s60, 12
	s_add_u32 s6, s34, s6
	s_addc_u32 s7, s35, 0
.LBB101_166:                            ; =>This Inner Loop Header: Depth=1
	s_load_dwordx2 s[10:11], s[6:7], 0x4
	s_load_dword s9, s[6:7], 0xc
	s_load_dwordx2 s[12:13], s[4:5], 0x0
	s_add_u32 s6, s6, 12
	s_addc_u32 s7, s7, 0
	s_waitcnt lgkmcnt(0)
	v_mul_hi_u32 v3, s11, v1
	s_add_u32 s4, s4, 8
	s_addc_u32 s5, s5, 0
	s_add_i32 s8, s8, -1
	v_add_u32_e32 v3, v1, v3
	v_lshrrev_b32_e32 v4, s9, v3
	v_mul_lo_u32 v3, v4, s10
	s_cmp_lg_u32 s8, 0
	v_sub_u32_e32 v3, v1, v3
	v_mad_u64_u32 v[0:1], s[10:11], v3, s12, v[0:1]
	v_mad_u64_u32 v[2:3], s[10:11], v3, s13, v[2:3]
	v_mov_b32_e32 v1, v4
	s_cbranch_scc1 .LBB101_166
.LBB101_167:
	s_cbranch_execnz .LBB101_170
.LBB101_168:
	v_mul_hi_u32 v0, s25, v19
	s_andn2_b64 vcc, exec, s[44:45]
	v_add_u32_e32 v0, v19, v0
	v_lshrrev_b32_e32 v1, s26, v0
	v_mul_lo_u32 v0, v1, s24
	v_sub_u32_e32 v2, v19, v0
	v_mul_lo_u32 v0, v2, s28
	v_mul_lo_u32 v2, v2, s29
	s_cbranch_vccnz .LBB101_170
; %bb.169:
	v_mul_hi_u32 v3, s42, v1
	v_add_u32_e32 v3, v1, v3
	v_lshrrev_b32_e32 v3, s43, v3
	v_mul_lo_u32 v3, v3, s27
	v_sub_u32_e32 v3, v1, v3
	v_mad_u64_u32 v[0:1], s[4:5], v3, s30, v[0:1]
	v_mad_u64_u32 v[2:3], s[4:5], v3, s31, v[2:3]
.LBB101_170:
	global_load_ushort v1, v2, s[22:23]
	v_mov_b32_e32 v2, s57
	v_add_u32_e32 v19, 0x80, v19
	s_waitcnt vmcnt(0)
	v_cndmask_b32_e64 v1, v2, v1, s[0:1]
	global_store_short v0, v1, s[20:21]
	s_or_b64 exec, exec, s[50:51]
	v_cmp_gt_i32_e32 vcc, s58, v19
	s_and_saveexec_b64 s[50:51], vcc
	s_cbranch_execnz .LBB101_156
.LBB101_171:
	s_or_b64 exec, exec, s[50:51]
	v_cmp_gt_i32_e32 vcc, s58, v19
	s_and_saveexec_b64 s[50:51], vcc
	s_cbranch_execz .LBB101_187
.LBB101_172:
	s_andn2_b64 vcc, exec, s[2:3]
	s_cbranch_vccnz .LBB101_177
; %bb.173:
	s_andn2_b64 vcc, exec, s[48:49]
	s_cbranch_vccnz .LBB101_178
; %bb.174:
	s_add_i32 s61, s59, 1
	s_cmp_eq_u32 s56, 2
	s_cbranch_scc1 .LBB101_195
; %bb.175:
	s_and_b32 s60, s61, 28
	v_mov_b32_e32 v2, 0
	s_mov_b32 s62, 0
	s_mov_b64 s[52:53], s[34:35]
	s_mov_b64 s[54:55], s[46:47]
	v_mov_b32_e32 v0, 0
	v_mov_b32_e32 v1, v19
.LBB101_176:                            ; =>This Inner Loop Header: Depth=1
	s_load_dwordx8 s[12:19], s[52:53], 0x4
	s_load_dwordx4 s[36:39], s[52:53], 0x24
	s_load_dwordx8 s[4:11], s[54:55], 0x0
	s_add_u32 s52, s52, 48
	s_addc_u32 s53, s53, 0
	s_waitcnt lgkmcnt(0)
	v_mul_hi_u32 v3, s13, v1
	s_add_i32 s62, s62, 4
	s_add_u32 s54, s54, 32
	s_addc_u32 s55, s55, 0
	v_add_u32_e32 v3, v1, v3
	v_lshrrev_b32_e32 v3, s14, v3
	v_mul_lo_u32 v4, v3, s12
	v_mul_hi_u32 v5, s16, v3
	s_cmp_eq_u32 s60, s62
	v_sub_u32_e32 v1, v1, v4
	v_add_u32_e32 v4, v3, v5
	v_mul_lo_u32 v5, v1, s4
	v_mul_lo_u32 v6, v1, s5
	v_lshrrev_b32_e32 v1, s17, v4
	v_mul_lo_u32 v4, v1, s15
	v_mul_hi_u32 v7, s19, v1
	v_sub_u32_e32 v3, v3, v4
	v_add_u32_e32 v4, v1, v7
	v_lshrrev_b32_e32 v4, s36, v4
	v_mul_hi_u32 v8, s38, v4
	v_mul_lo_u32 v9, v4, s18
	v_mul_lo_u32 v7, v3, s6
	;; [unrolled: 1-line block ×3, first 2 shown]
	v_sub_u32_e32 v9, v1, v9
	v_add_u32_e32 v1, v4, v8
	v_lshrrev_b32_e32 v1, s39, v1
	v_mul_lo_u32 v8, v1, s37
	v_mul_lo_u32 v10, v9, s8
	;; [unrolled: 1-line block ×3, first 2 shown]
	v_add3_u32 v0, v5, v0, v7
	v_sub_u32_e32 v4, v4, v8
	v_mul_lo_u32 v8, v4, s10
	v_mul_lo_u32 v4, v4, s11
	v_add3_u32 v2, v6, v2, v3
	v_add3_u32 v0, v10, v0, v8
	;; [unrolled: 1-line block ×3, first 2 shown]
	s_cbranch_scc0 .LBB101_176
	s_branch .LBB101_196
.LBB101_177:
                                        ; implicit-def: $vgpr0
                                        ; implicit-def: $vgpr2
	s_branch .LBB101_200
.LBB101_178:
	v_mov_b32_e32 v0, 0
	v_mov_b32_e32 v2, 0
	s_branch .LBB101_199
.LBB101_179:
	s_mov_b32 s60, 0
	v_mov_b32_e32 v0, 0
	v_mov_b32_e32 v2, 0
	;; [unrolled: 1-line block ×3, first 2 shown]
.LBB101_180:
	s_and_b32 s8, s61, 3
	s_cmp_eq_u32 s8, 0
	s_cbranch_scc1 .LBB101_183
; %bb.181:
	s_lshl_b32 s4, s60, 3
	s_add_u32 s4, s34, s4
	s_addc_u32 s5, s35, 0
	s_add_u32 s4, s4, 0xc4
	s_addc_u32 s5, s5, 0
	s_mul_i32 s6, s60, 12
	s_add_u32 s6, s34, s6
	s_addc_u32 s7, s35, 0
.LBB101_182:                            ; =>This Inner Loop Header: Depth=1
	s_load_dwordx2 s[10:11], s[6:7], 0x4
	s_load_dword s9, s[6:7], 0xc
	s_load_dwordx2 s[12:13], s[4:5], 0x0
	s_add_u32 s6, s6, 12
	s_addc_u32 s7, s7, 0
	s_waitcnt lgkmcnt(0)
	v_mul_hi_u32 v3, s11, v1
	s_add_u32 s4, s4, 8
	s_addc_u32 s5, s5, 0
	s_add_i32 s8, s8, -1
	v_add_u32_e32 v3, v1, v3
	v_lshrrev_b32_e32 v4, s9, v3
	v_mul_lo_u32 v3, v4, s10
	s_cmp_lg_u32 s8, 0
	v_sub_u32_e32 v3, v1, v3
	v_mad_u64_u32 v[0:1], s[10:11], v3, s12, v[0:1]
	v_mad_u64_u32 v[2:3], s[10:11], v3, s13, v[2:3]
	v_mov_b32_e32 v1, v4
	s_cbranch_scc1 .LBB101_182
.LBB101_183:
	s_cbranch_execnz .LBB101_186
.LBB101_184:
	v_mul_hi_u32 v0, s25, v19
	s_andn2_b64 vcc, exec, s[44:45]
	v_add_u32_e32 v0, v19, v0
	v_lshrrev_b32_e32 v1, s26, v0
	v_mul_lo_u32 v0, v1, s24
	v_sub_u32_e32 v2, v19, v0
	v_mul_lo_u32 v0, v2, s28
	v_mul_lo_u32 v2, v2, s29
	s_cbranch_vccnz .LBB101_186
; %bb.185:
	v_mul_hi_u32 v3, s42, v1
	v_add_u32_e32 v3, v1, v3
	v_lshrrev_b32_e32 v3, s43, v3
	v_mul_lo_u32 v3, v3, s27
	v_sub_u32_e32 v3, v1, v3
	v_mad_u64_u32 v[0:1], s[4:5], v3, s30, v[0:1]
	v_mad_u64_u32 v[2:3], s[4:5], v3, s31, v[2:3]
.LBB101_186:
	global_load_ushort v1, v2, s[22:23]
	v_mov_b32_e32 v2, s57
	v_add_u32_e32 v19, 0x80, v19
	s_waitcnt vmcnt(0)
	v_cndmask_b32_e64 v1, v2, v1, s[0:1]
	global_store_short v0, v1, s[20:21]
	s_or_b64 exec, exec, s[50:51]
	v_cmp_gt_i32_e32 vcc, s58, v19
	s_and_saveexec_b64 s[50:51], vcc
	s_cbranch_execnz .LBB101_172
.LBB101_187:
	s_or_b64 exec, exec, s[50:51]
	v_cmp_gt_i32_e32 vcc, s58, v19
	s_and_saveexec_b64 s[50:51], vcc
	s_cbranch_execz .LBB101_203
.LBB101_188:
	s_andn2_b64 vcc, exec, s[2:3]
	s_cbranch_vccnz .LBB101_193
; %bb.189:
	s_andn2_b64 vcc, exec, s[48:49]
	s_cbranch_vccnz .LBB101_194
; %bb.190:
	s_add_i32 s61, s59, 1
	s_cmp_eq_u32 s56, 2
	s_cbranch_scc1 .LBB101_211
; %bb.191:
	s_and_b32 s60, s61, 28
	v_mov_b32_e32 v2, 0
	s_mov_b32 s62, 0
	s_mov_b64 s[52:53], s[34:35]
	s_mov_b64 s[54:55], s[46:47]
	v_mov_b32_e32 v0, 0
	v_mov_b32_e32 v1, v19
.LBB101_192:                            ; =>This Inner Loop Header: Depth=1
	s_load_dwordx8 s[12:19], s[52:53], 0x4
	s_load_dwordx4 s[36:39], s[52:53], 0x24
	s_load_dwordx8 s[4:11], s[54:55], 0x0
	s_add_u32 s52, s52, 48
	s_addc_u32 s53, s53, 0
	s_waitcnt lgkmcnt(0)
	v_mul_hi_u32 v3, s13, v1
	s_add_i32 s62, s62, 4
	s_add_u32 s54, s54, 32
	s_addc_u32 s55, s55, 0
	v_add_u32_e32 v3, v1, v3
	v_lshrrev_b32_e32 v3, s14, v3
	v_mul_lo_u32 v4, v3, s12
	v_mul_hi_u32 v5, s16, v3
	s_cmp_eq_u32 s60, s62
	v_sub_u32_e32 v1, v1, v4
	v_add_u32_e32 v4, v3, v5
	v_mul_lo_u32 v5, v1, s4
	v_mul_lo_u32 v6, v1, s5
	v_lshrrev_b32_e32 v1, s17, v4
	v_mul_lo_u32 v4, v1, s15
	v_mul_hi_u32 v7, s19, v1
	v_sub_u32_e32 v3, v3, v4
	v_add_u32_e32 v4, v1, v7
	v_lshrrev_b32_e32 v4, s36, v4
	v_mul_hi_u32 v8, s38, v4
	v_mul_lo_u32 v9, v4, s18
	v_mul_lo_u32 v7, v3, s6
	;; [unrolled: 1-line block ×3, first 2 shown]
	v_sub_u32_e32 v9, v1, v9
	v_add_u32_e32 v1, v4, v8
	v_lshrrev_b32_e32 v1, s39, v1
	v_mul_lo_u32 v8, v1, s37
	v_mul_lo_u32 v10, v9, s8
	v_mul_lo_u32 v9, v9, s9
	v_add3_u32 v0, v5, v0, v7
	v_sub_u32_e32 v4, v4, v8
	v_mul_lo_u32 v8, v4, s10
	v_mul_lo_u32 v4, v4, s11
	v_add3_u32 v2, v6, v2, v3
	v_add3_u32 v0, v10, v0, v8
	;; [unrolled: 1-line block ×3, first 2 shown]
	s_cbranch_scc0 .LBB101_192
	s_branch .LBB101_212
.LBB101_193:
                                        ; implicit-def: $vgpr0
                                        ; implicit-def: $vgpr2
	s_branch .LBB101_216
.LBB101_194:
	v_mov_b32_e32 v0, 0
	v_mov_b32_e32 v2, 0
	s_branch .LBB101_215
.LBB101_195:
	s_mov_b32 s60, 0
	v_mov_b32_e32 v0, 0
	v_mov_b32_e32 v2, 0
	;; [unrolled: 1-line block ×3, first 2 shown]
.LBB101_196:
	s_and_b32 s8, s61, 3
	s_cmp_eq_u32 s8, 0
	s_cbranch_scc1 .LBB101_199
; %bb.197:
	s_lshl_b32 s4, s60, 3
	s_add_u32 s4, s34, s4
	s_addc_u32 s5, s35, 0
	s_add_u32 s4, s4, 0xc4
	s_addc_u32 s5, s5, 0
	s_mul_i32 s6, s60, 12
	s_add_u32 s6, s34, s6
	s_addc_u32 s7, s35, 0
.LBB101_198:                            ; =>This Inner Loop Header: Depth=1
	s_load_dwordx2 s[10:11], s[6:7], 0x4
	s_load_dword s9, s[6:7], 0xc
	s_load_dwordx2 s[12:13], s[4:5], 0x0
	s_add_u32 s6, s6, 12
	s_addc_u32 s7, s7, 0
	s_waitcnt lgkmcnt(0)
	v_mul_hi_u32 v3, s11, v1
	s_add_u32 s4, s4, 8
	s_addc_u32 s5, s5, 0
	s_add_i32 s8, s8, -1
	v_add_u32_e32 v3, v1, v3
	v_lshrrev_b32_e32 v4, s9, v3
	v_mul_lo_u32 v3, v4, s10
	s_cmp_lg_u32 s8, 0
	v_sub_u32_e32 v3, v1, v3
	v_mad_u64_u32 v[0:1], s[10:11], v3, s12, v[0:1]
	v_mad_u64_u32 v[2:3], s[10:11], v3, s13, v[2:3]
	v_mov_b32_e32 v1, v4
	s_cbranch_scc1 .LBB101_198
.LBB101_199:
	s_cbranch_execnz .LBB101_202
.LBB101_200:
	v_mul_hi_u32 v0, s25, v19
	s_andn2_b64 vcc, exec, s[44:45]
	v_add_u32_e32 v0, v19, v0
	v_lshrrev_b32_e32 v1, s26, v0
	v_mul_lo_u32 v0, v1, s24
	v_sub_u32_e32 v2, v19, v0
	v_mul_lo_u32 v0, v2, s28
	v_mul_lo_u32 v2, v2, s29
	s_cbranch_vccnz .LBB101_202
; %bb.201:
	v_mul_hi_u32 v3, s42, v1
	v_add_u32_e32 v3, v1, v3
	v_lshrrev_b32_e32 v3, s43, v3
	v_mul_lo_u32 v3, v3, s27
	v_sub_u32_e32 v3, v1, v3
	v_mad_u64_u32 v[0:1], s[4:5], v3, s30, v[0:1]
	v_mad_u64_u32 v[2:3], s[4:5], v3, s31, v[2:3]
.LBB101_202:
	global_load_ushort v1, v2, s[22:23]
	v_mov_b32_e32 v2, s57
	v_add_u32_e32 v19, 0x80, v19
	s_waitcnt vmcnt(0)
	v_cndmask_b32_e64 v1, v2, v1, s[0:1]
	global_store_short v0, v1, s[20:21]
	s_or_b64 exec, exec, s[50:51]
	v_cmp_gt_i32_e32 vcc, s58, v19
	s_and_saveexec_b64 s[50:51], vcc
	s_cbranch_execnz .LBB101_188
.LBB101_203:
	s_or_b64 exec, exec, s[50:51]
	v_cmp_gt_i32_e32 vcc, s58, v19
	s_and_saveexec_b64 s[50:51], vcc
	s_cbranch_execz .LBB101_219
.LBB101_204:
	s_andn2_b64 vcc, exec, s[2:3]
	s_cbranch_vccnz .LBB101_209
; %bb.205:
	s_andn2_b64 vcc, exec, s[48:49]
	s_cbranch_vccnz .LBB101_210
; %bb.206:
	s_add_i32 s61, s59, 1
	s_cmp_eq_u32 s56, 2
	s_cbranch_scc1 .LBB101_222
; %bb.207:
	s_and_b32 s60, s61, 28
	v_mov_b32_e32 v2, 0
	s_mov_b32 s62, 0
	s_mov_b64 s[52:53], s[34:35]
	s_mov_b64 s[54:55], s[46:47]
	v_mov_b32_e32 v0, 0
	v_mov_b32_e32 v1, v19
.LBB101_208:                            ; =>This Inner Loop Header: Depth=1
	s_load_dwordx8 s[12:19], s[52:53], 0x4
	s_load_dwordx4 s[36:39], s[52:53], 0x24
	s_load_dwordx8 s[4:11], s[54:55], 0x0
	s_add_u32 s52, s52, 48
	s_addc_u32 s53, s53, 0
	s_waitcnt lgkmcnt(0)
	v_mul_hi_u32 v3, s13, v1
	s_add_i32 s62, s62, 4
	s_add_u32 s54, s54, 32
	s_addc_u32 s55, s55, 0
	v_add_u32_e32 v3, v1, v3
	v_lshrrev_b32_e32 v3, s14, v3
	v_mul_lo_u32 v4, v3, s12
	v_mul_hi_u32 v5, s16, v3
	s_cmp_eq_u32 s60, s62
	v_sub_u32_e32 v1, v1, v4
	v_add_u32_e32 v4, v3, v5
	v_mul_lo_u32 v5, v1, s4
	v_mul_lo_u32 v6, v1, s5
	v_lshrrev_b32_e32 v1, s17, v4
	v_mul_lo_u32 v4, v1, s15
	v_mul_hi_u32 v7, s19, v1
	v_sub_u32_e32 v3, v3, v4
	v_add_u32_e32 v4, v1, v7
	v_lshrrev_b32_e32 v4, s36, v4
	v_mul_hi_u32 v8, s38, v4
	v_mul_lo_u32 v9, v4, s18
	v_mul_lo_u32 v7, v3, s6
	;; [unrolled: 1-line block ×3, first 2 shown]
	v_sub_u32_e32 v9, v1, v9
	v_add_u32_e32 v1, v4, v8
	v_lshrrev_b32_e32 v1, s39, v1
	v_mul_lo_u32 v8, v1, s37
	v_mul_lo_u32 v10, v9, s8
	;; [unrolled: 1-line block ×3, first 2 shown]
	v_add3_u32 v0, v5, v0, v7
	v_sub_u32_e32 v4, v4, v8
	v_mul_lo_u32 v8, v4, s10
	v_mul_lo_u32 v4, v4, s11
	v_add3_u32 v2, v6, v2, v3
	v_add3_u32 v0, v10, v0, v8
	;; [unrolled: 1-line block ×3, first 2 shown]
	s_cbranch_scc0 .LBB101_208
	s_branch .LBB101_223
.LBB101_209:
                                        ; implicit-def: $vgpr0
                                        ; implicit-def: $vgpr2
	s_branch .LBB101_227
.LBB101_210:
	v_mov_b32_e32 v0, 0
	v_mov_b32_e32 v2, 0
	s_branch .LBB101_226
.LBB101_211:
	s_mov_b32 s60, 0
	v_mov_b32_e32 v0, 0
	v_mov_b32_e32 v2, 0
	v_mov_b32_e32 v1, v19
.LBB101_212:
	s_and_b32 s8, s61, 3
	s_cmp_eq_u32 s8, 0
	s_cbranch_scc1 .LBB101_215
; %bb.213:
	s_lshl_b32 s4, s60, 3
	s_add_u32 s4, s34, s4
	s_addc_u32 s5, s35, 0
	s_add_u32 s4, s4, 0xc4
	s_addc_u32 s5, s5, 0
	s_mul_i32 s6, s60, 12
	s_add_u32 s6, s34, s6
	s_addc_u32 s7, s35, 0
.LBB101_214:                            ; =>This Inner Loop Header: Depth=1
	s_load_dwordx2 s[10:11], s[6:7], 0x4
	s_load_dword s9, s[6:7], 0xc
	s_load_dwordx2 s[12:13], s[4:5], 0x0
	s_add_u32 s6, s6, 12
	s_addc_u32 s7, s7, 0
	s_waitcnt lgkmcnt(0)
	v_mul_hi_u32 v3, s11, v1
	s_add_u32 s4, s4, 8
	s_addc_u32 s5, s5, 0
	s_add_i32 s8, s8, -1
	v_add_u32_e32 v3, v1, v3
	v_lshrrev_b32_e32 v4, s9, v3
	v_mul_lo_u32 v3, v4, s10
	s_cmp_lg_u32 s8, 0
	v_sub_u32_e32 v3, v1, v3
	v_mad_u64_u32 v[0:1], s[10:11], v3, s12, v[0:1]
	v_mad_u64_u32 v[2:3], s[10:11], v3, s13, v[2:3]
	v_mov_b32_e32 v1, v4
	s_cbranch_scc1 .LBB101_214
.LBB101_215:
	s_cbranch_execnz .LBB101_218
.LBB101_216:
	v_mul_hi_u32 v0, s25, v19
	s_andn2_b64 vcc, exec, s[44:45]
	v_add_u32_e32 v0, v19, v0
	v_lshrrev_b32_e32 v1, s26, v0
	v_mul_lo_u32 v0, v1, s24
	v_sub_u32_e32 v2, v19, v0
	v_mul_lo_u32 v0, v2, s28
	v_mul_lo_u32 v2, v2, s29
	s_cbranch_vccnz .LBB101_218
; %bb.217:
	v_mul_hi_u32 v3, s42, v1
	v_add_u32_e32 v3, v1, v3
	v_lshrrev_b32_e32 v3, s43, v3
	v_mul_lo_u32 v3, v3, s27
	v_sub_u32_e32 v3, v1, v3
	v_mad_u64_u32 v[0:1], s[4:5], v3, s30, v[0:1]
	v_mad_u64_u32 v[2:3], s[4:5], v3, s31, v[2:3]
.LBB101_218:
	global_load_ushort v1, v2, s[22:23]
	v_mov_b32_e32 v2, s57
	v_add_u32_e32 v19, 0x80, v19
	s_waitcnt vmcnt(0)
	v_cndmask_b32_e64 v1, v2, v1, s[0:1]
	global_store_short v0, v1, s[20:21]
	s_or_b64 exec, exec, s[50:51]
	v_cmp_gt_i32_e32 vcc, s58, v19
	s_and_saveexec_b64 s[50:51], vcc
	s_cbranch_execnz .LBB101_204
.LBB101_219:
	s_or_b64 exec, exec, s[50:51]
	v_cmp_gt_i32_e32 vcc, s58, v19
	s_and_saveexec_b64 s[50:51], vcc
	s_cbranch_execnz .LBB101_230
.LBB101_220:
	s_or_b64 exec, exec, s[50:51]
                                        ; implicit-def: $vgpr25
                                        ; implicit-def: $vgpr19
	s_andn2_saveexec_b64 s[0:1], s[40:41]
	s_cbranch_execnz .LBB101_8
.LBB101_221:
	s_endpgm
.LBB101_222:
	s_mov_b32 s60, 0
	v_mov_b32_e32 v0, 0
	v_mov_b32_e32 v2, 0
	;; [unrolled: 1-line block ×3, first 2 shown]
.LBB101_223:
	s_and_b32 s8, s61, 3
	s_cmp_eq_u32 s8, 0
	s_cbranch_scc1 .LBB101_226
; %bb.224:
	s_lshl_b32 s4, s60, 3
	s_add_u32 s4, s34, s4
	s_addc_u32 s5, s35, 0
	s_add_u32 s4, s4, 0xc4
	s_addc_u32 s5, s5, 0
	s_mul_i32 s6, s60, 12
	s_add_u32 s6, s34, s6
	s_addc_u32 s7, s35, 0
.LBB101_225:                            ; =>This Inner Loop Header: Depth=1
	s_load_dwordx2 s[10:11], s[6:7], 0x4
	s_load_dword s9, s[6:7], 0xc
	s_load_dwordx2 s[12:13], s[4:5], 0x0
	s_add_u32 s6, s6, 12
	s_addc_u32 s7, s7, 0
	s_waitcnt lgkmcnt(0)
	v_mul_hi_u32 v3, s11, v1
	s_add_u32 s4, s4, 8
	s_addc_u32 s5, s5, 0
	s_add_i32 s8, s8, -1
	v_add_u32_e32 v3, v1, v3
	v_lshrrev_b32_e32 v4, s9, v3
	v_mul_lo_u32 v3, v4, s10
	s_cmp_lg_u32 s8, 0
	v_sub_u32_e32 v3, v1, v3
	v_mad_u64_u32 v[0:1], s[10:11], v3, s12, v[0:1]
	v_mad_u64_u32 v[2:3], s[10:11], v3, s13, v[2:3]
	v_mov_b32_e32 v1, v4
	s_cbranch_scc1 .LBB101_225
.LBB101_226:
	s_cbranch_execnz .LBB101_229
.LBB101_227:
	v_mul_hi_u32 v0, s25, v19
	s_andn2_b64 vcc, exec, s[44:45]
	v_add_u32_e32 v0, v19, v0
	v_lshrrev_b32_e32 v1, s26, v0
	v_mul_lo_u32 v0, v1, s24
	v_sub_u32_e32 v2, v19, v0
	v_mul_lo_u32 v0, v2, s28
	v_mul_lo_u32 v2, v2, s29
	s_cbranch_vccnz .LBB101_229
; %bb.228:
	v_mul_hi_u32 v3, s42, v1
	v_add_u32_e32 v3, v1, v3
	v_lshrrev_b32_e32 v3, s43, v3
	v_mul_lo_u32 v3, v3, s27
	v_sub_u32_e32 v3, v1, v3
	v_mad_u64_u32 v[0:1], s[4:5], v3, s30, v[0:1]
	v_mad_u64_u32 v[2:3], s[4:5], v3, s31, v[2:3]
.LBB101_229:
	global_load_ushort v1, v2, s[22:23]
	v_mov_b32_e32 v2, s57
	v_add_u32_e32 v19, 0x80, v19
	s_waitcnt vmcnt(0)
	v_cndmask_b32_e64 v1, v2, v1, s[0:1]
	global_store_short v0, v1, s[20:21]
	s_or_b64 exec, exec, s[50:51]
	v_cmp_gt_i32_e32 vcc, s58, v19
	s_and_saveexec_b64 s[50:51], vcc
	s_cbranch_execz .LBB101_220
.LBB101_230:
	s_andn2_b64 vcc, exec, s[2:3]
	s_cbranch_vccnz .LBB101_235
; %bb.231:
	s_andn2_b64 vcc, exec, s[48:49]
	s_cbranch_vccnz .LBB101_236
; %bb.232:
	s_add_i32 s59, s59, 1
	s_cmp_eq_u32 s56, 2
	s_cbranch_scc1 .LBB101_237
; %bb.233:
	s_and_b32 s52, s59, 28
	v_mov_b32_e32 v2, 0
	s_mov_b32 s53, 0
	s_mov_b64 s[48:49], s[34:35]
	v_mov_b32_e32 v0, 0
	v_mov_b32_e32 v1, v19
.LBB101_234:                            ; =>This Inner Loop Header: Depth=1
	s_load_dwordx8 s[12:19], s[48:49], 0x4
	s_load_dwordx4 s[36:39], s[48:49], 0x24
	s_load_dwordx8 s[4:11], s[46:47], 0x0
	s_add_u32 s48, s48, 48
	s_addc_u32 s49, s49, 0
	s_waitcnt lgkmcnt(0)
	v_mul_hi_u32 v3, s13, v1
	s_add_i32 s53, s53, 4
	s_add_u32 s46, s46, 32
	s_addc_u32 s47, s47, 0
	v_add_u32_e32 v3, v1, v3
	v_lshrrev_b32_e32 v3, s14, v3
	v_mul_lo_u32 v4, v3, s12
	v_mul_hi_u32 v5, s16, v3
	s_cmp_eq_u32 s52, s53
	v_sub_u32_e32 v1, v1, v4
	v_add_u32_e32 v4, v3, v5
	v_mul_lo_u32 v5, v1, s4
	v_mul_lo_u32 v6, v1, s5
	v_lshrrev_b32_e32 v1, s17, v4
	v_mul_lo_u32 v4, v1, s15
	v_mul_hi_u32 v7, s19, v1
	v_sub_u32_e32 v3, v3, v4
	v_add_u32_e32 v4, v1, v7
	v_lshrrev_b32_e32 v4, s36, v4
	v_mul_hi_u32 v8, s38, v4
	v_mul_lo_u32 v9, v4, s18
	v_mul_lo_u32 v7, v3, s6
	;; [unrolled: 1-line block ×3, first 2 shown]
	v_sub_u32_e32 v9, v1, v9
	v_add_u32_e32 v1, v4, v8
	v_lshrrev_b32_e32 v1, s39, v1
	v_mul_lo_u32 v8, v1, s37
	v_mul_lo_u32 v10, v9, s8
	;; [unrolled: 1-line block ×3, first 2 shown]
	v_add3_u32 v0, v5, v0, v7
	v_sub_u32_e32 v4, v4, v8
	v_mul_lo_u32 v8, v4, s10
	v_mul_lo_u32 v4, v4, s11
	v_add3_u32 v2, v6, v2, v3
	v_add3_u32 v0, v10, v0, v8
	;; [unrolled: 1-line block ×3, first 2 shown]
	s_cbranch_scc0 .LBB101_234
	s_branch .LBB101_238
.LBB101_235:
                                        ; implicit-def: $vgpr0
                                        ; implicit-def: $vgpr2
	s_branch .LBB101_242
.LBB101_236:
	v_mov_b32_e32 v0, 0
	v_mov_b32_e32 v2, 0
	s_branch .LBB101_241
.LBB101_237:
	s_mov_b32 s52, 0
	v_mov_b32_e32 v0, 0
	v_mov_b32_e32 v2, 0
	;; [unrolled: 1-line block ×3, first 2 shown]
.LBB101_238:
	s_and_b32 s8, s59, 3
	s_cmp_eq_u32 s8, 0
	s_cbranch_scc1 .LBB101_241
; %bb.239:
	s_lshl_b32 s4, s52, 3
	s_add_u32 s4, s34, s4
	s_addc_u32 s5, s35, 0
	s_add_u32 s4, s4, 0xc4
	s_addc_u32 s5, s5, 0
	s_mul_i32 s6, s52, 12
	s_add_u32 s6, s34, s6
	s_addc_u32 s7, s35, 0
.LBB101_240:                            ; =>This Inner Loop Header: Depth=1
	s_load_dwordx2 s[10:11], s[6:7], 0x4
	s_load_dword s9, s[6:7], 0xc
	s_load_dwordx2 s[12:13], s[4:5], 0x0
	s_add_u32 s6, s6, 12
	s_addc_u32 s7, s7, 0
	s_waitcnt lgkmcnt(0)
	v_mul_hi_u32 v3, s11, v1
	s_add_u32 s4, s4, 8
	s_addc_u32 s5, s5, 0
	s_add_i32 s8, s8, -1
	v_add_u32_e32 v3, v1, v3
	v_lshrrev_b32_e32 v4, s9, v3
	v_mul_lo_u32 v3, v4, s10
	s_cmp_lg_u32 s8, 0
	v_sub_u32_e32 v3, v1, v3
	v_mad_u64_u32 v[0:1], s[10:11], v3, s12, v[0:1]
	v_mad_u64_u32 v[2:3], s[10:11], v3, s13, v[2:3]
	v_mov_b32_e32 v1, v4
	s_cbranch_scc1 .LBB101_240
.LBB101_241:
	s_cbranch_execnz .LBB101_244
.LBB101_242:
	v_mul_hi_u32 v0, s25, v19
	s_andn2_b64 vcc, exec, s[44:45]
	v_add_u32_e32 v0, v19, v0
	v_lshrrev_b32_e32 v1, s26, v0
	v_mul_lo_u32 v0, v1, s24
	v_sub_u32_e32 v2, v19, v0
	v_mul_lo_u32 v0, v2, s28
	v_mul_lo_u32 v2, v2, s29
	s_cbranch_vccnz .LBB101_244
; %bb.243:
	v_mul_hi_u32 v3, s42, v1
	v_add_u32_e32 v3, v1, v3
	v_lshrrev_b32_e32 v3, s43, v3
	v_mul_lo_u32 v3, v3, s27
	v_sub_u32_e32 v3, v1, v3
	v_mad_u64_u32 v[0:1], s[4:5], v3, s30, v[0:1]
	v_mad_u64_u32 v[2:3], s[4:5], v3, s31, v[2:3]
.LBB101_244:
	global_load_ushort v1, v2, s[22:23]
	v_mov_b32_e32 v2, s57
	s_waitcnt vmcnt(0)
	v_cndmask_b32_e64 v1, v2, v1, s[0:1]
	global_store_short v0, v1, s[20:21]
	s_or_b64 exec, exec, s[50:51]
                                        ; implicit-def: $vgpr25
                                        ; implicit-def: $vgpr19
	s_andn2_saveexec_b64 s[0:1], s[40:41]
	s_cbranch_execz .LBB101_221
	s_branch .LBB101_8
	.section	.rodata,"a",@progbits
	.p2align	6, 0x0
	.amdhsa_kernel _ZN2at6native32elementwise_kernel_manual_unrollILi128ELi8EZNS0_22gpu_kernel_impl_nocastINS0_13AUnaryFunctorIsssZNS0_12_GLOBAL__N_121threshold_kernel_implIsEEvRNS_18TensorIteratorBaseET_S8_EUlssE_EEEEvS7_RKS8_EUlibE_EEviT1_
		.amdhsa_group_segment_fixed_size 0
		.amdhsa_private_segment_fixed_size 0
		.amdhsa_kernarg_size 360
		.amdhsa_user_sgpr_count 6
		.amdhsa_user_sgpr_private_segment_buffer 1
		.amdhsa_user_sgpr_dispatch_ptr 0
		.amdhsa_user_sgpr_queue_ptr 0
		.amdhsa_user_sgpr_kernarg_segment_ptr 1
		.amdhsa_user_sgpr_dispatch_id 0
		.amdhsa_user_sgpr_flat_scratch_init 0
		.amdhsa_user_sgpr_private_segment_size 0
		.amdhsa_uses_dynamic_stack 0
		.amdhsa_system_sgpr_private_segment_wavefront_offset 0
		.amdhsa_system_sgpr_workgroup_id_x 1
		.amdhsa_system_sgpr_workgroup_id_y 0
		.amdhsa_system_sgpr_workgroup_id_z 0
		.amdhsa_system_sgpr_workgroup_info 0
		.amdhsa_system_vgpr_workitem_id 0
		.amdhsa_next_free_vgpr 26
		.amdhsa_next_free_sgpr 63
		.amdhsa_reserve_vcc 1
		.amdhsa_reserve_flat_scratch 0
		.amdhsa_float_round_mode_32 0
		.amdhsa_float_round_mode_16_64 0
		.amdhsa_float_denorm_mode_32 3
		.amdhsa_float_denorm_mode_16_64 3
		.amdhsa_dx10_clamp 1
		.amdhsa_ieee_mode 1
		.amdhsa_fp16_overflow 0
		.amdhsa_exception_fp_ieee_invalid_op 0
		.amdhsa_exception_fp_denorm_src 0
		.amdhsa_exception_fp_ieee_div_zero 0
		.amdhsa_exception_fp_ieee_overflow 0
		.amdhsa_exception_fp_ieee_underflow 0
		.amdhsa_exception_fp_ieee_inexact 0
		.amdhsa_exception_int_div_zero 0
	.end_amdhsa_kernel
	.section	.text._ZN2at6native32elementwise_kernel_manual_unrollILi128ELi8EZNS0_22gpu_kernel_impl_nocastINS0_13AUnaryFunctorIsssZNS0_12_GLOBAL__N_121threshold_kernel_implIsEEvRNS_18TensorIteratorBaseET_S8_EUlssE_EEEEvS7_RKS8_EUlibE_EEviT1_,"axG",@progbits,_ZN2at6native32elementwise_kernel_manual_unrollILi128ELi8EZNS0_22gpu_kernel_impl_nocastINS0_13AUnaryFunctorIsssZNS0_12_GLOBAL__N_121threshold_kernel_implIsEEvRNS_18TensorIteratorBaseET_S8_EUlssE_EEEEvS7_RKS8_EUlibE_EEviT1_,comdat
.Lfunc_end101:
	.size	_ZN2at6native32elementwise_kernel_manual_unrollILi128ELi8EZNS0_22gpu_kernel_impl_nocastINS0_13AUnaryFunctorIsssZNS0_12_GLOBAL__N_121threshold_kernel_implIsEEvRNS_18TensorIteratorBaseET_S8_EUlssE_EEEEvS7_RKS8_EUlibE_EEviT1_, .Lfunc_end101-_ZN2at6native32elementwise_kernel_manual_unrollILi128ELi8EZNS0_22gpu_kernel_impl_nocastINS0_13AUnaryFunctorIsssZNS0_12_GLOBAL__N_121threshold_kernel_implIsEEvRNS_18TensorIteratorBaseET_S8_EUlssE_EEEEvS7_RKS8_EUlibE_EEviT1_
                                        ; -- End function
	.set _ZN2at6native32elementwise_kernel_manual_unrollILi128ELi8EZNS0_22gpu_kernel_impl_nocastINS0_13AUnaryFunctorIsssZNS0_12_GLOBAL__N_121threshold_kernel_implIsEEvRNS_18TensorIteratorBaseET_S8_EUlssE_EEEEvS7_RKS8_EUlibE_EEviT1_.num_vgpr, 26
	.set _ZN2at6native32elementwise_kernel_manual_unrollILi128ELi8EZNS0_22gpu_kernel_impl_nocastINS0_13AUnaryFunctorIsssZNS0_12_GLOBAL__N_121threshold_kernel_implIsEEvRNS_18TensorIteratorBaseET_S8_EUlssE_EEEEvS7_RKS8_EUlibE_EEviT1_.num_agpr, 0
	.set _ZN2at6native32elementwise_kernel_manual_unrollILi128ELi8EZNS0_22gpu_kernel_impl_nocastINS0_13AUnaryFunctorIsssZNS0_12_GLOBAL__N_121threshold_kernel_implIsEEvRNS_18TensorIteratorBaseET_S8_EUlssE_EEEEvS7_RKS8_EUlibE_EEviT1_.numbered_sgpr, 63
	.set _ZN2at6native32elementwise_kernel_manual_unrollILi128ELi8EZNS0_22gpu_kernel_impl_nocastINS0_13AUnaryFunctorIsssZNS0_12_GLOBAL__N_121threshold_kernel_implIsEEvRNS_18TensorIteratorBaseET_S8_EUlssE_EEEEvS7_RKS8_EUlibE_EEviT1_.num_named_barrier, 0
	.set _ZN2at6native32elementwise_kernel_manual_unrollILi128ELi8EZNS0_22gpu_kernel_impl_nocastINS0_13AUnaryFunctorIsssZNS0_12_GLOBAL__N_121threshold_kernel_implIsEEvRNS_18TensorIteratorBaseET_S8_EUlssE_EEEEvS7_RKS8_EUlibE_EEviT1_.private_seg_size, 0
	.set _ZN2at6native32elementwise_kernel_manual_unrollILi128ELi8EZNS0_22gpu_kernel_impl_nocastINS0_13AUnaryFunctorIsssZNS0_12_GLOBAL__N_121threshold_kernel_implIsEEvRNS_18TensorIteratorBaseET_S8_EUlssE_EEEEvS7_RKS8_EUlibE_EEviT1_.uses_vcc, 1
	.set _ZN2at6native32elementwise_kernel_manual_unrollILi128ELi8EZNS0_22gpu_kernel_impl_nocastINS0_13AUnaryFunctorIsssZNS0_12_GLOBAL__N_121threshold_kernel_implIsEEvRNS_18TensorIteratorBaseET_S8_EUlssE_EEEEvS7_RKS8_EUlibE_EEviT1_.uses_flat_scratch, 0
	.set _ZN2at6native32elementwise_kernel_manual_unrollILi128ELi8EZNS0_22gpu_kernel_impl_nocastINS0_13AUnaryFunctorIsssZNS0_12_GLOBAL__N_121threshold_kernel_implIsEEvRNS_18TensorIteratorBaseET_S8_EUlssE_EEEEvS7_RKS8_EUlibE_EEviT1_.has_dyn_sized_stack, 0
	.set _ZN2at6native32elementwise_kernel_manual_unrollILi128ELi8EZNS0_22gpu_kernel_impl_nocastINS0_13AUnaryFunctorIsssZNS0_12_GLOBAL__N_121threshold_kernel_implIsEEvRNS_18TensorIteratorBaseET_S8_EUlssE_EEEEvS7_RKS8_EUlibE_EEviT1_.has_recursion, 0
	.set _ZN2at6native32elementwise_kernel_manual_unrollILi128ELi8EZNS0_22gpu_kernel_impl_nocastINS0_13AUnaryFunctorIsssZNS0_12_GLOBAL__N_121threshold_kernel_implIsEEvRNS_18TensorIteratorBaseET_S8_EUlssE_EEEEvS7_RKS8_EUlibE_EEviT1_.has_indirect_call, 0
	.section	.AMDGPU.csdata,"",@progbits
; Kernel info:
; codeLenInByte = 11296
; TotalNumSgprs: 67
; NumVgprs: 26
; ScratchSize: 0
; MemoryBound: 0
; FloatMode: 240
; IeeeMode: 1
; LDSByteSize: 0 bytes/workgroup (compile time only)
; SGPRBlocks: 8
; VGPRBlocks: 6
; NumSGPRsForWavesPerEU: 67
; NumVGPRsForWavesPerEU: 26
; Occupancy: 9
; WaveLimiterHint : 1
; COMPUTE_PGM_RSRC2:SCRATCH_EN: 0
; COMPUTE_PGM_RSRC2:USER_SGPR: 6
; COMPUTE_PGM_RSRC2:TRAP_HANDLER: 0
; COMPUTE_PGM_RSRC2:TGID_X_EN: 1
; COMPUTE_PGM_RSRC2:TGID_Y_EN: 0
; COMPUTE_PGM_RSRC2:TGID_Z_EN: 0
; COMPUTE_PGM_RSRC2:TIDIG_COMP_CNT: 0
	.section	.text._ZN2at6native32elementwise_kernel_manual_unrollILi128ELi4EZNS0_15gpu_kernel_implINS0_13AUnaryFunctorIsssZNS0_12_GLOBAL__N_121threshold_kernel_implIsEEvRNS_18TensorIteratorBaseET_S8_EUlssE_EEEEvS7_RKS8_EUlibE_EEviT1_,"axG",@progbits,_ZN2at6native32elementwise_kernel_manual_unrollILi128ELi4EZNS0_15gpu_kernel_implINS0_13AUnaryFunctorIsssZNS0_12_GLOBAL__N_121threshold_kernel_implIsEEvRNS_18TensorIteratorBaseET_S8_EUlssE_EEEEvS7_RKS8_EUlibE_EEviT1_,comdat
	.globl	_ZN2at6native32elementwise_kernel_manual_unrollILi128ELi4EZNS0_15gpu_kernel_implINS0_13AUnaryFunctorIsssZNS0_12_GLOBAL__N_121threshold_kernel_implIsEEvRNS_18TensorIteratorBaseET_S8_EUlssE_EEEEvS7_RKS8_EUlibE_EEviT1_ ; -- Begin function _ZN2at6native32elementwise_kernel_manual_unrollILi128ELi4EZNS0_15gpu_kernel_implINS0_13AUnaryFunctorIsssZNS0_12_GLOBAL__N_121threshold_kernel_implIsEEvRNS_18TensorIteratorBaseET_S8_EUlssE_EEEEvS7_RKS8_EUlibE_EEviT1_
	.p2align	8
	.type	_ZN2at6native32elementwise_kernel_manual_unrollILi128ELi4EZNS0_15gpu_kernel_implINS0_13AUnaryFunctorIsssZNS0_12_GLOBAL__N_121threshold_kernel_implIsEEvRNS_18TensorIteratorBaseET_S8_EUlssE_EEEEvS7_RKS8_EUlibE_EEviT1_,@function
_ZN2at6native32elementwise_kernel_manual_unrollILi128ELi4EZNS0_15gpu_kernel_implINS0_13AUnaryFunctorIsssZNS0_12_GLOBAL__N_121threshold_kernel_implIsEEvRNS_18TensorIteratorBaseET_S8_EUlssE_EEEEvS7_RKS8_EUlibE_EEviT1_: ; @_ZN2at6native32elementwise_kernel_manual_unrollILi128ELi4EZNS0_15gpu_kernel_implINS0_13AUnaryFunctorIsssZNS0_12_GLOBAL__N_121threshold_kernel_implIsEEvRNS_18TensorIteratorBaseET_S8_EUlssE_EEEEvS7_RKS8_EUlibE_EEviT1_
; %bb.0:
	s_load_dwordx8 s[8:15], s[4:5], 0x8
	s_load_dword s0, s[4:5], 0x24
	s_load_dword s42, s[4:5], 0x0
	v_lshl_or_b32 v9, s6, 9, v0
	v_or_b32_e32 v0, 0x180, v9
	s_waitcnt lgkmcnt(0)
	s_lshr_b32 s33, s14, 16
	s_lshr_b32 s46, s0, 16
	;; [unrolled: 1-line block ×3, first 2 shown]
	v_cmp_le_i32_e32 vcc, s42, v0
	s_mov_b64 s[4:5], 0
	s_mov_b64 s[16:17], 0
	s_and_saveexec_b64 s[0:1], vcc
	s_xor_b64 s[6:7], exec, s[0:1]
	s_cbranch_execz .LBB102_1011
; %bb.1:
	s_sext_i32_i16 s0, s14
	s_sext_i32_i16 s1, s15
	s_cmp_gt_i32 s1, s0
	s_cselect_b64 s[0:1], -1, 0
	v_cmp_gt_i32_e32 vcc, s42, v9
	s_mov_b64 s[2:3], -1
	s_mov_b64 s[24:25], 0
	s_mov_b64 s[18:19], 0
	s_and_saveexec_b64 s[20:21], vcc
	s_cbranch_execz .LBB102_248
; %bb.2:
	v_mul_lo_u32 v0, v9, s13
	v_mov_b32_e32 v1, s11
	s_and_b32 s22, 0xffff, s47
	s_cmp_lt_i32 s22, 11
	v_ashrrev_i32_e32 v2, 31, v0
	v_add_co_u32_e32 v0, vcc, s10, v0
	v_addc_co_u32_e32 v1, vcc, v1, v2, vcc
	s_cbranch_scc1 .LBB102_9
; %bb.3:
	s_cmp_gt_i32 s22, 25
	s_cbranch_scc0 .LBB102_18
; %bb.4:
	s_cmp_gt_i32 s22, 28
	s_cbranch_scc0 .LBB102_22
	;; [unrolled: 3-line block ×4, first 2 shown]
; %bb.7:
	s_cmp_eq_u32 s22, 46
	s_cbranch_scc0 .LBB102_28
; %bb.8:
	global_load_dword v2, v[0:1], off
	s_waitcnt vmcnt(0)
	v_lshlrev_b32_e32 v2, 16, v2
	v_cvt_i32_f32_e32 v2, v2
	s_branch .LBB102_30
.LBB102_9:
                                        ; implicit-def: $vgpr2
	s_mov_b64 s[2:3], 0
	s_cbranch_execnz .LBB102_199
.LBB102_10:
	s_andn2_b64 vcc, exec, s[2:3]
	s_cbranch_vccnz .LBB102_246
.LBB102_11:
	v_mul_lo_u32 v0, v9, s12
	v_mov_b32_e32 v1, s33
	s_waitcnt vmcnt(0)
	v_mov_b32_e32 v3, s9
	v_cndmask_b32_e64 v4, v1, v2, s[0:1]
	v_ashrrev_i32_e32 v1, 31, v0
	s_and_b32 s28, s46, 0xff
	v_add_co_u32_e32 v0, vcc, s8, v0
	s_cmp_lt_i32 s28, 11
	v_addc_co_u32_e32 v1, vcc, v3, v1, vcc
	s_cbranch_scc1 .LBB102_19
; %bb.12:
	s_and_b32 s29, 0xffff, s28
	s_cmp_gt_i32 s29, 25
	s_cbranch_scc0 .LBB102_23
; %bb.13:
	s_cmp_gt_i32 s29, 28
	s_cbranch_scc0 .LBB102_25
; %bb.14:
	;; [unrolled: 3-line block ×4, first 2 shown]
	s_mov_b64 s[22:23], 0
	s_mov_b64 s[2:3], -1
	s_cmp_eq_u32 s29, 46
	s_mov_b64 s[16:17], 0
	s_cbranch_scc0 .LBB102_34
; %bb.17:
	v_cvt_f32_i32_sdwa v2, sext(v4) dst_sel:DWORD dst_unused:UNUSED_PAD src0_sel:WORD_0
	s_movk_i32 s2, 0x7fff
	s_mov_b64 s[16:17], -1
	v_bfe_u32 v3, v2, 16, 1
	v_add3_u32 v2, v2, v3, s2
	v_lshrrev_b32_e32 v2, 16, v2
	global_store_dword v[0:1], v2, off
	s_mov_b64 s[2:3], 0
	s_branch .LBB102_34
.LBB102_18:
	s_mov_b64 s[2:3], 0
                                        ; implicit-def: $vgpr2
	s_cbranch_execnz .LBB102_166
	s_branch .LBB102_198
.LBB102_19:
	s_mov_b64 s[2:3], 0
	s_mov_b64 s[16:17], 0
	s_cbranch_execnz .LBB102_103
.LBB102_20:
	s_andn2_b64 vcc, exec, s[16:17]
	s_cbranch_vccnz .LBB102_141
.LBB102_21:
	v_add_u32_e32 v9, 0x80, v9
	s_mov_b64 s[22:23], -1
	s_branch .LBB102_247
.LBB102_22:
	s_mov_b64 s[16:17], -1
	s_mov_b64 s[2:3], 0
                                        ; implicit-def: $vgpr2
	s_branch .LBB102_149
.LBB102_23:
	s_mov_b64 s[22:23], -1
	s_mov_b64 s[2:3], 0
	s_mov_b64 s[16:17], 0
	s_branch .LBB102_61
.LBB102_24:
	s_mov_b64 s[16:17], -1
	s_mov_b64 s[2:3], 0
                                        ; implicit-def: $vgpr2
	s_branch .LBB102_144
.LBB102_25:
	s_mov_b64 s[22:23], -1
	s_mov_b64 s[2:3], 0
	s_mov_b64 s[16:17], 0
	s_branch .LBB102_44
.LBB102_26:
	s_mov_b64 s[16:17], -1
	s_branch .LBB102_29
.LBB102_27:
	s_mov_b64 s[22:23], -1
	s_mov_b64 s[2:3], 0
	s_mov_b64 s[16:17], 0
	s_branch .LBB102_40
.LBB102_28:
	s_mov_b64 s[18:19], -1
.LBB102_29:
	s_mov_b64 s[2:3], 0
                                        ; implicit-def: $vgpr2
.LBB102_30:
	s_and_b64 vcc, exec, s[16:17]
	s_cbranch_vccz .LBB102_143
; %bb.31:
	s_cmp_eq_u32 s22, 44
	s_cbranch_scc0 .LBB102_142
; %bb.32:
	global_load_ubyte v2, v[0:1], off
	s_mov_b64 s[2:3], -1
	s_mov_b64 s[18:19], 0
	s_waitcnt vmcnt(0)
	v_lshlrev_b32_e32 v3, 23, v2
	v_cvt_i32_f32_e32 v3, v3
	v_cmp_ne_u32_e32 vcc, 0, v2
	v_cndmask_b32_e32 v2, 0, v3, vcc
	s_branch .LBB102_143
.LBB102_33:
	s_mov_b64 s[22:23], -1
	s_mov_b64 s[2:3], 0
	s_mov_b64 s[16:17], 0
.LBB102_34:
	s_and_b64 vcc, exec, s[22:23]
	s_cbranch_vccz .LBB102_39
; %bb.35:
	s_cmp_eq_u32 s29, 44
	s_mov_b64 s[2:3], -1
	s_cbranch_scc0 .LBB102_39
; %bb.36:
	v_cvt_f32_i32_sdwa v2, sext(v4) dst_sel:DWORD dst_unused:UNUSED_PAD src0_sel:WORD_0
	s_movk_i32 s2, 0xff
	v_mov_b32_e32 v5, 0xff
	v_bfe_u32 v3, v2, 23, 8
	v_cmp_ne_u32_e32 vcc, s2, v3
	s_and_saveexec_b64 s[16:17], vcc
; %bb.37:
	s_mov_b32 s2, 0x3fffff
	v_lshrrev_b32_e32 v5, 23, v2
	v_and_b32_e32 v6, 0x400000, v2
	v_and_or_b32 v2, v2, s2, v3
	v_cmp_ne_u32_e32 vcc, 0, v6
	v_cmp_ne_u32_e64 s[2:3], 0, v2
	s_and_b64 s[2:3], vcc, s[2:3]
	v_cndmask_b32_e64 v2, 0, 1, s[2:3]
	v_add_u32_e32 v5, v5, v2
; %bb.38:
	s_or_b64 exec, exec, s[16:17]
	s_mov_b64 s[16:17], -1
	s_mov_b64 s[2:3], 0
	global_store_byte v[0:1], v5, off
.LBB102_39:
	s_mov_b64 s[22:23], 0
.LBB102_40:
	s_and_b64 vcc, exec, s[22:23]
	s_cbranch_vccz .LBB102_43
; %bb.41:
	s_cmp_eq_u32 s29, 29
	s_mov_b64 s[2:3], -1
	s_cbranch_scc0 .LBB102_43
; %bb.42:
	v_bfe_i32 v2, v4, 0, 16
	v_ashrrev_i32_e32 v3, 31, v2
	global_store_dwordx2 v[0:1], v[2:3], off
	s_mov_b64 s[16:17], -1
	s_mov_b64 s[2:3], 0
.LBB102_43:
	s_mov_b64 s[22:23], 0
.LBB102_44:
	s_and_b64 vcc, exec, s[22:23]
	s_cbranch_vccz .LBB102_60
; %bb.45:
	s_cmp_lt_i32 s29, 27
	s_mov_b64 s[16:17], -1
	s_cbranch_scc1 .LBB102_51
; %bb.46:
	s_cmp_gt_i32 s29, 27
	s_cbranch_scc0 .LBB102_48
; %bb.47:
	v_bfe_i32 v2, v4, 0, 16
	s_mov_b64 s[16:17], 0
	global_store_dword v[0:1], v2, off
.LBB102_48:
	s_andn2_b64 vcc, exec, s[16:17]
	s_cbranch_vccnz .LBB102_50
; %bb.49:
	global_store_short v[0:1], v4, off
.LBB102_50:
	s_mov_b64 s[16:17], 0
.LBB102_51:
	s_andn2_b64 vcc, exec, s[16:17]
	s_cbranch_vccnz .LBB102_59
; %bb.52:
	v_cvt_f32_i32_sdwa v2, sext(v4) dst_sel:DWORD dst_unused:UNUSED_PAD src0_sel:WORD_0
	s_mov_b32 s16, 0x43800000
	v_mov_b32_e32 v5, 0x80
	v_and_b32_e32 v3, 0x7fffffff, v2
	v_cmp_gt_u32_e32 vcc, s16, v3
	s_and_saveexec_b64 s[16:17], vcc
	s_cbranch_execz .LBB102_58
; %bb.53:
	s_mov_b32 s22, 0x3bffffff
	v_cmp_lt_u32_e32 vcc, s22, v3
	s_mov_b64 s[22:23], 0
                                        ; implicit-def: $vgpr3
	s_and_saveexec_b64 s[26:27], vcc
	s_xor_b64 s[26:27], exec, s[26:27]
	s_cbranch_execz .LBB102_275
; %bb.54:
	v_bfe_u32 v3, v2, 20, 1
	s_mov_b32 s30, 0x487ffff
	v_add3_u32 v3, v2, v3, s30
	s_mov_b64 s[22:23], exec
	v_lshrrev_b32_e32 v3, 20, v3
	s_andn2_saveexec_b64 s[26:27], s[26:27]
	s_cbranch_execnz .LBB102_276
.LBB102_55:
	s_or_b64 exec, exec, s[26:27]
	v_mov_b32_e32 v5, 0
	s_and_saveexec_b64 s[26:27], s[22:23]
.LBB102_56:
	v_lshrrev_b32_e32 v2, 24, v2
	s_movk_i32 s22, 0x80
	v_and_or_b32 v5, v2, s22, v3
.LBB102_57:
	s_or_b64 exec, exec, s[26:27]
.LBB102_58:
	s_or_b64 exec, exec, s[16:17]
	global_store_byte v[0:1], v5, off
.LBB102_59:
	s_mov_b64 s[16:17], -1
.LBB102_60:
	s_mov_b64 s[22:23], 0
.LBB102_61:
	s_and_b64 vcc, exec, s[22:23]
	s_cbranch_vccz .LBB102_102
; %bb.62:
	s_cmp_gt_i32 s29, 22
	s_mov_b64 s[22:23], -1
	s_cbranch_scc0 .LBB102_94
; %bb.63:
	s_cmp_lt_i32 s29, 24
	s_mov_b64 s[16:17], -1
	s_cbranch_scc1 .LBB102_83
; %bb.64:
	s_cmp_gt_i32 s29, 24
	s_cbranch_scc0 .LBB102_72
; %bb.65:
	v_cvt_f32_i32_sdwa v2, sext(v4) dst_sel:DWORD dst_unused:UNUSED_PAD src0_sel:WORD_0
	s_mov_b32 s16, 0x47800000
	v_mov_b32_e32 v5, 0x80
	v_and_b32_e32 v3, 0x7fffffff, v2
	v_cmp_gt_u32_e32 vcc, s16, v3
	s_and_saveexec_b64 s[16:17], vcc
	s_cbranch_execz .LBB102_71
; %bb.66:
	s_mov_b32 s22, 0x37ffffff
	v_cmp_lt_u32_e32 vcc, s22, v3
	s_mov_b64 s[22:23], 0
                                        ; implicit-def: $vgpr3
	s_and_saveexec_b64 s[26:27], vcc
	s_xor_b64 s[26:27], exec, s[26:27]
	s_cbranch_execz .LBB102_279
; %bb.67:
	v_bfe_u32 v3, v2, 21, 1
	s_mov_b32 s30, 0x88fffff
	v_add3_u32 v3, v2, v3, s30
	s_mov_b64 s[22:23], exec
	v_lshrrev_b32_e32 v3, 21, v3
	s_andn2_saveexec_b64 s[26:27], s[26:27]
	s_cbranch_execnz .LBB102_280
.LBB102_68:
	s_or_b64 exec, exec, s[26:27]
	v_mov_b32_e32 v5, 0
	s_and_saveexec_b64 s[26:27], s[22:23]
.LBB102_69:
	v_lshrrev_b32_e32 v2, 24, v2
	s_movk_i32 s22, 0x80
	v_and_or_b32 v5, v2, s22, v3
.LBB102_70:
	s_or_b64 exec, exec, s[26:27]
.LBB102_71:
	s_or_b64 exec, exec, s[16:17]
	s_mov_b64 s[16:17], 0
	global_store_byte v[0:1], v5, off
.LBB102_72:
	s_and_b64 vcc, exec, s[16:17]
	s_cbranch_vccz .LBB102_82
; %bb.73:
	v_cvt_f32_i32_sdwa v2, sext(v4) dst_sel:DWORD dst_unused:UNUSED_PAD src0_sel:WORD_0
	s_mov_b32 s16, 0x43f00000
                                        ; implicit-def: $vgpr3
	v_and_b32_e32 v5, 0x7fffffff, v2
	v_cmp_gt_u32_e32 vcc, s16, v5
	s_and_saveexec_b64 s[16:17], vcc
	s_xor_b64 s[16:17], exec, s[16:17]
	s_cbranch_execz .LBB102_79
; %bb.74:
	s_mov_b32 s22, 0x3c7fffff
	v_cmp_lt_u32_e32 vcc, s22, v5
                                        ; implicit-def: $vgpr3
	s_and_saveexec_b64 s[22:23], vcc
	s_xor_b64 s[22:23], exec, s[22:23]
; %bb.75:
	v_bfe_u32 v3, v2, 20, 1
	s_mov_b32 s26, 0x407ffff
	v_add3_u32 v3, v2, v3, s26
	v_lshrrev_b32_e32 v5, 20, v3
	v_and_b32_e32 v3, 0xff00000, v3
	s_mov_b32 s26, 0x7f00000
	v_mov_b32_e32 v6, 0x7e
	v_cmp_ne_u32_e32 vcc, s26, v3
	v_cndmask_b32_e32 v3, v6, v5, vcc
; %bb.76:
	s_andn2_saveexec_b64 s[22:23], s[22:23]
; %bb.77:
	s_mov_b32 s26, 0x46800000
	v_add_f32_e64 v3, |v2|, s26
; %bb.78:
	s_or_b64 exec, exec, s[22:23]
                                        ; implicit-def: $vgpr5
.LBB102_79:
	s_andn2_saveexec_b64 s[16:17], s[16:17]
; %bb.80:
	s_mov_b32 s22, 0x7f800000
	v_mov_b32_e32 v3, 0x7e
	v_mov_b32_e32 v6, 0x7f
	v_cmp_lt_u32_e32 vcc, s22, v5
	v_cndmask_b32_e32 v3, v3, v6, vcc
; %bb.81:
	s_or_b64 exec, exec, s[16:17]
	v_lshrrev_b32_e32 v2, 24, v2
	s_movk_i32 s16, 0x80
	v_and_or_b32 v2, v2, s16, v3
	global_store_byte v[0:1], v2, off
.LBB102_82:
	s_mov_b64 s[16:17], 0
.LBB102_83:
	s_andn2_b64 vcc, exec, s[16:17]
	s_cbranch_vccnz .LBB102_93
; %bb.84:
	v_cvt_f32_i32_sdwa v2, sext(v4) dst_sel:DWORD dst_unused:UNUSED_PAD src0_sel:WORD_0
	s_mov_b32 s16, 0x47800000
                                        ; implicit-def: $vgpr3
	v_and_b32_e32 v5, 0x7fffffff, v2
	v_cmp_gt_u32_e32 vcc, s16, v5
	s_and_saveexec_b64 s[16:17], vcc
	s_xor_b64 s[16:17], exec, s[16:17]
	s_cbranch_execz .LBB102_90
; %bb.85:
	s_mov_b32 s22, 0x387fffff
	v_cmp_lt_u32_e32 vcc, s22, v5
                                        ; implicit-def: $vgpr3
	s_and_saveexec_b64 s[22:23], vcc
	s_xor_b64 s[22:23], exec, s[22:23]
; %bb.86:
	v_bfe_u32 v3, v2, 21, 1
	s_mov_b32 s26, 0x80fffff
	v_add3_u32 v3, v2, v3, s26
	v_lshrrev_b32_e32 v3, 21, v3
; %bb.87:
	s_andn2_saveexec_b64 s[22:23], s[22:23]
; %bb.88:
	s_mov_b32 s26, 0x43000000
	v_add_f32_e64 v3, |v2|, s26
; %bb.89:
	s_or_b64 exec, exec, s[22:23]
                                        ; implicit-def: $vgpr5
.LBB102_90:
	s_andn2_saveexec_b64 s[16:17], s[16:17]
; %bb.91:
	s_mov_b32 s22, 0x7f800000
	v_mov_b32_e32 v3, 0x7c
	v_mov_b32_e32 v6, 0x7f
	v_cmp_lt_u32_e32 vcc, s22, v5
	v_cndmask_b32_e32 v3, v3, v6, vcc
; %bb.92:
	s_or_b64 exec, exec, s[16:17]
	v_lshrrev_b32_e32 v2, 24, v2
	s_movk_i32 s16, 0x80
	v_and_or_b32 v2, v2, s16, v3
	global_store_byte v[0:1], v2, off
.LBB102_93:
	s_mov_b64 s[22:23], 0
	s_mov_b64 s[16:17], -1
.LBB102_94:
	s_andn2_b64 vcc, exec, s[22:23]
	s_cbranch_vccnz .LBB102_102
; %bb.95:
	s_cmp_gt_i32 s29, 14
	s_mov_b64 s[22:23], -1
	s_cbranch_scc0 .LBB102_99
; %bb.96:
	s_cmp_eq_u32 s29, 15
	s_mov_b64 s[2:3], -1
	s_cbranch_scc0 .LBB102_98
; %bb.97:
	v_cvt_f32_i32_sdwa v2, sext(v4) dst_sel:DWORD dst_unused:UNUSED_PAD src0_sel:WORD_0
	s_movk_i32 s2, 0x7fff
	s_mov_b64 s[16:17], -1
	v_bfe_u32 v3, v2, 16, 1
	v_add3_u32 v2, v2, v3, s2
	global_store_short_d16_hi v[0:1], v2, off
	s_mov_b64 s[2:3], 0
.LBB102_98:
	s_mov_b64 s[22:23], 0
.LBB102_99:
	s_and_b64 vcc, exec, s[22:23]
	s_cbranch_vccz .LBB102_102
; %bb.100:
	s_cmp_eq_u32 s29, 11
	s_mov_b64 s[2:3], -1
	s_cbranch_scc0 .LBB102_102
; %bb.101:
	v_cmp_ne_u16_e32 vcc, 0, v4
	v_cndmask_b32_e64 v2, 0, 1, vcc
	s_mov_b64 s[16:17], -1
	s_mov_b64 s[2:3], 0
	global_store_byte v[0:1], v2, off
.LBB102_102:
	s_branch .LBB102_20
.LBB102_103:
	s_and_b32 s22, 0xffff, s28
	s_cmp_lt_i32 s22, 5
	s_mov_b64 s[16:17], -1
	s_cbranch_scc1 .LBB102_124
; %bb.104:
	s_cmp_lt_i32 s22, 8
	s_cbranch_scc1 .LBB102_114
; %bb.105:
	s_cmp_lt_i32 s22, 9
	s_cbranch_scc1 .LBB102_111
; %bb.106:
	s_cmp_gt_i32 s22, 9
	s_cbranch_scc0 .LBB102_108
; %bb.107:
	v_bfe_i32 v2, v4, 0, 16
	v_cvt_f64_i32_e32 v[5:6], v2
	v_mov_b32_e32 v7, 0
	v_mov_b32_e32 v8, v7
	s_mov_b64 s[16:17], 0
	global_store_dwordx4 v[0:1], v[5:8], off
.LBB102_108:
	s_andn2_b64 vcc, exec, s[16:17]
	s_cbranch_vccnz .LBB102_110
; %bb.109:
	v_cvt_f32_i32_sdwa v2, sext(v4) dst_sel:DWORD dst_unused:UNUSED_PAD src0_sel:WORD_0
	v_mov_b32_e32 v3, 0
	global_store_dwordx2 v[0:1], v[2:3], off
.LBB102_110:
	s_mov_b64 s[16:17], 0
.LBB102_111:
	s_andn2_b64 vcc, exec, s[16:17]
	s_cbranch_vccnz .LBB102_113
; %bb.112:
	v_cvt_f16_i16_e32 v2, v4
	global_store_dword v[0:1], v2, off
.LBB102_113:
	s_mov_b64 s[16:17], 0
.LBB102_114:
	s_andn2_b64 vcc, exec, s[16:17]
	s_cbranch_vccnz .LBB102_123
; %bb.115:
	s_cmp_lt_i32 s22, 6
	s_mov_b64 s[16:17], -1
	s_cbranch_scc1 .LBB102_121
; %bb.116:
	s_cmp_gt_i32 s22, 6
	s_cbranch_scc0 .LBB102_118
; %bb.117:
	v_bfe_i32 v2, v4, 0, 16
	v_cvt_f64_i32_e32 v[2:3], v2
	s_mov_b64 s[16:17], 0
	global_store_dwordx2 v[0:1], v[2:3], off
.LBB102_118:
	s_andn2_b64 vcc, exec, s[16:17]
	s_cbranch_vccnz .LBB102_120
; %bb.119:
	v_cvt_f32_i32_sdwa v2, sext(v4) dst_sel:DWORD dst_unused:UNUSED_PAD src0_sel:WORD_0
	global_store_dword v[0:1], v2, off
.LBB102_120:
	s_mov_b64 s[16:17], 0
.LBB102_121:
	s_andn2_b64 vcc, exec, s[16:17]
	s_cbranch_vccnz .LBB102_123
; %bb.122:
	v_cvt_f16_i16_e32 v2, v4
	global_store_short v[0:1], v2, off
.LBB102_123:
	s_mov_b64 s[16:17], 0
.LBB102_124:
	s_andn2_b64 vcc, exec, s[16:17]
	s_cbranch_vccnz .LBB102_140
; %bb.125:
	s_cmp_lt_i32 s22, 2
	s_mov_b64 s[16:17], -1
	s_cbranch_scc1 .LBB102_135
; %bb.126:
	s_cmp_lt_i32 s22, 3
	s_cbranch_scc1 .LBB102_132
; %bb.127:
	s_cmp_gt_i32 s22, 3
	v_bfe_i32 v2, v4, 0, 16
	s_cbranch_scc0 .LBB102_129
; %bb.128:
	v_ashrrev_i32_e32 v3, 31, v2
	global_store_dwordx2 v[0:1], v[2:3], off
	s_mov_b64 s[16:17], 0
.LBB102_129:
	s_andn2_b64 vcc, exec, s[16:17]
	s_cbranch_vccnz .LBB102_131
; %bb.130:
	global_store_dword v[0:1], v2, off
.LBB102_131:
	s_mov_b64 s[16:17], 0
.LBB102_132:
	s_andn2_b64 vcc, exec, s[16:17]
	s_cbranch_vccnz .LBB102_134
; %bb.133:
	global_store_short v[0:1], v4, off
.LBB102_134:
	s_mov_b64 s[16:17], 0
.LBB102_135:
	s_andn2_b64 vcc, exec, s[16:17]
	s_cbranch_vccnz .LBB102_140
; %bb.136:
	s_cmp_gt_i32 s22, 0
	s_mov_b64 s[16:17], -1
	s_cbranch_scc0 .LBB102_138
; %bb.137:
	global_store_byte v[0:1], v4, off
	s_mov_b64 s[16:17], 0
.LBB102_138:
	s_andn2_b64 vcc, exec, s[16:17]
	s_cbranch_vccnz .LBB102_140
; %bb.139:
	global_store_byte v[0:1], v4, off
.LBB102_140:
	s_branch .LBB102_21
.LBB102_141:
	s_mov_b64 s[22:23], 0
                                        ; implicit-def: $vgpr9
	s_branch .LBB102_247
.LBB102_142:
	s_mov_b64 s[18:19], -1
                                        ; implicit-def: $vgpr2
.LBB102_143:
	s_mov_b64 s[16:17], 0
.LBB102_144:
	s_and_b64 vcc, exec, s[16:17]
	s_cbranch_vccz .LBB102_148
; %bb.145:
	s_cmp_eq_u32 s22, 29
	s_cbranch_scc0 .LBB102_147
; %bb.146:
	global_load_dwordx2 v[2:3], v[0:1], off
	s_mov_b64 s[2:3], -1
	s_mov_b64 s[18:19], 0
	s_branch .LBB102_148
.LBB102_147:
	s_mov_b64 s[18:19], -1
                                        ; implicit-def: $vgpr2
.LBB102_148:
	s_mov_b64 s[16:17], 0
.LBB102_149:
	s_and_b64 vcc, exec, s[16:17]
	s_cbranch_vccz .LBB102_165
; %bb.150:
	s_cmp_lt_i32 s22, 27
	s_cbranch_scc1 .LBB102_153
; %bb.151:
	s_cmp_gt_i32 s22, 27
	s_cbranch_scc0 .LBB102_154
; %bb.152:
	global_load_dword v2, v[0:1], off
	s_mov_b64 s[2:3], 0
	s_branch .LBB102_155
.LBB102_153:
	s_mov_b64 s[2:3], -1
                                        ; implicit-def: $vgpr2
	s_branch .LBB102_158
.LBB102_154:
	s_mov_b64 s[2:3], -1
                                        ; implicit-def: $vgpr2
.LBB102_155:
	s_andn2_b64 vcc, exec, s[2:3]
	s_cbranch_vccnz .LBB102_157
; %bb.156:
	global_load_ushort v2, v[0:1], off
.LBB102_157:
	s_mov_b64 s[2:3], 0
.LBB102_158:
	s_andn2_b64 vcc, exec, s[2:3]
	s_cbranch_vccnz .LBB102_164
; %bb.159:
	global_load_ubyte v3, v[0:1], off
	s_movk_i32 s2, 0x7f
	s_mov_b64 s[16:17], 0
	s_waitcnt vmcnt(0)
	v_cmp_lt_i16_e32 vcc, s2, v3
	s_and_saveexec_b64 s[2:3], vcc
	s_xor_b64 s[2:3], exec, s[2:3]
	s_cbranch_execz .LBB102_175
; %bb.160:
	s_movk_i32 s16, 0x80
	v_cmp_ne_u16_e32 vcc, s16, v3
	s_and_b64 s[16:17], vcc, exec
	s_andn2_saveexec_b64 s[2:3], s[2:3]
	s_cbranch_execnz .LBB102_176
.LBB102_161:
	s_or_b64 exec, exec, s[2:3]
	v_mov_b32_e32 v2, 0
	s_and_saveexec_b64 s[2:3], s[16:17]
	s_cbranch_execz .LBB102_163
.LBB102_162:
	v_lshlrev_b32_e32 v2, 24, v3
	v_and_b32_e32 v3, 0xffff, v3
	v_and_b32_e32 v4, 7, v3
	v_ffbh_u32_e32 v6, v4
	v_min_u32_e32 v6, 32, v6
	v_subrev_u32_e32 v7, 28, v6
	v_bfe_u32 v5, v3, 3, 4
	v_lshlrev_b32_e32 v3, v7, v3
	v_sub_u32_e32 v6, 29, v6
	v_and_b32_e32 v3, 7, v3
	v_cmp_eq_u32_e32 vcc, 0, v5
	v_cndmask_b32_e32 v5, v5, v6, vcc
	v_cndmask_b32_e32 v3, v4, v3, vcc
	v_mov_b32_e32 v4, 0x3b800000
	v_lshlrev_b32_e32 v3, 20, v3
	v_and_b32_e32 v2, 0x80000000, v2
	v_lshl_add_u32 v4, v5, 23, v4
	v_or3_b32 v2, v2, v4, v3
	v_cvt_i32_f32_e32 v2, v2
.LBB102_163:
	s_or_b64 exec, exec, s[2:3]
.LBB102_164:
	s_mov_b64 s[2:3], -1
.LBB102_165:
	s_branch .LBB102_198
.LBB102_166:
	s_cmp_gt_i32 s22, 22
	s_cbranch_scc0 .LBB102_174
; %bb.167:
	s_cmp_lt_i32 s22, 24
	s_cbranch_scc1 .LBB102_177
; %bb.168:
	s_cmp_gt_i32 s22, 24
	s_cbranch_scc0 .LBB102_178
; %bb.169:
	global_load_ubyte v3, v[0:1], off
	s_movk_i32 s2, 0x7f
	s_mov_b64 s[16:17], 0
	s_waitcnt vmcnt(0)
	v_cmp_lt_i16_e32 vcc, s2, v3
	s_and_saveexec_b64 s[2:3], vcc
	s_xor_b64 s[2:3], exec, s[2:3]
	s_cbranch_execz .LBB102_190
; %bb.170:
	s_movk_i32 s16, 0x80
	v_cmp_ne_u16_e32 vcc, s16, v3
	s_and_b64 s[16:17], vcc, exec
	s_andn2_saveexec_b64 s[2:3], s[2:3]
	s_cbranch_execnz .LBB102_191
.LBB102_171:
	s_or_b64 exec, exec, s[2:3]
	v_mov_b32_e32 v2, 0
	s_and_saveexec_b64 s[2:3], s[16:17]
	s_cbranch_execz .LBB102_173
.LBB102_172:
	v_lshlrev_b32_e32 v2, 24, v3
	v_and_b32_e32 v3, 0xffff, v3
	v_and_b32_e32 v4, 3, v3
	v_ffbh_u32_e32 v6, v4
	v_min_u32_e32 v6, 32, v6
	v_subrev_u32_e32 v7, 29, v6
	v_bfe_u32 v5, v3, 2, 5
	v_lshlrev_b32_e32 v3, v7, v3
	v_sub_u32_e32 v6, 30, v6
	v_and_b32_e32 v3, 3, v3
	v_cmp_eq_u32_e32 vcc, 0, v5
	v_cndmask_b32_e32 v5, v5, v6, vcc
	v_cndmask_b32_e32 v3, v4, v3, vcc
	v_mov_b32_e32 v4, 0x37800000
	v_lshlrev_b32_e32 v3, 21, v3
	v_and_b32_e32 v2, 0x80000000, v2
	v_lshl_add_u32 v4, v5, 23, v4
	v_or3_b32 v2, v2, v4, v3
	v_cvt_i32_f32_e32 v2, v2
.LBB102_173:
	s_or_b64 exec, exec, s[2:3]
	s_mov_b64 s[2:3], 0
	s_branch .LBB102_179
.LBB102_174:
	s_mov_b64 s[16:17], -1
                                        ; implicit-def: $vgpr2
	s_branch .LBB102_185
.LBB102_175:
	s_andn2_saveexec_b64 s[2:3], s[2:3]
	s_cbranch_execz .LBB102_161
.LBB102_176:
	v_cmp_ne_u16_e32 vcc, 0, v3
	s_andn2_b64 s[16:17], s[16:17], exec
	s_and_b64 s[26:27], vcc, exec
	s_or_b64 s[16:17], s[16:17], s[26:27]
	s_or_b64 exec, exec, s[2:3]
	v_mov_b32_e32 v2, 0
	s_and_saveexec_b64 s[2:3], s[16:17]
	s_cbranch_execnz .LBB102_162
	s_branch .LBB102_163
.LBB102_177:
	s_mov_b64 s[2:3], -1
                                        ; implicit-def: $vgpr2
	s_branch .LBB102_182
.LBB102_178:
	s_mov_b64 s[2:3], -1
                                        ; implicit-def: $vgpr2
.LBB102_179:
	s_and_b64 vcc, exec, s[2:3]
	s_cbranch_vccz .LBB102_181
; %bb.180:
	global_load_ubyte v2, v[0:1], off
	s_mov_b32 s2, 0x7f800000
	s_waitcnt vmcnt(0)
	v_lshlrev_b32_e32 v2, 24, v2
	v_and_b32_e32 v3, 0x7f000000, v2
	v_ffbh_u32_e32 v4, v3
	v_min_u32_e32 v4, 32, v4
	v_sub_u32_e64 v4, v4, 4 clamp
	v_lshlrev_b32_e32 v6, v4, v3
	v_lshlrev_b32_e32 v4, 23, v4
	v_lshrrev_b32_e32 v6, 4, v6
	v_add_u32_e32 v5, 0x1000000, v3
	v_sub_u32_e32 v4, v6, v4
	v_ashrrev_i32_e32 v5, 8, v5
	v_add_u32_e32 v4, 0x3c000000, v4
	v_and_or_b32 v4, v5, s2, v4
	v_cmp_ne_u32_e32 vcc, 0, v3
	v_cndmask_b32_e32 v3, 0, v4, vcc
	s_brev_b32 s2, 1
	v_and_or_b32 v2, v2, s2, v3
	v_cvt_i32_f32_e32 v2, v2
.LBB102_181:
	s_mov_b64 s[2:3], 0
.LBB102_182:
	s_andn2_b64 vcc, exec, s[2:3]
	s_cbranch_vccnz .LBB102_184
; %bb.183:
	global_load_ubyte v2, v[0:1], off
	s_movk_i32 s2, 0x7f00
	s_brev_b32 s3, 16
	s_waitcnt vmcnt(0)
	v_lshlrev_b16_e32 v3, 8, v2
	v_lshlrev_b32_e32 v2, 25, v2
	v_lshrrev_b32_e32 v4, 4, v2
	v_and_or_b32 v5, v3, s2, 0.5
	v_or_b32_e32 v4, 0x70000000, v4
	v_add_f32_e32 v5, -0.5, v5
	v_mul_f32_e32 v4, 0x7800000, v4
	v_cmp_gt_u32_e32 vcc, s3, v2
	v_bfe_i32 v3, v3, 0, 16
	v_cndmask_b32_e32 v2, v4, v5, vcc
	s_brev_b32 s2, 1
	v_and_or_b32 v2, v3, s2, v2
	v_cvt_i32_f32_e32 v2, v2
.LBB102_184:
	s_mov_b64 s[16:17], 0
	s_mov_b64 s[2:3], -1
.LBB102_185:
	s_andn2_b64 vcc, exec, s[16:17]
	s_cbranch_vccnz .LBB102_198
; %bb.186:
	s_cmp_gt_i32 s22, 14
	s_cbranch_scc0 .LBB102_189
; %bb.187:
	s_cmp_eq_u32 s22, 15
	s_cbranch_scc0 .LBB102_192
; %bb.188:
	global_load_ushort v2, v[0:1], off
	s_mov_b64 s[2:3], -1
	s_mov_b64 s[18:19], 0
	s_waitcnt vmcnt(0)
	v_lshlrev_b32_e32 v2, 16, v2
	v_cvt_i32_f32_e32 v2, v2
	s_branch .LBB102_193
.LBB102_189:
	s_mov_b64 s[16:17], -1
                                        ; implicit-def: $vgpr2
	s_branch .LBB102_194
.LBB102_190:
	s_andn2_saveexec_b64 s[2:3], s[2:3]
	s_cbranch_execz .LBB102_171
.LBB102_191:
	v_cmp_ne_u16_e32 vcc, 0, v3
	s_andn2_b64 s[16:17], s[16:17], exec
	s_and_b64 s[26:27], vcc, exec
	s_or_b64 s[16:17], s[16:17], s[26:27]
	s_or_b64 exec, exec, s[2:3]
	v_mov_b32_e32 v2, 0
	s_and_saveexec_b64 s[2:3], s[16:17]
	s_cbranch_execnz .LBB102_172
	s_branch .LBB102_173
.LBB102_192:
	s_mov_b64 s[18:19], -1
                                        ; implicit-def: $vgpr2
.LBB102_193:
	s_mov_b64 s[16:17], 0
.LBB102_194:
	s_and_b64 vcc, exec, s[16:17]
	s_cbranch_vccz .LBB102_198
; %bb.195:
	s_cmp_eq_u32 s22, 11
	s_cbranch_scc0 .LBB102_197
; %bb.196:
	global_load_ubyte v2, v[0:1], off
	s_mov_b64 s[2:3], -1
	s_mov_b64 s[18:19], 0
	s_waitcnt vmcnt(0)
	v_cmp_ne_u16_e32 vcc, 0, v2
	v_cndmask_b32_e64 v2, 0, 1, vcc
	s_branch .LBB102_198
.LBB102_197:
	s_mov_b64 s[18:19], -1
                                        ; implicit-def: $vgpr2
.LBB102_198:
	s_branch .LBB102_10
.LBB102_199:
	s_cmp_lt_i32 s22, 5
	s_cbranch_scc1 .LBB102_204
; %bb.200:
	s_cmp_lt_i32 s22, 8
	s_cbranch_scc1 .LBB102_205
; %bb.201:
	;; [unrolled: 3-line block ×3, first 2 shown]
	s_cmp_gt_i32 s22, 9
	s_cbranch_scc0 .LBB102_207
; %bb.203:
	global_load_dwordx2 v[2:3], v[0:1], off
	s_mov_b64 s[2:3], 0
	s_waitcnt vmcnt(0)
	v_cvt_i32_f64_e32 v2, v[2:3]
	s_branch .LBB102_208
.LBB102_204:
                                        ; implicit-def: $vgpr2
	s_branch .LBB102_226
.LBB102_205:
	s_mov_b64 s[2:3], -1
                                        ; implicit-def: $vgpr2
	s_branch .LBB102_214
.LBB102_206:
	s_mov_b64 s[2:3], -1
                                        ; implicit-def: $vgpr2
	s_branch .LBB102_211
.LBB102_207:
	s_mov_b64 s[2:3], -1
                                        ; implicit-def: $vgpr2
.LBB102_208:
	s_andn2_b64 vcc, exec, s[2:3]
	s_cbranch_vccnz .LBB102_210
; %bb.209:
	global_load_dword v2, v[0:1], off
	s_waitcnt vmcnt(0)
	v_cvt_i32_f32_e32 v2, v2
.LBB102_210:
	s_mov_b64 s[2:3], 0
.LBB102_211:
	s_andn2_b64 vcc, exec, s[2:3]
	s_cbranch_vccnz .LBB102_213
; %bb.212:
	global_load_dword v2, v[0:1], off
	s_waitcnt vmcnt(0)
	v_cvt_i16_f16_e32 v2, v2
.LBB102_213:
	s_mov_b64 s[2:3], 0
.LBB102_214:
	s_andn2_b64 vcc, exec, s[2:3]
	s_cbranch_vccnz .LBB102_225
; %bb.215:
	s_cmp_lt_i32 s22, 6
	s_cbranch_scc1 .LBB102_218
; %bb.216:
	s_cmp_gt_i32 s22, 6
	s_cbranch_scc0 .LBB102_219
; %bb.217:
	global_load_dwordx2 v[2:3], v[0:1], off
	s_mov_b64 s[2:3], 0
	s_waitcnt vmcnt(0)
	v_cvt_i32_f64_e32 v2, v[2:3]
	s_branch .LBB102_220
.LBB102_218:
	s_mov_b64 s[2:3], -1
                                        ; implicit-def: $vgpr2
	s_branch .LBB102_223
.LBB102_219:
	s_mov_b64 s[2:3], -1
                                        ; implicit-def: $vgpr2
.LBB102_220:
	s_andn2_b64 vcc, exec, s[2:3]
	s_cbranch_vccnz .LBB102_222
; %bb.221:
	global_load_dword v2, v[0:1], off
	s_waitcnt vmcnt(0)
	v_cvt_i32_f32_e32 v2, v2
.LBB102_222:
	s_mov_b64 s[2:3], 0
.LBB102_223:
	s_andn2_b64 vcc, exec, s[2:3]
	s_cbranch_vccnz .LBB102_225
; %bb.224:
	global_load_ushort v2, v[0:1], off
	s_waitcnt vmcnt(0)
	v_cvt_i16_f16_e32 v2, v2
.LBB102_225:
	s_cbranch_execnz .LBB102_245
.LBB102_226:
	s_cmp_lt_i32 s22, 2
	s_cbranch_scc1 .LBB102_230
; %bb.227:
	s_cmp_lt_i32 s22, 3
	s_cbranch_scc1 .LBB102_231
; %bb.228:
	s_cmp_gt_i32 s22, 3
	s_cbranch_scc0 .LBB102_232
; %bb.229:
	global_load_dwordx2 v[2:3], v[0:1], off
	s_mov_b64 s[2:3], 0
	s_branch .LBB102_233
.LBB102_230:
	s_mov_b64 s[2:3], -1
                                        ; implicit-def: $vgpr2
	s_branch .LBB102_239
.LBB102_231:
	s_mov_b64 s[2:3], -1
                                        ; implicit-def: $vgpr2
	s_branch .LBB102_236
.LBB102_232:
	s_mov_b64 s[2:3], -1
                                        ; implicit-def: $vgpr2
.LBB102_233:
	s_andn2_b64 vcc, exec, s[2:3]
	s_cbranch_vccnz .LBB102_235
; %bb.234:
	global_load_dword v2, v[0:1], off
.LBB102_235:
	s_mov_b64 s[2:3], 0
.LBB102_236:
	s_andn2_b64 vcc, exec, s[2:3]
	s_cbranch_vccnz .LBB102_238
; %bb.237:
	global_load_ushort v2, v[0:1], off
.LBB102_238:
	s_mov_b64 s[2:3], 0
.LBB102_239:
	s_andn2_b64 vcc, exec, s[2:3]
	s_cbranch_vccnz .LBB102_245
; %bb.240:
	s_cmp_gt_i32 s22, 0
	s_cbranch_scc0 .LBB102_242
; %bb.241:
	global_load_sbyte v2, v[0:1], off
	s_mov_b64 s[2:3], 0
	s_branch .LBB102_243
.LBB102_242:
	s_mov_b64 s[2:3], -1
                                        ; implicit-def: $vgpr2
.LBB102_243:
	s_andn2_b64 vcc, exec, s[2:3]
	s_cbranch_vccnz .LBB102_245
; %bb.244:
	global_load_ubyte v2, v[0:1], off
.LBB102_245:
	s_branch .LBB102_11
.LBB102_246:
	s_mov_b64 s[2:3], 0
                                        ; implicit-def: $vgpr9
	s_mov_b64 s[22:23], 0
.LBB102_247:
	s_and_b64 s[16:17], s[2:3], exec
	s_and_b64 s[18:19], s[18:19], exec
	s_orn2_b64 s[2:3], s[22:23], exec
.LBB102_248:
	s_or_b64 exec, exec, s[20:21]
	s_mov_b64 s[28:29], 0
	s_mov_b64 s[26:27], 0
                                        ; implicit-def: $vgpr0_vgpr1
                                        ; implicit-def: $vgpr2
	s_and_saveexec_b64 s[20:21], s[2:3]
	s_cbranch_execz .LBB102_257
; %bb.249:
	v_cmp_gt_i32_e32 vcc, s42, v9
	s_mov_b64 s[2:3], -1
	s_mov_b64 s[22:23], s[18:19]
	s_mov_b64 s[24:25], s[16:17]
	s_and_saveexec_b64 s[26:27], vcc
	s_cbranch_execz .LBB102_505
; %bb.250:
	v_mul_lo_u32 v0, v9, s13
	v_mov_b32_e32 v1, s11
	s_and_b32 s28, 0xffff, s47
	s_cmp_lt_i32 s28, 11
	s_waitcnt vmcnt(0)
	v_ashrrev_i32_e32 v2, 31, v0
	v_add_co_u32_e32 v0, vcc, s10, v0
	v_addc_co_u32_e32 v1, vcc, v1, v2, vcc
	s_cbranch_scc1 .LBB102_260
; %bb.251:
	s_cmp_gt_i32 s28, 25
	s_cbranch_scc0 .LBB102_269
; %bb.252:
	s_cmp_gt_i32 s28, 28
	s_cbranch_scc0 .LBB102_271
; %bb.253:
	s_cmp_gt_i32 s28, 43
	s_cbranch_scc0 .LBB102_273
; %bb.254:
	s_cmp_gt_i32 s28, 45
	s_cbranch_scc0 .LBB102_277
; %bb.255:
	s_cmp_eq_u32 s28, 46
	s_mov_b64 s[24:25], 0
	s_cbranch_scc0 .LBB102_281
; %bb.256:
	global_load_dword v2, v[0:1], off
	s_mov_b64 s[22:23], 0
	s_waitcnt vmcnt(0)
	v_lshlrev_b32_e32 v2, 16, v2
	v_cvt_i32_f32_e32 v2, v2
	s_branch .LBB102_282
.LBB102_257:
	s_or_b64 exec, exec, s[20:21]
	s_mov_b64 s[2:3], 0
	s_and_saveexec_b64 s[20:21], s[18:19]
	s_cbranch_execnz .LBB102_843
.LBB102_258:
	s_or_b64 exec, exec, s[20:21]
	s_and_saveexec_b64 s[18:19], s[24:25]
	s_xor_b64 s[18:19], exec, s[18:19]
	s_cbranch_execz .LBB102_844
.LBB102_259:
	global_load_ubyte v2, v[0:1], off
	s_or_b64 s[26:27], s[26:27], exec
	s_waitcnt vmcnt(0)
	v_cmp_ne_u16_e32 vcc, 0, v2
	v_cndmask_b32_e64 v2, 0, 1, vcc
	s_or_b64 exec, exec, s[18:19]
	s_and_saveexec_b64 s[18:19], s[28:29]
	s_cbranch_execz .LBB102_890
	s_branch .LBB102_845
.LBB102_260:
	s_mov_b64 s[2:3], 0
                                        ; implicit-def: $vgpr2
	s_mov_b64 s[22:23], s[18:19]
	s_cbranch_execnz .LBB102_455
.LBB102_261:
	s_andn2_b64 vcc, exec, s[2:3]
	s_cbranch_vccnz .LBB102_503
.LBB102_262:
	v_mul_lo_u32 v0, v9, s12
	v_mov_b32_e32 v1, s33
	s_waitcnt vmcnt(0)
	v_mov_b32_e32 v3, s9
	v_cndmask_b32_e64 v4, v1, v2, s[0:1]
	v_ashrrev_i32_e32 v1, 31, v0
	s_and_b32 s34, s46, 0xff
	v_add_co_u32_e32 v0, vcc, s8, v0
	s_cmp_lt_i32 s34, 11
	v_addc_co_u32_e32 v1, vcc, v3, v1, vcc
	s_cbranch_scc1 .LBB102_270
; %bb.263:
	s_and_b32 s35, 0xffff, s34
	s_cmp_gt_i32 s35, 25
	s_cbranch_scc0 .LBB102_272
; %bb.264:
	s_cmp_gt_i32 s35, 28
	s_cbranch_scc0 .LBB102_274
; %bb.265:
	;; [unrolled: 3-line block ×4, first 2 shown]
	s_mov_b64 s[28:29], 0
	s_mov_b64 s[2:3], -1
	s_cmp_eq_u32 s35, 46
	s_mov_b64 s[24:25], 0
	s_cbranch_scc0 .LBB102_286
; %bb.268:
	v_cvt_f32_i32_sdwa v2, sext(v4) dst_sel:DWORD dst_unused:UNUSED_PAD src0_sel:WORD_0
	s_movk_i32 s2, 0x7fff
	s_mov_b64 s[24:25], -1
	v_bfe_u32 v3, v2, 16, 1
	v_add3_u32 v2, v2, v3, s2
	v_lshrrev_b32_e32 v2, 16, v2
	global_store_dword v[0:1], v2, off
	s_mov_b64 s[2:3], 0
	s_branch .LBB102_286
.LBB102_269:
	s_mov_b64 s[24:25], -1
	s_mov_b64 s[2:3], 0
	s_mov_b64 s[22:23], s[18:19]
                                        ; implicit-def: $vgpr2
	s_branch .LBB102_421
.LBB102_270:
	s_mov_b64 s[28:29], -1
	s_mov_b64 s[24:25], 0
	s_mov_b64 s[2:3], s[16:17]
	s_branch .LBB102_355
.LBB102_271:
	s_mov_b64 s[24:25], -1
	s_mov_b64 s[2:3], 0
	s_mov_b64 s[22:23], s[18:19]
                                        ; implicit-def: $vgpr2
	s_branch .LBB102_404
.LBB102_272:
	s_mov_b64 s[28:29], -1
	s_mov_b64 s[24:25], 0
	s_mov_b64 s[2:3], s[16:17]
	s_branch .LBB102_313
.LBB102_273:
	s_mov_b64 s[24:25], -1
	s_mov_b64 s[2:3], 0
	s_mov_b64 s[22:23], s[18:19]
                                        ; implicit-def: $vgpr2
	s_branch .LBB102_399
.LBB102_274:
	s_mov_b64 s[28:29], -1
	s_mov_b64 s[24:25], 0
	s_mov_b64 s[2:3], s[16:17]
	s_branch .LBB102_296
.LBB102_275:
	s_andn2_saveexec_b64 s[26:27], s[26:27]
	s_cbranch_execz .LBB102_55
.LBB102_276:
	s_mov_b32 s30, 0x46000000
	v_add_f32_e64 v3, |v2|, s30
	v_and_b32_e32 v3, 0xff, v3
	v_cmp_ne_u32_e32 vcc, 0, v3
	s_andn2_b64 s[22:23], s[22:23], exec
	s_and_b64 s[30:31], vcc, exec
	s_or_b64 s[22:23], s[22:23], s[30:31]
	s_or_b64 exec, exec, s[26:27]
	v_mov_b32_e32 v5, 0
	s_and_saveexec_b64 s[26:27], s[22:23]
	s_cbranch_execnz .LBB102_56
	s_branch .LBB102_57
.LBB102_277:
	s_mov_b64 s[24:25], -1
	s_mov_b64 s[2:3], 0
	s_mov_b64 s[22:23], s[18:19]
                                        ; implicit-def: $vgpr2
	s_branch .LBB102_282
.LBB102_278:
	s_mov_b64 s[28:29], -1
	s_mov_b64 s[24:25], 0
	s_mov_b64 s[2:3], s[16:17]
	s_branch .LBB102_292
.LBB102_279:
	s_andn2_saveexec_b64 s[26:27], s[26:27]
	s_cbranch_execz .LBB102_68
.LBB102_280:
	s_mov_b32 s30, 0x42800000
	v_add_f32_e64 v3, |v2|, s30
	v_and_b32_e32 v3, 0xff, v3
	v_cmp_ne_u32_e32 vcc, 0, v3
	s_andn2_b64 s[22:23], s[22:23], exec
	s_and_b64 s[30:31], vcc, exec
	s_or_b64 s[22:23], s[22:23], s[30:31]
	s_or_b64 exec, exec, s[26:27]
	v_mov_b32_e32 v5, 0
	s_and_saveexec_b64 s[26:27], s[22:23]
	s_cbranch_execnz .LBB102_69
	s_branch .LBB102_70
.LBB102_281:
	s_mov_b64 s[22:23], -1
                                        ; implicit-def: $vgpr2
	s_mov_b64 s[2:3], 0
.LBB102_282:
	s_and_b64 vcc, exec, s[24:25]
	s_cbranch_vccz .LBB102_398
; %bb.283:
	s_cmp_eq_u32 s28, 44
	s_cbranch_scc0 .LBB102_397
; %bb.284:
	global_load_ubyte v2, v[0:1], off
	s_mov_b64 s[2:3], -1
	s_mov_b64 s[22:23], 0
	s_waitcnt vmcnt(0)
	v_lshlrev_b32_e32 v3, 23, v2
	v_cvt_i32_f32_e32 v3, v3
	v_cmp_ne_u32_e32 vcc, 0, v2
	v_cndmask_b32_e32 v2, 0, v3, vcc
	s_branch .LBB102_398
.LBB102_285:
	s_mov_b64 s[28:29], -1
	s_mov_b64 s[24:25], 0
	s_mov_b64 s[2:3], s[16:17]
.LBB102_286:
	s_and_b64 vcc, exec, s[28:29]
	s_cbranch_vccz .LBB102_291
; %bb.287:
	s_cmp_eq_u32 s35, 44
	s_mov_b64 s[2:3], -1
	s_cbranch_scc0 .LBB102_291
; %bb.288:
	v_cvt_f32_i32_sdwa v2, sext(v4) dst_sel:DWORD dst_unused:UNUSED_PAD src0_sel:WORD_0
	s_movk_i32 s2, 0xff
	v_mov_b32_e32 v5, 0xff
	v_bfe_u32 v3, v2, 23, 8
	v_cmp_ne_u32_e32 vcc, s2, v3
	s_and_saveexec_b64 s[24:25], vcc
; %bb.289:
	s_mov_b32 s2, 0x3fffff
	v_lshrrev_b32_e32 v5, 23, v2
	v_and_b32_e32 v6, 0x400000, v2
	v_and_or_b32 v2, v2, s2, v3
	v_cmp_ne_u32_e32 vcc, 0, v6
	v_cmp_ne_u32_e64 s[2:3], 0, v2
	s_and_b64 s[2:3], vcc, s[2:3]
	v_cndmask_b32_e64 v2, 0, 1, s[2:3]
	v_add_u32_e32 v5, v5, v2
; %bb.290:
	s_or_b64 exec, exec, s[24:25]
	s_mov_b64 s[24:25], -1
	s_mov_b64 s[2:3], 0
	global_store_byte v[0:1], v5, off
.LBB102_291:
	s_mov_b64 s[28:29], 0
.LBB102_292:
	s_and_b64 vcc, exec, s[28:29]
	s_cbranch_vccz .LBB102_295
; %bb.293:
	s_cmp_eq_u32 s35, 29
	s_mov_b64 s[2:3], -1
	s_cbranch_scc0 .LBB102_295
; %bb.294:
	v_bfe_i32 v2, v4, 0, 16
	v_ashrrev_i32_e32 v3, 31, v2
	global_store_dwordx2 v[0:1], v[2:3], off
	s_mov_b64 s[24:25], -1
	s_mov_b64 s[2:3], 0
.LBB102_295:
	s_mov_b64 s[28:29], 0
.LBB102_296:
	s_and_b64 vcc, exec, s[28:29]
	s_cbranch_vccz .LBB102_312
; %bb.297:
	s_cmp_lt_i32 s35, 27
	s_mov_b64 s[24:25], -1
	s_cbranch_scc1 .LBB102_303
; %bb.298:
	s_cmp_gt_i32 s35, 27
	s_cbranch_scc0 .LBB102_300
; %bb.299:
	v_bfe_i32 v2, v4, 0, 16
	s_mov_b64 s[24:25], 0
	global_store_dword v[0:1], v2, off
.LBB102_300:
	s_andn2_b64 vcc, exec, s[24:25]
	s_cbranch_vccnz .LBB102_302
; %bb.301:
	global_store_short v[0:1], v4, off
.LBB102_302:
	s_mov_b64 s[24:25], 0
.LBB102_303:
	s_andn2_b64 vcc, exec, s[24:25]
	s_cbranch_vccnz .LBB102_311
; %bb.304:
	v_cvt_f32_i32_sdwa v2, sext(v4) dst_sel:DWORD dst_unused:UNUSED_PAD src0_sel:WORD_0
	s_mov_b32 s24, 0x43800000
	v_mov_b32_e32 v5, 0x80
	v_and_b32_e32 v3, 0x7fffffff, v2
	v_cmp_gt_u32_e32 vcc, s24, v3
	s_and_saveexec_b64 s[24:25], vcc
	s_cbranch_execz .LBB102_310
; %bb.305:
	s_mov_b32 s28, 0x3bffffff
	v_cmp_lt_u32_e32 vcc, s28, v3
	s_mov_b64 s[28:29], 0
                                        ; implicit-def: $vgpr3
	s_and_saveexec_b64 s[30:31], vcc
	s_xor_b64 s[30:31], exec, s[30:31]
	s_cbranch_execz .LBB102_518
; %bb.306:
	v_bfe_u32 v3, v2, 20, 1
	s_mov_b32 s36, 0x487ffff
	v_add3_u32 v3, v2, v3, s36
	s_mov_b64 s[28:29], exec
	v_lshrrev_b32_e32 v3, 20, v3
	s_andn2_saveexec_b64 s[30:31], s[30:31]
	s_cbranch_execnz .LBB102_519
.LBB102_307:
	s_or_b64 exec, exec, s[30:31]
	v_mov_b32_e32 v5, 0
	s_and_saveexec_b64 s[30:31], s[28:29]
.LBB102_308:
	v_lshrrev_b32_e32 v2, 24, v2
	s_movk_i32 s28, 0x80
	v_and_or_b32 v5, v2, s28, v3
.LBB102_309:
	s_or_b64 exec, exec, s[30:31]
.LBB102_310:
	s_or_b64 exec, exec, s[24:25]
	global_store_byte v[0:1], v5, off
.LBB102_311:
	s_mov_b64 s[24:25], -1
.LBB102_312:
	s_mov_b64 s[28:29], 0
.LBB102_313:
	s_and_b64 vcc, exec, s[28:29]
	s_cbranch_vccz .LBB102_354
; %bb.314:
	s_cmp_gt_i32 s35, 22
	s_mov_b64 s[28:29], -1
	s_cbranch_scc0 .LBB102_346
; %bb.315:
	s_cmp_lt_i32 s35, 24
	s_mov_b64 s[24:25], -1
	s_cbranch_scc1 .LBB102_335
; %bb.316:
	s_cmp_gt_i32 s35, 24
	s_cbranch_scc0 .LBB102_324
; %bb.317:
	v_cvt_f32_i32_sdwa v2, sext(v4) dst_sel:DWORD dst_unused:UNUSED_PAD src0_sel:WORD_0
	s_mov_b32 s24, 0x47800000
	v_mov_b32_e32 v5, 0x80
	v_and_b32_e32 v3, 0x7fffffff, v2
	v_cmp_gt_u32_e32 vcc, s24, v3
	s_and_saveexec_b64 s[24:25], vcc
	s_cbranch_execz .LBB102_323
; %bb.318:
	s_mov_b32 s28, 0x37ffffff
	v_cmp_lt_u32_e32 vcc, s28, v3
	s_mov_b64 s[28:29], 0
                                        ; implicit-def: $vgpr3
	s_and_saveexec_b64 s[30:31], vcc
	s_xor_b64 s[30:31], exec, s[30:31]
	s_cbranch_execz .LBB102_521
; %bb.319:
	v_bfe_u32 v3, v2, 21, 1
	s_mov_b32 s36, 0x88fffff
	v_add3_u32 v3, v2, v3, s36
	s_mov_b64 s[28:29], exec
	v_lshrrev_b32_e32 v3, 21, v3
	s_andn2_saveexec_b64 s[30:31], s[30:31]
	s_cbranch_execnz .LBB102_522
.LBB102_320:
	s_or_b64 exec, exec, s[30:31]
	v_mov_b32_e32 v5, 0
	s_and_saveexec_b64 s[30:31], s[28:29]
.LBB102_321:
	v_lshrrev_b32_e32 v2, 24, v2
	s_movk_i32 s28, 0x80
	v_and_or_b32 v5, v2, s28, v3
.LBB102_322:
	s_or_b64 exec, exec, s[30:31]
.LBB102_323:
	s_or_b64 exec, exec, s[24:25]
	s_mov_b64 s[24:25], 0
	global_store_byte v[0:1], v5, off
.LBB102_324:
	s_and_b64 vcc, exec, s[24:25]
	s_cbranch_vccz .LBB102_334
; %bb.325:
	v_cvt_f32_i32_sdwa v2, sext(v4) dst_sel:DWORD dst_unused:UNUSED_PAD src0_sel:WORD_0
	s_mov_b32 s24, 0x43f00000
                                        ; implicit-def: $vgpr3
	v_and_b32_e32 v5, 0x7fffffff, v2
	v_cmp_gt_u32_e32 vcc, s24, v5
	s_and_saveexec_b64 s[24:25], vcc
	s_xor_b64 s[24:25], exec, s[24:25]
	s_cbranch_execz .LBB102_331
; %bb.326:
	s_mov_b32 s28, 0x3c7fffff
	v_cmp_lt_u32_e32 vcc, s28, v5
                                        ; implicit-def: $vgpr3
	s_and_saveexec_b64 s[28:29], vcc
	s_xor_b64 s[28:29], exec, s[28:29]
; %bb.327:
	v_bfe_u32 v3, v2, 20, 1
	s_mov_b32 s30, 0x407ffff
	v_add3_u32 v3, v2, v3, s30
	v_lshrrev_b32_e32 v5, 20, v3
	v_and_b32_e32 v3, 0xff00000, v3
	s_mov_b32 s30, 0x7f00000
	v_mov_b32_e32 v6, 0x7e
	v_cmp_ne_u32_e32 vcc, s30, v3
	v_cndmask_b32_e32 v3, v6, v5, vcc
; %bb.328:
	s_andn2_saveexec_b64 s[28:29], s[28:29]
; %bb.329:
	s_mov_b32 s30, 0x46800000
	v_add_f32_e64 v3, |v2|, s30
; %bb.330:
	s_or_b64 exec, exec, s[28:29]
                                        ; implicit-def: $vgpr5
.LBB102_331:
	s_andn2_saveexec_b64 s[24:25], s[24:25]
; %bb.332:
	s_mov_b32 s28, 0x7f800000
	v_mov_b32_e32 v3, 0x7e
	v_mov_b32_e32 v6, 0x7f
	v_cmp_lt_u32_e32 vcc, s28, v5
	v_cndmask_b32_e32 v3, v3, v6, vcc
; %bb.333:
	s_or_b64 exec, exec, s[24:25]
	v_lshrrev_b32_e32 v2, 24, v2
	s_movk_i32 s24, 0x80
	v_and_or_b32 v2, v2, s24, v3
	global_store_byte v[0:1], v2, off
.LBB102_334:
	s_mov_b64 s[24:25], 0
.LBB102_335:
	s_andn2_b64 vcc, exec, s[24:25]
	s_cbranch_vccnz .LBB102_345
; %bb.336:
	v_cvt_f32_i32_sdwa v2, sext(v4) dst_sel:DWORD dst_unused:UNUSED_PAD src0_sel:WORD_0
	s_mov_b32 s24, 0x47800000
                                        ; implicit-def: $vgpr3
	v_and_b32_e32 v5, 0x7fffffff, v2
	v_cmp_gt_u32_e32 vcc, s24, v5
	s_and_saveexec_b64 s[24:25], vcc
	s_xor_b64 s[24:25], exec, s[24:25]
	s_cbranch_execz .LBB102_342
; %bb.337:
	s_mov_b32 s28, 0x387fffff
	v_cmp_lt_u32_e32 vcc, s28, v5
                                        ; implicit-def: $vgpr3
	s_and_saveexec_b64 s[28:29], vcc
	s_xor_b64 s[28:29], exec, s[28:29]
; %bb.338:
	v_bfe_u32 v3, v2, 21, 1
	s_mov_b32 s30, 0x80fffff
	v_add3_u32 v3, v2, v3, s30
	v_lshrrev_b32_e32 v3, 21, v3
; %bb.339:
	s_andn2_saveexec_b64 s[28:29], s[28:29]
; %bb.340:
	s_mov_b32 s30, 0x43000000
	v_add_f32_e64 v3, |v2|, s30
; %bb.341:
	s_or_b64 exec, exec, s[28:29]
                                        ; implicit-def: $vgpr5
.LBB102_342:
	s_andn2_saveexec_b64 s[24:25], s[24:25]
; %bb.343:
	s_mov_b32 s28, 0x7f800000
	v_mov_b32_e32 v3, 0x7c
	v_mov_b32_e32 v6, 0x7f
	v_cmp_lt_u32_e32 vcc, s28, v5
	v_cndmask_b32_e32 v3, v3, v6, vcc
; %bb.344:
	s_or_b64 exec, exec, s[24:25]
	v_lshrrev_b32_e32 v2, 24, v2
	s_movk_i32 s24, 0x80
	v_and_or_b32 v2, v2, s24, v3
	global_store_byte v[0:1], v2, off
.LBB102_345:
	s_mov_b64 s[28:29], 0
	s_mov_b64 s[24:25], -1
.LBB102_346:
	s_andn2_b64 vcc, exec, s[28:29]
	s_cbranch_vccnz .LBB102_354
; %bb.347:
	s_cmp_gt_i32 s35, 14
	s_mov_b64 s[28:29], -1
	s_cbranch_scc0 .LBB102_351
; %bb.348:
	s_cmp_eq_u32 s35, 15
	s_mov_b64 s[2:3], -1
	s_cbranch_scc0 .LBB102_350
; %bb.349:
	v_cvt_f32_i32_sdwa v2, sext(v4) dst_sel:DWORD dst_unused:UNUSED_PAD src0_sel:WORD_0
	s_movk_i32 s2, 0x7fff
	s_mov_b64 s[24:25], -1
	v_bfe_u32 v3, v2, 16, 1
	v_add3_u32 v2, v2, v3, s2
	global_store_short_d16_hi v[0:1], v2, off
	s_mov_b64 s[2:3], 0
.LBB102_350:
	s_mov_b64 s[28:29], 0
.LBB102_351:
	s_and_b64 vcc, exec, s[28:29]
	s_cbranch_vccz .LBB102_354
; %bb.352:
	s_cmp_eq_u32 s35, 11
	s_mov_b64 s[2:3], -1
	s_cbranch_scc0 .LBB102_354
; %bb.353:
	v_cmp_ne_u16_e32 vcc, 0, v4
	v_cndmask_b32_e64 v2, 0, 1, vcc
	s_mov_b64 s[24:25], -1
	s_mov_b64 s[2:3], 0
	global_store_byte v[0:1], v2, off
.LBB102_354:
	s_mov_b64 s[28:29], 0
.LBB102_355:
	s_and_b64 vcc, exec, s[28:29]
	s_cbranch_vccz .LBB102_394
; %bb.356:
	s_and_b32 s28, 0xffff, s34
	s_cmp_lt_i32 s28, 5
	s_mov_b64 s[24:25], -1
	s_cbranch_scc1 .LBB102_377
; %bb.357:
	s_cmp_lt_i32 s28, 8
	s_cbranch_scc1 .LBB102_367
; %bb.358:
	s_cmp_lt_i32 s28, 9
	s_cbranch_scc1 .LBB102_364
; %bb.359:
	s_cmp_gt_i32 s28, 9
	s_cbranch_scc0 .LBB102_361
; %bb.360:
	v_bfe_i32 v2, v4, 0, 16
	v_cvt_f64_i32_e32 v[5:6], v2
	v_mov_b32_e32 v7, 0
	v_mov_b32_e32 v8, v7
	s_mov_b64 s[24:25], 0
	global_store_dwordx4 v[0:1], v[5:8], off
.LBB102_361:
	s_andn2_b64 vcc, exec, s[24:25]
	s_cbranch_vccnz .LBB102_363
; %bb.362:
	v_cvt_f32_i32_sdwa v2, sext(v4) dst_sel:DWORD dst_unused:UNUSED_PAD src0_sel:WORD_0
	v_mov_b32_e32 v3, 0
	global_store_dwordx2 v[0:1], v[2:3], off
.LBB102_363:
	s_mov_b64 s[24:25], 0
.LBB102_364:
	s_andn2_b64 vcc, exec, s[24:25]
	s_cbranch_vccnz .LBB102_366
; %bb.365:
	v_cvt_f16_i16_e32 v2, v4
	global_store_dword v[0:1], v2, off
.LBB102_366:
	s_mov_b64 s[24:25], 0
.LBB102_367:
	s_andn2_b64 vcc, exec, s[24:25]
	s_cbranch_vccnz .LBB102_376
; %bb.368:
	s_cmp_lt_i32 s28, 6
	s_mov_b64 s[24:25], -1
	s_cbranch_scc1 .LBB102_374
; %bb.369:
	s_cmp_gt_i32 s28, 6
	s_cbranch_scc0 .LBB102_371
; %bb.370:
	v_bfe_i32 v2, v4, 0, 16
	v_cvt_f64_i32_e32 v[2:3], v2
	s_mov_b64 s[24:25], 0
	global_store_dwordx2 v[0:1], v[2:3], off
.LBB102_371:
	s_andn2_b64 vcc, exec, s[24:25]
	s_cbranch_vccnz .LBB102_373
; %bb.372:
	v_cvt_f32_i32_sdwa v2, sext(v4) dst_sel:DWORD dst_unused:UNUSED_PAD src0_sel:WORD_0
	global_store_dword v[0:1], v2, off
.LBB102_373:
	s_mov_b64 s[24:25], 0
.LBB102_374:
	s_andn2_b64 vcc, exec, s[24:25]
	s_cbranch_vccnz .LBB102_376
; %bb.375:
	v_cvt_f16_i16_e32 v2, v4
	global_store_short v[0:1], v2, off
.LBB102_376:
	s_mov_b64 s[24:25], 0
.LBB102_377:
	s_andn2_b64 vcc, exec, s[24:25]
	s_cbranch_vccnz .LBB102_393
; %bb.378:
	s_cmp_lt_i32 s28, 2
	s_mov_b64 s[24:25], -1
	s_cbranch_scc1 .LBB102_388
; %bb.379:
	s_cmp_lt_i32 s28, 3
	s_cbranch_scc1 .LBB102_385
; %bb.380:
	s_cmp_gt_i32 s28, 3
	v_bfe_i32 v2, v4, 0, 16
	s_cbranch_scc0 .LBB102_382
; %bb.381:
	v_ashrrev_i32_e32 v3, 31, v2
	s_mov_b64 s[24:25], 0
	global_store_dwordx2 v[0:1], v[2:3], off
.LBB102_382:
	s_andn2_b64 vcc, exec, s[24:25]
	s_cbranch_vccnz .LBB102_384
; %bb.383:
	global_store_dword v[0:1], v2, off
.LBB102_384:
	s_mov_b64 s[24:25], 0
.LBB102_385:
	s_andn2_b64 vcc, exec, s[24:25]
	s_cbranch_vccnz .LBB102_387
; %bb.386:
	global_store_short v[0:1], v4, off
.LBB102_387:
	s_mov_b64 s[24:25], 0
.LBB102_388:
	s_andn2_b64 vcc, exec, s[24:25]
	s_cbranch_vccnz .LBB102_393
; %bb.389:
	s_cmp_gt_i32 s28, 0
	s_mov_b64 s[24:25], -1
	s_cbranch_scc0 .LBB102_391
; %bb.390:
	s_mov_b64 s[24:25], 0
	global_store_byte v[0:1], v4, off
.LBB102_391:
	s_andn2_b64 vcc, exec, s[24:25]
	s_cbranch_vccnz .LBB102_393
; %bb.392:
	global_store_byte v[0:1], v4, off
.LBB102_393:
	s_mov_b64 s[24:25], -1
.LBB102_394:
	s_andn2_b64 vcc, exec, s[24:25]
	s_cbranch_vccnz .LBB102_396
; %bb.395:
	v_add_u32_e32 v9, 0x80, v9
	s_mov_b64 s[28:29], -1
	s_branch .LBB102_504
.LBB102_396:
	s_mov_b64 s[28:29], 0
                                        ; implicit-def: $vgpr9
	s_branch .LBB102_504
.LBB102_397:
	s_mov_b64 s[22:23], -1
                                        ; implicit-def: $vgpr2
.LBB102_398:
	s_mov_b64 s[24:25], 0
.LBB102_399:
	s_and_b64 vcc, exec, s[24:25]
	s_cbranch_vccz .LBB102_403
; %bb.400:
	s_cmp_eq_u32 s28, 29
	s_cbranch_scc0 .LBB102_402
; %bb.401:
	global_load_dwordx2 v[2:3], v[0:1], off
	s_mov_b64 s[2:3], -1
	s_mov_b64 s[22:23], 0
	s_branch .LBB102_403
.LBB102_402:
	s_mov_b64 s[22:23], -1
                                        ; implicit-def: $vgpr2
.LBB102_403:
	s_mov_b64 s[24:25], 0
.LBB102_404:
	s_and_b64 vcc, exec, s[24:25]
	s_cbranch_vccz .LBB102_420
; %bb.405:
	s_cmp_lt_i32 s28, 27
	s_cbranch_scc1 .LBB102_408
; %bb.406:
	s_cmp_gt_i32 s28, 27
	s_cbranch_scc0 .LBB102_409
; %bb.407:
	global_load_dword v2, v[0:1], off
	s_mov_b64 s[2:3], 0
	s_branch .LBB102_410
.LBB102_408:
	s_mov_b64 s[2:3], -1
                                        ; implicit-def: $vgpr2
	s_branch .LBB102_413
.LBB102_409:
	s_mov_b64 s[2:3], -1
                                        ; implicit-def: $vgpr2
.LBB102_410:
	s_andn2_b64 vcc, exec, s[2:3]
	s_cbranch_vccnz .LBB102_412
; %bb.411:
	global_load_ushort v2, v[0:1], off
.LBB102_412:
	s_mov_b64 s[2:3], 0
.LBB102_413:
	s_andn2_b64 vcc, exec, s[2:3]
	s_cbranch_vccnz .LBB102_419
; %bb.414:
	global_load_ubyte v3, v[0:1], off
	s_movk_i32 s2, 0x7f
	s_mov_b64 s[24:25], 0
	s_waitcnt vmcnt(0)
	v_cmp_lt_i16_e32 vcc, s2, v3
	s_and_saveexec_b64 s[2:3], vcc
	s_xor_b64 s[2:3], exec, s[2:3]
	s_cbranch_execz .LBB102_431
; %bb.415:
	s_movk_i32 s24, 0x80
	v_cmp_ne_u16_e32 vcc, s24, v3
	s_and_b64 s[24:25], vcc, exec
	s_andn2_saveexec_b64 s[2:3], s[2:3]
	s_cbranch_execnz .LBB102_432
.LBB102_416:
	s_or_b64 exec, exec, s[2:3]
	v_mov_b32_e32 v2, 0
	s_and_saveexec_b64 s[2:3], s[24:25]
	s_cbranch_execz .LBB102_418
.LBB102_417:
	v_lshlrev_b32_e32 v2, 24, v3
	v_and_b32_e32 v3, 0xffff, v3
	v_and_b32_e32 v4, 7, v3
	v_ffbh_u32_e32 v6, v4
	v_min_u32_e32 v6, 32, v6
	v_subrev_u32_e32 v7, 28, v6
	v_bfe_u32 v5, v3, 3, 4
	v_lshlrev_b32_e32 v3, v7, v3
	v_sub_u32_e32 v6, 29, v6
	v_and_b32_e32 v3, 7, v3
	v_cmp_eq_u32_e32 vcc, 0, v5
	v_cndmask_b32_e32 v5, v5, v6, vcc
	v_cndmask_b32_e32 v3, v4, v3, vcc
	v_mov_b32_e32 v4, 0x3b800000
	v_lshlrev_b32_e32 v3, 20, v3
	v_and_b32_e32 v2, 0x80000000, v2
	v_lshl_add_u32 v4, v5, 23, v4
	v_or3_b32 v2, v2, v4, v3
	v_cvt_i32_f32_e32 v2, v2
.LBB102_418:
	s_or_b64 exec, exec, s[2:3]
.LBB102_419:
	s_mov_b64 s[2:3], -1
.LBB102_420:
	s_mov_b64 s[24:25], 0
.LBB102_421:
	s_and_b64 vcc, exec, s[24:25]
	s_cbranch_vccz .LBB102_454
; %bb.422:
	s_cmp_gt_i32 s28, 22
	s_cbranch_scc0 .LBB102_430
; %bb.423:
	s_cmp_lt_i32 s28, 24
	s_cbranch_scc1 .LBB102_433
; %bb.424:
	s_cmp_gt_i32 s28, 24
	s_cbranch_scc0 .LBB102_434
; %bb.425:
	global_load_ubyte v3, v[0:1], off
	s_movk_i32 s2, 0x7f
	s_mov_b64 s[24:25], 0
	s_waitcnt vmcnt(0)
	v_cmp_lt_i16_e32 vcc, s2, v3
	s_and_saveexec_b64 s[2:3], vcc
	s_xor_b64 s[2:3], exec, s[2:3]
	s_cbranch_execz .LBB102_446
; %bb.426:
	s_movk_i32 s24, 0x80
	v_cmp_ne_u16_e32 vcc, s24, v3
	s_and_b64 s[24:25], vcc, exec
	s_andn2_saveexec_b64 s[2:3], s[2:3]
	s_cbranch_execnz .LBB102_447
.LBB102_427:
	s_or_b64 exec, exec, s[2:3]
	v_mov_b32_e32 v2, 0
	s_and_saveexec_b64 s[2:3], s[24:25]
	s_cbranch_execz .LBB102_429
.LBB102_428:
	v_lshlrev_b32_e32 v2, 24, v3
	v_and_b32_e32 v3, 0xffff, v3
	v_and_b32_e32 v4, 3, v3
	v_ffbh_u32_e32 v6, v4
	v_min_u32_e32 v6, 32, v6
	v_subrev_u32_e32 v7, 29, v6
	v_bfe_u32 v5, v3, 2, 5
	v_lshlrev_b32_e32 v3, v7, v3
	v_sub_u32_e32 v6, 30, v6
	v_and_b32_e32 v3, 3, v3
	v_cmp_eq_u32_e32 vcc, 0, v5
	v_cndmask_b32_e32 v5, v5, v6, vcc
	v_cndmask_b32_e32 v3, v4, v3, vcc
	v_mov_b32_e32 v4, 0x37800000
	v_lshlrev_b32_e32 v3, 21, v3
	v_and_b32_e32 v2, 0x80000000, v2
	v_lshl_add_u32 v4, v5, 23, v4
	v_or3_b32 v2, v2, v4, v3
	v_cvt_i32_f32_e32 v2, v2
.LBB102_429:
	s_or_b64 exec, exec, s[2:3]
	s_mov_b64 s[2:3], 0
	s_branch .LBB102_435
.LBB102_430:
	s_mov_b64 s[24:25], -1
                                        ; implicit-def: $vgpr2
	s_branch .LBB102_441
.LBB102_431:
	s_andn2_saveexec_b64 s[2:3], s[2:3]
	s_cbranch_execz .LBB102_416
.LBB102_432:
	v_cmp_ne_u16_e32 vcc, 0, v3
	s_andn2_b64 s[24:25], s[24:25], exec
	s_and_b64 s[30:31], vcc, exec
	s_or_b64 s[24:25], s[24:25], s[30:31]
	s_or_b64 exec, exec, s[2:3]
	v_mov_b32_e32 v2, 0
	s_and_saveexec_b64 s[2:3], s[24:25]
	s_cbranch_execnz .LBB102_417
	s_branch .LBB102_418
.LBB102_433:
	s_mov_b64 s[2:3], -1
                                        ; implicit-def: $vgpr2
	s_branch .LBB102_438
.LBB102_434:
	s_mov_b64 s[2:3], -1
                                        ; implicit-def: $vgpr2
.LBB102_435:
	s_and_b64 vcc, exec, s[2:3]
	s_cbranch_vccz .LBB102_437
; %bb.436:
	global_load_ubyte v2, v[0:1], off
	s_mov_b32 s2, 0x7f800000
	s_waitcnt vmcnt(0)
	v_lshlrev_b32_e32 v2, 24, v2
	v_and_b32_e32 v3, 0x7f000000, v2
	v_ffbh_u32_e32 v4, v3
	v_min_u32_e32 v4, 32, v4
	v_sub_u32_e64 v4, v4, 4 clamp
	v_lshlrev_b32_e32 v6, v4, v3
	v_lshlrev_b32_e32 v4, 23, v4
	v_lshrrev_b32_e32 v6, 4, v6
	v_add_u32_e32 v5, 0x1000000, v3
	v_sub_u32_e32 v4, v6, v4
	v_ashrrev_i32_e32 v5, 8, v5
	v_add_u32_e32 v4, 0x3c000000, v4
	v_and_or_b32 v4, v5, s2, v4
	v_cmp_ne_u32_e32 vcc, 0, v3
	v_cndmask_b32_e32 v3, 0, v4, vcc
	s_brev_b32 s2, 1
	v_and_or_b32 v2, v2, s2, v3
	v_cvt_i32_f32_e32 v2, v2
.LBB102_437:
	s_mov_b64 s[2:3], 0
.LBB102_438:
	s_andn2_b64 vcc, exec, s[2:3]
	s_cbranch_vccnz .LBB102_440
; %bb.439:
	global_load_ubyte v2, v[0:1], off
	s_movk_i32 s2, 0x7f00
	s_brev_b32 s3, 16
	s_waitcnt vmcnt(0)
	v_lshlrev_b16_e32 v3, 8, v2
	v_lshlrev_b32_e32 v2, 25, v2
	v_lshrrev_b32_e32 v4, 4, v2
	v_and_or_b32 v5, v3, s2, 0.5
	v_or_b32_e32 v4, 0x70000000, v4
	v_add_f32_e32 v5, -0.5, v5
	v_mul_f32_e32 v4, 0x7800000, v4
	v_cmp_gt_u32_e32 vcc, s3, v2
	v_bfe_i32 v3, v3, 0, 16
	v_cndmask_b32_e32 v2, v4, v5, vcc
	s_brev_b32 s2, 1
	v_and_or_b32 v2, v3, s2, v2
	v_cvt_i32_f32_e32 v2, v2
.LBB102_440:
	s_mov_b64 s[24:25], 0
	s_mov_b64 s[2:3], -1
.LBB102_441:
	s_andn2_b64 vcc, exec, s[24:25]
	s_cbranch_vccnz .LBB102_454
; %bb.442:
	s_cmp_gt_i32 s28, 14
	s_cbranch_scc0 .LBB102_445
; %bb.443:
	s_cmp_eq_u32 s28, 15
	s_cbranch_scc0 .LBB102_448
; %bb.444:
	global_load_ushort v2, v[0:1], off
	s_mov_b64 s[2:3], -1
	s_mov_b64 s[22:23], 0
	s_waitcnt vmcnt(0)
	v_lshlrev_b32_e32 v2, 16, v2
	v_cvt_i32_f32_e32 v2, v2
	s_branch .LBB102_449
.LBB102_445:
	s_mov_b64 s[24:25], -1
                                        ; implicit-def: $vgpr2
	s_branch .LBB102_450
.LBB102_446:
	s_andn2_saveexec_b64 s[2:3], s[2:3]
	s_cbranch_execz .LBB102_427
.LBB102_447:
	v_cmp_ne_u16_e32 vcc, 0, v3
	s_andn2_b64 s[24:25], s[24:25], exec
	s_and_b64 s[30:31], vcc, exec
	s_or_b64 s[24:25], s[24:25], s[30:31]
	s_or_b64 exec, exec, s[2:3]
	v_mov_b32_e32 v2, 0
	s_and_saveexec_b64 s[2:3], s[24:25]
	s_cbranch_execnz .LBB102_428
	s_branch .LBB102_429
.LBB102_448:
	s_mov_b64 s[22:23], -1
                                        ; implicit-def: $vgpr2
.LBB102_449:
	s_mov_b64 s[24:25], 0
.LBB102_450:
	s_and_b64 vcc, exec, s[24:25]
	s_cbranch_vccz .LBB102_454
; %bb.451:
	s_cmp_eq_u32 s28, 11
	s_cbranch_scc0 .LBB102_453
; %bb.452:
	global_load_ubyte v2, v[0:1], off
	s_mov_b64 s[2:3], -1
	s_mov_b64 s[22:23], 0
	s_waitcnt vmcnt(0)
	v_cmp_ne_u16_e32 vcc, 0, v2
	v_cndmask_b32_e64 v2, 0, 1, vcc
	s_branch .LBB102_454
.LBB102_453:
	s_mov_b64 s[22:23], -1
                                        ; implicit-def: $vgpr2
.LBB102_454:
	s_branch .LBB102_261
.LBB102_455:
	s_cmp_lt_i32 s28, 5
	s_cbranch_scc1 .LBB102_460
; %bb.456:
	s_cmp_lt_i32 s28, 8
	s_cbranch_scc1 .LBB102_461
; %bb.457:
	;; [unrolled: 3-line block ×3, first 2 shown]
	s_cmp_gt_i32 s28, 9
	s_cbranch_scc0 .LBB102_463
; %bb.459:
	global_load_dwordx2 v[2:3], v[0:1], off
	s_mov_b64 s[2:3], 0
	s_waitcnt vmcnt(0)
	v_cvt_i32_f64_e32 v2, v[2:3]
	s_branch .LBB102_464
.LBB102_460:
	s_mov_b64 s[2:3], -1
                                        ; implicit-def: $vgpr2
	s_branch .LBB102_482
.LBB102_461:
	s_mov_b64 s[2:3], -1
                                        ; implicit-def: $vgpr2
	s_branch .LBB102_470
.LBB102_462:
	s_mov_b64 s[2:3], -1
                                        ; implicit-def: $vgpr2
	s_branch .LBB102_467
.LBB102_463:
	s_mov_b64 s[2:3], -1
                                        ; implicit-def: $vgpr2
.LBB102_464:
	s_andn2_b64 vcc, exec, s[2:3]
	s_cbranch_vccnz .LBB102_466
; %bb.465:
	global_load_dword v2, v[0:1], off
	s_waitcnt vmcnt(0)
	v_cvt_i32_f32_e32 v2, v2
.LBB102_466:
	s_mov_b64 s[2:3], 0
.LBB102_467:
	s_andn2_b64 vcc, exec, s[2:3]
	s_cbranch_vccnz .LBB102_469
; %bb.468:
	global_load_dword v2, v[0:1], off
	s_waitcnt vmcnt(0)
	v_cvt_i16_f16_e32 v2, v2
.LBB102_469:
	s_mov_b64 s[2:3], 0
.LBB102_470:
	s_andn2_b64 vcc, exec, s[2:3]
	s_cbranch_vccnz .LBB102_481
; %bb.471:
	s_cmp_lt_i32 s28, 6
	s_cbranch_scc1 .LBB102_474
; %bb.472:
	s_cmp_gt_i32 s28, 6
	s_cbranch_scc0 .LBB102_475
; %bb.473:
	global_load_dwordx2 v[2:3], v[0:1], off
	s_mov_b64 s[2:3], 0
	s_waitcnt vmcnt(0)
	v_cvt_i32_f64_e32 v2, v[2:3]
	s_branch .LBB102_476
.LBB102_474:
	s_mov_b64 s[2:3], -1
                                        ; implicit-def: $vgpr2
	s_branch .LBB102_479
.LBB102_475:
	s_mov_b64 s[2:3], -1
                                        ; implicit-def: $vgpr2
.LBB102_476:
	s_andn2_b64 vcc, exec, s[2:3]
	s_cbranch_vccnz .LBB102_478
; %bb.477:
	global_load_dword v2, v[0:1], off
	s_waitcnt vmcnt(0)
	v_cvt_i32_f32_e32 v2, v2
.LBB102_478:
	s_mov_b64 s[2:3], 0
.LBB102_479:
	s_andn2_b64 vcc, exec, s[2:3]
	s_cbranch_vccnz .LBB102_481
; %bb.480:
	global_load_ushort v2, v[0:1], off
	s_waitcnt vmcnt(0)
	v_cvt_i16_f16_e32 v2, v2
.LBB102_481:
	s_mov_b64 s[2:3], 0
.LBB102_482:
	s_andn2_b64 vcc, exec, s[2:3]
	s_cbranch_vccnz .LBB102_502
; %bb.483:
	s_cmp_lt_i32 s28, 2
	s_cbranch_scc1 .LBB102_487
; %bb.484:
	s_cmp_lt_i32 s28, 3
	s_cbranch_scc1 .LBB102_488
; %bb.485:
	s_cmp_gt_i32 s28, 3
	s_cbranch_scc0 .LBB102_489
; %bb.486:
	global_load_dwordx2 v[2:3], v[0:1], off
	s_mov_b64 s[2:3], 0
	s_branch .LBB102_490
.LBB102_487:
	s_mov_b64 s[2:3], -1
                                        ; implicit-def: $vgpr2
	s_branch .LBB102_496
.LBB102_488:
	s_mov_b64 s[2:3], -1
                                        ; implicit-def: $vgpr2
	s_branch .LBB102_493
.LBB102_489:
	s_mov_b64 s[2:3], -1
                                        ; implicit-def: $vgpr2
.LBB102_490:
	s_andn2_b64 vcc, exec, s[2:3]
	s_cbranch_vccnz .LBB102_492
; %bb.491:
	global_load_dword v2, v[0:1], off
.LBB102_492:
	s_mov_b64 s[2:3], 0
.LBB102_493:
	s_andn2_b64 vcc, exec, s[2:3]
	s_cbranch_vccnz .LBB102_495
; %bb.494:
	global_load_ushort v2, v[0:1], off
.LBB102_495:
	s_mov_b64 s[2:3], 0
.LBB102_496:
	s_andn2_b64 vcc, exec, s[2:3]
	s_cbranch_vccnz .LBB102_502
; %bb.497:
	s_cmp_gt_i32 s28, 0
	s_cbranch_scc0 .LBB102_499
; %bb.498:
	global_load_sbyte v2, v[0:1], off
	s_mov_b64 s[2:3], 0
	s_branch .LBB102_500
.LBB102_499:
	s_mov_b64 s[2:3], -1
                                        ; implicit-def: $vgpr2
.LBB102_500:
	s_andn2_b64 vcc, exec, s[2:3]
	s_cbranch_vccnz .LBB102_502
; %bb.501:
	global_load_ubyte v2, v[0:1], off
.LBB102_502:
	s_branch .LBB102_262
.LBB102_503:
	s_mov_b64 s[28:29], 0
                                        ; implicit-def: $vgpr9
	s_mov_b64 s[2:3], s[16:17]
.LBB102_504:
	s_andn2_b64 s[24:25], s[16:17], exec
	s_and_b64 s[2:3], s[2:3], exec
	s_or_b64 s[24:25], s[24:25], s[2:3]
	s_andn2_b64 s[2:3], s[18:19], exec
	s_and_b64 s[22:23], s[22:23], exec
	s_or_b64 s[22:23], s[2:3], s[22:23]
	s_orn2_b64 s[2:3], s[28:29], exec
.LBB102_505:
	s_or_b64 exec, exec, s[26:27]
	s_mov_b64 s[30:31], 0
	s_mov_b64 s[28:29], 0
	;; [unrolled: 1-line block ×3, first 2 shown]
                                        ; implicit-def: $vgpr0_vgpr1
                                        ; implicit-def: $vgpr2
	s_and_saveexec_b64 s[26:27], s[2:3]
	s_cbranch_execz .LBB102_842
; %bb.506:
	v_cmp_gt_i32_e32 vcc, s42, v9
	s_mov_b64 s[38:39], -1
	s_mov_b64 s[2:3], s[22:23]
	s_mov_b64 s[34:35], s[24:25]
	s_and_saveexec_b64 s[28:29], vcc
	s_cbranch_execz .LBB102_760
; %bb.507:
	v_mul_lo_u32 v0, v9, s13
	v_mov_b32_e32 v1, s11
	s_and_b32 s36, 0xffff, s47
	s_cmp_lt_i32 s36, 11
	s_waitcnt vmcnt(0)
	v_ashrrev_i32_e32 v2, 31, v0
	v_add_co_u32_e32 v0, vcc, s10, v0
	v_addc_co_u32_e32 v1, vcc, v1, v2, vcc
	s_cbranch_scc1 .LBB102_514
; %bb.508:
	s_cmp_gt_i32 s36, 25
	s_cbranch_scc0 .LBB102_515
; %bb.509:
	s_cmp_gt_i32 s36, 28
	s_cbranch_scc0 .LBB102_516
	;; [unrolled: 3-line block ×4, first 2 shown]
; %bb.512:
	s_cmp_eq_u32 s36, 46
	s_mov_b64 s[34:35], 0
	s_cbranch_scc0 .LBB102_523
; %bb.513:
	global_load_dword v2, v[0:1], off
	s_mov_b64 s[2:3], -1
	s_waitcnt vmcnt(0)
	v_lshlrev_b32_e32 v2, 16, v2
	v_cvt_i32_f32_e32 v2, v2
	s_branch .LBB102_524
.LBB102_514:
	s_mov_b64 s[34:35], -1
	s_mov_b64 s[2:3], 0
                                        ; implicit-def: $vgpr2
	s_mov_b64 s[30:31], s[22:23]
	s_branch .LBB102_585
.LBB102_515:
	s_mov_b64 s[34:35], -1
	s_mov_b64 s[2:3], 0
	s_mov_b64 s[30:31], s[22:23]
                                        ; implicit-def: $vgpr2
	s_branch .LBB102_551
.LBB102_516:
	s_mov_b64 s[34:35], -1
	s_mov_b64 s[2:3], 0
	s_mov_b64 s[30:31], s[22:23]
                                        ; implicit-def: $vgpr2
	s_branch .LBB102_534
.LBB102_517:
	s_mov_b64 s[34:35], -1
	s_mov_b64 s[2:3], 0
	s_mov_b64 s[30:31], s[22:23]
                                        ; implicit-def: $vgpr2
	s_branch .LBB102_529
.LBB102_518:
	s_andn2_saveexec_b64 s[30:31], s[30:31]
	s_cbranch_execz .LBB102_307
.LBB102_519:
	s_mov_b32 s36, 0x46000000
	v_add_f32_e64 v3, |v2|, s36
	v_and_b32_e32 v3, 0xff, v3
	v_cmp_ne_u32_e32 vcc, 0, v3
	s_andn2_b64 s[28:29], s[28:29], exec
	s_and_b64 s[36:37], vcc, exec
	s_or_b64 s[28:29], s[28:29], s[36:37]
	s_or_b64 exec, exec, s[30:31]
	v_mov_b32_e32 v5, 0
	s_and_saveexec_b64 s[30:31], s[28:29]
	s_cbranch_execnz .LBB102_308
	s_branch .LBB102_309
.LBB102_520:
	s_mov_b64 s[34:35], -1
	s_mov_b64 s[2:3], 0
	s_mov_b64 s[30:31], s[22:23]
                                        ; implicit-def: $vgpr2
	s_branch .LBB102_524
.LBB102_521:
	s_andn2_saveexec_b64 s[30:31], s[30:31]
	s_cbranch_execz .LBB102_320
.LBB102_522:
	s_mov_b32 s36, 0x42800000
	v_add_f32_e64 v3, |v2|, s36
	v_and_b32_e32 v3, 0xff, v3
	v_cmp_ne_u32_e32 vcc, 0, v3
	s_andn2_b64 s[28:29], s[28:29], exec
	s_and_b64 s[36:37], vcc, exec
	s_or_b64 s[28:29], s[28:29], s[36:37]
	s_or_b64 exec, exec, s[30:31]
	v_mov_b32_e32 v5, 0
	s_and_saveexec_b64 s[30:31], s[28:29]
	s_cbranch_execnz .LBB102_321
	s_branch .LBB102_322
.LBB102_523:
	s_mov_b64 s[30:31], -1
                                        ; implicit-def: $vgpr2
	s_mov_b64 s[2:3], 0
.LBB102_524:
	s_and_b64 vcc, exec, s[34:35]
	s_cbranch_vccz .LBB102_528
; %bb.525:
	s_cmp_eq_u32 s36, 44
	s_cbranch_scc0 .LBB102_527
; %bb.526:
	global_load_ubyte v2, v[0:1], off
	s_mov_b64 s[2:3], -1
	s_mov_b64 s[30:31], 0
	s_waitcnt vmcnt(0)
	v_lshlrev_b32_e32 v3, 23, v2
	v_cvt_i32_f32_e32 v3, v3
	v_cmp_ne_u32_e32 vcc, 0, v2
	v_cndmask_b32_e32 v2, 0, v3, vcc
	s_branch .LBB102_528
.LBB102_527:
	s_mov_b64 s[30:31], -1
                                        ; implicit-def: $vgpr2
.LBB102_528:
	s_mov_b64 s[34:35], 0
.LBB102_529:
	s_and_b64 vcc, exec, s[34:35]
	s_cbranch_vccz .LBB102_533
; %bb.530:
	s_cmp_eq_u32 s36, 29
	s_cbranch_scc0 .LBB102_532
; %bb.531:
	global_load_dwordx2 v[2:3], v[0:1], off
	s_mov_b64 s[2:3], -1
	s_mov_b64 s[30:31], 0
	s_branch .LBB102_533
.LBB102_532:
	s_mov_b64 s[30:31], -1
                                        ; implicit-def: $vgpr2
.LBB102_533:
	s_mov_b64 s[34:35], 0
.LBB102_534:
	s_and_b64 vcc, exec, s[34:35]
	s_cbranch_vccz .LBB102_550
; %bb.535:
	s_cmp_lt_i32 s36, 27
	s_cbranch_scc1 .LBB102_538
; %bb.536:
	s_cmp_gt_i32 s36, 27
	s_cbranch_scc0 .LBB102_539
; %bb.537:
	global_load_dword v2, v[0:1], off
	s_mov_b64 s[2:3], 0
	s_branch .LBB102_540
.LBB102_538:
	s_mov_b64 s[2:3], -1
                                        ; implicit-def: $vgpr2
	s_branch .LBB102_543
.LBB102_539:
	s_mov_b64 s[2:3], -1
                                        ; implicit-def: $vgpr2
.LBB102_540:
	s_andn2_b64 vcc, exec, s[2:3]
	s_cbranch_vccnz .LBB102_542
; %bb.541:
	global_load_ushort v2, v[0:1], off
.LBB102_542:
	s_mov_b64 s[2:3], 0
.LBB102_543:
	s_andn2_b64 vcc, exec, s[2:3]
	s_cbranch_vccnz .LBB102_549
; %bb.544:
	global_load_ubyte v3, v[0:1], off
	s_movk_i32 s2, 0x7f
	s_mov_b64 s[34:35], 0
	s_waitcnt vmcnt(0)
	v_cmp_lt_i16_e32 vcc, s2, v3
	s_and_saveexec_b64 s[2:3], vcc
	s_xor_b64 s[2:3], exec, s[2:3]
	s_cbranch_execz .LBB102_561
; %bb.545:
	s_movk_i32 s34, 0x80
	v_cmp_ne_u16_e32 vcc, s34, v3
	s_and_b64 s[34:35], vcc, exec
	s_andn2_saveexec_b64 s[2:3], s[2:3]
	s_cbranch_execnz .LBB102_562
.LBB102_546:
	s_or_b64 exec, exec, s[2:3]
	v_mov_b32_e32 v2, 0
	s_and_saveexec_b64 s[2:3], s[34:35]
	s_cbranch_execz .LBB102_548
.LBB102_547:
	v_lshlrev_b32_e32 v2, 24, v3
	v_and_b32_e32 v3, 0xffff, v3
	v_and_b32_e32 v4, 7, v3
	v_ffbh_u32_e32 v6, v4
	v_min_u32_e32 v6, 32, v6
	v_subrev_u32_e32 v7, 28, v6
	v_bfe_u32 v5, v3, 3, 4
	v_lshlrev_b32_e32 v3, v7, v3
	v_sub_u32_e32 v6, 29, v6
	v_and_b32_e32 v3, 7, v3
	v_cmp_eq_u32_e32 vcc, 0, v5
	v_cndmask_b32_e32 v5, v5, v6, vcc
	v_cndmask_b32_e32 v3, v4, v3, vcc
	v_mov_b32_e32 v4, 0x3b800000
	v_lshlrev_b32_e32 v3, 20, v3
	v_and_b32_e32 v2, 0x80000000, v2
	v_lshl_add_u32 v4, v5, 23, v4
	v_or3_b32 v2, v2, v4, v3
	v_cvt_i32_f32_e32 v2, v2
.LBB102_548:
	s_or_b64 exec, exec, s[2:3]
.LBB102_549:
	s_mov_b64 s[2:3], -1
.LBB102_550:
	s_mov_b64 s[34:35], 0
.LBB102_551:
	s_and_b64 vcc, exec, s[34:35]
	s_cbranch_vccz .LBB102_584
; %bb.552:
	s_cmp_gt_i32 s36, 22
	s_cbranch_scc0 .LBB102_560
; %bb.553:
	s_cmp_lt_i32 s36, 24
	s_cbranch_scc1 .LBB102_563
; %bb.554:
	s_cmp_gt_i32 s36, 24
	s_cbranch_scc0 .LBB102_564
; %bb.555:
	global_load_ubyte v3, v[0:1], off
	s_movk_i32 s2, 0x7f
	s_mov_b64 s[34:35], 0
	s_waitcnt vmcnt(0)
	v_cmp_lt_i16_e32 vcc, s2, v3
	s_and_saveexec_b64 s[2:3], vcc
	s_xor_b64 s[2:3], exec, s[2:3]
	s_cbranch_execz .LBB102_576
; %bb.556:
	s_movk_i32 s34, 0x80
	v_cmp_ne_u16_e32 vcc, s34, v3
	s_and_b64 s[34:35], vcc, exec
	s_andn2_saveexec_b64 s[2:3], s[2:3]
	s_cbranch_execnz .LBB102_577
.LBB102_557:
	s_or_b64 exec, exec, s[2:3]
	v_mov_b32_e32 v2, 0
	s_and_saveexec_b64 s[2:3], s[34:35]
	s_cbranch_execz .LBB102_559
.LBB102_558:
	v_lshlrev_b32_e32 v2, 24, v3
	v_and_b32_e32 v3, 0xffff, v3
	v_and_b32_e32 v4, 3, v3
	v_ffbh_u32_e32 v6, v4
	v_min_u32_e32 v6, 32, v6
	v_subrev_u32_e32 v7, 29, v6
	v_bfe_u32 v5, v3, 2, 5
	v_lshlrev_b32_e32 v3, v7, v3
	v_sub_u32_e32 v6, 30, v6
	v_and_b32_e32 v3, 3, v3
	v_cmp_eq_u32_e32 vcc, 0, v5
	v_cndmask_b32_e32 v5, v5, v6, vcc
	v_cndmask_b32_e32 v3, v4, v3, vcc
	v_mov_b32_e32 v4, 0x37800000
	v_lshlrev_b32_e32 v3, 21, v3
	v_and_b32_e32 v2, 0x80000000, v2
	v_lshl_add_u32 v4, v5, 23, v4
	v_or3_b32 v2, v2, v4, v3
	v_cvt_i32_f32_e32 v2, v2
.LBB102_559:
	s_or_b64 exec, exec, s[2:3]
	s_mov_b64 s[2:3], 0
	s_branch .LBB102_565
.LBB102_560:
	s_mov_b64 s[34:35], -1
                                        ; implicit-def: $vgpr2
	s_branch .LBB102_571
.LBB102_561:
	s_andn2_saveexec_b64 s[2:3], s[2:3]
	s_cbranch_execz .LBB102_546
.LBB102_562:
	v_cmp_ne_u16_e32 vcc, 0, v3
	s_andn2_b64 s[34:35], s[34:35], exec
	s_and_b64 s[38:39], vcc, exec
	s_or_b64 s[34:35], s[34:35], s[38:39]
	s_or_b64 exec, exec, s[2:3]
	v_mov_b32_e32 v2, 0
	s_and_saveexec_b64 s[2:3], s[34:35]
	s_cbranch_execnz .LBB102_547
	s_branch .LBB102_548
.LBB102_563:
	s_mov_b64 s[2:3], -1
                                        ; implicit-def: $vgpr2
	s_branch .LBB102_568
.LBB102_564:
	s_mov_b64 s[2:3], -1
                                        ; implicit-def: $vgpr2
.LBB102_565:
	s_and_b64 vcc, exec, s[2:3]
	s_cbranch_vccz .LBB102_567
; %bb.566:
	global_load_ubyte v2, v[0:1], off
	s_mov_b32 s2, 0x7f800000
	s_waitcnt vmcnt(0)
	v_lshlrev_b32_e32 v2, 24, v2
	v_and_b32_e32 v3, 0x7f000000, v2
	v_ffbh_u32_e32 v4, v3
	v_min_u32_e32 v4, 32, v4
	v_sub_u32_e64 v4, v4, 4 clamp
	v_lshlrev_b32_e32 v6, v4, v3
	v_lshlrev_b32_e32 v4, 23, v4
	v_lshrrev_b32_e32 v6, 4, v6
	v_add_u32_e32 v5, 0x1000000, v3
	v_sub_u32_e32 v4, v6, v4
	v_ashrrev_i32_e32 v5, 8, v5
	v_add_u32_e32 v4, 0x3c000000, v4
	v_and_or_b32 v4, v5, s2, v4
	v_cmp_ne_u32_e32 vcc, 0, v3
	v_cndmask_b32_e32 v3, 0, v4, vcc
	s_brev_b32 s2, 1
	v_and_or_b32 v2, v2, s2, v3
	v_cvt_i32_f32_e32 v2, v2
.LBB102_567:
	s_mov_b64 s[2:3], 0
.LBB102_568:
	s_andn2_b64 vcc, exec, s[2:3]
	s_cbranch_vccnz .LBB102_570
; %bb.569:
	global_load_ubyte v2, v[0:1], off
	s_movk_i32 s2, 0x7f00
	s_brev_b32 s3, 16
	s_waitcnt vmcnt(0)
	v_lshlrev_b16_e32 v3, 8, v2
	v_lshlrev_b32_e32 v2, 25, v2
	v_lshrrev_b32_e32 v4, 4, v2
	v_and_or_b32 v5, v3, s2, 0.5
	v_or_b32_e32 v4, 0x70000000, v4
	v_add_f32_e32 v5, -0.5, v5
	v_mul_f32_e32 v4, 0x7800000, v4
	v_cmp_gt_u32_e32 vcc, s3, v2
	v_bfe_i32 v3, v3, 0, 16
	v_cndmask_b32_e32 v2, v4, v5, vcc
	s_brev_b32 s2, 1
	v_and_or_b32 v2, v3, s2, v2
	v_cvt_i32_f32_e32 v2, v2
.LBB102_570:
	s_mov_b64 s[34:35], 0
	s_mov_b64 s[2:3], -1
.LBB102_571:
	s_andn2_b64 vcc, exec, s[34:35]
	s_cbranch_vccnz .LBB102_584
; %bb.572:
	s_cmp_gt_i32 s36, 14
	s_cbranch_scc0 .LBB102_575
; %bb.573:
	s_cmp_eq_u32 s36, 15
	s_cbranch_scc0 .LBB102_578
; %bb.574:
	global_load_ushort v2, v[0:1], off
	s_mov_b64 s[2:3], -1
	s_mov_b64 s[30:31], 0
	s_waitcnt vmcnt(0)
	v_lshlrev_b32_e32 v2, 16, v2
	v_cvt_i32_f32_e32 v2, v2
	s_branch .LBB102_579
.LBB102_575:
	s_mov_b64 s[34:35], -1
                                        ; implicit-def: $vgpr2
	s_branch .LBB102_580
.LBB102_576:
	s_andn2_saveexec_b64 s[2:3], s[2:3]
	s_cbranch_execz .LBB102_557
.LBB102_577:
	v_cmp_ne_u16_e32 vcc, 0, v3
	s_andn2_b64 s[34:35], s[34:35], exec
	s_and_b64 s[38:39], vcc, exec
	s_or_b64 s[34:35], s[34:35], s[38:39]
	s_or_b64 exec, exec, s[2:3]
	v_mov_b32_e32 v2, 0
	s_and_saveexec_b64 s[2:3], s[34:35]
	s_cbranch_execnz .LBB102_558
	s_branch .LBB102_559
.LBB102_578:
	s_mov_b64 s[30:31], -1
                                        ; implicit-def: $vgpr2
.LBB102_579:
	s_mov_b64 s[34:35], 0
.LBB102_580:
	s_and_b64 vcc, exec, s[34:35]
	s_cbranch_vccz .LBB102_584
; %bb.581:
	s_cmp_eq_u32 s36, 11
	s_cbranch_scc0 .LBB102_583
; %bb.582:
	global_load_ubyte v2, v[0:1], off
	s_mov_b64 s[2:3], -1
	s_mov_b64 s[30:31], 0
	s_waitcnt vmcnt(0)
	v_cmp_ne_u16_e32 vcc, 0, v2
	v_cndmask_b32_e64 v2, 0, 1, vcc
	s_branch .LBB102_584
.LBB102_583:
	s_mov_b64 s[30:31], -1
                                        ; implicit-def: $vgpr2
.LBB102_584:
	s_mov_b64 s[34:35], 0
.LBB102_585:
	s_and_b64 vcc, exec, s[34:35]
	s_cbranch_vccz .LBB102_634
; %bb.586:
	s_cmp_lt_i32 s36, 5
	s_cbranch_scc1 .LBB102_591
; %bb.587:
	s_cmp_lt_i32 s36, 8
	s_cbranch_scc1 .LBB102_592
	;; [unrolled: 3-line block ×3, first 2 shown]
; %bb.589:
	s_cmp_gt_i32 s36, 9
	s_cbranch_scc0 .LBB102_594
; %bb.590:
	global_load_dwordx2 v[2:3], v[0:1], off
	s_mov_b64 s[2:3], 0
	s_waitcnt vmcnt(0)
	v_cvt_i32_f64_e32 v2, v[2:3]
	s_branch .LBB102_595
.LBB102_591:
	s_mov_b64 s[2:3], -1
                                        ; implicit-def: $vgpr2
	s_branch .LBB102_613
.LBB102_592:
	s_mov_b64 s[2:3], -1
                                        ; implicit-def: $vgpr2
	s_branch .LBB102_601
.LBB102_593:
	s_mov_b64 s[2:3], -1
                                        ; implicit-def: $vgpr2
	s_branch .LBB102_598
.LBB102_594:
	s_mov_b64 s[2:3], -1
                                        ; implicit-def: $vgpr2
.LBB102_595:
	s_andn2_b64 vcc, exec, s[2:3]
	s_cbranch_vccnz .LBB102_597
; %bb.596:
	global_load_dword v2, v[0:1], off
	s_waitcnt vmcnt(0)
	v_cvt_i32_f32_e32 v2, v2
.LBB102_597:
	s_mov_b64 s[2:3], 0
.LBB102_598:
	s_andn2_b64 vcc, exec, s[2:3]
	s_cbranch_vccnz .LBB102_600
; %bb.599:
	global_load_dword v2, v[0:1], off
	s_waitcnt vmcnt(0)
	v_cvt_i16_f16_e32 v2, v2
.LBB102_600:
	s_mov_b64 s[2:3], 0
.LBB102_601:
	s_andn2_b64 vcc, exec, s[2:3]
	s_cbranch_vccnz .LBB102_612
; %bb.602:
	s_cmp_lt_i32 s36, 6
	s_cbranch_scc1 .LBB102_605
; %bb.603:
	s_cmp_gt_i32 s36, 6
	s_cbranch_scc0 .LBB102_606
; %bb.604:
	global_load_dwordx2 v[2:3], v[0:1], off
	s_mov_b64 s[2:3], 0
	s_waitcnt vmcnt(0)
	v_cvt_i32_f64_e32 v2, v[2:3]
	s_branch .LBB102_607
.LBB102_605:
	s_mov_b64 s[2:3], -1
                                        ; implicit-def: $vgpr2
	s_branch .LBB102_610
.LBB102_606:
	s_mov_b64 s[2:3], -1
                                        ; implicit-def: $vgpr2
.LBB102_607:
	s_andn2_b64 vcc, exec, s[2:3]
	s_cbranch_vccnz .LBB102_609
; %bb.608:
	global_load_dword v2, v[0:1], off
	s_waitcnt vmcnt(0)
	v_cvt_i32_f32_e32 v2, v2
.LBB102_609:
	s_mov_b64 s[2:3], 0
.LBB102_610:
	s_andn2_b64 vcc, exec, s[2:3]
	s_cbranch_vccnz .LBB102_612
; %bb.611:
	global_load_ushort v2, v[0:1], off
	s_waitcnt vmcnt(0)
	v_cvt_i16_f16_e32 v2, v2
.LBB102_612:
	s_mov_b64 s[2:3], 0
.LBB102_613:
	s_andn2_b64 vcc, exec, s[2:3]
	s_cbranch_vccnz .LBB102_633
; %bb.614:
	s_cmp_lt_i32 s36, 2
	s_cbranch_scc1 .LBB102_618
; %bb.615:
	s_cmp_lt_i32 s36, 3
	s_cbranch_scc1 .LBB102_619
; %bb.616:
	s_cmp_gt_i32 s36, 3
	s_cbranch_scc0 .LBB102_620
; %bb.617:
	global_load_dwordx2 v[2:3], v[0:1], off
	s_mov_b64 s[2:3], 0
	s_branch .LBB102_621
.LBB102_618:
	s_mov_b64 s[2:3], -1
                                        ; implicit-def: $vgpr2
	s_branch .LBB102_627
.LBB102_619:
	s_mov_b64 s[2:3], -1
                                        ; implicit-def: $vgpr2
	s_branch .LBB102_624
.LBB102_620:
	s_mov_b64 s[2:3], -1
                                        ; implicit-def: $vgpr2
.LBB102_621:
	s_andn2_b64 vcc, exec, s[2:3]
	s_cbranch_vccnz .LBB102_623
; %bb.622:
	global_load_dword v2, v[0:1], off
.LBB102_623:
	s_mov_b64 s[2:3], 0
.LBB102_624:
	s_andn2_b64 vcc, exec, s[2:3]
	s_cbranch_vccnz .LBB102_626
; %bb.625:
	global_load_ushort v2, v[0:1], off
.LBB102_626:
	s_mov_b64 s[2:3], 0
.LBB102_627:
	s_andn2_b64 vcc, exec, s[2:3]
	s_cbranch_vccnz .LBB102_633
; %bb.628:
	s_cmp_gt_i32 s36, 0
	s_cbranch_scc0 .LBB102_630
; %bb.629:
	global_load_sbyte v2, v[0:1], off
	s_mov_b64 s[2:3], 0
	s_branch .LBB102_631
.LBB102_630:
	s_mov_b64 s[2:3], -1
                                        ; implicit-def: $vgpr2
.LBB102_631:
	s_andn2_b64 vcc, exec, s[2:3]
	s_cbranch_vccnz .LBB102_633
; %bb.632:
	global_load_ubyte v2, v[0:1], off
.LBB102_633:
	s_mov_b64 s[2:3], -1
.LBB102_634:
	s_andn2_b64 vcc, exec, s[2:3]
	s_cbranch_vccnz .LBB102_642
; %bb.635:
	v_mul_lo_u32 v0, v9, s12
	v_mov_b32_e32 v1, s33
	s_waitcnt vmcnt(0)
	v_mov_b32_e32 v3, s9
	v_cndmask_b32_e64 v4, v1, v2, s[0:1]
	v_ashrrev_i32_e32 v1, 31, v0
	s_and_b32 s40, s46, 0xff
	v_add_co_u32_e32 v0, vcc, s8, v0
	s_cmp_lt_i32 s40, 11
	v_addc_co_u32_e32 v1, vcc, v3, v1, vcc
	s_cbranch_scc1 .LBB102_643
; %bb.636:
	s_and_b32 s41, 0xffff, s40
	s_cmp_gt_i32 s41, 25
	s_cbranch_scc0 .LBB102_644
; %bb.637:
	s_cmp_gt_i32 s41, 28
	s_cbranch_scc0 .LBB102_645
; %bb.638:
	;; [unrolled: 3-line block ×4, first 2 shown]
	s_mov_b64 s[36:37], 0
	s_mov_b64 s[2:3], -1
	s_cmp_eq_u32 s41, 46
	s_mov_b64 s[34:35], 0
	s_cbranch_scc0 .LBB102_648
; %bb.641:
	v_cvt_f32_i32_sdwa v2, sext(v4) dst_sel:DWORD dst_unused:UNUSED_PAD src0_sel:WORD_0
	s_movk_i32 s2, 0x7fff
	s_mov_b64 s[34:35], -1
	v_bfe_u32 v3, v2, 16, 1
	v_add3_u32 v2, v2, v3, s2
	v_lshrrev_b32_e32 v2, 16, v2
	global_store_dword v[0:1], v2, off
	s_mov_b64 s[2:3], 0
	s_branch .LBB102_648
.LBB102_642:
	s_mov_b64 s[36:37], 0
                                        ; implicit-def: $vgpr9
	s_mov_b64 s[2:3], s[24:25]
	s_branch .LBB102_759
.LBB102_643:
	s_mov_b64 s[36:37], -1
	s_mov_b64 s[34:35], 0
	s_mov_b64 s[2:3], s[24:25]
	s_branch .LBB102_717
.LBB102_644:
	s_mov_b64 s[36:37], -1
	s_mov_b64 s[34:35], 0
	s_mov_b64 s[2:3], s[24:25]
	s_branch .LBB102_675
.LBB102_645:
	s_mov_b64 s[36:37], -1
	s_mov_b64 s[34:35], 0
	s_mov_b64 s[2:3], s[24:25]
	s_branch .LBB102_658
.LBB102_646:
	s_mov_b64 s[36:37], -1
	s_mov_b64 s[34:35], 0
	s_mov_b64 s[2:3], s[24:25]
	s_branch .LBB102_654
.LBB102_647:
	s_mov_b64 s[36:37], -1
	s_mov_b64 s[34:35], 0
	s_mov_b64 s[2:3], s[24:25]
.LBB102_648:
	s_and_b64 vcc, exec, s[36:37]
	s_cbranch_vccz .LBB102_653
; %bb.649:
	s_cmp_eq_u32 s41, 44
	s_mov_b64 s[2:3], -1
	s_cbranch_scc0 .LBB102_653
; %bb.650:
	v_cvt_f32_i32_sdwa v2, sext(v4) dst_sel:DWORD dst_unused:UNUSED_PAD src0_sel:WORD_0
	s_movk_i32 s2, 0xff
	v_mov_b32_e32 v5, 0xff
	v_bfe_u32 v3, v2, 23, 8
	v_cmp_ne_u32_e32 vcc, s2, v3
	s_and_saveexec_b64 s[34:35], vcc
; %bb.651:
	s_mov_b32 s2, 0x3fffff
	v_lshrrev_b32_e32 v5, 23, v2
	v_and_b32_e32 v6, 0x400000, v2
	v_and_or_b32 v2, v2, s2, v3
	v_cmp_ne_u32_e32 vcc, 0, v6
	v_cmp_ne_u32_e64 s[2:3], 0, v2
	s_and_b64 s[2:3], vcc, s[2:3]
	v_cndmask_b32_e64 v2, 0, 1, s[2:3]
	v_add_u32_e32 v5, v5, v2
; %bb.652:
	s_or_b64 exec, exec, s[34:35]
	s_mov_b64 s[34:35], -1
	s_mov_b64 s[2:3], 0
	global_store_byte v[0:1], v5, off
.LBB102_653:
	s_mov_b64 s[36:37], 0
.LBB102_654:
	s_and_b64 vcc, exec, s[36:37]
	s_cbranch_vccz .LBB102_657
; %bb.655:
	s_cmp_eq_u32 s41, 29
	s_mov_b64 s[2:3], -1
	s_cbranch_scc0 .LBB102_657
; %bb.656:
	v_bfe_i32 v2, v4, 0, 16
	v_ashrrev_i32_e32 v3, 31, v2
	global_store_dwordx2 v[0:1], v[2:3], off
	s_mov_b64 s[34:35], -1
	s_mov_b64 s[2:3], 0
.LBB102_657:
	s_mov_b64 s[36:37], 0
.LBB102_658:
	s_and_b64 vcc, exec, s[36:37]
	s_cbranch_vccz .LBB102_674
; %bb.659:
	s_cmp_lt_i32 s41, 27
	s_mov_b64 s[34:35], -1
	s_cbranch_scc1 .LBB102_665
; %bb.660:
	s_cmp_gt_i32 s41, 27
	s_cbranch_scc0 .LBB102_662
; %bb.661:
	v_bfe_i32 v2, v4, 0, 16
	s_mov_b64 s[34:35], 0
	global_store_dword v[0:1], v2, off
.LBB102_662:
	s_andn2_b64 vcc, exec, s[34:35]
	s_cbranch_vccnz .LBB102_664
; %bb.663:
	global_store_short v[0:1], v4, off
.LBB102_664:
	s_mov_b64 s[34:35], 0
.LBB102_665:
	s_andn2_b64 vcc, exec, s[34:35]
	s_cbranch_vccnz .LBB102_673
; %bb.666:
	v_cvt_f32_i32_sdwa v2, sext(v4) dst_sel:DWORD dst_unused:UNUSED_PAD src0_sel:WORD_0
	s_mov_b32 s34, 0x43800000
	v_mov_b32_e32 v5, 0x80
	v_and_b32_e32 v3, 0x7fffffff, v2
	v_cmp_gt_u32_e32 vcc, s34, v3
	s_and_saveexec_b64 s[34:35], vcc
	s_cbranch_execz .LBB102_672
; %bb.667:
	s_mov_b32 s36, 0x3bffffff
	v_cmp_lt_u32_e32 vcc, s36, v3
	s_mov_b64 s[36:37], 0
                                        ; implicit-def: $vgpr3
	s_and_saveexec_b64 s[38:39], vcc
	s_xor_b64 s[38:39], exec, s[38:39]
	s_cbranch_execz .LBB102_773
; %bb.668:
	v_bfe_u32 v3, v2, 20, 1
	s_mov_b32 s43, 0x487ffff
	v_add3_u32 v3, v2, v3, s43
	s_mov_b64 s[36:37], exec
	v_lshrrev_b32_e32 v3, 20, v3
	s_andn2_saveexec_b64 s[38:39], s[38:39]
	s_cbranch_execnz .LBB102_774
.LBB102_669:
	s_or_b64 exec, exec, s[38:39]
	v_mov_b32_e32 v5, 0
	s_and_saveexec_b64 s[38:39], s[36:37]
.LBB102_670:
	v_lshrrev_b32_e32 v2, 24, v2
	s_movk_i32 s36, 0x80
	v_and_or_b32 v5, v2, s36, v3
.LBB102_671:
	s_or_b64 exec, exec, s[38:39]
.LBB102_672:
	s_or_b64 exec, exec, s[34:35]
	global_store_byte v[0:1], v5, off
.LBB102_673:
	s_mov_b64 s[34:35], -1
.LBB102_674:
	s_mov_b64 s[36:37], 0
.LBB102_675:
	s_and_b64 vcc, exec, s[36:37]
	s_cbranch_vccz .LBB102_716
; %bb.676:
	s_cmp_gt_i32 s41, 22
	s_mov_b64 s[36:37], -1
	s_cbranch_scc0 .LBB102_708
; %bb.677:
	s_cmp_lt_i32 s41, 24
	s_mov_b64 s[34:35], -1
	s_cbranch_scc1 .LBB102_697
; %bb.678:
	s_cmp_gt_i32 s41, 24
	s_cbranch_scc0 .LBB102_686
; %bb.679:
	v_cvt_f32_i32_sdwa v2, sext(v4) dst_sel:DWORD dst_unused:UNUSED_PAD src0_sel:WORD_0
	s_mov_b32 s34, 0x47800000
	v_mov_b32_e32 v5, 0x80
	v_and_b32_e32 v3, 0x7fffffff, v2
	v_cmp_gt_u32_e32 vcc, s34, v3
	s_and_saveexec_b64 s[34:35], vcc
	s_cbranch_execz .LBB102_685
; %bb.680:
	s_mov_b32 s36, 0x37ffffff
	v_cmp_lt_u32_e32 vcc, s36, v3
	s_mov_b64 s[36:37], 0
                                        ; implicit-def: $vgpr3
	s_and_saveexec_b64 s[38:39], vcc
	s_xor_b64 s[38:39], exec, s[38:39]
	s_cbranch_execz .LBB102_776
; %bb.681:
	v_bfe_u32 v3, v2, 21, 1
	s_mov_b32 s43, 0x88fffff
	v_add3_u32 v3, v2, v3, s43
	s_mov_b64 s[36:37], exec
	v_lshrrev_b32_e32 v3, 21, v3
	s_andn2_saveexec_b64 s[38:39], s[38:39]
	s_cbranch_execnz .LBB102_777
.LBB102_682:
	s_or_b64 exec, exec, s[38:39]
	v_mov_b32_e32 v5, 0
	s_and_saveexec_b64 s[38:39], s[36:37]
.LBB102_683:
	v_lshrrev_b32_e32 v2, 24, v2
	s_movk_i32 s36, 0x80
	v_and_or_b32 v5, v2, s36, v3
.LBB102_684:
	s_or_b64 exec, exec, s[38:39]
.LBB102_685:
	s_or_b64 exec, exec, s[34:35]
	s_mov_b64 s[34:35], 0
	global_store_byte v[0:1], v5, off
.LBB102_686:
	s_and_b64 vcc, exec, s[34:35]
	s_cbranch_vccz .LBB102_696
; %bb.687:
	v_cvt_f32_i32_sdwa v2, sext(v4) dst_sel:DWORD dst_unused:UNUSED_PAD src0_sel:WORD_0
	s_mov_b32 s34, 0x43f00000
                                        ; implicit-def: $vgpr3
	v_and_b32_e32 v5, 0x7fffffff, v2
	v_cmp_gt_u32_e32 vcc, s34, v5
	s_and_saveexec_b64 s[34:35], vcc
	s_xor_b64 s[34:35], exec, s[34:35]
	s_cbranch_execz .LBB102_693
; %bb.688:
	s_mov_b32 s36, 0x3c7fffff
	v_cmp_lt_u32_e32 vcc, s36, v5
                                        ; implicit-def: $vgpr3
	s_and_saveexec_b64 s[36:37], vcc
	s_xor_b64 s[36:37], exec, s[36:37]
; %bb.689:
	v_bfe_u32 v3, v2, 20, 1
	s_mov_b32 s38, 0x407ffff
	v_add3_u32 v3, v2, v3, s38
	v_lshrrev_b32_e32 v5, 20, v3
	v_and_b32_e32 v3, 0xff00000, v3
	s_mov_b32 s38, 0x7f00000
	v_mov_b32_e32 v6, 0x7e
	v_cmp_ne_u32_e32 vcc, s38, v3
	v_cndmask_b32_e32 v3, v6, v5, vcc
; %bb.690:
	s_andn2_saveexec_b64 s[36:37], s[36:37]
; %bb.691:
	s_mov_b32 s38, 0x46800000
	v_add_f32_e64 v3, |v2|, s38
; %bb.692:
	s_or_b64 exec, exec, s[36:37]
                                        ; implicit-def: $vgpr5
.LBB102_693:
	s_andn2_saveexec_b64 s[34:35], s[34:35]
; %bb.694:
	s_mov_b32 s36, 0x7f800000
	v_mov_b32_e32 v3, 0x7e
	v_mov_b32_e32 v6, 0x7f
	v_cmp_lt_u32_e32 vcc, s36, v5
	v_cndmask_b32_e32 v3, v3, v6, vcc
; %bb.695:
	s_or_b64 exec, exec, s[34:35]
	v_lshrrev_b32_e32 v2, 24, v2
	s_movk_i32 s34, 0x80
	v_and_or_b32 v2, v2, s34, v3
	global_store_byte v[0:1], v2, off
.LBB102_696:
	s_mov_b64 s[34:35], 0
.LBB102_697:
	s_andn2_b64 vcc, exec, s[34:35]
	s_cbranch_vccnz .LBB102_707
; %bb.698:
	v_cvt_f32_i32_sdwa v2, sext(v4) dst_sel:DWORD dst_unused:UNUSED_PAD src0_sel:WORD_0
	s_mov_b32 s34, 0x47800000
                                        ; implicit-def: $vgpr3
	v_and_b32_e32 v5, 0x7fffffff, v2
	v_cmp_gt_u32_e32 vcc, s34, v5
	s_and_saveexec_b64 s[34:35], vcc
	s_xor_b64 s[34:35], exec, s[34:35]
	s_cbranch_execz .LBB102_704
; %bb.699:
	s_mov_b32 s36, 0x387fffff
	v_cmp_lt_u32_e32 vcc, s36, v5
                                        ; implicit-def: $vgpr3
	s_and_saveexec_b64 s[36:37], vcc
	s_xor_b64 s[36:37], exec, s[36:37]
; %bb.700:
	v_bfe_u32 v3, v2, 21, 1
	s_mov_b32 s38, 0x80fffff
	v_add3_u32 v3, v2, v3, s38
	v_lshrrev_b32_e32 v3, 21, v3
; %bb.701:
	s_andn2_saveexec_b64 s[36:37], s[36:37]
; %bb.702:
	s_mov_b32 s38, 0x43000000
	v_add_f32_e64 v3, |v2|, s38
; %bb.703:
	s_or_b64 exec, exec, s[36:37]
                                        ; implicit-def: $vgpr5
.LBB102_704:
	s_andn2_saveexec_b64 s[34:35], s[34:35]
; %bb.705:
	s_mov_b32 s36, 0x7f800000
	v_mov_b32_e32 v3, 0x7c
	v_mov_b32_e32 v6, 0x7f
	v_cmp_lt_u32_e32 vcc, s36, v5
	v_cndmask_b32_e32 v3, v3, v6, vcc
; %bb.706:
	s_or_b64 exec, exec, s[34:35]
	v_lshrrev_b32_e32 v2, 24, v2
	s_movk_i32 s34, 0x80
	v_and_or_b32 v2, v2, s34, v3
	global_store_byte v[0:1], v2, off
.LBB102_707:
	s_mov_b64 s[36:37], 0
	s_mov_b64 s[34:35], -1
.LBB102_708:
	s_andn2_b64 vcc, exec, s[36:37]
	s_cbranch_vccnz .LBB102_716
; %bb.709:
	s_cmp_gt_i32 s41, 14
	s_mov_b64 s[36:37], -1
	s_cbranch_scc0 .LBB102_713
; %bb.710:
	s_cmp_eq_u32 s41, 15
	s_mov_b64 s[2:3], -1
	s_cbranch_scc0 .LBB102_712
; %bb.711:
	v_cvt_f32_i32_sdwa v2, sext(v4) dst_sel:DWORD dst_unused:UNUSED_PAD src0_sel:WORD_0
	s_movk_i32 s2, 0x7fff
	s_mov_b64 s[34:35], -1
	v_bfe_u32 v3, v2, 16, 1
	v_add3_u32 v2, v2, v3, s2
	global_store_short_d16_hi v[0:1], v2, off
	s_mov_b64 s[2:3], 0
.LBB102_712:
	s_mov_b64 s[36:37], 0
.LBB102_713:
	s_and_b64 vcc, exec, s[36:37]
	s_cbranch_vccz .LBB102_716
; %bb.714:
	s_cmp_eq_u32 s41, 11
	s_mov_b64 s[2:3], -1
	s_cbranch_scc0 .LBB102_716
; %bb.715:
	v_cmp_ne_u16_e32 vcc, 0, v4
	v_cndmask_b32_e64 v2, 0, 1, vcc
	s_mov_b64 s[34:35], -1
	s_mov_b64 s[2:3], 0
	global_store_byte v[0:1], v2, off
.LBB102_716:
	s_mov_b64 s[36:37], 0
.LBB102_717:
	s_and_b64 vcc, exec, s[36:37]
	s_cbranch_vccz .LBB102_756
; %bb.718:
	s_and_b32 s36, 0xffff, s40
	s_cmp_lt_i32 s36, 5
	s_mov_b64 s[34:35], -1
	s_cbranch_scc1 .LBB102_739
; %bb.719:
	s_cmp_lt_i32 s36, 8
	s_cbranch_scc1 .LBB102_729
; %bb.720:
	s_cmp_lt_i32 s36, 9
	s_cbranch_scc1 .LBB102_726
; %bb.721:
	s_cmp_gt_i32 s36, 9
	s_cbranch_scc0 .LBB102_723
; %bb.722:
	v_bfe_i32 v2, v4, 0, 16
	v_cvt_f64_i32_e32 v[5:6], v2
	v_mov_b32_e32 v7, 0
	v_mov_b32_e32 v8, v7
	s_mov_b64 s[34:35], 0
	global_store_dwordx4 v[0:1], v[5:8], off
.LBB102_723:
	s_andn2_b64 vcc, exec, s[34:35]
	s_cbranch_vccnz .LBB102_725
; %bb.724:
	v_cvt_f32_i32_sdwa v2, sext(v4) dst_sel:DWORD dst_unused:UNUSED_PAD src0_sel:WORD_0
	v_mov_b32_e32 v3, 0
	global_store_dwordx2 v[0:1], v[2:3], off
.LBB102_725:
	s_mov_b64 s[34:35], 0
.LBB102_726:
	s_andn2_b64 vcc, exec, s[34:35]
	s_cbranch_vccnz .LBB102_728
; %bb.727:
	v_cvt_f16_i16_e32 v2, v4
	global_store_dword v[0:1], v2, off
.LBB102_728:
	s_mov_b64 s[34:35], 0
.LBB102_729:
	s_andn2_b64 vcc, exec, s[34:35]
	s_cbranch_vccnz .LBB102_738
; %bb.730:
	s_cmp_lt_i32 s36, 6
	s_mov_b64 s[34:35], -1
	s_cbranch_scc1 .LBB102_736
; %bb.731:
	s_cmp_gt_i32 s36, 6
	s_cbranch_scc0 .LBB102_733
; %bb.732:
	v_bfe_i32 v2, v4, 0, 16
	v_cvt_f64_i32_e32 v[2:3], v2
	s_mov_b64 s[34:35], 0
	global_store_dwordx2 v[0:1], v[2:3], off
.LBB102_733:
	s_andn2_b64 vcc, exec, s[34:35]
	s_cbranch_vccnz .LBB102_735
; %bb.734:
	v_cvt_f32_i32_sdwa v2, sext(v4) dst_sel:DWORD dst_unused:UNUSED_PAD src0_sel:WORD_0
	global_store_dword v[0:1], v2, off
.LBB102_735:
	s_mov_b64 s[34:35], 0
.LBB102_736:
	s_andn2_b64 vcc, exec, s[34:35]
	s_cbranch_vccnz .LBB102_738
; %bb.737:
	v_cvt_f16_i16_e32 v2, v4
	global_store_short v[0:1], v2, off
.LBB102_738:
	s_mov_b64 s[34:35], 0
.LBB102_739:
	s_andn2_b64 vcc, exec, s[34:35]
	s_cbranch_vccnz .LBB102_755
; %bb.740:
	s_cmp_lt_i32 s36, 2
	s_mov_b64 s[34:35], -1
	s_cbranch_scc1 .LBB102_750
; %bb.741:
	s_cmp_lt_i32 s36, 3
	s_cbranch_scc1 .LBB102_747
; %bb.742:
	s_cmp_gt_i32 s36, 3
	v_bfe_i32 v2, v4, 0, 16
	s_cbranch_scc0 .LBB102_744
; %bb.743:
	v_ashrrev_i32_e32 v3, 31, v2
	s_mov_b64 s[34:35], 0
	global_store_dwordx2 v[0:1], v[2:3], off
.LBB102_744:
	s_andn2_b64 vcc, exec, s[34:35]
	s_cbranch_vccnz .LBB102_746
; %bb.745:
	global_store_dword v[0:1], v2, off
.LBB102_746:
	s_mov_b64 s[34:35], 0
.LBB102_747:
	s_andn2_b64 vcc, exec, s[34:35]
	s_cbranch_vccnz .LBB102_749
; %bb.748:
	global_store_short v[0:1], v4, off
.LBB102_749:
	s_mov_b64 s[34:35], 0
.LBB102_750:
	s_andn2_b64 vcc, exec, s[34:35]
	s_cbranch_vccnz .LBB102_755
; %bb.751:
	s_cmp_gt_i32 s36, 0
	s_mov_b64 s[34:35], -1
	s_cbranch_scc0 .LBB102_753
; %bb.752:
	s_mov_b64 s[34:35], 0
	global_store_byte v[0:1], v4, off
.LBB102_753:
	s_andn2_b64 vcc, exec, s[34:35]
	s_cbranch_vccnz .LBB102_755
; %bb.754:
	global_store_byte v[0:1], v4, off
.LBB102_755:
	s_mov_b64 s[34:35], -1
.LBB102_756:
	s_andn2_b64 vcc, exec, s[34:35]
	s_cbranch_vccnz .LBB102_758
; %bb.757:
	v_add_u32_e32 v9, 0x80, v9
	s_mov_b64 s[36:37], -1
	s_branch .LBB102_759
.LBB102_758:
	s_mov_b64 s[36:37], 0
                                        ; implicit-def: $vgpr9
.LBB102_759:
	s_andn2_b64 s[34:35], s[24:25], exec
	s_and_b64 s[2:3], s[2:3], exec
	s_or_b64 s[34:35], s[34:35], s[2:3]
	s_andn2_b64 s[2:3], s[22:23], exec
	s_and_b64 s[30:31], s[30:31], exec
	s_or_b64 s[2:3], s[2:3], s[30:31]
	s_orn2_b64 s[38:39], s[36:37], exec
.LBB102_760:
	s_or_b64 exec, exec, s[28:29]
	s_mov_b64 s[30:31], 0
	s_mov_b64 s[36:37], 0
	;; [unrolled: 1-line block ×3, first 2 shown]
                                        ; implicit-def: $vgpr0_vgpr1
                                        ; implicit-def: $vgpr2
	s_and_saveexec_b64 s[28:29], s[38:39]
	s_cbranch_execz .LBB102_841
; %bb.761:
	v_cmp_gt_i32_e32 vcc, s42, v9
	s_mov_b64 s[38:39], 0
	s_mov_b64 s[42:43], s[2:3]
	;; [unrolled: 1-line block ×3, first 2 shown]
                                        ; implicit-def: $vgpr0_vgpr1
                                        ; implicit-def: $vgpr2
	s_and_saveexec_b64 s[30:31], vcc
	s_cbranch_execz .LBB102_840
; %bb.762:
	v_mul_lo_u32 v0, v9, s13
	v_mov_b32_e32 v1, s11
	s_and_b32 s44, 0xffff, s47
	s_cmp_lt_i32 s44, 11
	s_waitcnt vmcnt(0)
	v_ashrrev_i32_e32 v2, 31, v0
	v_add_co_u32_e32 v0, vcc, s10, v0
	v_addc_co_u32_e32 v1, vcc, v1, v2, vcc
	s_cbranch_scc1 .LBB102_769
; %bb.763:
	s_cmp_gt_i32 s44, 25
	s_cbranch_scc0 .LBB102_770
; %bb.764:
	s_cmp_gt_i32 s44, 28
	s_cbranch_scc0 .LBB102_771
	;; [unrolled: 3-line block ×4, first 2 shown]
; %bb.767:
	s_cmp_eq_u32 s44, 46
	s_mov_b64 s[42:43], 0
	s_cbranch_scc0 .LBB102_778
; %bb.768:
	global_load_dword v2, v[0:1], off
	s_mov_b64 s[40:41], -1
	s_waitcnt vmcnt(0)
	v_lshlrev_b32_e32 v2, 16, v2
	v_cvt_i32_f32_e32 v2, v2
	s_branch .LBB102_780
.LBB102_769:
	s_mov_b64 s[42:43], -1
                                        ; implicit-def: $vgpr2
	s_mov_b64 s[36:37], s[2:3]
	s_branch .LBB102_839
.LBB102_770:
	s_mov_b64 s[42:43], -1
	s_mov_b64 s[36:37], s[2:3]
                                        ; implicit-def: $vgpr2
	s_branch .LBB102_807
.LBB102_771:
	s_mov_b64 s[42:43], -1
	s_mov_b64 s[36:37], s[2:3]
                                        ; implicit-def: $vgpr2
	s_branch .LBB102_790
.LBB102_772:
	s_mov_b64 s[42:43], -1
	s_mov_b64 s[36:37], s[2:3]
                                        ; implicit-def: $vgpr2
	s_branch .LBB102_785
.LBB102_773:
	s_andn2_saveexec_b64 s[38:39], s[38:39]
	s_cbranch_execz .LBB102_669
.LBB102_774:
	s_mov_b32 s43, 0x46000000
	v_add_f32_e64 v3, |v2|, s43
	v_and_b32_e32 v3, 0xff, v3
	v_cmp_ne_u32_e32 vcc, 0, v3
	s_andn2_b64 s[36:37], s[36:37], exec
	s_and_b64 s[44:45], vcc, exec
	s_or_b64 s[36:37], s[36:37], s[44:45]
	s_or_b64 exec, exec, s[38:39]
	v_mov_b32_e32 v5, 0
	s_and_saveexec_b64 s[38:39], s[36:37]
	s_cbranch_execnz .LBB102_670
	s_branch .LBB102_671
.LBB102_775:
	s_mov_b64 s[42:43], -1
	s_mov_b64 s[36:37], s[2:3]
	s_branch .LBB102_779
.LBB102_776:
	s_andn2_saveexec_b64 s[38:39], s[38:39]
	s_cbranch_execz .LBB102_682
.LBB102_777:
	s_mov_b32 s43, 0x42800000
	v_add_f32_e64 v3, |v2|, s43
	v_and_b32_e32 v3, 0xff, v3
	v_cmp_ne_u32_e32 vcc, 0, v3
	s_andn2_b64 s[36:37], s[36:37], exec
	s_and_b64 s[44:45], vcc, exec
	s_or_b64 s[36:37], s[36:37], s[44:45]
	s_or_b64 exec, exec, s[38:39]
	v_mov_b32_e32 v5, 0
	s_and_saveexec_b64 s[38:39], s[36:37]
	s_cbranch_execnz .LBB102_683
	s_branch .LBB102_684
.LBB102_778:
	s_mov_b64 s[36:37], -1
.LBB102_779:
                                        ; implicit-def: $vgpr2
.LBB102_780:
	s_and_b64 vcc, exec, s[42:43]
	s_cbranch_vccz .LBB102_784
; %bb.781:
	s_cmp_eq_u32 s44, 44
	s_cbranch_scc0 .LBB102_783
; %bb.782:
	global_load_ubyte v2, v[0:1], off
	s_mov_b64 s[36:37], 0
	s_mov_b64 s[40:41], -1
	s_waitcnt vmcnt(0)
	v_lshlrev_b32_e32 v3, 23, v2
	v_cvt_i32_f32_e32 v3, v3
	v_cmp_ne_u32_e32 vcc, 0, v2
	v_cndmask_b32_e32 v2, 0, v3, vcc
	s_branch .LBB102_784
.LBB102_783:
	s_mov_b64 s[36:37], -1
                                        ; implicit-def: $vgpr2
.LBB102_784:
	s_mov_b64 s[42:43], 0
.LBB102_785:
	s_and_b64 vcc, exec, s[42:43]
	s_cbranch_vccz .LBB102_789
; %bb.786:
	s_cmp_eq_u32 s44, 29
	s_cbranch_scc0 .LBB102_788
; %bb.787:
	global_load_dwordx2 v[2:3], v[0:1], off
	s_mov_b64 s[36:37], 0
	s_mov_b64 s[40:41], -1
	s_branch .LBB102_789
.LBB102_788:
	s_mov_b64 s[36:37], -1
                                        ; implicit-def: $vgpr2
.LBB102_789:
	s_mov_b64 s[42:43], 0
.LBB102_790:
	s_and_b64 vcc, exec, s[42:43]
	s_cbranch_vccz .LBB102_806
; %bb.791:
	s_cmp_lt_i32 s44, 27
	s_cbranch_scc1 .LBB102_794
; %bb.792:
	s_cmp_gt_i32 s44, 27
	s_cbranch_scc0 .LBB102_795
; %bb.793:
	global_load_dword v2, v[0:1], off
	s_mov_b64 s[40:41], 0
	s_branch .LBB102_796
.LBB102_794:
	s_mov_b64 s[40:41], -1
                                        ; implicit-def: $vgpr2
	s_branch .LBB102_799
.LBB102_795:
	s_mov_b64 s[40:41], -1
                                        ; implicit-def: $vgpr2
.LBB102_796:
	s_andn2_b64 vcc, exec, s[40:41]
	s_cbranch_vccnz .LBB102_798
; %bb.797:
	global_load_ushort v2, v[0:1], off
.LBB102_798:
	s_mov_b64 s[40:41], 0
.LBB102_799:
	s_andn2_b64 vcc, exec, s[40:41]
	s_cbranch_vccnz .LBB102_805
; %bb.800:
	global_load_ubyte v3, v[0:1], off
	s_movk_i32 s40, 0x7f
	s_mov_b64 s[42:43], 0
	s_waitcnt vmcnt(0)
	v_cmp_lt_i16_e32 vcc, s40, v3
	s_and_saveexec_b64 s[40:41], vcc
	s_xor_b64 s[40:41], exec, s[40:41]
	s_cbranch_execz .LBB102_817
; %bb.801:
	s_movk_i32 s42, 0x80
	v_cmp_ne_u16_e32 vcc, s42, v3
	s_and_b64 s[42:43], vcc, exec
	s_andn2_saveexec_b64 s[40:41], s[40:41]
	s_cbranch_execnz .LBB102_818
.LBB102_802:
	s_or_b64 exec, exec, s[40:41]
	v_mov_b32_e32 v2, 0
	s_and_saveexec_b64 s[40:41], s[42:43]
	s_cbranch_execz .LBB102_804
.LBB102_803:
	v_lshlrev_b32_e32 v2, 24, v3
	v_and_b32_e32 v3, 0xffff, v3
	v_and_b32_e32 v4, 7, v3
	v_ffbh_u32_e32 v6, v4
	v_min_u32_e32 v6, 32, v6
	v_subrev_u32_e32 v7, 28, v6
	v_bfe_u32 v5, v3, 3, 4
	v_lshlrev_b32_e32 v3, v7, v3
	v_sub_u32_e32 v6, 29, v6
	v_and_b32_e32 v3, 7, v3
	v_cmp_eq_u32_e32 vcc, 0, v5
	v_cndmask_b32_e32 v5, v5, v6, vcc
	v_cndmask_b32_e32 v3, v4, v3, vcc
	v_mov_b32_e32 v4, 0x3b800000
	v_lshlrev_b32_e32 v3, 20, v3
	v_and_b32_e32 v2, 0x80000000, v2
	v_lshl_add_u32 v4, v5, 23, v4
	v_or3_b32 v2, v2, v4, v3
	v_cvt_i32_f32_e32 v2, v2
.LBB102_804:
	s_or_b64 exec, exec, s[40:41]
.LBB102_805:
	s_mov_b64 s[40:41], -1
.LBB102_806:
	s_mov_b64 s[42:43], 0
.LBB102_807:
	s_and_b64 vcc, exec, s[42:43]
	s_cbranch_vccz .LBB102_838
; %bb.808:
	s_cmp_gt_i32 s44, 22
	s_cbranch_scc0 .LBB102_816
; %bb.809:
	s_cmp_lt_i32 s44, 24
	s_cbranch_scc1 .LBB102_819
; %bb.810:
	s_cmp_gt_i32 s44, 24
	s_cbranch_scc0 .LBB102_820
; %bb.811:
	global_load_ubyte v3, v[0:1], off
	s_movk_i32 s38, 0x7f
	s_mov_b64 s[40:41], 0
	s_waitcnt vmcnt(0)
	v_cmp_lt_i16_e32 vcc, s38, v3
	s_and_saveexec_b64 s[38:39], vcc
	s_xor_b64 s[38:39], exec, s[38:39]
	s_cbranch_execz .LBB102_832
; %bb.812:
	s_movk_i32 s40, 0x80
	v_cmp_ne_u16_e32 vcc, s40, v3
	s_and_b64 s[40:41], vcc, exec
	s_andn2_saveexec_b64 s[38:39], s[38:39]
	s_cbranch_execnz .LBB102_833
.LBB102_813:
	s_or_b64 exec, exec, s[38:39]
	v_mov_b32_e32 v2, 0
	s_and_saveexec_b64 s[38:39], s[40:41]
	s_cbranch_execz .LBB102_815
.LBB102_814:
	v_lshlrev_b32_e32 v2, 24, v3
	v_and_b32_e32 v3, 0xffff, v3
	v_and_b32_e32 v4, 3, v3
	v_ffbh_u32_e32 v6, v4
	v_min_u32_e32 v6, 32, v6
	v_subrev_u32_e32 v7, 29, v6
	v_bfe_u32 v5, v3, 2, 5
	v_lshlrev_b32_e32 v3, v7, v3
	v_sub_u32_e32 v6, 30, v6
	v_and_b32_e32 v3, 3, v3
	v_cmp_eq_u32_e32 vcc, 0, v5
	v_cndmask_b32_e32 v5, v5, v6, vcc
	v_cndmask_b32_e32 v3, v4, v3, vcc
	v_mov_b32_e32 v4, 0x37800000
	v_lshlrev_b32_e32 v3, 21, v3
	v_and_b32_e32 v2, 0x80000000, v2
	v_lshl_add_u32 v4, v5, 23, v4
	v_or3_b32 v2, v2, v4, v3
	v_cvt_i32_f32_e32 v2, v2
.LBB102_815:
	s_or_b64 exec, exec, s[38:39]
	s_mov_b64 s[38:39], 0
	s_branch .LBB102_821
.LBB102_816:
	s_mov_b64 s[38:39], -1
                                        ; implicit-def: $vgpr2
	s_branch .LBB102_827
.LBB102_817:
	s_andn2_saveexec_b64 s[40:41], s[40:41]
	s_cbranch_execz .LBB102_802
.LBB102_818:
	v_cmp_ne_u16_e32 vcc, 0, v3
	s_andn2_b64 s[42:43], s[42:43], exec
	s_and_b64 s[48:49], vcc, exec
	s_or_b64 s[42:43], s[42:43], s[48:49]
	s_or_b64 exec, exec, s[40:41]
	v_mov_b32_e32 v2, 0
	s_and_saveexec_b64 s[40:41], s[42:43]
	s_cbranch_execnz .LBB102_803
	s_branch .LBB102_804
.LBB102_819:
	s_mov_b64 s[38:39], -1
                                        ; implicit-def: $vgpr2
	s_branch .LBB102_824
.LBB102_820:
	s_mov_b64 s[38:39], -1
                                        ; implicit-def: $vgpr2
.LBB102_821:
	s_and_b64 vcc, exec, s[38:39]
	s_cbranch_vccz .LBB102_823
; %bb.822:
	global_load_ubyte v2, v[0:1], off
	s_mov_b32 s38, 0x7f800000
	s_waitcnt vmcnt(0)
	v_lshlrev_b32_e32 v2, 24, v2
	v_and_b32_e32 v3, 0x7f000000, v2
	v_ffbh_u32_e32 v4, v3
	v_min_u32_e32 v4, 32, v4
	v_sub_u32_e64 v4, v4, 4 clamp
	v_lshlrev_b32_e32 v6, v4, v3
	v_lshlrev_b32_e32 v4, 23, v4
	v_lshrrev_b32_e32 v6, 4, v6
	v_add_u32_e32 v5, 0x1000000, v3
	v_sub_u32_e32 v4, v6, v4
	v_ashrrev_i32_e32 v5, 8, v5
	v_add_u32_e32 v4, 0x3c000000, v4
	v_and_or_b32 v4, v5, s38, v4
	v_cmp_ne_u32_e32 vcc, 0, v3
	v_cndmask_b32_e32 v3, 0, v4, vcc
	s_brev_b32 s38, 1
	v_and_or_b32 v2, v2, s38, v3
	v_cvt_i32_f32_e32 v2, v2
.LBB102_823:
	s_mov_b64 s[38:39], 0
.LBB102_824:
	s_andn2_b64 vcc, exec, s[38:39]
	s_cbranch_vccnz .LBB102_826
; %bb.825:
	global_load_ubyte v2, v[0:1], off
	s_movk_i32 s38, 0x7f00
	s_brev_b32 s39, 16
	s_waitcnt vmcnt(0)
	v_lshlrev_b16_e32 v3, 8, v2
	v_lshlrev_b32_e32 v2, 25, v2
	v_lshrrev_b32_e32 v4, 4, v2
	v_and_or_b32 v5, v3, s38, 0.5
	v_or_b32_e32 v4, 0x70000000, v4
	v_add_f32_e32 v5, -0.5, v5
	v_mul_f32_e32 v4, 0x7800000, v4
	v_cmp_gt_u32_e32 vcc, s39, v2
	v_bfe_i32 v3, v3, 0, 16
	v_cndmask_b32_e32 v2, v4, v5, vcc
	s_brev_b32 s38, 1
	v_and_or_b32 v2, v3, s38, v2
	v_cvt_i32_f32_e32 v2, v2
.LBB102_826:
	s_mov_b64 s[38:39], 0
	s_mov_b64 s[40:41], -1
.LBB102_827:
	s_andn2_b64 vcc, exec, s[38:39]
	s_mov_b64 s[38:39], 0
	s_cbranch_vccnz .LBB102_838
; %bb.828:
	s_cmp_gt_i32 s44, 14
	s_cbranch_scc0 .LBB102_831
; %bb.829:
	s_cmp_eq_u32 s44, 15
	s_cbranch_scc0 .LBB102_834
; %bb.830:
	global_load_ushort v2, v[0:1], off
	s_mov_b64 s[36:37], 0
	s_mov_b64 s[40:41], -1
	s_waitcnt vmcnt(0)
	v_lshlrev_b32_e32 v2, 16, v2
	v_cvt_i32_f32_e32 v2, v2
	s_branch .LBB102_835
.LBB102_831:
	s_mov_b64 s[42:43], -1
                                        ; implicit-def: $vgpr2
	s_branch .LBB102_836
.LBB102_832:
	s_andn2_saveexec_b64 s[38:39], s[38:39]
	s_cbranch_execz .LBB102_813
.LBB102_833:
	v_cmp_ne_u16_e32 vcc, 0, v3
	s_andn2_b64 s[40:41], s[40:41], exec
	s_and_b64 s[42:43], vcc, exec
	s_or_b64 s[40:41], s[40:41], s[42:43]
	s_or_b64 exec, exec, s[38:39]
	v_mov_b32_e32 v2, 0
	s_and_saveexec_b64 s[38:39], s[40:41]
	s_cbranch_execnz .LBB102_814
	s_branch .LBB102_815
.LBB102_834:
	s_mov_b64 s[36:37], -1
                                        ; implicit-def: $vgpr2
.LBB102_835:
	s_mov_b64 s[42:43], 0
.LBB102_836:
	s_and_b64 vcc, exec, s[42:43]
	s_cbranch_vccz .LBB102_838
; %bb.837:
	s_cmp_lg_u32 s44, 11
	s_cselect_b64 s[42:43], -1, 0
	s_andn2_b64 s[36:37], s[36:37], exec
	s_and_b64 s[42:43], s[42:43], exec
	s_mov_b64 s[38:39], -1
	s_or_b64 s[36:37], s[36:37], s[42:43]
.LBB102_838:
	s_mov_b64 s[42:43], 0
.LBB102_839:
	s_and_b64 s[44:45], s[42:43], exec
	s_andn2_b64 s[42:43], s[2:3], exec
	s_and_b64 s[36:37], s[36:37], exec
	s_and_b64 s[40:41], s[40:41], exec
	;; [unrolled: 1-line block ×3, first 2 shown]
	s_or_b64 s[42:43], s[42:43], s[36:37]
.LBB102_840:
	s_or_b64 exec, exec, s[30:31]
	s_and_b64 s[30:31], s[38:39], exec
	s_andn2_b64 s[2:3], s[2:3], exec
	s_and_b64 s[38:39], s[42:43], exec
	s_and_b64 s[40:41], s[40:41], exec
	;; [unrolled: 1-line block ×3, first 2 shown]
	s_or_b64 s[2:3], s[2:3], s[38:39]
.LBB102_841:
	s_or_b64 exec, exec, s[28:29]
	s_andn2_b64 s[24:25], s[24:25], exec
	s_and_b64 s[28:29], s[34:35], exec
	s_andn2_b64 s[22:23], s[22:23], exec
	s_and_b64 s[2:3], s[2:3], exec
	s_or_b64 s[24:25], s[24:25], s[28:29]
	s_and_b64 s[34:35], s[40:41], exec
	s_and_b64 s[28:29], s[36:37], exec
	;; [unrolled: 1-line block ×3, first 2 shown]
	s_or_b64 s[22:23], s[22:23], s[2:3]
.LBB102_842:
	s_or_b64 exec, exec, s[26:27]
	s_andn2_b64 s[2:3], s[16:17], exec
	s_and_b64 s[16:17], s[24:25], exec
	s_or_b64 s[16:17], s[2:3], s[16:17]
	s_andn2_b64 s[2:3], s[18:19], exec
	s_and_b64 s[18:19], s[22:23], exec
	s_and_b64 s[26:27], s[34:35], exec
	;; [unrolled: 1-line block ×4, first 2 shown]
	s_or_b64 s[18:19], s[2:3], s[18:19]
	s_or_b64 exec, exec, s[20:21]
	s_mov_b64 s[2:3], 0
	s_and_saveexec_b64 s[20:21], s[18:19]
	s_cbranch_execz .LBB102_258
.LBB102_843:
	s_mov_b64 s[2:3], exec
	s_andn2_b64 s[24:25], s[24:25], exec
	s_trap 2
	s_or_b64 exec, exec, s[20:21]
	s_and_saveexec_b64 s[18:19], s[24:25]
	s_xor_b64 s[18:19], exec, s[18:19]
	s_cbranch_execnz .LBB102_259
.LBB102_844:
	s_or_b64 exec, exec, s[18:19]
	s_and_saveexec_b64 s[18:19], s[28:29]
	s_cbranch_execz .LBB102_890
.LBB102_845:
	s_sext_i32_i16 s20, s47
	s_cmp_lt_i32 s20, 5
	s_cbranch_scc1 .LBB102_850
; %bb.846:
	s_cmp_lt_i32 s20, 8
	s_cbranch_scc1 .LBB102_851
; %bb.847:
	;; [unrolled: 3-line block ×3, first 2 shown]
	s_cmp_gt_i32 s20, 9
	s_cbranch_scc0 .LBB102_853
; %bb.849:
	global_load_dwordx2 v[2:3], v[0:1], off
	s_mov_b64 s[20:21], 0
	s_waitcnt vmcnt(0)
	v_cvt_i32_f64_e32 v2, v[2:3]
	s_branch .LBB102_854
.LBB102_850:
                                        ; implicit-def: $vgpr2
	s_branch .LBB102_871
.LBB102_851:
                                        ; implicit-def: $vgpr2
	s_branch .LBB102_860
.LBB102_852:
	s_mov_b64 s[20:21], -1
                                        ; implicit-def: $vgpr2
	s_branch .LBB102_857
.LBB102_853:
	s_mov_b64 s[20:21], -1
                                        ; implicit-def: $vgpr2
.LBB102_854:
	s_andn2_b64 vcc, exec, s[20:21]
	s_cbranch_vccnz .LBB102_856
; %bb.855:
	global_load_dword v2, v[0:1], off
	s_waitcnt vmcnt(0)
	v_cvt_i32_f32_e32 v2, v2
.LBB102_856:
	s_mov_b64 s[20:21], 0
.LBB102_857:
	s_andn2_b64 vcc, exec, s[20:21]
	s_cbranch_vccnz .LBB102_859
; %bb.858:
	global_load_dword v2, v[0:1], off
	s_waitcnt vmcnt(0)
	v_cvt_i16_f16_e32 v2, v2
.LBB102_859:
	s_cbranch_execnz .LBB102_870
.LBB102_860:
	s_sext_i32_i16 s20, s47
	s_cmp_lt_i32 s20, 6
	s_cbranch_scc1 .LBB102_863
; %bb.861:
	s_cmp_gt_i32 s20, 6
	s_cbranch_scc0 .LBB102_864
; %bb.862:
	global_load_dwordx2 v[2:3], v[0:1], off
	s_mov_b64 s[20:21], 0
	s_waitcnt vmcnt(0)
	v_cvt_i32_f64_e32 v2, v[2:3]
	s_branch .LBB102_865
.LBB102_863:
	s_mov_b64 s[20:21], -1
                                        ; implicit-def: $vgpr2
	s_branch .LBB102_868
.LBB102_864:
	s_mov_b64 s[20:21], -1
                                        ; implicit-def: $vgpr2
.LBB102_865:
	s_andn2_b64 vcc, exec, s[20:21]
	s_cbranch_vccnz .LBB102_867
; %bb.866:
	global_load_dword v2, v[0:1], off
	s_waitcnt vmcnt(0)
	v_cvt_i32_f32_e32 v2, v2
.LBB102_867:
	s_mov_b64 s[20:21], 0
.LBB102_868:
	s_andn2_b64 vcc, exec, s[20:21]
	s_cbranch_vccnz .LBB102_870
; %bb.869:
	global_load_ushort v2, v[0:1], off
	s_waitcnt vmcnt(0)
	v_cvt_i16_f16_e32 v2, v2
.LBB102_870:
	s_cbranch_execnz .LBB102_889
.LBB102_871:
	s_sext_i32_i16 s20, s47
	s_cmp_lt_i32 s20, 2
	s_cbranch_scc1 .LBB102_875
; %bb.872:
	s_cmp_lt_i32 s20, 3
	s_cbranch_scc1 .LBB102_876
; %bb.873:
	s_cmp_gt_i32 s20, 3
	s_cbranch_scc0 .LBB102_877
; %bb.874:
	global_load_dwordx2 v[2:3], v[0:1], off
	s_mov_b64 s[20:21], 0
	s_branch .LBB102_878
.LBB102_875:
                                        ; implicit-def: $vgpr2
	s_branch .LBB102_884
.LBB102_876:
	s_mov_b64 s[20:21], -1
                                        ; implicit-def: $vgpr2
	s_branch .LBB102_881
.LBB102_877:
	s_mov_b64 s[20:21], -1
                                        ; implicit-def: $vgpr2
.LBB102_878:
	s_andn2_b64 vcc, exec, s[20:21]
	s_cbranch_vccnz .LBB102_880
; %bb.879:
	global_load_dword v2, v[0:1], off
.LBB102_880:
	s_mov_b64 s[20:21], 0
.LBB102_881:
	s_andn2_b64 vcc, exec, s[20:21]
	s_cbranch_vccnz .LBB102_883
; %bb.882:
	global_load_ushort v2, v[0:1], off
.LBB102_883:
	s_cbranch_execnz .LBB102_889
.LBB102_884:
	s_sext_i32_i16 s20, s47
	s_cmp_gt_i32 s20, 0
	s_cbranch_scc0 .LBB102_886
; %bb.885:
	global_load_sbyte v2, v[0:1], off
	s_mov_b64 s[20:21], 0
	s_branch .LBB102_887
.LBB102_886:
	s_mov_b64 s[20:21], -1
                                        ; implicit-def: $vgpr2
.LBB102_887:
	s_andn2_b64 vcc, exec, s[20:21]
	s_cbranch_vccnz .LBB102_889
; %bb.888:
	global_load_ubyte v2, v[0:1], off
.LBB102_889:
	s_or_b64 s[26:27], s[26:27], exec
.LBB102_890:
	s_or_b64 exec, exec, s[18:19]
	s_mov_b64 s[22:23], 0
	s_mov_b64 s[20:21], 0
                                        ; implicit-def: $sgpr28
                                        ; implicit-def: $vgpr0_vgpr1
                                        ; implicit-def: $vgpr4
	s_and_saveexec_b64 s[18:19], s[26:27]
	s_cbranch_execz .LBB102_898
; %bb.891:
	v_mul_lo_u32 v0, v9, s12
	v_mov_b32_e32 v1, s33
	s_waitcnt vmcnt(0)
	v_mov_b32_e32 v3, s9
	v_cndmask_b32_e64 v4, v1, v2, s[0:1]
	v_ashrrev_i32_e32 v1, 31, v0
	s_and_b32 s28, s46, 0xff
	v_add_co_u32_e32 v0, vcc, s8, v0
	s_cmp_lt_i32 s28, 11
	v_addc_co_u32_e32 v1, vcc, v3, v1, vcc
	s_cbranch_scc1 .LBB102_901
; %bb.892:
	s_and_b32 s29, 0xffff, s28
	s_mov_b64 s[22:23], -1
	s_cmp_gt_i32 s29, 25
	s_mov_b64 s[0:1], s[16:17]
	s_cbranch_scc0 .LBB102_929
; %bb.893:
	s_mov_b64 s[20:21], -1
	s_cmp_gt_i32 s29, 28
	s_mov_b64 s[0:1], s[16:17]
	s_cbranch_scc0 .LBB102_913
; %bb.894:
	s_cmp_gt_i32 s29, 43
	s_mov_b64 s[0:1], s[16:17]
	s_cbranch_scc0 .LBB102_909
; %bb.895:
	;; [unrolled: 4-line block ×3, first 2 shown]
	s_cmp_eq_u32 s29, 46
	s_mov_b64 s[0:1], -1
	s_cbranch_scc0 .LBB102_902
; %bb.897:
	v_cvt_f32_i32_sdwa v2, sext(v4) dst_sel:DWORD dst_unused:UNUSED_PAD src0_sel:WORD_0
	s_movk_i32 s0, 0x7fff
	s_mov_b64 s[20:21], 0
	v_bfe_u32 v3, v2, 16, 1
	v_add3_u32 v2, v2, v3, s0
	v_lshrrev_b32_e32 v2, 16, v2
	global_store_dword v[0:1], v2, off
	s_mov_b64 s[0:1], 0
	s_branch .LBB102_903
.LBB102_898:
	s_or_b64 exec, exec, s[18:19]
	s_and_saveexec_b64 s[0:1], s[16:17]
	s_cbranch_execnz .LBB102_971
.LBB102_899:
	s_or_b64 exec, exec, s[0:1]
	s_and_saveexec_b64 s[0:1], s[22:23]
	s_xor_b64 s[0:1], exec, s[0:1]
	s_cbranch_execz .LBB102_972
.LBB102_900:
	v_cmp_ne_u16_e32 vcc, 0, v4
	s_waitcnt vmcnt(0)
	v_cndmask_b32_e64 v2, 0, 1, vcc
	global_store_byte v[0:1], v2, off
	s_or_b64 exec, exec, s[0:1]
	s_and_saveexec_b64 s[0:1], s[20:21]
	s_xor_b64 s[0:1], exec, s[0:1]
	s_cbranch_execz .LBB102_1010
	s_branch .LBB102_973
.LBB102_901:
	s_mov_b64 s[20:21], -1
	s_mov_b64 s[0:1], s[16:17]
	s_branch .LBB102_970
.LBB102_902:
	s_mov_b64 s[20:21], 0
.LBB102_903:
	s_and_b64 vcc, exec, s[20:21]
	s_cbranch_vccz .LBB102_908
; %bb.904:
	s_cmp_eq_u32 s29, 44
	s_mov_b64 s[0:1], -1
	s_cbranch_scc0 .LBB102_908
; %bb.905:
	v_cvt_f32_i32_sdwa v2, sext(v4) dst_sel:DWORD dst_unused:UNUSED_PAD src0_sel:WORD_0
	s_movk_i32 s0, 0xff
	v_mov_b32_e32 v5, 0xff
	v_bfe_u32 v3, v2, 23, 8
	v_cmp_ne_u32_e32 vcc, s0, v3
	s_and_saveexec_b64 s[20:21], vcc
; %bb.906:
	s_mov_b32 s0, 0x3fffff
	v_lshrrev_b32_e32 v5, 23, v2
	v_and_b32_e32 v6, 0x400000, v2
	v_and_or_b32 v2, v2, s0, v3
	v_cmp_ne_u32_e32 vcc, 0, v6
	v_cmp_ne_u32_e64 s[0:1], 0, v2
	s_and_b64 s[0:1], vcc, s[0:1]
	v_cndmask_b32_e64 v2, 0, 1, s[0:1]
	v_add_u32_e32 v5, v5, v2
; %bb.907:
	s_or_b64 exec, exec, s[20:21]
	s_mov_b64 s[0:1], 0
	global_store_byte v[0:1], v5, off
.LBB102_908:
	s_mov_b64 s[20:21], 0
.LBB102_909:
	s_and_b64 vcc, exec, s[20:21]
	s_cbranch_vccz .LBB102_912
; %bb.910:
	s_cmp_eq_u32 s29, 29
	s_mov_b64 s[0:1], -1
	s_cbranch_scc0 .LBB102_912
; %bb.911:
	v_bfe_i32 v2, v4, 0, 16
	v_ashrrev_i32_e32 v3, 31, v2
	global_store_dwordx2 v[0:1], v[2:3], off
	s_mov_b64 s[0:1], 0
.LBB102_912:
	s_mov_b64 s[20:21], 0
.LBB102_913:
	s_and_b64 vcc, exec, s[20:21]
	s_cbranch_vccz .LBB102_928
; %bb.914:
	s_cmp_lt_i32 s29, 27
	s_mov_b64 s[20:21], -1
	s_cbranch_scc1 .LBB102_920
; %bb.915:
	s_cmp_gt_i32 s29, 27
	s_cbranch_scc0 .LBB102_917
; %bb.916:
	v_bfe_i32 v2, v4, 0, 16
	s_mov_b64 s[20:21], 0
	global_store_dword v[0:1], v2, off
.LBB102_917:
	s_andn2_b64 vcc, exec, s[20:21]
	s_cbranch_vccnz .LBB102_919
; %bb.918:
	global_store_short v[0:1], v4, off
.LBB102_919:
	s_mov_b64 s[20:21], 0
.LBB102_920:
	s_andn2_b64 vcc, exec, s[20:21]
	s_cbranch_vccnz .LBB102_928
; %bb.921:
	v_cvt_f32_i32_sdwa v2, sext(v4) dst_sel:DWORD dst_unused:UNUSED_PAD src0_sel:WORD_0
	s_mov_b32 s20, 0x43800000
	v_mov_b32_e32 v5, 0x80
	v_and_b32_e32 v3, 0x7fffffff, v2
	v_cmp_gt_u32_e32 vcc, s20, v3
	s_and_saveexec_b64 s[20:21], vcc
	s_cbranch_execz .LBB102_927
; %bb.922:
	s_mov_b32 s22, 0x3bffffff
	v_cmp_lt_u32_e32 vcc, s22, v3
	s_mov_b64 s[22:23], 0
                                        ; implicit-def: $vgpr3
	s_and_saveexec_b64 s[24:25], vcc
	s_xor_b64 s[24:25], exec, s[24:25]
	s_cbranch_execz .LBB102_1025
; %bb.923:
	v_bfe_u32 v3, v2, 20, 1
	s_mov_b32 s26, 0x487ffff
	v_add3_u32 v3, v2, v3, s26
	s_mov_b64 s[22:23], exec
	v_lshrrev_b32_e32 v3, 20, v3
	s_andn2_saveexec_b64 s[24:25], s[24:25]
	s_cbranch_execnz .LBB102_1026
.LBB102_924:
	s_or_b64 exec, exec, s[24:25]
	v_mov_b32_e32 v5, 0
	s_and_saveexec_b64 s[24:25], s[22:23]
.LBB102_925:
	v_lshrrev_b32_e32 v2, 24, v2
	s_movk_i32 s22, 0x80
	v_and_or_b32 v5, v2, s22, v3
.LBB102_926:
	s_or_b64 exec, exec, s[24:25]
.LBB102_927:
	s_or_b64 exec, exec, s[20:21]
	global_store_byte v[0:1], v5, off
.LBB102_928:
	s_mov_b64 s[22:23], 0
.LBB102_929:
	s_mov_b64 s[20:21], 0
	s_and_b64 vcc, exec, s[22:23]
	s_cbranch_vccz .LBB102_969
; %bb.930:
	s_cmp_gt_i32 s29, 22
	s_mov_b64 s[22:23], -1
	s_cbranch_scc0 .LBB102_962
; %bb.931:
	s_cmp_lt_i32 s29, 24
	s_cbranch_scc1 .LBB102_951
; %bb.932:
	s_cmp_gt_i32 s29, 24
	s_cbranch_scc0 .LBB102_940
; %bb.933:
	v_cvt_f32_i32_sdwa v2, sext(v4) dst_sel:DWORD dst_unused:UNUSED_PAD src0_sel:WORD_0
	s_mov_b32 s22, 0x47800000
	v_mov_b32_e32 v5, 0x80
	v_and_b32_e32 v3, 0x7fffffff, v2
	v_cmp_gt_u32_e32 vcc, s22, v3
	s_and_saveexec_b64 s[22:23], vcc
	s_cbranch_execz .LBB102_939
; %bb.934:
	s_mov_b32 s24, 0x37ffffff
	v_cmp_lt_u32_e32 vcc, s24, v3
	s_mov_b64 s[24:25], 0
                                        ; implicit-def: $vgpr3
	s_and_saveexec_b64 s[26:27], vcc
	s_xor_b64 s[26:27], exec, s[26:27]
	s_cbranch_execz .LBB102_1146
; %bb.935:
	v_bfe_u32 v3, v2, 21, 1
	s_mov_b32 s30, 0x88fffff
	v_add3_u32 v3, v2, v3, s30
	s_mov_b64 s[24:25], exec
	v_lshrrev_b32_e32 v3, 21, v3
	s_andn2_saveexec_b64 s[26:27], s[26:27]
	s_cbranch_execnz .LBB102_1147
.LBB102_936:
	s_or_b64 exec, exec, s[26:27]
	v_mov_b32_e32 v5, 0
	s_and_saveexec_b64 s[26:27], s[24:25]
.LBB102_937:
	v_lshrrev_b32_e32 v2, 24, v2
	s_movk_i32 s24, 0x80
	v_and_or_b32 v5, v2, s24, v3
.LBB102_938:
	s_or_b64 exec, exec, s[26:27]
.LBB102_939:
	s_or_b64 exec, exec, s[22:23]
	s_mov_b64 s[22:23], 0
	global_store_byte v[0:1], v5, off
.LBB102_940:
	s_and_b64 vcc, exec, s[22:23]
	s_cbranch_vccz .LBB102_950
; %bb.941:
	v_cvt_f32_i32_sdwa v2, sext(v4) dst_sel:DWORD dst_unused:UNUSED_PAD src0_sel:WORD_0
	s_mov_b32 s22, 0x43f00000
                                        ; implicit-def: $vgpr3
	v_and_b32_e32 v5, 0x7fffffff, v2
	v_cmp_gt_u32_e32 vcc, s22, v5
	s_and_saveexec_b64 s[22:23], vcc
	s_xor_b64 s[22:23], exec, s[22:23]
	s_cbranch_execz .LBB102_947
; %bb.942:
	s_mov_b32 s24, 0x3c7fffff
	v_cmp_lt_u32_e32 vcc, s24, v5
                                        ; implicit-def: $vgpr3
	s_and_saveexec_b64 s[24:25], vcc
	s_xor_b64 s[24:25], exec, s[24:25]
; %bb.943:
	v_bfe_u32 v3, v2, 20, 1
	s_mov_b32 s26, 0x407ffff
	v_add3_u32 v3, v2, v3, s26
	v_lshrrev_b32_e32 v5, 20, v3
	v_and_b32_e32 v3, 0xff00000, v3
	s_mov_b32 s26, 0x7f00000
	v_mov_b32_e32 v6, 0x7e
	v_cmp_ne_u32_e32 vcc, s26, v3
	v_cndmask_b32_e32 v3, v6, v5, vcc
; %bb.944:
	s_andn2_saveexec_b64 s[24:25], s[24:25]
; %bb.945:
	s_mov_b32 s26, 0x46800000
	v_add_f32_e64 v3, |v2|, s26
; %bb.946:
	s_or_b64 exec, exec, s[24:25]
                                        ; implicit-def: $vgpr5
.LBB102_947:
	s_andn2_saveexec_b64 s[22:23], s[22:23]
; %bb.948:
	s_mov_b32 s24, 0x7f800000
	v_mov_b32_e32 v3, 0x7e
	v_mov_b32_e32 v6, 0x7f
	v_cmp_lt_u32_e32 vcc, s24, v5
	v_cndmask_b32_e32 v3, v3, v6, vcc
; %bb.949:
	s_or_b64 exec, exec, s[22:23]
	v_lshrrev_b32_e32 v2, 24, v2
	s_movk_i32 s22, 0x80
	v_and_or_b32 v2, v2, s22, v3
	global_store_byte v[0:1], v2, off
.LBB102_950:
	s_mov_b64 s[22:23], 0
.LBB102_951:
	s_andn2_b64 vcc, exec, s[22:23]
	s_cbranch_vccnz .LBB102_961
; %bb.952:
	v_cvt_f32_i32_sdwa v2, sext(v4) dst_sel:DWORD dst_unused:UNUSED_PAD src0_sel:WORD_0
	s_mov_b32 s22, 0x47800000
                                        ; implicit-def: $vgpr3
	v_and_b32_e32 v5, 0x7fffffff, v2
	v_cmp_gt_u32_e32 vcc, s22, v5
	s_and_saveexec_b64 s[22:23], vcc
	s_xor_b64 s[22:23], exec, s[22:23]
	s_cbranch_execz .LBB102_958
; %bb.953:
	s_mov_b32 s24, 0x387fffff
	v_cmp_lt_u32_e32 vcc, s24, v5
                                        ; implicit-def: $vgpr3
	s_and_saveexec_b64 s[24:25], vcc
	s_xor_b64 s[24:25], exec, s[24:25]
; %bb.954:
	v_bfe_u32 v3, v2, 21, 1
	s_mov_b32 s26, 0x80fffff
	v_add3_u32 v3, v2, v3, s26
	v_lshrrev_b32_e32 v3, 21, v3
; %bb.955:
	s_andn2_saveexec_b64 s[24:25], s[24:25]
; %bb.956:
	s_mov_b32 s26, 0x43000000
	v_add_f32_e64 v3, |v2|, s26
; %bb.957:
	s_or_b64 exec, exec, s[24:25]
                                        ; implicit-def: $vgpr5
.LBB102_958:
	s_andn2_saveexec_b64 s[22:23], s[22:23]
; %bb.959:
	s_mov_b32 s24, 0x7f800000
	v_mov_b32_e32 v3, 0x7c
	v_mov_b32_e32 v6, 0x7f
	v_cmp_lt_u32_e32 vcc, s24, v5
	v_cndmask_b32_e32 v3, v3, v6, vcc
; %bb.960:
	s_or_b64 exec, exec, s[22:23]
	v_lshrrev_b32_e32 v2, 24, v2
	s_movk_i32 s22, 0x80
	v_and_or_b32 v2, v2, s22, v3
	global_store_byte v[0:1], v2, off
.LBB102_961:
	s_mov_b64 s[22:23], 0
.LBB102_962:
	s_andn2_b64 vcc, exec, s[22:23]
	s_mov_b64 s[22:23], 0
	s_cbranch_vccnz .LBB102_970
; %bb.963:
	s_cmp_gt_i32 s29, 14
	s_mov_b64 s[24:25], -1
	s_cbranch_scc0 .LBB102_967
; %bb.964:
	s_cmp_eq_u32 s29, 15
	s_mov_b64 s[0:1], -1
	s_cbranch_scc0 .LBB102_966
; %bb.965:
	v_cvt_f32_i32_sdwa v2, sext(v4) dst_sel:DWORD dst_unused:UNUSED_PAD src0_sel:WORD_0
	s_movk_i32 s0, 0x7fff
	v_bfe_u32 v3, v2, 16, 1
	v_add3_u32 v2, v2, v3, s0
	global_store_short_d16_hi v[0:1], v2, off
	s_mov_b64 s[0:1], 0
.LBB102_966:
	s_mov_b64 s[24:25], 0
.LBB102_967:
	s_and_b64 vcc, exec, s[24:25]
	s_cbranch_vccz .LBB102_970
; %bb.968:
	s_cmp_lg_u32 s29, 11
	s_cselect_b64 s[24:25], -1, 0
	s_andn2_b64 s[0:1], s[0:1], exec
	s_and_b64 s[24:25], s[24:25], exec
	s_mov_b64 s[22:23], -1
	s_or_b64 s[0:1], s[0:1], s[24:25]
	s_branch .LBB102_970
.LBB102_969:
	s_mov_b64 s[22:23], 0
.LBB102_970:
	s_andn2_b64 s[16:17], s[16:17], exec
	s_and_b64 s[0:1], s[0:1], exec
	s_and_b64 s[20:21], s[20:21], exec
	s_and_b64 s[22:23], s[22:23], exec
	s_or_b64 s[16:17], s[16:17], s[0:1]
	s_or_b64 exec, exec, s[18:19]
	s_and_saveexec_b64 s[0:1], s[16:17]
	s_cbranch_execz .LBB102_899
.LBB102_971:
	s_or_b64 s[2:3], s[2:3], exec
	s_andn2_b64 s[22:23], s[22:23], exec
	s_trap 2
	s_or_b64 exec, exec, s[0:1]
	s_and_saveexec_b64 s[0:1], s[22:23]
	s_xor_b64 s[0:1], exec, s[0:1]
	s_cbranch_execnz .LBB102_900
.LBB102_972:
	s_or_b64 exec, exec, s[0:1]
	s_and_saveexec_b64 s[0:1], s[20:21]
	s_xor_b64 s[0:1], exec, s[0:1]
	s_cbranch_execz .LBB102_1010
.LBB102_973:
	s_sext_i32_i16 s18, s28
	s_cmp_lt_i32 s18, 5
	s_mov_b64 s[16:17], -1
	s_cbranch_scc1 .LBB102_994
; %bb.974:
	s_cmp_lt_i32 s18, 8
	s_cbranch_scc1 .LBB102_984
; %bb.975:
	s_cmp_lt_i32 s18, 9
	s_cbranch_scc1 .LBB102_981
; %bb.976:
	s_cmp_gt_i32 s18, 9
	s_cbranch_scc0 .LBB102_978
; %bb.977:
	s_waitcnt vmcnt(0)
	v_bfe_i32 v2, v4, 0, 16
	v_cvt_f64_i32_e32 v[5:6], v2
	v_mov_b32_e32 v7, 0
	v_mov_b32_e32 v8, v7
	s_mov_b64 s[16:17], 0
	global_store_dwordx4 v[0:1], v[5:8], off
.LBB102_978:
	s_andn2_b64 vcc, exec, s[16:17]
	s_cbranch_vccnz .LBB102_980
; %bb.979:
	s_waitcnt vmcnt(0)
	v_cvt_f32_i32_sdwa v2, sext(v4) dst_sel:DWORD dst_unused:UNUSED_PAD src0_sel:WORD_0
	v_mov_b32_e32 v3, 0
	global_store_dwordx2 v[0:1], v[2:3], off
.LBB102_980:
	s_mov_b64 s[16:17], 0
.LBB102_981:
	s_andn2_b64 vcc, exec, s[16:17]
	s_cbranch_vccnz .LBB102_983
; %bb.982:
	s_waitcnt vmcnt(0)
	v_cvt_f16_i16_e32 v2, v4
	global_store_dword v[0:1], v2, off
.LBB102_983:
	s_mov_b64 s[16:17], 0
.LBB102_984:
	s_andn2_b64 vcc, exec, s[16:17]
	s_cbranch_vccnz .LBB102_993
; %bb.985:
	s_sext_i32_i16 s18, s28
	s_cmp_lt_i32 s18, 6
	s_mov_b64 s[16:17], -1
	s_cbranch_scc1 .LBB102_991
; %bb.986:
	s_cmp_gt_i32 s18, 6
	s_cbranch_scc0 .LBB102_988
; %bb.987:
	s_waitcnt vmcnt(0)
	v_bfe_i32 v2, v4, 0, 16
	v_cvt_f64_i32_e32 v[2:3], v2
	s_mov_b64 s[16:17], 0
	global_store_dwordx2 v[0:1], v[2:3], off
.LBB102_988:
	s_andn2_b64 vcc, exec, s[16:17]
	s_cbranch_vccnz .LBB102_990
; %bb.989:
	s_waitcnt vmcnt(0)
	v_cvt_f32_i32_sdwa v2, sext(v4) dst_sel:DWORD dst_unused:UNUSED_PAD src0_sel:WORD_0
	global_store_dword v[0:1], v2, off
.LBB102_990:
	s_mov_b64 s[16:17], 0
.LBB102_991:
	s_andn2_b64 vcc, exec, s[16:17]
	s_cbranch_vccnz .LBB102_993
; %bb.992:
	s_waitcnt vmcnt(0)
	v_cvt_f16_i16_e32 v2, v4
	global_store_short v[0:1], v2, off
.LBB102_993:
	s_mov_b64 s[16:17], 0
.LBB102_994:
	s_andn2_b64 vcc, exec, s[16:17]
	s_cbranch_vccnz .LBB102_1010
; %bb.995:
	s_sext_i32_i16 s18, s28
	s_cmp_lt_i32 s18, 2
	s_mov_b64 s[16:17], -1
	s_cbranch_scc1 .LBB102_1005
; %bb.996:
	s_cmp_lt_i32 s18, 3
	s_cbranch_scc1 .LBB102_1002
; %bb.997:
	s_cmp_gt_i32 s18, 3
	s_waitcnt vmcnt(0)
	v_bfe_i32 v2, v4, 0, 16
	s_cbranch_scc0 .LBB102_999
; %bb.998:
	v_ashrrev_i32_e32 v3, 31, v2
	s_mov_b64 s[16:17], 0
	global_store_dwordx2 v[0:1], v[2:3], off
.LBB102_999:
	s_andn2_b64 vcc, exec, s[16:17]
	s_cbranch_vccnz .LBB102_1001
; %bb.1000:
	global_store_dword v[0:1], v2, off
.LBB102_1001:
	s_mov_b64 s[16:17], 0
.LBB102_1002:
	s_andn2_b64 vcc, exec, s[16:17]
	s_cbranch_vccnz .LBB102_1004
; %bb.1003:
	global_store_short v[0:1], v4, off
.LBB102_1004:
	s_mov_b64 s[16:17], 0
.LBB102_1005:
	s_andn2_b64 vcc, exec, s[16:17]
	s_cbranch_vccnz .LBB102_1010
; %bb.1006:
	s_sext_i32_i16 s16, s28
	s_cmp_gt_i32 s16, 0
	s_mov_b64 s[16:17], -1
	s_cbranch_scc0 .LBB102_1008
; %bb.1007:
	s_mov_b64 s[16:17], 0
	global_store_byte v[0:1], v4, off
.LBB102_1008:
	s_andn2_b64 vcc, exec, s[16:17]
	s_cbranch_vccnz .LBB102_1010
; %bb.1009:
	global_store_byte v[0:1], v4, off
.LBB102_1010:
	s_or_b64 exec, exec, s[0:1]
	s_and_b64 s[16:17], s[2:3], exec
                                        ; implicit-def: $vgpr9
.LBB102_1011:
	s_or_saveexec_b64 s[6:7], s[6:7]
	s_mov_b64 s[0:1], 0
                                        ; implicit-def: $sgpr22
                                        ; implicit-def: $vgpr0_vgpr1
                                        ; implicit-def: $vgpr4
	s_xor_b64 exec, exec, s[6:7]
	s_cbranch_execz .LBB102_1943
; %bb.1012:
	s_waitcnt vmcnt(0)
	v_mul_lo_u32 v2, s13, v9
	v_mov_b32_e32 v1, s11
	s_and_b32 s22, 0xffff, s47
	s_cmp_lt_i32 s22, 11
	v_ashrrev_i32_e32 v3, 31, v2
	v_add_co_u32_e32 v0, vcc, s10, v2
	v_addc_co_u32_e32 v1, vcc, v1, v3, vcc
	s_cbranch_scc1 .LBB102_1019
; %bb.1013:
	s_cmp_gt_i32 s22, 25
	s_mov_b64 s[2:3], 0
	s_cbranch_scc0 .LBB102_1021
; %bb.1014:
	s_cmp_gt_i32 s22, 28
	s_cbranch_scc0 .LBB102_1022
; %bb.1015:
	s_cmp_gt_i32 s22, 43
	;; [unrolled: 3-line block ×3, first 2 shown]
	s_cbranch_scc0 .LBB102_1024
; %bb.1017:
	s_cmp_eq_u32 s22, 46
	s_mov_b64 s[18:19], 0
	s_cbranch_scc0 .LBB102_1027
; %bb.1018:
	global_load_dword v3, v[0:1], off
	s_mov_b64 s[4:5], -1
	s_waitcnt vmcnt(0)
	v_lshlrev_b32_e32 v3, 16, v3
	v_cvt_i32_f32_e32 v6, v3
	s_branch .LBB102_1029
.LBB102_1019:
                                        ; implicit-def: $vgpr6
	s_mov_b64 s[18:19], s[16:17]
	s_cbranch_execnz .LBB102_1087
.LBB102_1020:
	s_andn2_b64 vcc, exec, s[4:5]
	s_cbranch_vccz .LBB102_1132
	s_branch .LBB102_1941
.LBB102_1021:
                                        ; implicit-def: $vgpr6
	s_cbranch_execnz .LBB102_1054
	s_branch .LBB102_1083
.LBB102_1022:
                                        ; implicit-def: $vgpr6
	s_cbranch_execz .LBB102_1053
	s_branch .LBB102_1038
.LBB102_1023:
                                        ; implicit-def: $vgpr6
	s_cbranch_execnz .LBB102_1034
	s_branch .LBB102_1037
.LBB102_1024:
	s_mov_b64 s[18:19], -1
	s_branch .LBB102_1028
.LBB102_1025:
	s_andn2_saveexec_b64 s[24:25], s[24:25]
	s_cbranch_execz .LBB102_924
.LBB102_1026:
	s_mov_b32 s26, 0x46000000
	v_add_f32_e64 v3, |v2|, s26
	v_and_b32_e32 v3, 0xff, v3
	v_cmp_ne_u32_e32 vcc, 0, v3
	s_andn2_b64 s[22:23], s[22:23], exec
	s_and_b64 s[26:27], vcc, exec
	s_or_b64 s[22:23], s[22:23], s[26:27]
	s_or_b64 exec, exec, s[24:25]
	v_mov_b32_e32 v5, 0
	s_and_saveexec_b64 s[24:25], s[22:23]
	s_cbranch_execnz .LBB102_925
	s_branch .LBB102_926
.LBB102_1027:
	s_mov_b64 s[0:1], -1
.LBB102_1028:
                                        ; implicit-def: $vgpr6
.LBB102_1029:
	s_and_b64 vcc, exec, s[18:19]
	s_cbranch_vccz .LBB102_1032
; %bb.1030:
	s_cmp_eq_u32 s22, 44
	s_cbranch_scc0 .LBB102_1033
; %bb.1031:
	global_load_ubyte v3, v[0:1], off
	s_mov_b64 s[0:1], 0
	s_mov_b64 s[4:5], -1
	s_waitcnt vmcnt(0)
	v_lshlrev_b32_e32 v4, 23, v3
	v_cvt_i32_f32_e32 v4, v4
	v_cmp_ne_u32_e32 vcc, 0, v3
	v_cndmask_b32_e32 v6, 0, v4, vcc
.LBB102_1032:
	s_branch .LBB102_1037
.LBB102_1033:
	s_mov_b64 s[0:1], -1
                                        ; implicit-def: $vgpr6
	s_branch .LBB102_1037
.LBB102_1034:
	s_cmp_eq_u32 s22, 29
	s_cbranch_scc0 .LBB102_1036
; %bb.1035:
	global_load_dwordx2 v[6:7], v[0:1], off
	s_mov_b64 s[0:1], 0
	s_mov_b64 s[4:5], -1
	s_branch .LBB102_1037
.LBB102_1036:
	s_mov_b64 s[0:1], -1
                                        ; implicit-def: $vgpr6
.LBB102_1037:
	s_branch .LBB102_1053
.LBB102_1038:
	s_cmp_lt_i32 s22, 27
	s_cbranch_scc1 .LBB102_1041
; %bb.1039:
	s_cmp_gt_i32 s22, 27
	s_cbranch_scc0 .LBB102_1042
; %bb.1040:
	global_load_dword v6, v[0:1], off
	s_mov_b64 s[4:5], 0
	s_branch .LBB102_1043
.LBB102_1041:
	s_mov_b64 s[4:5], -1
                                        ; implicit-def: $vgpr6
	s_branch .LBB102_1046
.LBB102_1042:
	s_mov_b64 s[4:5], -1
                                        ; implicit-def: $vgpr6
.LBB102_1043:
	s_andn2_b64 vcc, exec, s[4:5]
	s_cbranch_vccnz .LBB102_1045
; %bb.1044:
	global_load_ushort v6, v[0:1], off
.LBB102_1045:
	s_mov_b64 s[4:5], 0
.LBB102_1046:
	s_andn2_b64 vcc, exec, s[4:5]
	s_cbranch_vccnz .LBB102_1052
; %bb.1047:
	global_load_ubyte v3, v[0:1], off
	s_movk_i32 s4, 0x7f
	s_mov_b64 s[18:19], 0
	s_waitcnt vmcnt(0)
	v_cmp_lt_i16_e32 vcc, s4, v3
	s_and_saveexec_b64 s[4:5], vcc
	s_xor_b64 s[4:5], exec, s[4:5]
	s_cbranch_execz .LBB102_1063
; %bb.1048:
	s_movk_i32 s18, 0x80
	v_cmp_ne_u16_e32 vcc, s18, v3
	s_and_b64 s[18:19], vcc, exec
	s_andn2_saveexec_b64 s[4:5], s[4:5]
	s_cbranch_execnz .LBB102_1064
.LBB102_1049:
	s_or_b64 exec, exec, s[4:5]
	v_mov_b32_e32 v6, 0
	s_and_saveexec_b64 s[4:5], s[18:19]
	s_cbranch_execz .LBB102_1051
.LBB102_1050:
	v_lshlrev_b32_e32 v4, 24, v3
	v_and_b32_e32 v3, 0xffff, v3
	v_and_b32_e32 v5, 7, v3
	v_ffbh_u32_e32 v7, v5
	v_min_u32_e32 v7, 32, v7
	v_subrev_u32_e32 v8, 28, v7
	v_bfe_u32 v6, v3, 3, 4
	v_lshlrev_b32_e32 v3, v8, v3
	v_sub_u32_e32 v7, 29, v7
	v_and_b32_e32 v3, 7, v3
	v_cmp_eq_u32_e32 vcc, 0, v6
	v_cndmask_b32_e32 v6, v6, v7, vcc
	v_cndmask_b32_e32 v3, v5, v3, vcc
	v_mov_b32_e32 v5, 0x3b800000
	v_lshlrev_b32_e32 v3, 20, v3
	v_and_b32_e32 v4, 0x80000000, v4
	v_lshl_add_u32 v5, v6, 23, v5
	v_or3_b32 v3, v4, v5, v3
	v_cvt_i32_f32_e32 v6, v3
.LBB102_1051:
	s_or_b64 exec, exec, s[4:5]
.LBB102_1052:
	s_mov_b64 s[4:5], -1
.LBB102_1053:
	s_branch .LBB102_1083
.LBB102_1054:
	s_cmp_gt_i32 s22, 22
	s_cbranch_scc0 .LBB102_1062
; %bb.1055:
	s_cmp_lt_i32 s22, 24
	s_cbranch_scc1 .LBB102_1065
; %bb.1056:
	s_cmp_gt_i32 s22, 24
	s_cbranch_scc0 .LBB102_1066
; %bb.1057:
	global_load_ubyte v3, v[0:1], off
	s_movk_i32 s2, 0x7f
	s_mov_b64 s[4:5], 0
	s_waitcnt vmcnt(0)
	v_cmp_lt_i16_e32 vcc, s2, v3
	s_and_saveexec_b64 s[2:3], vcc
	s_xor_b64 s[2:3], exec, s[2:3]
	s_cbranch_execz .LBB102_1077
; %bb.1058:
	s_movk_i32 s4, 0x80
	v_cmp_ne_u16_e32 vcc, s4, v3
	s_and_b64 s[4:5], vcc, exec
	s_andn2_saveexec_b64 s[2:3], s[2:3]
	s_cbranch_execnz .LBB102_1078
.LBB102_1059:
	s_or_b64 exec, exec, s[2:3]
	v_mov_b32_e32 v6, 0
	s_and_saveexec_b64 s[2:3], s[4:5]
	s_cbranch_execz .LBB102_1061
.LBB102_1060:
	v_lshlrev_b32_e32 v4, 24, v3
	v_and_b32_e32 v3, 0xffff, v3
	v_and_b32_e32 v5, 3, v3
	v_ffbh_u32_e32 v7, v5
	v_min_u32_e32 v7, 32, v7
	v_subrev_u32_e32 v8, 29, v7
	v_bfe_u32 v6, v3, 2, 5
	v_lshlrev_b32_e32 v3, v8, v3
	v_sub_u32_e32 v7, 30, v7
	v_and_b32_e32 v3, 3, v3
	v_cmp_eq_u32_e32 vcc, 0, v6
	v_cndmask_b32_e32 v6, v6, v7, vcc
	v_cndmask_b32_e32 v3, v5, v3, vcc
	v_mov_b32_e32 v5, 0x37800000
	v_lshlrev_b32_e32 v3, 21, v3
	v_and_b32_e32 v4, 0x80000000, v4
	v_lshl_add_u32 v5, v6, 23, v5
	v_or3_b32 v3, v4, v5, v3
	v_cvt_i32_f32_e32 v6, v3
.LBB102_1061:
	s_or_b64 exec, exec, s[2:3]
	s_mov_b64 s[2:3], 0
	s_branch .LBB102_1067
.LBB102_1062:
                                        ; implicit-def: $vgpr6
	s_mov_b64 s[2:3], 0
	s_branch .LBB102_1073
.LBB102_1063:
	s_andn2_saveexec_b64 s[4:5], s[4:5]
	s_cbranch_execz .LBB102_1049
.LBB102_1064:
	v_cmp_ne_u16_e32 vcc, 0, v3
	s_andn2_b64 s[18:19], s[18:19], exec
	s_and_b64 s[20:21], vcc, exec
	s_or_b64 s[18:19], s[18:19], s[20:21]
	s_or_b64 exec, exec, s[4:5]
	v_mov_b32_e32 v6, 0
	s_and_saveexec_b64 s[4:5], s[18:19]
	s_cbranch_execnz .LBB102_1050
	s_branch .LBB102_1051
.LBB102_1065:
	s_mov_b64 s[2:3], -1
                                        ; implicit-def: $vgpr6
	s_branch .LBB102_1070
.LBB102_1066:
	s_mov_b64 s[2:3], -1
                                        ; implicit-def: $vgpr6
.LBB102_1067:
	s_and_b64 vcc, exec, s[2:3]
	s_cbranch_vccz .LBB102_1069
; %bb.1068:
	global_load_ubyte v3, v[0:1], off
	s_mov_b32 s2, 0x7f800000
	s_waitcnt vmcnt(0)
	v_lshlrev_b32_e32 v3, 24, v3
	v_and_b32_e32 v4, 0x7f000000, v3
	v_ffbh_u32_e32 v5, v4
	v_min_u32_e32 v5, 32, v5
	v_sub_u32_e64 v5, v5, 4 clamp
	v_lshlrev_b32_e32 v7, v5, v4
	v_lshlrev_b32_e32 v5, 23, v5
	v_lshrrev_b32_e32 v7, 4, v7
	v_add_u32_e32 v6, 0x1000000, v4
	v_sub_u32_e32 v5, v7, v5
	v_ashrrev_i32_e32 v6, 8, v6
	v_add_u32_e32 v5, 0x3c000000, v5
	v_and_or_b32 v5, v6, s2, v5
	v_cmp_ne_u32_e32 vcc, 0, v4
	v_cndmask_b32_e32 v4, 0, v5, vcc
	s_brev_b32 s2, 1
	v_and_or_b32 v3, v3, s2, v4
	v_cvt_i32_f32_e32 v6, v3
.LBB102_1069:
	s_mov_b64 s[2:3], 0
.LBB102_1070:
	s_andn2_b64 vcc, exec, s[2:3]
	s_cbranch_vccnz .LBB102_1072
; %bb.1071:
	global_load_ubyte v3, v[0:1], off
	s_movk_i32 s2, 0x7f00
	s_brev_b32 s3, 16
	s_waitcnt vmcnt(0)
	v_lshlrev_b16_e32 v4, 8, v3
	v_lshlrev_b32_e32 v3, 25, v3
	v_lshrrev_b32_e32 v5, 4, v3
	v_and_or_b32 v6, v4, s2, 0.5
	v_or_b32_e32 v5, 0x70000000, v5
	v_add_f32_e32 v6, -0.5, v6
	v_mul_f32_e32 v5, 0x7800000, v5
	v_cmp_gt_u32_e32 vcc, s3, v3
	v_bfe_i32 v4, v4, 0, 16
	v_cndmask_b32_e32 v3, v5, v6, vcc
	s_brev_b32 s2, 1
	v_and_or_b32 v3, v4, s2, v3
	v_cvt_i32_f32_e32 v6, v3
.LBB102_1072:
	s_mov_b64 s[4:5], -1
	s_mov_b64 s[2:3], 0
	s_cbranch_execnz .LBB102_1083
.LBB102_1073:
	s_cmp_gt_i32 s22, 14
	s_cbranch_scc0 .LBB102_1076
; %bb.1074:
	s_cmp_eq_u32 s22, 15
	s_cbranch_scc0 .LBB102_1079
; %bb.1075:
	global_load_ushort v3, v[0:1], off
	s_mov_b64 s[0:1], 0
	s_mov_b64 s[4:5], -1
	s_waitcnt vmcnt(0)
	v_lshlrev_b32_e32 v3, 16, v3
	v_cvt_i32_f32_e32 v6, v3
	s_branch .LBB102_1080
.LBB102_1076:
	s_mov_b64 s[18:19], -1
                                        ; implicit-def: $vgpr6
	s_branch .LBB102_1081
.LBB102_1077:
	s_andn2_saveexec_b64 s[2:3], s[2:3]
	s_cbranch_execz .LBB102_1059
.LBB102_1078:
	v_cmp_ne_u16_e32 vcc, 0, v3
	s_andn2_b64 s[4:5], s[4:5], exec
	s_and_b64 s[18:19], vcc, exec
	s_or_b64 s[4:5], s[4:5], s[18:19]
	s_or_b64 exec, exec, s[2:3]
	v_mov_b32_e32 v6, 0
	s_and_saveexec_b64 s[2:3], s[4:5]
	s_cbranch_execnz .LBB102_1060
	s_branch .LBB102_1061
.LBB102_1079:
	s_mov_b64 s[0:1], -1
                                        ; implicit-def: $vgpr6
.LBB102_1080:
	s_mov_b64 s[18:19], 0
.LBB102_1081:
	s_and_b64 vcc, exec, s[18:19]
	s_cbranch_vccz .LBB102_1083
; %bb.1082:
	s_cmp_lg_u32 s22, 11
	s_mov_b64 s[2:3], -1
	s_cselect_b64 s[0:1], -1, 0
.LBB102_1083:
	s_and_b64 vcc, exec, s[0:1]
	s_mov_b64 s[18:19], s[16:17]
	s_cbranch_vccnz .LBB102_1144
; %bb.1084:
	s_andn2_b64 vcc, exec, s[2:3]
	s_cbranch_vccnz .LBB102_1086
.LBB102_1085:
	global_load_ubyte v3, v[0:1], off
	s_mov_b64 s[4:5], -1
	s_waitcnt vmcnt(0)
	v_cmp_ne_u16_e32 vcc, 0, v3
	v_cndmask_b32_e64 v6, 0, 1, vcc
.LBB102_1086:
	s_branch .LBB102_1020
.LBB102_1087:
	s_cmp_lt_i32 s22, 5
	s_cbranch_scc1 .LBB102_1092
; %bb.1088:
	s_cmp_lt_i32 s22, 8
	s_cbranch_scc1 .LBB102_1093
; %bb.1089:
	;; [unrolled: 3-line block ×3, first 2 shown]
	s_cmp_gt_i32 s22, 9
	s_cbranch_scc0 .LBB102_1095
; %bb.1091:
	global_load_dwordx2 v[3:4], v[0:1], off
	s_mov_b64 s[0:1], 0
	s_waitcnt vmcnt(0)
	v_cvt_i32_f64_e32 v6, v[3:4]
	s_branch .LBB102_1096
.LBB102_1092:
                                        ; implicit-def: $vgpr6
	s_branch .LBB102_1113
.LBB102_1093:
                                        ; implicit-def: $vgpr6
	s_branch .LBB102_1102
.LBB102_1094:
	s_mov_b64 s[0:1], -1
                                        ; implicit-def: $vgpr6
	s_branch .LBB102_1099
.LBB102_1095:
	s_mov_b64 s[0:1], -1
                                        ; implicit-def: $vgpr6
.LBB102_1096:
	s_andn2_b64 vcc, exec, s[0:1]
	s_cbranch_vccnz .LBB102_1098
; %bb.1097:
	global_load_dword v3, v[0:1], off
	s_waitcnt vmcnt(0)
	v_cvt_i32_f32_e32 v6, v3
.LBB102_1098:
	s_mov_b64 s[0:1], 0
.LBB102_1099:
	s_andn2_b64 vcc, exec, s[0:1]
	s_cbranch_vccnz .LBB102_1101
; %bb.1100:
	global_load_dword v3, v[0:1], off
	s_waitcnt vmcnt(0)
	v_cvt_i16_f16_e32 v6, v3
.LBB102_1101:
	s_cbranch_execnz .LBB102_1112
.LBB102_1102:
	s_cmp_lt_i32 s22, 6
	s_cbranch_scc1 .LBB102_1105
; %bb.1103:
	s_cmp_gt_i32 s22, 6
	s_cbranch_scc0 .LBB102_1106
; %bb.1104:
	global_load_dwordx2 v[3:4], v[0:1], off
	s_mov_b64 s[0:1], 0
	s_waitcnt vmcnt(0)
	v_cvt_i32_f64_e32 v6, v[3:4]
	s_branch .LBB102_1107
.LBB102_1105:
	s_mov_b64 s[0:1], -1
                                        ; implicit-def: $vgpr6
	s_branch .LBB102_1110
.LBB102_1106:
	s_mov_b64 s[0:1], -1
                                        ; implicit-def: $vgpr6
.LBB102_1107:
	s_andn2_b64 vcc, exec, s[0:1]
	s_cbranch_vccnz .LBB102_1109
; %bb.1108:
	global_load_dword v3, v[0:1], off
	s_waitcnt vmcnt(0)
	v_cvt_i32_f32_e32 v6, v3
.LBB102_1109:
	s_mov_b64 s[0:1], 0
.LBB102_1110:
	s_andn2_b64 vcc, exec, s[0:1]
	s_cbranch_vccnz .LBB102_1112
; %bb.1111:
	global_load_ushort v3, v[0:1], off
	s_waitcnt vmcnt(0)
	v_cvt_i16_f16_e32 v6, v3
.LBB102_1112:
	s_cbranch_execnz .LBB102_1131
.LBB102_1113:
	s_cmp_lt_i32 s22, 2
	s_cbranch_scc1 .LBB102_1117
; %bb.1114:
	s_cmp_lt_i32 s22, 3
	s_cbranch_scc1 .LBB102_1118
; %bb.1115:
	s_cmp_gt_i32 s22, 3
	s_cbranch_scc0 .LBB102_1119
; %bb.1116:
	global_load_dwordx2 v[6:7], v[0:1], off
	s_mov_b64 s[0:1], 0
	s_branch .LBB102_1120
.LBB102_1117:
                                        ; implicit-def: $vgpr6
	s_branch .LBB102_1126
.LBB102_1118:
	s_mov_b64 s[0:1], -1
                                        ; implicit-def: $vgpr6
	s_branch .LBB102_1123
.LBB102_1119:
	s_mov_b64 s[0:1], -1
                                        ; implicit-def: $vgpr6
.LBB102_1120:
	s_andn2_b64 vcc, exec, s[0:1]
	s_cbranch_vccnz .LBB102_1122
; %bb.1121:
	global_load_dword v6, v[0:1], off
.LBB102_1122:
	s_mov_b64 s[0:1], 0
.LBB102_1123:
	s_andn2_b64 vcc, exec, s[0:1]
	s_cbranch_vccnz .LBB102_1125
; %bb.1124:
	global_load_ushort v6, v[0:1], off
.LBB102_1125:
	s_cbranch_execnz .LBB102_1131
.LBB102_1126:
	s_cmp_gt_i32 s22, 0
	s_cbranch_scc0 .LBB102_1128
; %bb.1127:
	global_load_sbyte v6, v[0:1], off
	s_mov_b64 s[0:1], 0
	s_branch .LBB102_1129
.LBB102_1128:
	s_mov_b64 s[0:1], -1
                                        ; implicit-def: $vgpr6
.LBB102_1129:
	s_andn2_b64 vcc, exec, s[0:1]
	s_cbranch_vccnz .LBB102_1131
; %bb.1130:
	global_load_ubyte v6, v[0:1], off
.LBB102_1131:
.LBB102_1132:
	s_lshl_b32 s13, s13, 7
	v_add_u32_e32 v2, s13, v2
	v_ashrrev_i32_e32 v1, 31, v2
	v_mov_b32_e32 v3, s11
	v_add_co_u32_e32 v0, vcc, s10, v2
	s_cmp_lt_i32 s22, 11
	v_addc_co_u32_e32 v1, vcc, v3, v1, vcc
	s_cbranch_scc1 .LBB102_1139
; %bb.1133:
	s_cmp_gt_i32 s22, 25
	s_mov_b64 s[2:3], 0
	s_cbranch_scc0 .LBB102_1141
; %bb.1134:
	s_cmp_gt_i32 s22, 28
	s_cbranch_scc0 .LBB102_1142
; %bb.1135:
	s_cmp_gt_i32 s22, 43
	;; [unrolled: 3-line block ×3, first 2 shown]
	s_cbranch_scc0 .LBB102_1145
; %bb.1137:
	s_cmp_eq_u32 s22, 46
	s_mov_b64 s[20:21], 0
	s_cbranch_scc0 .LBB102_1148
; %bb.1138:
	global_load_dword v3, v[0:1], off
	s_mov_b64 s[0:1], 0
	s_mov_b64 s[4:5], -1
	s_waitcnt vmcnt(0)
	v_lshlrev_b32_e32 v3, 16, v3
	v_cvt_i32_f32_e32 v4, v3
	s_branch .LBB102_1149
.LBB102_1139:
	s_mov_b64 s[4:5], 0
                                        ; implicit-def: $vgpr4
	s_cbranch_execnz .LBB102_1210
.LBB102_1140:
	s_andn2_b64 vcc, exec, s[4:5]
	s_cbranch_vccnz .LBB102_1941
	s_branch .LBB102_1257
.LBB102_1141:
	s_mov_b64 s[4:5], 0
	s_mov_b64 s[0:1], 0
                                        ; implicit-def: $vgpr4
	s_cbranch_execnz .LBB102_1176
	s_branch .LBB102_1206
.LBB102_1142:
	s_mov_b64 s[20:21], -1
	s_mov_b64 s[4:5], 0
	s_mov_b64 s[0:1], 0
                                        ; implicit-def: $vgpr4
	s_branch .LBB102_1159
.LBB102_1143:
	s_mov_b64 s[20:21], -1
	s_mov_b64 s[4:5], 0
	s_mov_b64 s[0:1], 0
                                        ; implicit-def: $vgpr4
	s_branch .LBB102_1154
.LBB102_1144:
	s_or_b64 s[18:19], s[16:17], exec
	s_trap 2
	s_cbranch_execz .LBB102_1085
	s_branch .LBB102_1086
.LBB102_1145:
	s_mov_b64 s[20:21], -1
	s_mov_b64 s[4:5], 0
	s_mov_b64 s[0:1], 0
                                        ; implicit-def: $vgpr4
	s_branch .LBB102_1149
.LBB102_1146:
	s_andn2_saveexec_b64 s[26:27], s[26:27]
	s_cbranch_execz .LBB102_936
.LBB102_1147:
	s_mov_b32 s30, 0x42800000
	v_add_f32_e64 v3, |v2|, s30
	v_and_b32_e32 v3, 0xff, v3
	v_cmp_ne_u32_e32 vcc, 0, v3
	s_andn2_b64 s[24:25], s[24:25], exec
	s_and_b64 s[30:31], vcc, exec
	s_or_b64 s[24:25], s[24:25], s[30:31]
	s_or_b64 exec, exec, s[26:27]
	v_mov_b32_e32 v5, 0
	s_and_saveexec_b64 s[26:27], s[24:25]
	s_cbranch_execnz .LBB102_937
	s_branch .LBB102_938
.LBB102_1148:
	s_mov_b64 s[0:1], -1
                                        ; implicit-def: $vgpr4
	s_mov_b64 s[4:5], 0
.LBB102_1149:
	s_and_b64 vcc, exec, s[20:21]
	s_cbranch_vccz .LBB102_1153
; %bb.1150:
	s_cmp_eq_u32 s22, 44
	s_cbranch_scc0 .LBB102_1152
; %bb.1151:
	global_load_ubyte v3, v[0:1], off
	s_mov_b64 s[0:1], 0
	s_mov_b64 s[4:5], -1
	s_waitcnt vmcnt(0)
	v_lshlrev_b32_e32 v4, 23, v3
	v_cvt_i32_f32_e32 v4, v4
	v_cmp_ne_u32_e32 vcc, 0, v3
	v_cndmask_b32_e32 v4, 0, v4, vcc
	s_branch .LBB102_1153
.LBB102_1152:
	s_mov_b64 s[0:1], -1
                                        ; implicit-def: $vgpr4
.LBB102_1153:
	s_mov_b64 s[20:21], 0
.LBB102_1154:
	s_and_b64 vcc, exec, s[20:21]
	s_cbranch_vccz .LBB102_1158
; %bb.1155:
	s_cmp_eq_u32 s22, 29
	s_cbranch_scc0 .LBB102_1157
; %bb.1156:
	global_load_dwordx2 v[4:5], v[0:1], off
	s_mov_b64 s[0:1], 0
	s_mov_b64 s[4:5], -1
	s_branch .LBB102_1158
.LBB102_1157:
	s_mov_b64 s[0:1], -1
                                        ; implicit-def: $vgpr4
.LBB102_1158:
	s_mov_b64 s[20:21], 0
.LBB102_1159:
	s_and_b64 vcc, exec, s[20:21]
	s_cbranch_vccz .LBB102_1175
; %bb.1160:
	s_cmp_lt_i32 s22, 27
	s_cbranch_scc1 .LBB102_1163
; %bb.1161:
	s_cmp_gt_i32 s22, 27
	s_cbranch_scc0 .LBB102_1164
; %bb.1162:
	global_load_dword v4, v[0:1], off
	s_mov_b64 s[4:5], 0
	s_branch .LBB102_1165
.LBB102_1163:
	s_mov_b64 s[4:5], -1
                                        ; implicit-def: $vgpr4
	s_branch .LBB102_1168
.LBB102_1164:
	s_mov_b64 s[4:5], -1
                                        ; implicit-def: $vgpr4
.LBB102_1165:
	s_andn2_b64 vcc, exec, s[4:5]
	s_cbranch_vccnz .LBB102_1167
; %bb.1166:
	global_load_ushort v4, v[0:1], off
.LBB102_1167:
	s_mov_b64 s[4:5], 0
.LBB102_1168:
	s_andn2_b64 vcc, exec, s[4:5]
	s_cbranch_vccnz .LBB102_1174
; %bb.1169:
	global_load_ubyte v3, v[0:1], off
	s_movk_i32 s4, 0x7f
	s_mov_b64 s[20:21], 0
	s_waitcnt vmcnt(0)
	v_cmp_lt_i16_e32 vcc, s4, v3
	s_and_saveexec_b64 s[4:5], vcc
	s_xor_b64 s[4:5], exec, s[4:5]
	s_cbranch_execz .LBB102_1185
; %bb.1170:
	s_movk_i32 s20, 0x80
	v_cmp_ne_u16_e32 vcc, s20, v3
	s_and_b64 s[20:21], vcc, exec
	s_andn2_saveexec_b64 s[4:5], s[4:5]
	s_cbranch_execnz .LBB102_1186
.LBB102_1171:
	s_or_b64 exec, exec, s[4:5]
	v_mov_b32_e32 v4, 0
	s_and_saveexec_b64 s[4:5], s[20:21]
	s_cbranch_execz .LBB102_1173
.LBB102_1172:
	v_lshlrev_b32_e32 v4, 24, v3
	v_and_b32_e32 v3, 0xffff, v3
	v_and_b32_e32 v5, 7, v3
	v_ffbh_u32_e32 v8, v5
	v_min_u32_e32 v8, 32, v8
	v_subrev_u32_e32 v10, 28, v8
	v_bfe_u32 v7, v3, 3, 4
	v_lshlrev_b32_e32 v3, v10, v3
	v_sub_u32_e32 v8, 29, v8
	v_and_b32_e32 v3, 7, v3
	v_cmp_eq_u32_e32 vcc, 0, v7
	v_cndmask_b32_e32 v7, v7, v8, vcc
	v_cndmask_b32_e32 v3, v5, v3, vcc
	v_mov_b32_e32 v5, 0x3b800000
	v_lshlrev_b32_e32 v3, 20, v3
	v_and_b32_e32 v4, 0x80000000, v4
	v_lshl_add_u32 v5, v7, 23, v5
	v_or3_b32 v3, v4, v5, v3
	v_cvt_i32_f32_e32 v4, v3
.LBB102_1173:
	s_or_b64 exec, exec, s[4:5]
.LBB102_1174:
	s_mov_b64 s[4:5], -1
.LBB102_1175:
	s_branch .LBB102_1206
.LBB102_1176:
	s_cmp_gt_i32 s22, 22
	s_cbranch_scc0 .LBB102_1184
; %bb.1177:
	s_cmp_lt_i32 s22, 24
	s_cbranch_scc1 .LBB102_1187
; %bb.1178:
	s_cmp_gt_i32 s22, 24
	s_cbranch_scc0 .LBB102_1188
; %bb.1179:
	global_load_ubyte v3, v[0:1], off
	s_movk_i32 s2, 0x7f
	s_mov_b64 s[4:5], 0
	s_waitcnt vmcnt(0)
	v_cmp_lt_i16_e32 vcc, s2, v3
	s_and_saveexec_b64 s[2:3], vcc
	s_xor_b64 s[2:3], exec, s[2:3]
	s_cbranch_execz .LBB102_1200
; %bb.1180:
	s_movk_i32 s4, 0x80
	v_cmp_ne_u16_e32 vcc, s4, v3
	s_and_b64 s[4:5], vcc, exec
	s_andn2_saveexec_b64 s[2:3], s[2:3]
	s_cbranch_execnz .LBB102_1201
.LBB102_1181:
	s_or_b64 exec, exec, s[2:3]
	v_mov_b32_e32 v4, 0
	s_and_saveexec_b64 s[2:3], s[4:5]
	s_cbranch_execz .LBB102_1183
.LBB102_1182:
	v_lshlrev_b32_e32 v4, 24, v3
	v_and_b32_e32 v3, 0xffff, v3
	v_and_b32_e32 v5, 3, v3
	v_ffbh_u32_e32 v8, v5
	v_min_u32_e32 v8, 32, v8
	v_subrev_u32_e32 v10, 29, v8
	v_bfe_u32 v7, v3, 2, 5
	v_lshlrev_b32_e32 v3, v10, v3
	v_sub_u32_e32 v8, 30, v8
	v_and_b32_e32 v3, 3, v3
	v_cmp_eq_u32_e32 vcc, 0, v7
	v_cndmask_b32_e32 v7, v7, v8, vcc
	v_cndmask_b32_e32 v3, v5, v3, vcc
	v_mov_b32_e32 v5, 0x37800000
	v_lshlrev_b32_e32 v3, 21, v3
	v_and_b32_e32 v4, 0x80000000, v4
	v_lshl_add_u32 v5, v7, 23, v5
	v_or3_b32 v3, v4, v5, v3
	v_cvt_i32_f32_e32 v4, v3
.LBB102_1183:
	s_or_b64 exec, exec, s[2:3]
	s_mov_b64 s[2:3], 0
	s_branch .LBB102_1189
.LBB102_1184:
	s_mov_b64 s[2:3], -1
                                        ; implicit-def: $vgpr4
	s_branch .LBB102_1195
.LBB102_1185:
	s_andn2_saveexec_b64 s[4:5], s[4:5]
	s_cbranch_execz .LBB102_1171
.LBB102_1186:
	v_cmp_ne_u16_e32 vcc, 0, v3
	s_andn2_b64 s[20:21], s[20:21], exec
	s_and_b64 s[24:25], vcc, exec
	s_or_b64 s[20:21], s[20:21], s[24:25]
	s_or_b64 exec, exec, s[4:5]
	v_mov_b32_e32 v4, 0
	s_and_saveexec_b64 s[4:5], s[20:21]
	s_cbranch_execnz .LBB102_1172
	s_branch .LBB102_1173
.LBB102_1187:
	s_mov_b64 s[2:3], -1
                                        ; implicit-def: $vgpr4
	s_branch .LBB102_1192
.LBB102_1188:
	s_mov_b64 s[2:3], -1
                                        ; implicit-def: $vgpr4
.LBB102_1189:
	s_and_b64 vcc, exec, s[2:3]
	s_cbranch_vccz .LBB102_1191
; %bb.1190:
	global_load_ubyte v3, v[0:1], off
	s_mov_b32 s2, 0x7f800000
	s_waitcnt vmcnt(0)
	v_lshlrev_b32_e32 v3, 24, v3
	v_and_b32_e32 v4, 0x7f000000, v3
	v_ffbh_u32_e32 v5, v4
	v_min_u32_e32 v5, 32, v5
	v_sub_u32_e64 v5, v5, 4 clamp
	v_lshlrev_b32_e32 v8, v5, v4
	v_lshlrev_b32_e32 v5, 23, v5
	v_lshrrev_b32_e32 v8, 4, v8
	v_add_u32_e32 v7, 0x1000000, v4
	v_sub_u32_e32 v5, v8, v5
	v_ashrrev_i32_e32 v7, 8, v7
	v_add_u32_e32 v5, 0x3c000000, v5
	v_and_or_b32 v5, v7, s2, v5
	v_cmp_ne_u32_e32 vcc, 0, v4
	v_cndmask_b32_e32 v4, 0, v5, vcc
	s_brev_b32 s2, 1
	v_and_or_b32 v3, v3, s2, v4
	v_cvt_i32_f32_e32 v4, v3
.LBB102_1191:
	s_mov_b64 s[2:3], 0
.LBB102_1192:
	s_andn2_b64 vcc, exec, s[2:3]
	s_cbranch_vccnz .LBB102_1194
; %bb.1193:
	global_load_ubyte v3, v[0:1], off
	s_movk_i32 s2, 0x7f00
	s_brev_b32 s3, 16
	s_waitcnt vmcnt(0)
	v_lshlrev_b16_e32 v4, 8, v3
	v_lshlrev_b32_e32 v3, 25, v3
	v_lshrrev_b32_e32 v5, 4, v3
	v_and_or_b32 v7, v4, s2, 0.5
	v_or_b32_e32 v5, 0x70000000, v5
	v_add_f32_e32 v7, -0.5, v7
	v_mul_f32_e32 v5, 0x7800000, v5
	v_cmp_gt_u32_e32 vcc, s3, v3
	v_bfe_i32 v4, v4, 0, 16
	v_cndmask_b32_e32 v3, v5, v7, vcc
	s_brev_b32 s2, 1
	v_and_or_b32 v3, v4, s2, v3
	v_cvt_i32_f32_e32 v4, v3
.LBB102_1194:
	s_mov_b64 s[2:3], 0
	s_mov_b64 s[4:5], -1
.LBB102_1195:
	s_andn2_b64 vcc, exec, s[2:3]
	s_mov_b64 s[2:3], 0
	s_cbranch_vccnz .LBB102_1206
; %bb.1196:
	s_cmp_gt_i32 s22, 14
	s_cbranch_scc0 .LBB102_1199
; %bb.1197:
	s_cmp_eq_u32 s22, 15
	s_cbranch_scc0 .LBB102_1202
; %bb.1198:
	global_load_ushort v3, v[0:1], off
	s_mov_b64 s[0:1], 0
	s_mov_b64 s[4:5], -1
	s_waitcnt vmcnt(0)
	v_lshlrev_b32_e32 v3, 16, v3
	v_cvt_i32_f32_e32 v4, v3
	s_branch .LBB102_1203
.LBB102_1199:
	s_mov_b64 s[20:21], -1
                                        ; implicit-def: $vgpr4
	s_branch .LBB102_1204
.LBB102_1200:
	s_andn2_saveexec_b64 s[2:3], s[2:3]
	s_cbranch_execz .LBB102_1181
.LBB102_1201:
	v_cmp_ne_u16_e32 vcc, 0, v3
	s_andn2_b64 s[4:5], s[4:5], exec
	s_and_b64 s[20:21], vcc, exec
	s_or_b64 s[4:5], s[4:5], s[20:21]
	s_or_b64 exec, exec, s[2:3]
	v_mov_b32_e32 v4, 0
	s_and_saveexec_b64 s[2:3], s[4:5]
	s_cbranch_execnz .LBB102_1182
	s_branch .LBB102_1183
.LBB102_1202:
	s_mov_b64 s[0:1], -1
                                        ; implicit-def: $vgpr4
.LBB102_1203:
	s_mov_b64 s[20:21], 0
.LBB102_1204:
	s_and_b64 vcc, exec, s[20:21]
	s_cbranch_vccz .LBB102_1206
; %bb.1205:
	s_cmp_lg_u32 s22, 11
	s_mov_b64 s[2:3], -1
	s_cselect_b64 s[0:1], -1, 0
.LBB102_1206:
	s_and_b64 vcc, exec, s[0:1]
	s_cbranch_vccnz .LBB102_1269
; %bb.1207:
	s_andn2_b64 vcc, exec, s[2:3]
	s_cbranch_vccnz .LBB102_1209
.LBB102_1208:
	global_load_ubyte v3, v[0:1], off
	s_mov_b64 s[4:5], -1
	s_waitcnt vmcnt(0)
	v_cmp_ne_u16_e32 vcc, 0, v3
	v_cndmask_b32_e64 v4, 0, 1, vcc
.LBB102_1209:
	s_branch .LBB102_1140
.LBB102_1210:
	s_cmp_lt_i32 s22, 5
	s_cbranch_scc1 .LBB102_1215
; %bb.1211:
	s_cmp_lt_i32 s22, 8
	s_cbranch_scc1 .LBB102_1216
; %bb.1212:
	;; [unrolled: 3-line block ×3, first 2 shown]
	s_cmp_gt_i32 s22, 9
	s_cbranch_scc0 .LBB102_1218
; %bb.1214:
	global_load_dwordx2 v[3:4], v[0:1], off
	s_mov_b64 s[0:1], 0
	s_waitcnt vmcnt(0)
	v_cvt_i32_f64_e32 v4, v[3:4]
	s_branch .LBB102_1219
.LBB102_1215:
                                        ; implicit-def: $vgpr4
	s_branch .LBB102_1237
.LBB102_1216:
	s_mov_b64 s[0:1], -1
                                        ; implicit-def: $vgpr4
	s_branch .LBB102_1225
.LBB102_1217:
	s_mov_b64 s[0:1], -1
                                        ; implicit-def: $vgpr4
	s_branch .LBB102_1222
.LBB102_1218:
	s_mov_b64 s[0:1], -1
                                        ; implicit-def: $vgpr4
.LBB102_1219:
	s_andn2_b64 vcc, exec, s[0:1]
	s_cbranch_vccnz .LBB102_1221
; %bb.1220:
	global_load_dword v3, v[0:1], off
	s_waitcnt vmcnt(0)
	v_cvt_i32_f32_e32 v4, v3
.LBB102_1221:
	s_mov_b64 s[0:1], 0
.LBB102_1222:
	s_andn2_b64 vcc, exec, s[0:1]
	s_cbranch_vccnz .LBB102_1224
; %bb.1223:
	global_load_dword v3, v[0:1], off
	s_waitcnt vmcnt(0)
	v_cvt_i16_f16_e32 v4, v3
.LBB102_1224:
	s_mov_b64 s[0:1], 0
.LBB102_1225:
	s_andn2_b64 vcc, exec, s[0:1]
	s_cbranch_vccnz .LBB102_1236
; %bb.1226:
	s_cmp_lt_i32 s22, 6
	s_cbranch_scc1 .LBB102_1229
; %bb.1227:
	s_cmp_gt_i32 s22, 6
	s_cbranch_scc0 .LBB102_1230
; %bb.1228:
	global_load_dwordx2 v[3:4], v[0:1], off
	s_mov_b64 s[0:1], 0
	s_waitcnt vmcnt(0)
	v_cvt_i32_f64_e32 v4, v[3:4]
	s_branch .LBB102_1231
.LBB102_1229:
	s_mov_b64 s[0:1], -1
                                        ; implicit-def: $vgpr4
	s_branch .LBB102_1234
.LBB102_1230:
	s_mov_b64 s[0:1], -1
                                        ; implicit-def: $vgpr4
.LBB102_1231:
	s_andn2_b64 vcc, exec, s[0:1]
	s_cbranch_vccnz .LBB102_1233
; %bb.1232:
	global_load_dword v3, v[0:1], off
	s_waitcnt vmcnt(0)
	v_cvt_i32_f32_e32 v4, v3
.LBB102_1233:
	s_mov_b64 s[0:1], 0
.LBB102_1234:
	s_andn2_b64 vcc, exec, s[0:1]
	s_cbranch_vccnz .LBB102_1236
; %bb.1235:
	global_load_ushort v3, v[0:1], off
	s_waitcnt vmcnt(0)
	v_cvt_i16_f16_e32 v4, v3
.LBB102_1236:
	s_cbranch_execnz .LBB102_1256
.LBB102_1237:
	s_cmp_lt_i32 s22, 2
	s_cbranch_scc1 .LBB102_1241
; %bb.1238:
	s_cmp_lt_i32 s22, 3
	s_cbranch_scc1 .LBB102_1242
; %bb.1239:
	s_cmp_gt_i32 s22, 3
	s_cbranch_scc0 .LBB102_1243
; %bb.1240:
	global_load_dwordx2 v[4:5], v[0:1], off
	s_mov_b64 s[0:1], 0
	s_branch .LBB102_1244
.LBB102_1241:
	s_mov_b64 s[0:1], -1
                                        ; implicit-def: $vgpr4
	s_branch .LBB102_1250
.LBB102_1242:
	s_mov_b64 s[0:1], -1
                                        ; implicit-def: $vgpr4
	s_branch .LBB102_1247
.LBB102_1243:
	s_mov_b64 s[0:1], -1
                                        ; implicit-def: $vgpr4
.LBB102_1244:
	s_andn2_b64 vcc, exec, s[0:1]
	s_cbranch_vccnz .LBB102_1246
; %bb.1245:
	global_load_dword v4, v[0:1], off
.LBB102_1246:
	s_mov_b64 s[0:1], 0
.LBB102_1247:
	s_andn2_b64 vcc, exec, s[0:1]
	s_cbranch_vccnz .LBB102_1249
; %bb.1248:
	global_load_ushort v4, v[0:1], off
.LBB102_1249:
	s_mov_b64 s[0:1], 0
.LBB102_1250:
	s_andn2_b64 vcc, exec, s[0:1]
	s_cbranch_vccnz .LBB102_1256
; %bb.1251:
	s_cmp_gt_i32 s22, 0
	s_cbranch_scc0 .LBB102_1253
; %bb.1252:
	global_load_sbyte v4, v[0:1], off
	s_mov_b64 s[0:1], 0
	s_branch .LBB102_1254
.LBB102_1253:
	s_mov_b64 s[0:1], -1
                                        ; implicit-def: $vgpr4
.LBB102_1254:
	s_andn2_b64 vcc, exec, s[0:1]
	s_cbranch_vccnz .LBB102_1256
; %bb.1255:
	global_load_ubyte v4, v[0:1], off
.LBB102_1256:
.LBB102_1257:
	s_waitcnt vmcnt(0)
	v_add_u32_e32 v5, s13, v2
	v_ashrrev_i32_e32 v1, 31, v5
	v_mov_b32_e32 v2, s11
	v_add_co_u32_e32 v0, vcc, s10, v5
	s_cmp_lt_i32 s22, 11
	v_addc_co_u32_e32 v1, vcc, v2, v1, vcc
	s_cbranch_scc1 .LBB102_1264
; %bb.1258:
	s_cmp_gt_i32 s22, 25
	s_mov_b64 s[2:3], 0
	s_cbranch_scc0 .LBB102_1266
; %bb.1259:
	s_cmp_gt_i32 s22, 28
	s_cbranch_scc0 .LBB102_1267
; %bb.1260:
	s_cmp_gt_i32 s22, 43
	;; [unrolled: 3-line block ×3, first 2 shown]
	s_cbranch_scc0 .LBB102_1270
; %bb.1262:
	s_cmp_eq_u32 s22, 46
	s_mov_b64 s[20:21], 0
	s_cbranch_scc0 .LBB102_1271
; %bb.1263:
	global_load_dword v2, v[0:1], off
	s_mov_b64 s[0:1], 0
	s_mov_b64 s[4:5], -1
	s_waitcnt vmcnt(0)
	v_lshlrev_b32_e32 v2, 16, v2
	v_cvt_i32_f32_e32 v2, v2
	s_branch .LBB102_1272
.LBB102_1264:
	s_mov_b64 s[4:5], 0
                                        ; implicit-def: $vgpr2
	s_cbranch_execnz .LBB102_1334
.LBB102_1265:
	s_andn2_b64 vcc, exec, s[4:5]
	s_cbranch_vccnz .LBB102_1941
	s_branch .LBB102_1382
.LBB102_1266:
	s_mov_b64 s[20:21], -1
	s_mov_b64 s[4:5], 0
	s_mov_b64 s[0:1], 0
                                        ; implicit-def: $vgpr2
	s_branch .LBB102_1299
.LBB102_1267:
	s_mov_b64 s[20:21], -1
	s_mov_b64 s[4:5], 0
	s_mov_b64 s[0:1], 0
                                        ; implicit-def: $vgpr2
	s_branch .LBB102_1282
.LBB102_1268:
	s_mov_b64 s[20:21], -1
	s_mov_b64 s[4:5], 0
	s_mov_b64 s[0:1], 0
                                        ; implicit-def: $vgpr2
	s_branch .LBB102_1277
.LBB102_1269:
	s_trap 2
	s_or_b64 s[18:19], s[18:19], exec
	s_cbranch_execz .LBB102_1208
	s_branch .LBB102_1209
.LBB102_1270:
	s_mov_b64 s[20:21], -1
	s_mov_b64 s[4:5], 0
	s_mov_b64 s[0:1], 0
                                        ; implicit-def: $vgpr2
	s_branch .LBB102_1272
.LBB102_1271:
	s_mov_b64 s[0:1], -1
                                        ; implicit-def: $vgpr2
	s_mov_b64 s[4:5], 0
.LBB102_1272:
	s_and_b64 vcc, exec, s[20:21]
	s_cbranch_vccz .LBB102_1276
; %bb.1273:
	s_cmp_eq_u32 s22, 44
	s_cbranch_scc0 .LBB102_1275
; %bb.1274:
	global_load_ubyte v2, v[0:1], off
	s_mov_b64 s[0:1], 0
	s_mov_b64 s[4:5], -1
	s_waitcnt vmcnt(0)
	v_lshlrev_b32_e32 v3, 23, v2
	v_cvt_i32_f32_e32 v3, v3
	v_cmp_ne_u32_e32 vcc, 0, v2
	v_cndmask_b32_e32 v2, 0, v3, vcc
	s_branch .LBB102_1276
.LBB102_1275:
	s_mov_b64 s[0:1], -1
                                        ; implicit-def: $vgpr2
.LBB102_1276:
	s_mov_b64 s[20:21], 0
.LBB102_1277:
	s_and_b64 vcc, exec, s[20:21]
	s_cbranch_vccz .LBB102_1281
; %bb.1278:
	s_cmp_eq_u32 s22, 29
	s_cbranch_scc0 .LBB102_1280
; %bb.1279:
	global_load_dwordx2 v[2:3], v[0:1], off
	s_mov_b64 s[0:1], 0
	s_mov_b64 s[4:5], -1
	s_branch .LBB102_1281
.LBB102_1280:
	s_mov_b64 s[0:1], -1
                                        ; implicit-def: $vgpr2
.LBB102_1281:
	s_mov_b64 s[20:21], 0
.LBB102_1282:
	s_and_b64 vcc, exec, s[20:21]
	s_cbranch_vccz .LBB102_1298
; %bb.1283:
	s_cmp_lt_i32 s22, 27
	s_cbranch_scc1 .LBB102_1286
; %bb.1284:
	s_cmp_gt_i32 s22, 27
	s_cbranch_scc0 .LBB102_1287
; %bb.1285:
	global_load_dword v2, v[0:1], off
	s_mov_b64 s[4:5], 0
	s_branch .LBB102_1288
.LBB102_1286:
	s_mov_b64 s[4:5], -1
                                        ; implicit-def: $vgpr2
	s_branch .LBB102_1291
.LBB102_1287:
	s_mov_b64 s[4:5], -1
                                        ; implicit-def: $vgpr2
.LBB102_1288:
	s_andn2_b64 vcc, exec, s[4:5]
	s_cbranch_vccnz .LBB102_1290
; %bb.1289:
	global_load_ushort v2, v[0:1], off
.LBB102_1290:
	s_mov_b64 s[4:5], 0
.LBB102_1291:
	s_andn2_b64 vcc, exec, s[4:5]
	s_cbranch_vccnz .LBB102_1297
; %bb.1292:
	global_load_ubyte v3, v[0:1], off
	s_movk_i32 s4, 0x7f
	s_mov_b64 s[20:21], 0
	s_waitcnt vmcnt(0)
	v_cmp_lt_i16_e32 vcc, s4, v3
	s_and_saveexec_b64 s[4:5], vcc
	s_xor_b64 s[4:5], exec, s[4:5]
	s_cbranch_execz .LBB102_1309
; %bb.1293:
	s_movk_i32 s20, 0x80
	v_cmp_ne_u16_e32 vcc, s20, v3
	s_and_b64 s[20:21], vcc, exec
	s_andn2_saveexec_b64 s[4:5], s[4:5]
	s_cbranch_execnz .LBB102_1310
.LBB102_1294:
	s_or_b64 exec, exec, s[4:5]
	v_mov_b32_e32 v2, 0
	s_and_saveexec_b64 s[4:5], s[20:21]
	s_cbranch_execz .LBB102_1296
.LBB102_1295:
	v_lshlrev_b32_e32 v2, 24, v3
	v_and_b32_e32 v3, 0xffff, v3
	v_and_b32_e32 v7, 7, v3
	v_ffbh_u32_e32 v10, v7
	v_min_u32_e32 v10, 32, v10
	v_subrev_u32_e32 v11, 28, v10
	v_bfe_u32 v8, v3, 3, 4
	v_lshlrev_b32_e32 v3, v11, v3
	v_sub_u32_e32 v10, 29, v10
	v_and_b32_e32 v3, 7, v3
	v_cmp_eq_u32_e32 vcc, 0, v8
	v_cndmask_b32_e32 v8, v8, v10, vcc
	v_cndmask_b32_e32 v3, v7, v3, vcc
	v_mov_b32_e32 v7, 0x3b800000
	v_lshlrev_b32_e32 v3, 20, v3
	v_and_b32_e32 v2, 0x80000000, v2
	v_lshl_add_u32 v7, v8, 23, v7
	v_or3_b32 v2, v2, v7, v3
	v_cvt_i32_f32_e32 v2, v2
.LBB102_1296:
	s_or_b64 exec, exec, s[4:5]
.LBB102_1297:
	s_mov_b64 s[4:5], -1
.LBB102_1298:
	s_mov_b64 s[20:21], 0
.LBB102_1299:
	s_and_b64 vcc, exec, s[20:21]
	s_cbranch_vccz .LBB102_1330
; %bb.1300:
	s_cmp_gt_i32 s22, 22
	s_cbranch_scc0 .LBB102_1308
; %bb.1301:
	s_cmp_lt_i32 s22, 24
	s_cbranch_scc1 .LBB102_1311
; %bb.1302:
	s_cmp_gt_i32 s22, 24
	s_cbranch_scc0 .LBB102_1312
; %bb.1303:
	global_load_ubyte v3, v[0:1], off
	s_movk_i32 s2, 0x7f
	s_mov_b64 s[4:5], 0
	s_waitcnt vmcnt(0)
	v_cmp_lt_i16_e32 vcc, s2, v3
	s_and_saveexec_b64 s[2:3], vcc
	s_xor_b64 s[2:3], exec, s[2:3]
	s_cbranch_execz .LBB102_1324
; %bb.1304:
	s_movk_i32 s4, 0x80
	v_cmp_ne_u16_e32 vcc, s4, v3
	s_and_b64 s[4:5], vcc, exec
	s_andn2_saveexec_b64 s[2:3], s[2:3]
	s_cbranch_execnz .LBB102_1325
.LBB102_1305:
	s_or_b64 exec, exec, s[2:3]
	v_mov_b32_e32 v2, 0
	s_and_saveexec_b64 s[2:3], s[4:5]
	s_cbranch_execz .LBB102_1307
.LBB102_1306:
	v_lshlrev_b32_e32 v2, 24, v3
	v_and_b32_e32 v3, 0xffff, v3
	v_and_b32_e32 v7, 3, v3
	v_ffbh_u32_e32 v10, v7
	v_min_u32_e32 v10, 32, v10
	v_subrev_u32_e32 v11, 29, v10
	v_bfe_u32 v8, v3, 2, 5
	v_lshlrev_b32_e32 v3, v11, v3
	v_sub_u32_e32 v10, 30, v10
	v_and_b32_e32 v3, 3, v3
	v_cmp_eq_u32_e32 vcc, 0, v8
	v_cndmask_b32_e32 v8, v8, v10, vcc
	v_cndmask_b32_e32 v3, v7, v3, vcc
	v_mov_b32_e32 v7, 0x37800000
	v_lshlrev_b32_e32 v3, 21, v3
	v_and_b32_e32 v2, 0x80000000, v2
	v_lshl_add_u32 v7, v8, 23, v7
	v_or3_b32 v2, v2, v7, v3
	v_cvt_i32_f32_e32 v2, v2
.LBB102_1307:
	s_or_b64 exec, exec, s[2:3]
	s_mov_b64 s[2:3], 0
	s_branch .LBB102_1313
.LBB102_1308:
	s_mov_b64 s[2:3], -1
                                        ; implicit-def: $vgpr2
	s_branch .LBB102_1319
.LBB102_1309:
	s_andn2_saveexec_b64 s[4:5], s[4:5]
	s_cbranch_execz .LBB102_1294
.LBB102_1310:
	v_cmp_ne_u16_e32 vcc, 0, v3
	s_andn2_b64 s[20:21], s[20:21], exec
	s_and_b64 s[24:25], vcc, exec
	s_or_b64 s[20:21], s[20:21], s[24:25]
	s_or_b64 exec, exec, s[4:5]
	v_mov_b32_e32 v2, 0
	s_and_saveexec_b64 s[4:5], s[20:21]
	s_cbranch_execnz .LBB102_1295
	s_branch .LBB102_1296
.LBB102_1311:
	s_mov_b64 s[2:3], -1
                                        ; implicit-def: $vgpr2
	s_branch .LBB102_1316
.LBB102_1312:
	s_mov_b64 s[2:3], -1
                                        ; implicit-def: $vgpr2
.LBB102_1313:
	s_and_b64 vcc, exec, s[2:3]
	s_cbranch_vccz .LBB102_1315
; %bb.1314:
	global_load_ubyte v2, v[0:1], off
	s_mov_b32 s2, 0x7f800000
	s_waitcnt vmcnt(0)
	v_lshlrev_b32_e32 v2, 24, v2
	v_and_b32_e32 v3, 0x7f000000, v2
	v_ffbh_u32_e32 v7, v3
	v_min_u32_e32 v7, 32, v7
	v_sub_u32_e64 v7, v7, 4 clamp
	v_lshlrev_b32_e32 v10, v7, v3
	v_lshlrev_b32_e32 v7, 23, v7
	v_lshrrev_b32_e32 v10, 4, v10
	v_add_u32_e32 v8, 0x1000000, v3
	v_sub_u32_e32 v7, v10, v7
	v_ashrrev_i32_e32 v8, 8, v8
	v_add_u32_e32 v7, 0x3c000000, v7
	v_and_or_b32 v7, v8, s2, v7
	v_cmp_ne_u32_e32 vcc, 0, v3
	v_cndmask_b32_e32 v3, 0, v7, vcc
	s_brev_b32 s2, 1
	v_and_or_b32 v2, v2, s2, v3
	v_cvt_i32_f32_e32 v2, v2
.LBB102_1315:
	s_mov_b64 s[2:3], 0
.LBB102_1316:
	s_andn2_b64 vcc, exec, s[2:3]
	s_cbranch_vccnz .LBB102_1318
; %bb.1317:
	global_load_ubyte v2, v[0:1], off
	s_movk_i32 s2, 0x7f00
	s_brev_b32 s3, 16
	s_waitcnt vmcnt(0)
	v_lshlrev_b16_e32 v3, 8, v2
	v_lshlrev_b32_e32 v2, 25, v2
	v_lshrrev_b32_e32 v7, 4, v2
	v_and_or_b32 v8, v3, s2, 0.5
	v_or_b32_e32 v7, 0x70000000, v7
	v_add_f32_e32 v8, -0.5, v8
	v_mul_f32_e32 v7, 0x7800000, v7
	v_cmp_gt_u32_e32 vcc, s3, v2
	v_bfe_i32 v3, v3, 0, 16
	v_cndmask_b32_e32 v2, v7, v8, vcc
	s_brev_b32 s2, 1
	v_and_or_b32 v2, v3, s2, v2
	v_cvt_i32_f32_e32 v2, v2
.LBB102_1318:
	s_mov_b64 s[2:3], 0
	s_mov_b64 s[4:5], -1
.LBB102_1319:
	s_andn2_b64 vcc, exec, s[2:3]
	s_mov_b64 s[2:3], 0
	s_cbranch_vccnz .LBB102_1330
; %bb.1320:
	s_cmp_gt_i32 s22, 14
	s_cbranch_scc0 .LBB102_1323
; %bb.1321:
	s_cmp_eq_u32 s22, 15
	s_cbranch_scc0 .LBB102_1326
; %bb.1322:
	global_load_ushort v2, v[0:1], off
	s_mov_b64 s[0:1], 0
	s_mov_b64 s[4:5], -1
	s_waitcnt vmcnt(0)
	v_lshlrev_b32_e32 v2, 16, v2
	v_cvt_i32_f32_e32 v2, v2
	s_branch .LBB102_1327
.LBB102_1323:
	s_mov_b64 s[20:21], -1
                                        ; implicit-def: $vgpr2
	s_branch .LBB102_1328
.LBB102_1324:
	s_andn2_saveexec_b64 s[2:3], s[2:3]
	s_cbranch_execz .LBB102_1305
.LBB102_1325:
	v_cmp_ne_u16_e32 vcc, 0, v3
	s_andn2_b64 s[4:5], s[4:5], exec
	s_and_b64 s[20:21], vcc, exec
	s_or_b64 s[4:5], s[4:5], s[20:21]
	s_or_b64 exec, exec, s[2:3]
	v_mov_b32_e32 v2, 0
	s_and_saveexec_b64 s[2:3], s[4:5]
	s_cbranch_execnz .LBB102_1306
	s_branch .LBB102_1307
.LBB102_1326:
	s_mov_b64 s[0:1], -1
                                        ; implicit-def: $vgpr2
.LBB102_1327:
	s_mov_b64 s[20:21], 0
.LBB102_1328:
	s_and_b64 vcc, exec, s[20:21]
	s_cbranch_vccz .LBB102_1330
; %bb.1329:
	s_cmp_lg_u32 s22, 11
	s_mov_b64 s[2:3], -1
	s_cselect_b64 s[0:1], -1, 0
.LBB102_1330:
	s_and_b64 vcc, exec, s[0:1]
	s_cbranch_vccnz .LBB102_1393
; %bb.1331:
	s_andn2_b64 vcc, exec, s[2:3]
	s_cbranch_vccnz .LBB102_1333
.LBB102_1332:
	global_load_ubyte v2, v[0:1], off
	s_mov_b64 s[4:5], -1
	s_waitcnt vmcnt(0)
	v_cmp_ne_u16_e32 vcc, 0, v2
	v_cndmask_b32_e64 v2, 0, 1, vcc
.LBB102_1333:
	s_branch .LBB102_1265
.LBB102_1334:
	s_cmp_lt_i32 s22, 5
	s_cbranch_scc1 .LBB102_1339
; %bb.1335:
	s_cmp_lt_i32 s22, 8
	s_cbranch_scc1 .LBB102_1340
; %bb.1336:
	;; [unrolled: 3-line block ×3, first 2 shown]
	s_cmp_gt_i32 s22, 9
	s_cbranch_scc0 .LBB102_1342
; %bb.1338:
	global_load_dwordx2 v[2:3], v[0:1], off
	s_mov_b64 s[0:1], 0
	s_waitcnt vmcnt(0)
	v_cvt_i32_f64_e32 v2, v[2:3]
	s_branch .LBB102_1343
.LBB102_1339:
	s_mov_b64 s[0:1], -1
                                        ; implicit-def: $vgpr2
	s_branch .LBB102_1361
.LBB102_1340:
	s_mov_b64 s[0:1], -1
                                        ; implicit-def: $vgpr2
	s_branch .LBB102_1349
.LBB102_1341:
	s_mov_b64 s[0:1], -1
                                        ; implicit-def: $vgpr2
	s_branch .LBB102_1346
.LBB102_1342:
	s_mov_b64 s[0:1], -1
                                        ; implicit-def: $vgpr2
.LBB102_1343:
	s_andn2_b64 vcc, exec, s[0:1]
	s_cbranch_vccnz .LBB102_1345
; %bb.1344:
	global_load_dword v2, v[0:1], off
	s_waitcnt vmcnt(0)
	v_cvt_i32_f32_e32 v2, v2
.LBB102_1345:
	s_mov_b64 s[0:1], 0
.LBB102_1346:
	s_andn2_b64 vcc, exec, s[0:1]
	s_cbranch_vccnz .LBB102_1348
; %bb.1347:
	global_load_dword v2, v[0:1], off
	s_waitcnt vmcnt(0)
	v_cvt_i16_f16_e32 v2, v2
.LBB102_1348:
	s_mov_b64 s[0:1], 0
.LBB102_1349:
	s_andn2_b64 vcc, exec, s[0:1]
	s_cbranch_vccnz .LBB102_1360
; %bb.1350:
	s_cmp_lt_i32 s22, 6
	s_cbranch_scc1 .LBB102_1353
; %bb.1351:
	s_cmp_gt_i32 s22, 6
	s_cbranch_scc0 .LBB102_1354
; %bb.1352:
	global_load_dwordx2 v[2:3], v[0:1], off
	s_mov_b64 s[0:1], 0
	s_waitcnt vmcnt(0)
	v_cvt_i32_f64_e32 v2, v[2:3]
	s_branch .LBB102_1355
.LBB102_1353:
	s_mov_b64 s[0:1], -1
                                        ; implicit-def: $vgpr2
	s_branch .LBB102_1358
.LBB102_1354:
	s_mov_b64 s[0:1], -1
                                        ; implicit-def: $vgpr2
.LBB102_1355:
	s_andn2_b64 vcc, exec, s[0:1]
	s_cbranch_vccnz .LBB102_1357
; %bb.1356:
	global_load_dword v2, v[0:1], off
	s_waitcnt vmcnt(0)
	v_cvt_i32_f32_e32 v2, v2
.LBB102_1357:
	s_mov_b64 s[0:1], 0
.LBB102_1358:
	s_andn2_b64 vcc, exec, s[0:1]
	s_cbranch_vccnz .LBB102_1360
; %bb.1359:
	global_load_ushort v2, v[0:1], off
	s_waitcnt vmcnt(0)
	v_cvt_i16_f16_e32 v2, v2
.LBB102_1360:
	s_mov_b64 s[0:1], 0
.LBB102_1361:
	s_andn2_b64 vcc, exec, s[0:1]
	s_cbranch_vccnz .LBB102_1381
; %bb.1362:
	s_cmp_lt_i32 s22, 2
	s_cbranch_scc1 .LBB102_1366
; %bb.1363:
	s_cmp_lt_i32 s22, 3
	s_cbranch_scc1 .LBB102_1367
; %bb.1364:
	s_cmp_gt_i32 s22, 3
	s_cbranch_scc0 .LBB102_1368
; %bb.1365:
	global_load_dwordx2 v[2:3], v[0:1], off
	s_mov_b64 s[0:1], 0
	s_branch .LBB102_1369
.LBB102_1366:
	s_mov_b64 s[0:1], -1
                                        ; implicit-def: $vgpr2
	s_branch .LBB102_1375
.LBB102_1367:
	s_mov_b64 s[0:1], -1
                                        ; implicit-def: $vgpr2
	s_branch .LBB102_1372
.LBB102_1368:
	s_mov_b64 s[0:1], -1
                                        ; implicit-def: $vgpr2
.LBB102_1369:
	s_andn2_b64 vcc, exec, s[0:1]
	s_cbranch_vccnz .LBB102_1371
; %bb.1370:
	global_load_dword v2, v[0:1], off
.LBB102_1371:
	s_mov_b64 s[0:1], 0
.LBB102_1372:
	s_andn2_b64 vcc, exec, s[0:1]
	s_cbranch_vccnz .LBB102_1374
; %bb.1373:
	global_load_ushort v2, v[0:1], off
.LBB102_1374:
	s_mov_b64 s[0:1], 0
.LBB102_1375:
	s_andn2_b64 vcc, exec, s[0:1]
	s_cbranch_vccnz .LBB102_1381
; %bb.1376:
	s_cmp_gt_i32 s22, 0
	s_cbranch_scc0 .LBB102_1378
; %bb.1377:
	global_load_sbyte v2, v[0:1], off
	s_mov_b64 s[0:1], 0
	s_branch .LBB102_1379
.LBB102_1378:
	s_mov_b64 s[0:1], -1
                                        ; implicit-def: $vgpr2
.LBB102_1379:
	s_andn2_b64 vcc, exec, s[0:1]
	s_cbranch_vccnz .LBB102_1381
; %bb.1380:
	global_load_ubyte v2, v[0:1], off
.LBB102_1381:
.LBB102_1382:
	v_add_u32_e32 v0, s13, v5
	v_ashrrev_i32_e32 v1, 31, v0
	s_waitcnt vmcnt(0)
	v_mov_b32_e32 v3, s11
	v_add_co_u32_e32 v7, vcc, s10, v0
	s_cmp_lt_i32 s22, 11
	v_addc_co_u32_e32 v8, vcc, v3, v1, vcc
	s_cbranch_scc1 .LBB102_1389
; %bb.1383:
	s_cmp_gt_i32 s22, 25
	s_mov_b64 s[2:3], 0
	s_cbranch_scc0 .LBB102_1390
; %bb.1384:
	s_cmp_gt_i32 s22, 28
	s_cbranch_scc0 .LBB102_1391
; %bb.1385:
	s_cmp_gt_i32 s22, 43
	;; [unrolled: 3-line block ×3, first 2 shown]
	s_cbranch_scc0 .LBB102_1394
; %bb.1387:
	s_cmp_eq_u32 s22, 46
	s_mov_b64 s[10:11], 0
	s_cbranch_scc0 .LBB102_1395
; %bb.1388:
	global_load_dword v0, v[7:8], off
	s_mov_b64 s[0:1], 0
	s_mov_b64 s[4:5], -1
	s_waitcnt vmcnt(0)
	v_lshlrev_b32_e32 v0, 16, v0
	v_cvt_i32_f32_e32 v0, v0
	s_branch .LBB102_1396
.LBB102_1389:
	s_mov_b64 s[0:1], -1
	s_mov_b64 s[4:5], 0
                                        ; implicit-def: $vgpr0
	s_branch .LBB102_1458
.LBB102_1390:
	s_mov_b64 s[10:11], -1
	s_mov_b64 s[4:5], 0
	s_mov_b64 s[0:1], 0
                                        ; implicit-def: $vgpr0
	s_branch .LBB102_1423
.LBB102_1391:
	s_mov_b64 s[10:11], -1
	s_mov_b64 s[4:5], 0
	s_mov_b64 s[0:1], 0
                                        ; implicit-def: $vgpr0
	s_branch .LBB102_1406
.LBB102_1392:
	s_mov_b64 s[10:11], -1
	s_mov_b64 s[4:5], 0
	s_mov_b64 s[0:1], 0
                                        ; implicit-def: $vgpr0
	s_branch .LBB102_1401
.LBB102_1393:
	s_trap 2
	s_or_b64 s[18:19], s[18:19], exec
	s_cbranch_execz .LBB102_1332
	s_branch .LBB102_1333
.LBB102_1394:
	s_mov_b64 s[10:11], -1
	s_mov_b64 s[4:5], 0
	s_mov_b64 s[0:1], 0
                                        ; implicit-def: $vgpr0
	s_branch .LBB102_1396
.LBB102_1395:
	s_mov_b64 s[0:1], -1
                                        ; implicit-def: $vgpr0
	s_mov_b64 s[4:5], 0
.LBB102_1396:
	s_and_b64 vcc, exec, s[10:11]
	s_cbranch_vccz .LBB102_1400
; %bb.1397:
	s_cmp_eq_u32 s22, 44
	s_cbranch_scc0 .LBB102_1399
; %bb.1398:
	global_load_ubyte v0, v[7:8], off
	s_mov_b64 s[0:1], 0
	s_mov_b64 s[4:5], -1
	s_waitcnt vmcnt(0)
	v_lshlrev_b32_e32 v1, 23, v0
	v_cvt_i32_f32_e32 v1, v1
	v_cmp_ne_u32_e32 vcc, 0, v0
	v_cndmask_b32_e32 v0, 0, v1, vcc
	s_branch .LBB102_1400
.LBB102_1399:
	s_mov_b64 s[0:1], -1
                                        ; implicit-def: $vgpr0
.LBB102_1400:
	s_mov_b64 s[10:11], 0
.LBB102_1401:
	s_and_b64 vcc, exec, s[10:11]
	s_cbranch_vccz .LBB102_1405
; %bb.1402:
	s_cmp_eq_u32 s22, 29
	s_cbranch_scc0 .LBB102_1404
; %bb.1403:
	global_load_dwordx2 v[0:1], v[7:8], off
	s_mov_b64 s[0:1], 0
	s_mov_b64 s[4:5], -1
	s_branch .LBB102_1405
.LBB102_1404:
	s_mov_b64 s[0:1], -1
                                        ; implicit-def: $vgpr0
.LBB102_1405:
	s_mov_b64 s[10:11], 0
.LBB102_1406:
	s_and_b64 vcc, exec, s[10:11]
	s_cbranch_vccz .LBB102_1422
; %bb.1407:
	s_cmp_lt_i32 s22, 27
	s_cbranch_scc1 .LBB102_1410
; %bb.1408:
	s_cmp_gt_i32 s22, 27
	s_cbranch_scc0 .LBB102_1411
; %bb.1409:
	global_load_dword v0, v[7:8], off
	s_mov_b64 s[4:5], 0
	s_branch .LBB102_1412
.LBB102_1410:
	s_mov_b64 s[4:5], -1
                                        ; implicit-def: $vgpr0
	s_branch .LBB102_1415
.LBB102_1411:
	s_mov_b64 s[4:5], -1
                                        ; implicit-def: $vgpr0
.LBB102_1412:
	s_andn2_b64 vcc, exec, s[4:5]
	s_cbranch_vccnz .LBB102_1414
; %bb.1413:
	global_load_ushort v0, v[7:8], off
.LBB102_1414:
	s_mov_b64 s[4:5], 0
.LBB102_1415:
	s_andn2_b64 vcc, exec, s[4:5]
	s_cbranch_vccnz .LBB102_1421
; %bb.1416:
	global_load_ubyte v1, v[7:8], off
	s_movk_i32 s4, 0x7f
	s_mov_b64 s[10:11], 0
	s_waitcnt vmcnt(0)
	v_cmp_lt_i16_e32 vcc, s4, v1
	s_and_saveexec_b64 s[4:5], vcc
	s_xor_b64 s[4:5], exec, s[4:5]
	s_cbranch_execz .LBB102_1433
; %bb.1417:
	s_movk_i32 s10, 0x80
	v_cmp_ne_u16_e32 vcc, s10, v1
	s_and_b64 s[10:11], vcc, exec
	s_andn2_saveexec_b64 s[4:5], s[4:5]
	s_cbranch_execnz .LBB102_1434
.LBB102_1418:
	s_or_b64 exec, exec, s[4:5]
	v_mov_b32_e32 v0, 0
	s_and_saveexec_b64 s[4:5], s[10:11]
	s_cbranch_execz .LBB102_1420
.LBB102_1419:
	v_lshlrev_b32_e32 v0, 24, v1
	v_and_b32_e32 v1, 0xffff, v1
	v_and_b32_e32 v3, 7, v1
	v_ffbh_u32_e32 v10, v3
	v_min_u32_e32 v10, 32, v10
	v_subrev_u32_e32 v11, 28, v10
	v_bfe_u32 v5, v1, 3, 4
	v_lshlrev_b32_e32 v1, v11, v1
	v_sub_u32_e32 v10, 29, v10
	v_and_b32_e32 v1, 7, v1
	v_cmp_eq_u32_e32 vcc, 0, v5
	v_cndmask_b32_e32 v5, v5, v10, vcc
	v_cndmask_b32_e32 v1, v3, v1, vcc
	v_mov_b32_e32 v3, 0x3b800000
	v_lshlrev_b32_e32 v1, 20, v1
	v_and_b32_e32 v0, 0x80000000, v0
	v_lshl_add_u32 v3, v5, 23, v3
	v_or3_b32 v0, v0, v3, v1
	v_cvt_i32_f32_e32 v0, v0
.LBB102_1420:
	s_or_b64 exec, exec, s[4:5]
.LBB102_1421:
	s_mov_b64 s[4:5], -1
.LBB102_1422:
	s_mov_b64 s[10:11], 0
.LBB102_1423:
	s_and_b64 vcc, exec, s[10:11]
	s_cbranch_vccz .LBB102_1454
; %bb.1424:
	s_cmp_gt_i32 s22, 22
	s_cbranch_scc0 .LBB102_1432
; %bb.1425:
	s_cmp_lt_i32 s22, 24
	s_cbranch_scc1 .LBB102_1435
; %bb.1426:
	s_cmp_gt_i32 s22, 24
	s_cbranch_scc0 .LBB102_1436
; %bb.1427:
	global_load_ubyte v1, v[7:8], off
	s_movk_i32 s2, 0x7f
	s_mov_b64 s[4:5], 0
	s_waitcnt vmcnt(0)
	v_cmp_lt_i16_e32 vcc, s2, v1
	s_and_saveexec_b64 s[2:3], vcc
	s_xor_b64 s[2:3], exec, s[2:3]
	s_cbranch_execz .LBB102_1448
; %bb.1428:
	s_movk_i32 s4, 0x80
	v_cmp_ne_u16_e32 vcc, s4, v1
	s_and_b64 s[4:5], vcc, exec
	s_andn2_saveexec_b64 s[2:3], s[2:3]
	s_cbranch_execnz .LBB102_1449
.LBB102_1429:
	s_or_b64 exec, exec, s[2:3]
	v_mov_b32_e32 v0, 0
	s_and_saveexec_b64 s[2:3], s[4:5]
	s_cbranch_execz .LBB102_1431
.LBB102_1430:
	v_lshlrev_b32_e32 v0, 24, v1
	v_and_b32_e32 v1, 0xffff, v1
	v_and_b32_e32 v3, 3, v1
	v_ffbh_u32_e32 v10, v3
	v_min_u32_e32 v10, 32, v10
	v_subrev_u32_e32 v11, 29, v10
	v_bfe_u32 v5, v1, 2, 5
	v_lshlrev_b32_e32 v1, v11, v1
	v_sub_u32_e32 v10, 30, v10
	v_and_b32_e32 v1, 3, v1
	v_cmp_eq_u32_e32 vcc, 0, v5
	v_cndmask_b32_e32 v5, v5, v10, vcc
	v_cndmask_b32_e32 v1, v3, v1, vcc
	v_mov_b32_e32 v3, 0x37800000
	v_lshlrev_b32_e32 v1, 21, v1
	v_and_b32_e32 v0, 0x80000000, v0
	v_lshl_add_u32 v3, v5, 23, v3
	v_or3_b32 v0, v0, v3, v1
	v_cvt_i32_f32_e32 v0, v0
.LBB102_1431:
	s_or_b64 exec, exec, s[2:3]
	s_mov_b64 s[2:3], 0
	s_branch .LBB102_1437
.LBB102_1432:
	s_mov_b64 s[2:3], -1
                                        ; implicit-def: $vgpr0
	s_branch .LBB102_1443
.LBB102_1433:
	s_andn2_saveexec_b64 s[4:5], s[4:5]
	s_cbranch_execz .LBB102_1418
.LBB102_1434:
	v_cmp_ne_u16_e32 vcc, 0, v1
	s_andn2_b64 s[10:11], s[10:11], exec
	s_and_b64 s[20:21], vcc, exec
	s_or_b64 s[10:11], s[10:11], s[20:21]
	s_or_b64 exec, exec, s[4:5]
	v_mov_b32_e32 v0, 0
	s_and_saveexec_b64 s[4:5], s[10:11]
	s_cbranch_execnz .LBB102_1419
	s_branch .LBB102_1420
.LBB102_1435:
	s_mov_b64 s[2:3], -1
                                        ; implicit-def: $vgpr0
	s_branch .LBB102_1440
.LBB102_1436:
	s_mov_b64 s[2:3], -1
                                        ; implicit-def: $vgpr0
.LBB102_1437:
	s_and_b64 vcc, exec, s[2:3]
	s_cbranch_vccz .LBB102_1439
; %bb.1438:
	global_load_ubyte v0, v[7:8], off
	s_mov_b32 s2, 0x7f800000
	s_waitcnt vmcnt(0)
	v_lshlrev_b32_e32 v0, 24, v0
	v_and_b32_e32 v1, 0x7f000000, v0
	v_ffbh_u32_e32 v3, v1
	v_min_u32_e32 v3, 32, v3
	v_sub_u32_e64 v3, v3, 4 clamp
	v_lshlrev_b32_e32 v10, v3, v1
	v_lshlrev_b32_e32 v3, 23, v3
	v_lshrrev_b32_e32 v10, 4, v10
	v_add_u32_e32 v5, 0x1000000, v1
	v_sub_u32_e32 v3, v10, v3
	v_ashrrev_i32_e32 v5, 8, v5
	v_add_u32_e32 v3, 0x3c000000, v3
	v_and_or_b32 v3, v5, s2, v3
	v_cmp_ne_u32_e32 vcc, 0, v1
	v_cndmask_b32_e32 v1, 0, v3, vcc
	s_brev_b32 s2, 1
	v_and_or_b32 v0, v0, s2, v1
	v_cvt_i32_f32_e32 v0, v0
.LBB102_1439:
	s_mov_b64 s[2:3], 0
.LBB102_1440:
	s_andn2_b64 vcc, exec, s[2:3]
	s_cbranch_vccnz .LBB102_1442
; %bb.1441:
	global_load_ubyte v0, v[7:8], off
	s_movk_i32 s2, 0x7f00
	s_brev_b32 s3, 16
	s_waitcnt vmcnt(0)
	v_lshlrev_b16_e32 v1, 8, v0
	v_lshlrev_b32_e32 v0, 25, v0
	v_lshrrev_b32_e32 v3, 4, v0
	v_and_or_b32 v5, v1, s2, 0.5
	v_or_b32_e32 v3, 0x70000000, v3
	v_add_f32_e32 v5, -0.5, v5
	v_mul_f32_e32 v3, 0x7800000, v3
	v_cmp_gt_u32_e32 vcc, s3, v0
	v_bfe_i32 v1, v1, 0, 16
	v_cndmask_b32_e32 v0, v3, v5, vcc
	s_brev_b32 s2, 1
	v_and_or_b32 v0, v1, s2, v0
	v_cvt_i32_f32_e32 v0, v0
.LBB102_1442:
	s_mov_b64 s[2:3], 0
	s_mov_b64 s[4:5], -1
.LBB102_1443:
	s_andn2_b64 vcc, exec, s[2:3]
	s_mov_b64 s[2:3], 0
	s_cbranch_vccnz .LBB102_1454
; %bb.1444:
	s_cmp_gt_i32 s22, 14
	s_cbranch_scc0 .LBB102_1447
; %bb.1445:
	s_cmp_eq_u32 s22, 15
	s_cbranch_scc0 .LBB102_1450
; %bb.1446:
	global_load_ushort v0, v[7:8], off
	s_mov_b64 s[0:1], 0
	s_mov_b64 s[4:5], -1
	s_waitcnt vmcnt(0)
	v_lshlrev_b32_e32 v0, 16, v0
	v_cvt_i32_f32_e32 v0, v0
	s_branch .LBB102_1451
.LBB102_1447:
	s_mov_b64 s[10:11], -1
                                        ; implicit-def: $vgpr0
	s_branch .LBB102_1452
.LBB102_1448:
	s_andn2_saveexec_b64 s[2:3], s[2:3]
	s_cbranch_execz .LBB102_1429
.LBB102_1449:
	v_cmp_ne_u16_e32 vcc, 0, v1
	s_andn2_b64 s[4:5], s[4:5], exec
	s_and_b64 s[10:11], vcc, exec
	s_or_b64 s[4:5], s[4:5], s[10:11]
	s_or_b64 exec, exec, s[2:3]
	v_mov_b32_e32 v0, 0
	s_and_saveexec_b64 s[2:3], s[4:5]
	s_cbranch_execnz .LBB102_1430
	s_branch .LBB102_1431
.LBB102_1450:
	s_mov_b64 s[0:1], -1
                                        ; implicit-def: $vgpr0
.LBB102_1451:
	s_mov_b64 s[10:11], 0
.LBB102_1452:
	s_and_b64 vcc, exec, s[10:11]
	s_cbranch_vccz .LBB102_1454
; %bb.1453:
	s_cmp_lg_u32 s22, 11
	s_mov_b64 s[2:3], -1
	s_cselect_b64 s[0:1], -1, 0
.LBB102_1454:
	s_and_b64 vcc, exec, s[0:1]
	s_cbranch_vccnz .LBB102_1987
; %bb.1455:
	s_andn2_b64 vcc, exec, s[2:3]
	s_cbranch_vccnz .LBB102_1457
.LBB102_1456:
	global_load_ubyte v0, v[7:8], off
	s_mov_b64 s[4:5], -1
	s_waitcnt vmcnt(0)
	v_cmp_ne_u16_e32 vcc, 0, v0
	v_cndmask_b32_e64 v0, 0, 1, vcc
.LBB102_1457:
	s_mov_b64 s[0:1], 0
.LBB102_1458:
	s_and_b64 vcc, exec, s[0:1]
	s_cbranch_vccz .LBB102_1507
; %bb.1459:
	s_cmp_lt_i32 s22, 5
	s_cbranch_scc1 .LBB102_1464
; %bb.1460:
	s_cmp_lt_i32 s22, 8
	s_cbranch_scc1 .LBB102_1465
	;; [unrolled: 3-line block ×3, first 2 shown]
; %bb.1462:
	s_cmp_gt_i32 s22, 9
	s_cbranch_scc0 .LBB102_1467
; %bb.1463:
	global_load_dwordx2 v[0:1], v[7:8], off
	s_mov_b64 s[0:1], 0
	s_waitcnt vmcnt(0)
	v_cvt_i32_f64_e32 v0, v[0:1]
	s_branch .LBB102_1468
.LBB102_1464:
	s_mov_b64 s[0:1], -1
                                        ; implicit-def: $vgpr0
	s_branch .LBB102_1486
.LBB102_1465:
	s_mov_b64 s[0:1], -1
                                        ; implicit-def: $vgpr0
	s_branch .LBB102_1474
.LBB102_1466:
	s_mov_b64 s[0:1], -1
                                        ; implicit-def: $vgpr0
	s_branch .LBB102_1471
.LBB102_1467:
	s_mov_b64 s[0:1], -1
                                        ; implicit-def: $vgpr0
.LBB102_1468:
	s_andn2_b64 vcc, exec, s[0:1]
	s_cbranch_vccnz .LBB102_1470
; %bb.1469:
	global_load_dword v0, v[7:8], off
	s_waitcnt vmcnt(0)
	v_cvt_i32_f32_e32 v0, v0
.LBB102_1470:
	s_mov_b64 s[0:1], 0
.LBB102_1471:
	s_andn2_b64 vcc, exec, s[0:1]
	s_cbranch_vccnz .LBB102_1473
; %bb.1472:
	global_load_dword v0, v[7:8], off
	s_waitcnt vmcnt(0)
	v_cvt_i16_f16_e32 v0, v0
.LBB102_1473:
	s_mov_b64 s[0:1], 0
.LBB102_1474:
	s_andn2_b64 vcc, exec, s[0:1]
	s_cbranch_vccnz .LBB102_1485
; %bb.1475:
	s_cmp_lt_i32 s22, 6
	s_cbranch_scc1 .LBB102_1478
; %bb.1476:
	s_cmp_gt_i32 s22, 6
	s_cbranch_scc0 .LBB102_1479
; %bb.1477:
	global_load_dwordx2 v[0:1], v[7:8], off
	s_mov_b64 s[0:1], 0
	s_waitcnt vmcnt(0)
	v_cvt_i32_f64_e32 v0, v[0:1]
	s_branch .LBB102_1480
.LBB102_1478:
	s_mov_b64 s[0:1], -1
                                        ; implicit-def: $vgpr0
	s_branch .LBB102_1483
.LBB102_1479:
	s_mov_b64 s[0:1], -1
                                        ; implicit-def: $vgpr0
.LBB102_1480:
	s_andn2_b64 vcc, exec, s[0:1]
	s_cbranch_vccnz .LBB102_1482
; %bb.1481:
	global_load_dword v0, v[7:8], off
	s_waitcnt vmcnt(0)
	v_cvt_i32_f32_e32 v0, v0
.LBB102_1482:
	s_mov_b64 s[0:1], 0
.LBB102_1483:
	s_andn2_b64 vcc, exec, s[0:1]
	s_cbranch_vccnz .LBB102_1485
; %bb.1484:
	global_load_ushort v0, v[7:8], off
	s_waitcnt vmcnt(0)
	v_cvt_i16_f16_e32 v0, v0
.LBB102_1485:
	s_mov_b64 s[0:1], 0
.LBB102_1486:
	s_andn2_b64 vcc, exec, s[0:1]
	s_cbranch_vccnz .LBB102_1506
; %bb.1487:
	s_cmp_lt_i32 s22, 2
	s_cbranch_scc1 .LBB102_1491
; %bb.1488:
	s_cmp_lt_i32 s22, 3
	s_cbranch_scc1 .LBB102_1492
; %bb.1489:
	s_cmp_gt_i32 s22, 3
	s_cbranch_scc0 .LBB102_1493
; %bb.1490:
	global_load_dwordx2 v[0:1], v[7:8], off
	s_mov_b64 s[0:1], 0
	s_branch .LBB102_1494
.LBB102_1491:
	s_mov_b64 s[0:1], -1
                                        ; implicit-def: $vgpr0
	s_branch .LBB102_1500
.LBB102_1492:
	s_mov_b64 s[0:1], -1
                                        ; implicit-def: $vgpr0
	s_branch .LBB102_1497
.LBB102_1493:
	s_mov_b64 s[0:1], -1
                                        ; implicit-def: $vgpr0
.LBB102_1494:
	s_andn2_b64 vcc, exec, s[0:1]
	s_cbranch_vccnz .LBB102_1496
; %bb.1495:
	global_load_dword v0, v[7:8], off
.LBB102_1496:
	s_mov_b64 s[0:1], 0
.LBB102_1497:
	s_andn2_b64 vcc, exec, s[0:1]
	s_cbranch_vccnz .LBB102_1499
; %bb.1498:
	global_load_ushort v0, v[7:8], off
.LBB102_1499:
	s_mov_b64 s[0:1], 0
.LBB102_1500:
	s_andn2_b64 vcc, exec, s[0:1]
	s_cbranch_vccnz .LBB102_1506
; %bb.1501:
	s_cmp_gt_i32 s22, 0
	s_cbranch_scc0 .LBB102_1503
; %bb.1502:
	global_load_sbyte v0, v[7:8], off
	s_mov_b64 s[0:1], 0
	s_branch .LBB102_1504
.LBB102_1503:
	s_mov_b64 s[0:1], -1
                                        ; implicit-def: $vgpr0
.LBB102_1504:
	s_andn2_b64 vcc, exec, s[0:1]
	s_cbranch_vccnz .LBB102_1506
; %bb.1505:
	global_load_ubyte v0, v[7:8], off
.LBB102_1506:
	s_mov_b64 s[4:5], -1
.LBB102_1507:
	s_andn2_b64 vcc, exec, s[4:5]
	s_cbranch_vccnz .LBB102_1941
; %bb.1508:
	s_waitcnt vmcnt(0)
	v_mul_lo_u32 v1, s12, v9
	s_sext_i32_i16 s0, s14
	s_sext_i32_i16 s1, s15
	s_cmp_gt_i32 s1, s0
	v_mov_b32_e32 v3, s33
	s_cselect_b64 s[0:1], -1, 0
	v_cndmask_b32_e64 v3, v3, v6, s[0:1]
	v_ashrrev_i32_e32 v6, 31, v1
	v_mov_b32_e32 v7, s9
	s_and_b32 s22, s46, 0xff
	v_add_co_u32_e32 v5, vcc, s8, v1
	s_cmp_lt_i32 s22, 11
	v_addc_co_u32_e32 v6, vcc, v7, v6, vcc
	s_cbranch_scc1 .LBB102_1586
; %bb.1509:
	s_and_b32 s13, 0xffff, s22
	s_mov_b64 s[14:15], -1
	s_mov_b64 s[4:5], 0
	s_cmp_gt_i32 s13, 25
	s_mov_b64 s[10:11], 0
	s_mov_b64 s[2:3], 0
	s_cbranch_scc0 .LBB102_1542
; %bb.1510:
	s_cmp_gt_i32 s13, 28
	s_cbranch_scc0 .LBB102_1525
; %bb.1511:
	s_cmp_gt_i32 s13, 43
	;; [unrolled: 3-line block ×3, first 2 shown]
	s_cbranch_scc0 .LBB102_1515
; %bb.1513:
	s_mov_b64 s[2:3], -1
	s_mov_b64 s[14:15], 0
	s_cmp_eq_u32 s13, 46
	s_cbranch_scc0 .LBB102_1515
; %bb.1514:
	v_cvt_f32_i32_sdwa v7, sext(v3) dst_sel:DWORD dst_unused:UNUSED_PAD src0_sel:WORD_0
	s_movk_i32 s10, 0x7fff
	s_mov_b64 s[2:3], 0
	v_bfe_u32 v8, v7, 16, 1
	v_add3_u32 v7, v7, v8, s10
	v_lshrrev_b32_e32 v7, 16, v7
	global_store_dword v[5:6], v7, off
	s_mov_b64 s[10:11], -1
.LBB102_1515:
	s_and_b64 vcc, exec, s[14:15]
	s_cbranch_vccz .LBB102_1520
; %bb.1516:
	s_cmp_eq_u32 s13, 44
	s_mov_b64 s[2:3], -1
	s_cbranch_scc0 .LBB102_1520
; %bb.1517:
	v_cvt_f32_i32_sdwa v7, sext(v3) dst_sel:DWORD dst_unused:UNUSED_PAD src0_sel:WORD_0
	s_movk_i32 s2, 0xff
	v_mov_b32_e32 v9, 0xff
	v_bfe_u32 v8, v7, 23, 8
	v_cmp_ne_u32_e32 vcc, s2, v8
	s_and_saveexec_b64 s[10:11], vcc
; %bb.1518:
	s_mov_b32 s2, 0x3fffff
	v_lshrrev_b32_e32 v9, 23, v7
	v_and_b32_e32 v10, 0x400000, v7
	v_and_or_b32 v7, v7, s2, v8
	v_cmp_ne_u32_e32 vcc, 0, v10
	v_cmp_ne_u32_e64 s[2:3], 0, v7
	s_and_b64 s[2:3], vcc, s[2:3]
	v_cndmask_b32_e64 v7, 0, 1, s[2:3]
	v_add_u32_e32 v9, v9, v7
; %bb.1519:
	s_or_b64 exec, exec, s[10:11]
	s_mov_b64 s[2:3], 0
	s_mov_b64 s[10:11], -1
	global_store_byte v[5:6], v9, off
.LBB102_1520:
	s_mov_b64 s[14:15], 0
.LBB102_1521:
	s_and_b64 vcc, exec, s[14:15]
	s_cbranch_vccz .LBB102_1524
; %bb.1522:
	s_cmp_eq_u32 s13, 29
	s_mov_b64 s[2:3], -1
	s_cbranch_scc0 .LBB102_1524
; %bb.1523:
	v_bfe_i32 v7, v3, 0, 16
	v_ashrrev_i32_e32 v8, 31, v7
	global_store_dwordx2 v[5:6], v[7:8], off
	s_mov_b64 s[2:3], 0
	s_mov_b64 s[10:11], -1
.LBB102_1524:
	s_mov_b64 s[14:15], 0
.LBB102_1525:
	s_and_b64 vcc, exec, s[14:15]
	s_cbranch_vccz .LBB102_1541
; %bb.1526:
	s_cmp_lt_i32 s13, 27
	s_mov_b64 s[10:11], -1
	s_cbranch_scc1 .LBB102_1532
; %bb.1527:
	s_cmp_gt_i32 s13, 27
	s_cbranch_scc0 .LBB102_1529
; %bb.1528:
	v_bfe_i32 v7, v3, 0, 16
	s_mov_b64 s[10:11], 0
	global_store_dword v[5:6], v7, off
.LBB102_1529:
	s_andn2_b64 vcc, exec, s[10:11]
	s_cbranch_vccnz .LBB102_1531
; %bb.1530:
	global_store_short v[5:6], v3, off
.LBB102_1531:
	s_mov_b64 s[10:11], 0
.LBB102_1532:
	s_andn2_b64 vcc, exec, s[10:11]
	s_cbranch_vccnz .LBB102_1540
; %bb.1533:
	v_cvt_f32_i32_sdwa v7, sext(v3) dst_sel:DWORD dst_unused:UNUSED_PAD src0_sel:WORD_0
	s_mov_b32 s10, 0x43800000
	v_mov_b32_e32 v9, 0x80
	v_and_b32_e32 v8, 0x7fffffff, v7
	v_cmp_gt_u32_e32 vcc, s10, v8
	s_and_saveexec_b64 s[10:11], vcc
	s_cbranch_execz .LBB102_1539
; %bb.1534:
	s_mov_b32 s14, 0x3bffffff
	v_cmp_lt_u32_e32 vcc, s14, v8
	s_mov_b64 s[14:15], 0
                                        ; implicit-def: $vgpr8
	s_and_saveexec_b64 s[20:21], vcc
	s_xor_b64 s[20:21], exec, s[20:21]
	s_cbranch_execz .LBB102_1988
; %bb.1535:
	v_bfe_u32 v8, v7, 20, 1
	s_mov_b32 s23, 0x487ffff
	v_add3_u32 v8, v7, v8, s23
	s_mov_b64 s[14:15], exec
	v_lshrrev_b32_e32 v8, 20, v8
	s_andn2_saveexec_b64 s[20:21], s[20:21]
	s_cbranch_execnz .LBB102_1989
.LBB102_1536:
	s_or_b64 exec, exec, s[20:21]
	v_mov_b32_e32 v9, 0
	s_and_saveexec_b64 s[20:21], s[14:15]
.LBB102_1537:
	v_lshrrev_b32_e32 v7, 24, v7
	s_movk_i32 s14, 0x80
	v_and_or_b32 v9, v7, s14, v8
.LBB102_1538:
	s_or_b64 exec, exec, s[20:21]
.LBB102_1539:
	s_or_b64 exec, exec, s[10:11]
	global_store_byte v[5:6], v9, off
.LBB102_1540:
	s_mov_b64 s[10:11], -1
.LBB102_1541:
	s_mov_b64 s[14:15], 0
.LBB102_1542:
	s_and_b64 vcc, exec, s[14:15]
	s_cbranch_vccz .LBB102_1582
; %bb.1543:
	s_cmp_gt_i32 s13, 22
	s_mov_b64 s[4:5], -1
	s_cbranch_scc0 .LBB102_1575
; %bb.1544:
	s_cmp_lt_i32 s13, 24
	s_cbranch_scc1 .LBB102_1564
; %bb.1545:
	s_cmp_gt_i32 s13, 24
	s_cbranch_scc0 .LBB102_1553
; %bb.1546:
	v_cvt_f32_i32_sdwa v7, sext(v3) dst_sel:DWORD dst_unused:UNUSED_PAD src0_sel:WORD_0
	s_mov_b32 s4, 0x47800000
	v_mov_b32_e32 v9, 0x80
	v_and_b32_e32 v8, 0x7fffffff, v7
	v_cmp_gt_u32_e32 vcc, s4, v8
	s_and_saveexec_b64 s[4:5], vcc
	s_cbranch_execz .LBB102_1552
; %bb.1547:
	s_mov_b32 s10, 0x37ffffff
	v_cmp_lt_u32_e32 vcc, s10, v8
	s_mov_b64 s[10:11], 0
                                        ; implicit-def: $vgpr8
	s_and_saveexec_b64 s[14:15], vcc
	s_xor_b64 s[14:15], exec, s[14:15]
	s_cbranch_execz .LBB102_1991
; %bb.1548:
	v_bfe_u32 v8, v7, 21, 1
	s_mov_b32 s20, 0x88fffff
	v_add3_u32 v8, v7, v8, s20
	s_mov_b64 s[10:11], exec
	v_lshrrev_b32_e32 v8, 21, v8
	s_andn2_saveexec_b64 s[14:15], s[14:15]
	s_cbranch_execnz .LBB102_1992
.LBB102_1549:
	s_or_b64 exec, exec, s[14:15]
	v_mov_b32_e32 v9, 0
	s_and_saveexec_b64 s[14:15], s[10:11]
.LBB102_1550:
	v_lshrrev_b32_e32 v7, 24, v7
	s_movk_i32 s10, 0x80
	v_and_or_b32 v9, v7, s10, v8
.LBB102_1551:
	s_or_b64 exec, exec, s[14:15]
.LBB102_1552:
	s_or_b64 exec, exec, s[4:5]
	s_mov_b64 s[4:5], 0
	global_store_byte v[5:6], v9, off
.LBB102_1553:
	s_and_b64 vcc, exec, s[4:5]
	s_cbranch_vccz .LBB102_1563
; %bb.1554:
	v_cvt_f32_i32_sdwa v7, sext(v3) dst_sel:DWORD dst_unused:UNUSED_PAD src0_sel:WORD_0
	s_mov_b32 s4, 0x43f00000
                                        ; implicit-def: $vgpr8
	v_and_b32_e32 v9, 0x7fffffff, v7
	v_cmp_gt_u32_e32 vcc, s4, v9
	s_and_saveexec_b64 s[4:5], vcc
	s_xor_b64 s[4:5], exec, s[4:5]
	s_cbranch_execz .LBB102_1560
; %bb.1555:
	s_mov_b32 s10, 0x3c7fffff
	v_cmp_lt_u32_e32 vcc, s10, v9
                                        ; implicit-def: $vgpr8
	s_and_saveexec_b64 s[10:11], vcc
	s_xor_b64 s[10:11], exec, s[10:11]
; %bb.1556:
	v_bfe_u32 v8, v7, 20, 1
	s_mov_b32 s14, 0x407ffff
	v_add3_u32 v8, v7, v8, s14
	v_lshrrev_b32_e32 v9, 20, v8
	v_and_b32_e32 v8, 0xff00000, v8
	s_mov_b32 s14, 0x7f00000
	v_mov_b32_e32 v10, 0x7e
	v_cmp_ne_u32_e32 vcc, s14, v8
	v_cndmask_b32_e32 v8, v10, v9, vcc
; %bb.1557:
	s_andn2_saveexec_b64 s[10:11], s[10:11]
; %bb.1558:
	s_mov_b32 s14, 0x46800000
	v_add_f32_e64 v8, |v7|, s14
; %bb.1559:
	s_or_b64 exec, exec, s[10:11]
                                        ; implicit-def: $vgpr9
.LBB102_1560:
	s_andn2_saveexec_b64 s[4:5], s[4:5]
; %bb.1561:
	s_mov_b32 s10, 0x7f800000
	v_mov_b32_e32 v8, 0x7e
	v_mov_b32_e32 v10, 0x7f
	v_cmp_lt_u32_e32 vcc, s10, v9
	v_cndmask_b32_e32 v8, v8, v10, vcc
; %bb.1562:
	s_or_b64 exec, exec, s[4:5]
	v_lshrrev_b32_e32 v7, 24, v7
	s_movk_i32 s4, 0x80
	v_and_or_b32 v7, v7, s4, v8
	global_store_byte v[5:6], v7, off
.LBB102_1563:
	s_mov_b64 s[4:5], 0
.LBB102_1564:
	s_andn2_b64 vcc, exec, s[4:5]
	s_cbranch_vccnz .LBB102_1574
; %bb.1565:
	v_cvt_f32_i32_sdwa v7, sext(v3) dst_sel:DWORD dst_unused:UNUSED_PAD src0_sel:WORD_0
	s_mov_b32 s4, 0x47800000
                                        ; implicit-def: $vgpr8
	v_and_b32_e32 v9, 0x7fffffff, v7
	v_cmp_gt_u32_e32 vcc, s4, v9
	s_and_saveexec_b64 s[4:5], vcc
	s_xor_b64 s[4:5], exec, s[4:5]
	s_cbranch_execz .LBB102_1571
; %bb.1566:
	s_mov_b32 s10, 0x387fffff
	v_cmp_lt_u32_e32 vcc, s10, v9
                                        ; implicit-def: $vgpr8
	s_and_saveexec_b64 s[10:11], vcc
	s_xor_b64 s[10:11], exec, s[10:11]
; %bb.1567:
	v_bfe_u32 v8, v7, 21, 1
	s_mov_b32 s14, 0x80fffff
	v_add3_u32 v8, v7, v8, s14
	v_lshrrev_b32_e32 v8, 21, v8
; %bb.1568:
	s_andn2_saveexec_b64 s[10:11], s[10:11]
; %bb.1569:
	s_mov_b32 s14, 0x43000000
	v_add_f32_e64 v8, |v7|, s14
; %bb.1570:
	s_or_b64 exec, exec, s[10:11]
                                        ; implicit-def: $vgpr9
.LBB102_1571:
	s_andn2_saveexec_b64 s[4:5], s[4:5]
; %bb.1572:
	s_mov_b32 s10, 0x7f800000
	v_mov_b32_e32 v8, 0x7c
	v_mov_b32_e32 v10, 0x7f
	v_cmp_lt_u32_e32 vcc, s10, v9
	v_cndmask_b32_e32 v8, v8, v10, vcc
; %bb.1573:
	s_or_b64 exec, exec, s[4:5]
	v_lshrrev_b32_e32 v7, 24, v7
	s_movk_i32 s4, 0x80
	v_and_or_b32 v7, v7, s4, v8
	global_store_byte v[5:6], v7, off
.LBB102_1574:
	s_mov_b64 s[4:5], 0
	s_mov_b64 s[10:11], -1
.LBB102_1575:
	s_andn2_b64 vcc, exec, s[4:5]
	s_mov_b64 s[4:5], 0
	s_cbranch_vccnz .LBB102_1582
; %bb.1576:
	s_cmp_gt_i32 s13, 14
	s_mov_b64 s[14:15], -1
	s_cbranch_scc0 .LBB102_1580
; %bb.1577:
	s_cmp_eq_u32 s13, 15
	s_mov_b64 s[2:3], -1
	s_cbranch_scc0 .LBB102_1579
; %bb.1578:
	v_cvt_f32_i32_sdwa v7, sext(v3) dst_sel:DWORD dst_unused:UNUSED_PAD src0_sel:WORD_0
	s_movk_i32 s4, 0x7fff
	s_mov_b64 s[2:3], 0
	s_mov_b64 s[10:11], -1
	v_bfe_u32 v8, v7, 16, 1
	v_add3_u32 v7, v7, v8, s4
	global_store_short_d16_hi v[5:6], v7, off
.LBB102_1579:
	s_mov_b64 s[14:15], 0
.LBB102_1580:
	s_mov_b64 s[4:5], 0
	s_and_b64 vcc, exec, s[14:15]
	s_cbranch_vccz .LBB102_1582
; %bb.1581:
	s_cmp_lg_u32 s13, 11
	s_mov_b64 s[4:5], -1
	s_cselect_b64 s[2:3], -1, 0
.LBB102_1582:
	s_and_b64 vcc, exec, s[2:3]
	s_cbranch_vccnz .LBB102_1990
; %bb.1583:
	s_andn2_b64 vcc, exec, s[4:5]
	s_cbranch_vccnz .LBB102_1585
.LBB102_1584:
	v_cmp_ne_u16_e32 vcc, 0, v3
	v_cndmask_b32_e64 v7, 0, 1, vcc
	s_mov_b64 s[10:11], -1
	global_store_byte v[5:6], v7, off
.LBB102_1585:
	s_mov_b64 s[2:3], 0
	s_branch .LBB102_1587
.LBB102_1586:
	s_mov_b64 s[2:3], -1
	s_mov_b64 s[10:11], 0
.LBB102_1587:
	s_and_b64 vcc, exec, s[2:3]
	s_cbranch_vccz .LBB102_1626
; %bb.1588:
	s_and_b32 s4, 0xffff, s22
	s_cmp_lt_i32 s4, 5
	s_mov_b64 s[2:3], -1
	s_cbranch_scc1 .LBB102_1609
; %bb.1589:
	s_cmp_lt_i32 s4, 8
	s_cbranch_scc1 .LBB102_1599
; %bb.1590:
	s_cmp_lt_i32 s4, 9
	s_cbranch_scc1 .LBB102_1596
; %bb.1591:
	s_cmp_gt_i32 s4, 9
	s_cbranch_scc0 .LBB102_1593
; %bb.1592:
	v_bfe_i32 v7, v3, 0, 16
	v_cvt_f64_i32_e32 v[7:8], v7
	v_mov_b32_e32 v9, 0
	v_mov_b32_e32 v10, v9
	s_mov_b64 s[2:3], 0
	global_store_dwordx4 v[5:6], v[7:10], off
.LBB102_1593:
	s_andn2_b64 vcc, exec, s[2:3]
	s_cbranch_vccnz .LBB102_1595
; %bb.1594:
	v_cvt_f32_i32_sdwa v7, sext(v3) dst_sel:DWORD dst_unused:UNUSED_PAD src0_sel:WORD_0
	v_mov_b32_e32 v8, 0
	global_store_dwordx2 v[5:6], v[7:8], off
.LBB102_1595:
	s_mov_b64 s[2:3], 0
.LBB102_1596:
	s_andn2_b64 vcc, exec, s[2:3]
	s_cbranch_vccnz .LBB102_1598
; %bb.1597:
	v_cvt_f16_i16_e32 v7, v3
	global_store_dword v[5:6], v7, off
.LBB102_1598:
	s_mov_b64 s[2:3], 0
.LBB102_1599:
	s_andn2_b64 vcc, exec, s[2:3]
	s_cbranch_vccnz .LBB102_1608
; %bb.1600:
	s_cmp_lt_i32 s4, 6
	s_mov_b64 s[2:3], -1
	s_cbranch_scc1 .LBB102_1606
; %bb.1601:
	s_cmp_gt_i32 s4, 6
	s_cbranch_scc0 .LBB102_1603
; %bb.1602:
	v_bfe_i32 v7, v3, 0, 16
	v_cvt_f64_i32_e32 v[7:8], v7
	s_mov_b64 s[2:3], 0
	global_store_dwordx2 v[5:6], v[7:8], off
.LBB102_1603:
	s_andn2_b64 vcc, exec, s[2:3]
	s_cbranch_vccnz .LBB102_1605
; %bb.1604:
	v_cvt_f32_i32_sdwa v7, sext(v3) dst_sel:DWORD dst_unused:UNUSED_PAD src0_sel:WORD_0
	global_store_dword v[5:6], v7, off
.LBB102_1605:
	s_mov_b64 s[2:3], 0
.LBB102_1606:
	s_andn2_b64 vcc, exec, s[2:3]
	s_cbranch_vccnz .LBB102_1608
; %bb.1607:
	v_cvt_f16_i16_e32 v7, v3
	global_store_short v[5:6], v7, off
.LBB102_1608:
	s_mov_b64 s[2:3], 0
.LBB102_1609:
	s_andn2_b64 vcc, exec, s[2:3]
	s_cbranch_vccnz .LBB102_1625
; %bb.1610:
	s_cmp_lt_i32 s4, 2
	s_mov_b64 s[2:3], -1
	s_cbranch_scc1 .LBB102_1620
; %bb.1611:
	s_cmp_lt_i32 s4, 3
	s_cbranch_scc1 .LBB102_1617
; %bb.1612:
	s_cmp_gt_i32 s4, 3
	v_bfe_i32 v7, v3, 0, 16
	s_cbranch_scc0 .LBB102_1614
; %bb.1613:
	v_ashrrev_i32_e32 v8, 31, v7
	global_store_dwordx2 v[5:6], v[7:8], off
	s_mov_b64 s[2:3], 0
.LBB102_1614:
	s_andn2_b64 vcc, exec, s[2:3]
	s_cbranch_vccnz .LBB102_1616
; %bb.1615:
	global_store_dword v[5:6], v7, off
.LBB102_1616:
	s_mov_b64 s[2:3], 0
.LBB102_1617:
	s_andn2_b64 vcc, exec, s[2:3]
	s_cbranch_vccnz .LBB102_1619
; %bb.1618:
	global_store_short v[5:6], v3, off
.LBB102_1619:
	s_mov_b64 s[2:3], 0
.LBB102_1620:
	s_andn2_b64 vcc, exec, s[2:3]
	s_cbranch_vccnz .LBB102_1625
; %bb.1621:
	s_cmp_gt_i32 s4, 0
	s_mov_b64 s[2:3], -1
	s_cbranch_scc0 .LBB102_1623
; %bb.1622:
	global_store_byte v[5:6], v3, off
	s_mov_b64 s[2:3], 0
.LBB102_1623:
	s_andn2_b64 vcc, exec, s[2:3]
	s_cbranch_vccnz .LBB102_1625
; %bb.1624:
	global_store_byte v[5:6], v3, off
.LBB102_1625:
	s_mov_b64 s[10:11], -1
.LBB102_1626:
	s_andn2_b64 vcc, exec, s[10:11]
	s_cbranch_vccnz .LBB102_1941
; %bb.1627:
	s_lshl_b32 s20, s12, 7
	v_mov_b32_e32 v3, s33
	v_add_u32_e32 v1, s20, v1
	v_cndmask_b32_e64 v7, v3, v4, s[0:1]
	v_ashrrev_i32_e32 v4, 31, v1
	v_mov_b32_e32 v5, s9
	v_add_co_u32_e32 v3, vcc, s8, v1
	s_cmp_lt_i32 s22, 11
	v_addc_co_u32_e32 v4, vcc, v5, v4, vcc
	s_cbranch_scc1 .LBB102_1705
; %bb.1628:
	s_and_b32 s21, 0xffff, s22
	s_mov_b64 s[12:13], -1
	s_mov_b64 s[4:5], 0
	s_cmp_gt_i32 s21, 25
	s_mov_b64 s[10:11], 0
	s_mov_b64 s[2:3], 0
	s_cbranch_scc0 .LBB102_1661
; %bb.1629:
	s_cmp_gt_i32 s21, 28
	s_cbranch_scc0 .LBB102_1644
; %bb.1630:
	s_cmp_gt_i32 s21, 43
	;; [unrolled: 3-line block ×3, first 2 shown]
	s_cbranch_scc0 .LBB102_1634
; %bb.1632:
	s_mov_b64 s[2:3], -1
	s_mov_b64 s[12:13], 0
	s_cmp_eq_u32 s21, 46
	s_cbranch_scc0 .LBB102_1634
; %bb.1633:
	v_cvt_f32_i32_sdwa v5, sext(v7) dst_sel:DWORD dst_unused:UNUSED_PAD src0_sel:WORD_0
	s_movk_i32 s10, 0x7fff
	s_mov_b64 s[2:3], 0
	v_bfe_u32 v6, v5, 16, 1
	v_add3_u32 v5, v5, v6, s10
	v_lshrrev_b32_e32 v5, 16, v5
	global_store_dword v[3:4], v5, off
	s_mov_b64 s[10:11], -1
.LBB102_1634:
	s_and_b64 vcc, exec, s[12:13]
	s_cbranch_vccz .LBB102_1639
; %bb.1635:
	s_cmp_eq_u32 s21, 44
	s_mov_b64 s[2:3], -1
	s_cbranch_scc0 .LBB102_1639
; %bb.1636:
	v_cvt_f32_i32_sdwa v5, sext(v7) dst_sel:DWORD dst_unused:UNUSED_PAD src0_sel:WORD_0
	s_movk_i32 s2, 0xff
	v_mov_b32_e32 v8, 0xff
	v_bfe_u32 v6, v5, 23, 8
	v_cmp_ne_u32_e32 vcc, s2, v6
	s_and_saveexec_b64 s[10:11], vcc
; %bb.1637:
	s_mov_b32 s2, 0x3fffff
	v_lshrrev_b32_e32 v8, 23, v5
	v_and_b32_e32 v9, 0x400000, v5
	v_and_or_b32 v5, v5, s2, v6
	v_cmp_ne_u32_e32 vcc, 0, v9
	v_cmp_ne_u32_e64 s[2:3], 0, v5
	s_and_b64 s[2:3], vcc, s[2:3]
	v_cndmask_b32_e64 v5, 0, 1, s[2:3]
	v_add_u32_e32 v8, v8, v5
; %bb.1638:
	s_or_b64 exec, exec, s[10:11]
	s_mov_b64 s[2:3], 0
	s_mov_b64 s[10:11], -1
	global_store_byte v[3:4], v8, off
.LBB102_1639:
	s_mov_b64 s[12:13], 0
.LBB102_1640:
	s_and_b64 vcc, exec, s[12:13]
	s_cbranch_vccz .LBB102_1643
; %bb.1641:
	s_cmp_eq_u32 s21, 29
	s_mov_b64 s[2:3], -1
	s_cbranch_scc0 .LBB102_1643
; %bb.1642:
	v_bfe_i32 v5, v7, 0, 16
	v_ashrrev_i32_e32 v6, 31, v5
	global_store_dwordx2 v[3:4], v[5:6], off
	s_mov_b64 s[2:3], 0
	s_mov_b64 s[10:11], -1
.LBB102_1643:
	s_mov_b64 s[12:13], 0
.LBB102_1644:
	s_and_b64 vcc, exec, s[12:13]
	s_cbranch_vccz .LBB102_1660
; %bb.1645:
	s_cmp_lt_i32 s21, 27
	s_mov_b64 s[10:11], -1
	s_cbranch_scc1 .LBB102_1651
; %bb.1646:
	s_cmp_gt_i32 s21, 27
	s_cbranch_scc0 .LBB102_1648
; %bb.1647:
	v_bfe_i32 v5, v7, 0, 16
	s_mov_b64 s[10:11], 0
	global_store_dword v[3:4], v5, off
.LBB102_1648:
	s_andn2_b64 vcc, exec, s[10:11]
	s_cbranch_vccnz .LBB102_1650
; %bb.1649:
	global_store_short v[3:4], v7, off
.LBB102_1650:
	s_mov_b64 s[10:11], 0
.LBB102_1651:
	s_andn2_b64 vcc, exec, s[10:11]
	s_cbranch_vccnz .LBB102_1659
; %bb.1652:
	v_cvt_f32_i32_sdwa v5, sext(v7) dst_sel:DWORD dst_unused:UNUSED_PAD src0_sel:WORD_0
	s_mov_b32 s10, 0x43800000
	v_mov_b32_e32 v8, 0x80
	v_and_b32_e32 v6, 0x7fffffff, v5
	v_cmp_gt_u32_e32 vcc, s10, v6
	s_and_saveexec_b64 s[10:11], vcc
	s_cbranch_execz .LBB102_1658
; %bb.1653:
	s_mov_b32 s12, 0x3bffffff
	v_cmp_lt_u32_e32 vcc, s12, v6
	s_mov_b64 s[12:13], 0
                                        ; implicit-def: $vgpr6
	s_and_saveexec_b64 s[14:15], vcc
	s_xor_b64 s[14:15], exec, s[14:15]
	s_cbranch_execz .LBB102_1993
; %bb.1654:
	v_bfe_u32 v6, v5, 20, 1
	s_mov_b32 s23, 0x487ffff
	v_add3_u32 v6, v5, v6, s23
	s_mov_b64 s[12:13], exec
	v_lshrrev_b32_e32 v6, 20, v6
	s_andn2_saveexec_b64 s[14:15], s[14:15]
	s_cbranch_execnz .LBB102_1994
.LBB102_1655:
	s_or_b64 exec, exec, s[14:15]
	v_mov_b32_e32 v8, 0
	s_and_saveexec_b64 s[14:15], s[12:13]
.LBB102_1656:
	v_lshrrev_b32_e32 v5, 24, v5
	s_movk_i32 s12, 0x80
	v_and_or_b32 v8, v5, s12, v6
.LBB102_1657:
	s_or_b64 exec, exec, s[14:15]
.LBB102_1658:
	s_or_b64 exec, exec, s[10:11]
	global_store_byte v[3:4], v8, off
.LBB102_1659:
	s_mov_b64 s[10:11], -1
.LBB102_1660:
	s_mov_b64 s[12:13], 0
.LBB102_1661:
	s_and_b64 vcc, exec, s[12:13]
	s_cbranch_vccz .LBB102_1701
; %bb.1662:
	s_cmp_gt_i32 s21, 22
	s_mov_b64 s[4:5], -1
	s_cbranch_scc0 .LBB102_1694
; %bb.1663:
	s_cmp_lt_i32 s21, 24
	s_cbranch_scc1 .LBB102_1683
; %bb.1664:
	s_cmp_gt_i32 s21, 24
	s_cbranch_scc0 .LBB102_1672
; %bb.1665:
	v_cvt_f32_i32_sdwa v5, sext(v7) dst_sel:DWORD dst_unused:UNUSED_PAD src0_sel:WORD_0
	s_mov_b32 s4, 0x47800000
	v_mov_b32_e32 v8, 0x80
	v_and_b32_e32 v6, 0x7fffffff, v5
	v_cmp_gt_u32_e32 vcc, s4, v6
	s_and_saveexec_b64 s[4:5], vcc
	s_cbranch_execz .LBB102_1671
; %bb.1666:
	s_mov_b32 s10, 0x37ffffff
	v_cmp_lt_u32_e32 vcc, s10, v6
	s_mov_b64 s[10:11], 0
                                        ; implicit-def: $vgpr6
	s_and_saveexec_b64 s[12:13], vcc
	s_xor_b64 s[12:13], exec, s[12:13]
	s_cbranch_execz .LBB102_1996
; %bb.1667:
	v_bfe_u32 v6, v5, 21, 1
	s_mov_b32 s14, 0x88fffff
	v_add3_u32 v6, v5, v6, s14
	s_mov_b64 s[10:11], exec
	v_lshrrev_b32_e32 v6, 21, v6
	s_andn2_saveexec_b64 s[12:13], s[12:13]
	s_cbranch_execnz .LBB102_1997
.LBB102_1668:
	s_or_b64 exec, exec, s[12:13]
	v_mov_b32_e32 v8, 0
	s_and_saveexec_b64 s[12:13], s[10:11]
.LBB102_1669:
	v_lshrrev_b32_e32 v5, 24, v5
	s_movk_i32 s10, 0x80
	v_and_or_b32 v8, v5, s10, v6
.LBB102_1670:
	s_or_b64 exec, exec, s[12:13]
.LBB102_1671:
	s_or_b64 exec, exec, s[4:5]
	s_mov_b64 s[4:5], 0
	global_store_byte v[3:4], v8, off
.LBB102_1672:
	s_and_b64 vcc, exec, s[4:5]
	s_cbranch_vccz .LBB102_1682
; %bb.1673:
	v_cvt_f32_i32_sdwa v5, sext(v7) dst_sel:DWORD dst_unused:UNUSED_PAD src0_sel:WORD_0
	s_mov_b32 s4, 0x43f00000
                                        ; implicit-def: $vgpr6
	v_and_b32_e32 v8, 0x7fffffff, v5
	v_cmp_gt_u32_e32 vcc, s4, v8
	s_and_saveexec_b64 s[4:5], vcc
	s_xor_b64 s[4:5], exec, s[4:5]
	s_cbranch_execz .LBB102_1679
; %bb.1674:
	s_mov_b32 s10, 0x3c7fffff
	v_cmp_lt_u32_e32 vcc, s10, v8
                                        ; implicit-def: $vgpr6
	s_and_saveexec_b64 s[10:11], vcc
	s_xor_b64 s[10:11], exec, s[10:11]
; %bb.1675:
	v_bfe_u32 v6, v5, 20, 1
	s_mov_b32 s12, 0x407ffff
	v_add3_u32 v6, v5, v6, s12
	v_lshrrev_b32_e32 v8, 20, v6
	v_and_b32_e32 v6, 0xff00000, v6
	s_mov_b32 s12, 0x7f00000
	v_mov_b32_e32 v9, 0x7e
	v_cmp_ne_u32_e32 vcc, s12, v6
	v_cndmask_b32_e32 v6, v9, v8, vcc
; %bb.1676:
	s_andn2_saveexec_b64 s[10:11], s[10:11]
; %bb.1677:
	s_mov_b32 s12, 0x46800000
	v_add_f32_e64 v6, |v5|, s12
; %bb.1678:
	s_or_b64 exec, exec, s[10:11]
                                        ; implicit-def: $vgpr8
.LBB102_1679:
	s_andn2_saveexec_b64 s[4:5], s[4:5]
; %bb.1680:
	s_mov_b32 s10, 0x7f800000
	v_mov_b32_e32 v6, 0x7e
	v_mov_b32_e32 v9, 0x7f
	v_cmp_lt_u32_e32 vcc, s10, v8
	v_cndmask_b32_e32 v6, v6, v9, vcc
; %bb.1681:
	s_or_b64 exec, exec, s[4:5]
	v_lshrrev_b32_e32 v5, 24, v5
	s_movk_i32 s4, 0x80
	v_and_or_b32 v5, v5, s4, v6
	global_store_byte v[3:4], v5, off
.LBB102_1682:
	s_mov_b64 s[4:5], 0
.LBB102_1683:
	s_andn2_b64 vcc, exec, s[4:5]
	s_cbranch_vccnz .LBB102_1693
; %bb.1684:
	v_cvt_f32_i32_sdwa v5, sext(v7) dst_sel:DWORD dst_unused:UNUSED_PAD src0_sel:WORD_0
	s_mov_b32 s4, 0x47800000
                                        ; implicit-def: $vgpr6
	v_and_b32_e32 v8, 0x7fffffff, v5
	v_cmp_gt_u32_e32 vcc, s4, v8
	s_and_saveexec_b64 s[4:5], vcc
	s_xor_b64 s[4:5], exec, s[4:5]
	s_cbranch_execz .LBB102_1690
; %bb.1685:
	s_mov_b32 s10, 0x387fffff
	v_cmp_lt_u32_e32 vcc, s10, v8
                                        ; implicit-def: $vgpr6
	s_and_saveexec_b64 s[10:11], vcc
	s_xor_b64 s[10:11], exec, s[10:11]
; %bb.1686:
	v_bfe_u32 v6, v5, 21, 1
	s_mov_b32 s12, 0x80fffff
	v_add3_u32 v6, v5, v6, s12
	v_lshrrev_b32_e32 v6, 21, v6
; %bb.1687:
	s_andn2_saveexec_b64 s[10:11], s[10:11]
; %bb.1688:
	s_mov_b32 s12, 0x43000000
	v_add_f32_e64 v6, |v5|, s12
; %bb.1689:
	s_or_b64 exec, exec, s[10:11]
                                        ; implicit-def: $vgpr8
.LBB102_1690:
	s_andn2_saveexec_b64 s[4:5], s[4:5]
; %bb.1691:
	s_mov_b32 s10, 0x7f800000
	v_mov_b32_e32 v6, 0x7c
	v_mov_b32_e32 v9, 0x7f
	v_cmp_lt_u32_e32 vcc, s10, v8
	v_cndmask_b32_e32 v6, v6, v9, vcc
; %bb.1692:
	s_or_b64 exec, exec, s[4:5]
	v_lshrrev_b32_e32 v5, 24, v5
	s_movk_i32 s4, 0x80
	v_and_or_b32 v5, v5, s4, v6
	global_store_byte v[3:4], v5, off
.LBB102_1693:
	s_mov_b64 s[4:5], 0
	s_mov_b64 s[10:11], -1
.LBB102_1694:
	s_andn2_b64 vcc, exec, s[4:5]
	s_mov_b64 s[4:5], 0
	s_cbranch_vccnz .LBB102_1701
; %bb.1695:
	s_cmp_gt_i32 s21, 14
	s_mov_b64 s[12:13], -1
	s_cbranch_scc0 .LBB102_1699
; %bb.1696:
	s_cmp_eq_u32 s21, 15
	s_mov_b64 s[2:3], -1
	s_cbranch_scc0 .LBB102_1698
; %bb.1697:
	v_cvt_f32_i32_sdwa v5, sext(v7) dst_sel:DWORD dst_unused:UNUSED_PAD src0_sel:WORD_0
	s_movk_i32 s4, 0x7fff
	s_mov_b64 s[2:3], 0
	s_mov_b64 s[10:11], -1
	v_bfe_u32 v6, v5, 16, 1
	v_add3_u32 v5, v5, v6, s4
	global_store_short_d16_hi v[3:4], v5, off
.LBB102_1698:
	s_mov_b64 s[12:13], 0
.LBB102_1699:
	s_mov_b64 s[4:5], 0
	s_and_b64 vcc, exec, s[12:13]
	s_cbranch_vccz .LBB102_1701
; %bb.1700:
	s_cmp_lg_u32 s21, 11
	s_mov_b64 s[4:5], -1
	s_cselect_b64 s[2:3], -1, 0
.LBB102_1701:
	s_and_b64 vcc, exec, s[2:3]
	s_cbranch_vccnz .LBB102_1995
; %bb.1702:
	s_andn2_b64 vcc, exec, s[4:5]
	s_cbranch_vccnz .LBB102_1704
.LBB102_1703:
	v_cmp_ne_u16_e32 vcc, 0, v7
	v_cndmask_b32_e64 v5, 0, 1, vcc
	s_mov_b64 s[10:11], -1
	global_store_byte v[3:4], v5, off
.LBB102_1704:
	s_mov_b64 s[2:3], 0
	s_branch .LBB102_1706
.LBB102_1705:
	s_mov_b64 s[2:3], -1
	s_mov_b64 s[10:11], 0
.LBB102_1706:
	s_and_b64 vcc, exec, s[2:3]
	s_cbranch_vccz .LBB102_1745
; %bb.1707:
	s_and_b32 s4, 0xffff, s22
	s_cmp_lt_i32 s4, 5
	s_mov_b64 s[2:3], -1
	s_cbranch_scc1 .LBB102_1728
; %bb.1708:
	s_cmp_lt_i32 s4, 8
	s_cbranch_scc1 .LBB102_1718
; %bb.1709:
	s_cmp_lt_i32 s4, 9
	s_cbranch_scc1 .LBB102_1715
; %bb.1710:
	s_cmp_gt_i32 s4, 9
	s_cbranch_scc0 .LBB102_1712
; %bb.1711:
	v_bfe_i32 v5, v7, 0, 16
	v_cvt_f64_i32_e32 v[8:9], v5
	v_mov_b32_e32 v10, 0
	v_mov_b32_e32 v11, v10
	s_mov_b64 s[2:3], 0
	global_store_dwordx4 v[3:4], v[8:11], off
.LBB102_1712:
	s_andn2_b64 vcc, exec, s[2:3]
	s_cbranch_vccnz .LBB102_1714
; %bb.1713:
	v_cvt_f32_i32_sdwa v5, sext(v7) dst_sel:DWORD dst_unused:UNUSED_PAD src0_sel:WORD_0
	v_mov_b32_e32 v6, 0
	global_store_dwordx2 v[3:4], v[5:6], off
.LBB102_1714:
	s_mov_b64 s[2:3], 0
.LBB102_1715:
	s_andn2_b64 vcc, exec, s[2:3]
	s_cbranch_vccnz .LBB102_1717
; %bb.1716:
	v_cvt_f16_i16_e32 v5, v7
	global_store_dword v[3:4], v5, off
.LBB102_1717:
	s_mov_b64 s[2:3], 0
.LBB102_1718:
	s_andn2_b64 vcc, exec, s[2:3]
	s_cbranch_vccnz .LBB102_1727
; %bb.1719:
	s_cmp_lt_i32 s4, 6
	s_mov_b64 s[2:3], -1
	s_cbranch_scc1 .LBB102_1725
; %bb.1720:
	s_cmp_gt_i32 s4, 6
	s_cbranch_scc0 .LBB102_1722
; %bb.1721:
	v_bfe_i32 v5, v7, 0, 16
	v_cvt_f64_i32_e32 v[5:6], v5
	s_mov_b64 s[2:3], 0
	global_store_dwordx2 v[3:4], v[5:6], off
.LBB102_1722:
	s_andn2_b64 vcc, exec, s[2:3]
	s_cbranch_vccnz .LBB102_1724
; %bb.1723:
	v_cvt_f32_i32_sdwa v5, sext(v7) dst_sel:DWORD dst_unused:UNUSED_PAD src0_sel:WORD_0
	global_store_dword v[3:4], v5, off
.LBB102_1724:
	s_mov_b64 s[2:3], 0
.LBB102_1725:
	s_andn2_b64 vcc, exec, s[2:3]
	s_cbranch_vccnz .LBB102_1727
; %bb.1726:
	v_cvt_f16_i16_e32 v5, v7
	global_store_short v[3:4], v5, off
.LBB102_1727:
	s_mov_b64 s[2:3], 0
.LBB102_1728:
	s_andn2_b64 vcc, exec, s[2:3]
	s_cbranch_vccnz .LBB102_1744
; %bb.1729:
	s_cmp_lt_i32 s4, 2
	s_mov_b64 s[2:3], -1
	s_cbranch_scc1 .LBB102_1739
; %bb.1730:
	s_cmp_lt_i32 s4, 3
	s_cbranch_scc1 .LBB102_1736
; %bb.1731:
	s_cmp_gt_i32 s4, 3
	v_bfe_i32 v5, v7, 0, 16
	s_cbranch_scc0 .LBB102_1733
; %bb.1732:
	v_ashrrev_i32_e32 v6, 31, v5
	global_store_dwordx2 v[3:4], v[5:6], off
	s_mov_b64 s[2:3], 0
.LBB102_1733:
	s_andn2_b64 vcc, exec, s[2:3]
	s_cbranch_vccnz .LBB102_1735
; %bb.1734:
	global_store_dword v[3:4], v5, off
.LBB102_1735:
	s_mov_b64 s[2:3], 0
.LBB102_1736:
	s_andn2_b64 vcc, exec, s[2:3]
	s_cbranch_vccnz .LBB102_1738
; %bb.1737:
	global_store_short v[3:4], v7, off
.LBB102_1738:
	s_mov_b64 s[2:3], 0
.LBB102_1739:
	s_andn2_b64 vcc, exec, s[2:3]
	s_cbranch_vccnz .LBB102_1744
; %bb.1740:
	s_cmp_gt_i32 s4, 0
	s_mov_b64 s[2:3], -1
	s_cbranch_scc0 .LBB102_1742
; %bb.1741:
	global_store_byte v[3:4], v7, off
	s_mov_b64 s[2:3], 0
.LBB102_1742:
	s_andn2_b64 vcc, exec, s[2:3]
	s_cbranch_vccnz .LBB102_1744
; %bb.1743:
	global_store_byte v[3:4], v7, off
.LBB102_1744:
	s_mov_b64 s[10:11], -1
.LBB102_1745:
	s_andn2_b64 vcc, exec, s[10:11]
	s_cbranch_vccnz .LBB102_1941
; %bb.1746:
	v_mov_b32_e32 v3, s33
	v_add_u32_e32 v5, s20, v1
	v_cndmask_b32_e64 v6, v3, v2, s[0:1]
	v_ashrrev_i32_e32 v2, 31, v5
	v_mov_b32_e32 v3, s9
	v_add_co_u32_e32 v1, vcc, s8, v5
	s_cmp_lt_i32 s22, 11
	v_addc_co_u32_e32 v2, vcc, v3, v2, vcc
	s_cbranch_scc1 .LBB102_1824
; %bb.1747:
	s_and_b32 s21, 0xffff, s22
	s_mov_b64 s[12:13], -1
	s_mov_b64 s[4:5], 0
	s_cmp_gt_i32 s21, 25
	s_mov_b64 s[10:11], 0
	s_mov_b64 s[2:3], 0
	s_cbranch_scc0 .LBB102_1780
; %bb.1748:
	s_cmp_gt_i32 s21, 28
	s_cbranch_scc0 .LBB102_1763
; %bb.1749:
	s_cmp_gt_i32 s21, 43
	;; [unrolled: 3-line block ×3, first 2 shown]
	s_cbranch_scc0 .LBB102_1753
; %bb.1751:
	s_mov_b64 s[2:3], -1
	s_mov_b64 s[12:13], 0
	s_cmp_eq_u32 s21, 46
	s_cbranch_scc0 .LBB102_1753
; %bb.1752:
	v_cvt_f32_i32_sdwa v3, sext(v6) dst_sel:DWORD dst_unused:UNUSED_PAD src0_sel:WORD_0
	s_movk_i32 s10, 0x7fff
	s_mov_b64 s[2:3], 0
	v_bfe_u32 v4, v3, 16, 1
	v_add3_u32 v3, v3, v4, s10
	v_lshrrev_b32_e32 v3, 16, v3
	global_store_dword v[1:2], v3, off
	s_mov_b64 s[10:11], -1
.LBB102_1753:
	s_and_b64 vcc, exec, s[12:13]
	s_cbranch_vccz .LBB102_1758
; %bb.1754:
	s_cmp_eq_u32 s21, 44
	s_mov_b64 s[2:3], -1
	s_cbranch_scc0 .LBB102_1758
; %bb.1755:
	v_cvt_f32_i32_sdwa v3, sext(v6) dst_sel:DWORD dst_unused:UNUSED_PAD src0_sel:WORD_0
	s_movk_i32 s2, 0xff
	v_mov_b32_e32 v7, 0xff
	v_bfe_u32 v4, v3, 23, 8
	v_cmp_ne_u32_e32 vcc, s2, v4
	s_and_saveexec_b64 s[10:11], vcc
; %bb.1756:
	s_mov_b32 s2, 0x3fffff
	v_lshrrev_b32_e32 v7, 23, v3
	v_and_b32_e32 v8, 0x400000, v3
	v_and_or_b32 v3, v3, s2, v4
	v_cmp_ne_u32_e32 vcc, 0, v8
	v_cmp_ne_u32_e64 s[2:3], 0, v3
	s_and_b64 s[2:3], vcc, s[2:3]
	v_cndmask_b32_e64 v3, 0, 1, s[2:3]
	v_add_u32_e32 v7, v7, v3
; %bb.1757:
	s_or_b64 exec, exec, s[10:11]
	s_mov_b64 s[2:3], 0
	s_mov_b64 s[10:11], -1
	global_store_byte v[1:2], v7, off
.LBB102_1758:
	s_mov_b64 s[12:13], 0
.LBB102_1759:
	s_and_b64 vcc, exec, s[12:13]
	s_cbranch_vccz .LBB102_1762
; %bb.1760:
	s_cmp_eq_u32 s21, 29
	s_mov_b64 s[2:3], -1
	s_cbranch_scc0 .LBB102_1762
; %bb.1761:
	v_bfe_i32 v3, v6, 0, 16
	v_ashrrev_i32_e32 v4, 31, v3
	global_store_dwordx2 v[1:2], v[3:4], off
	s_mov_b64 s[2:3], 0
	s_mov_b64 s[10:11], -1
.LBB102_1762:
	s_mov_b64 s[12:13], 0
.LBB102_1763:
	s_and_b64 vcc, exec, s[12:13]
	s_cbranch_vccz .LBB102_1779
; %bb.1764:
	s_cmp_lt_i32 s21, 27
	s_mov_b64 s[10:11], -1
	s_cbranch_scc1 .LBB102_1770
; %bb.1765:
	s_cmp_gt_i32 s21, 27
	s_cbranch_scc0 .LBB102_1767
; %bb.1766:
	v_bfe_i32 v3, v6, 0, 16
	s_mov_b64 s[10:11], 0
	global_store_dword v[1:2], v3, off
.LBB102_1767:
	s_andn2_b64 vcc, exec, s[10:11]
	s_cbranch_vccnz .LBB102_1769
; %bb.1768:
	global_store_short v[1:2], v6, off
.LBB102_1769:
	s_mov_b64 s[10:11], 0
.LBB102_1770:
	s_andn2_b64 vcc, exec, s[10:11]
	s_cbranch_vccnz .LBB102_1778
; %bb.1771:
	v_cvt_f32_i32_sdwa v3, sext(v6) dst_sel:DWORD dst_unused:UNUSED_PAD src0_sel:WORD_0
	s_mov_b32 s10, 0x43800000
	v_mov_b32_e32 v7, 0x80
	v_and_b32_e32 v4, 0x7fffffff, v3
	v_cmp_gt_u32_e32 vcc, s10, v4
	s_and_saveexec_b64 s[10:11], vcc
	s_cbranch_execz .LBB102_1777
; %bb.1772:
	s_mov_b32 s12, 0x3bffffff
	v_cmp_lt_u32_e32 vcc, s12, v4
	s_mov_b64 s[12:13], 0
                                        ; implicit-def: $vgpr4
	s_and_saveexec_b64 s[14:15], vcc
	s_xor_b64 s[14:15], exec, s[14:15]
	s_cbranch_execz .LBB102_1998
; %bb.1773:
	v_bfe_u32 v4, v3, 20, 1
	s_mov_b32 s23, 0x487ffff
	v_add3_u32 v4, v3, v4, s23
	s_mov_b64 s[12:13], exec
	v_lshrrev_b32_e32 v4, 20, v4
	s_andn2_saveexec_b64 s[14:15], s[14:15]
	s_cbranch_execnz .LBB102_1999
.LBB102_1774:
	s_or_b64 exec, exec, s[14:15]
	v_mov_b32_e32 v7, 0
	s_and_saveexec_b64 s[14:15], s[12:13]
.LBB102_1775:
	v_lshrrev_b32_e32 v3, 24, v3
	s_movk_i32 s12, 0x80
	v_and_or_b32 v7, v3, s12, v4
.LBB102_1776:
	s_or_b64 exec, exec, s[14:15]
.LBB102_1777:
	s_or_b64 exec, exec, s[10:11]
	global_store_byte v[1:2], v7, off
.LBB102_1778:
	s_mov_b64 s[10:11], -1
.LBB102_1779:
	s_mov_b64 s[12:13], 0
.LBB102_1780:
	s_and_b64 vcc, exec, s[12:13]
	s_cbranch_vccz .LBB102_1820
; %bb.1781:
	s_cmp_gt_i32 s21, 22
	s_mov_b64 s[4:5], -1
	s_cbranch_scc0 .LBB102_1813
; %bb.1782:
	s_cmp_lt_i32 s21, 24
	s_cbranch_scc1 .LBB102_1802
; %bb.1783:
	s_cmp_gt_i32 s21, 24
	s_cbranch_scc0 .LBB102_1791
; %bb.1784:
	v_cvt_f32_i32_sdwa v3, sext(v6) dst_sel:DWORD dst_unused:UNUSED_PAD src0_sel:WORD_0
	s_mov_b32 s4, 0x47800000
	v_mov_b32_e32 v7, 0x80
	v_and_b32_e32 v4, 0x7fffffff, v3
	v_cmp_gt_u32_e32 vcc, s4, v4
	s_and_saveexec_b64 s[4:5], vcc
	s_cbranch_execz .LBB102_1790
; %bb.1785:
	s_mov_b32 s10, 0x37ffffff
	v_cmp_lt_u32_e32 vcc, s10, v4
	s_mov_b64 s[10:11], 0
                                        ; implicit-def: $vgpr4
	s_and_saveexec_b64 s[12:13], vcc
	s_xor_b64 s[12:13], exec, s[12:13]
	s_cbranch_execz .LBB102_2001
; %bb.1786:
	v_bfe_u32 v4, v3, 21, 1
	s_mov_b32 s14, 0x88fffff
	v_add3_u32 v4, v3, v4, s14
	s_mov_b64 s[10:11], exec
	v_lshrrev_b32_e32 v4, 21, v4
	s_andn2_saveexec_b64 s[12:13], s[12:13]
	s_cbranch_execnz .LBB102_2002
.LBB102_1787:
	s_or_b64 exec, exec, s[12:13]
	v_mov_b32_e32 v7, 0
	s_and_saveexec_b64 s[12:13], s[10:11]
.LBB102_1788:
	v_lshrrev_b32_e32 v3, 24, v3
	s_movk_i32 s10, 0x80
	v_and_or_b32 v7, v3, s10, v4
.LBB102_1789:
	s_or_b64 exec, exec, s[12:13]
.LBB102_1790:
	s_or_b64 exec, exec, s[4:5]
	s_mov_b64 s[4:5], 0
	global_store_byte v[1:2], v7, off
.LBB102_1791:
	s_and_b64 vcc, exec, s[4:5]
	s_cbranch_vccz .LBB102_1801
; %bb.1792:
	v_cvt_f32_i32_sdwa v3, sext(v6) dst_sel:DWORD dst_unused:UNUSED_PAD src0_sel:WORD_0
	s_mov_b32 s4, 0x43f00000
                                        ; implicit-def: $vgpr4
	v_and_b32_e32 v7, 0x7fffffff, v3
	v_cmp_gt_u32_e32 vcc, s4, v7
	s_and_saveexec_b64 s[4:5], vcc
	s_xor_b64 s[4:5], exec, s[4:5]
	s_cbranch_execz .LBB102_1798
; %bb.1793:
	s_mov_b32 s10, 0x3c7fffff
	v_cmp_lt_u32_e32 vcc, s10, v7
                                        ; implicit-def: $vgpr4
	s_and_saveexec_b64 s[10:11], vcc
	s_xor_b64 s[10:11], exec, s[10:11]
; %bb.1794:
	v_bfe_u32 v4, v3, 20, 1
	s_mov_b32 s12, 0x407ffff
	v_add3_u32 v4, v3, v4, s12
	v_lshrrev_b32_e32 v7, 20, v4
	v_and_b32_e32 v4, 0xff00000, v4
	s_mov_b32 s12, 0x7f00000
	v_mov_b32_e32 v8, 0x7e
	v_cmp_ne_u32_e32 vcc, s12, v4
	v_cndmask_b32_e32 v4, v8, v7, vcc
; %bb.1795:
	s_andn2_saveexec_b64 s[10:11], s[10:11]
; %bb.1796:
	s_mov_b32 s12, 0x46800000
	v_add_f32_e64 v4, |v3|, s12
; %bb.1797:
	s_or_b64 exec, exec, s[10:11]
                                        ; implicit-def: $vgpr7
.LBB102_1798:
	s_andn2_saveexec_b64 s[4:5], s[4:5]
; %bb.1799:
	s_mov_b32 s10, 0x7f800000
	v_mov_b32_e32 v4, 0x7e
	v_mov_b32_e32 v8, 0x7f
	v_cmp_lt_u32_e32 vcc, s10, v7
	v_cndmask_b32_e32 v4, v4, v8, vcc
; %bb.1800:
	s_or_b64 exec, exec, s[4:5]
	v_lshrrev_b32_e32 v3, 24, v3
	s_movk_i32 s4, 0x80
	v_and_or_b32 v3, v3, s4, v4
	global_store_byte v[1:2], v3, off
.LBB102_1801:
	s_mov_b64 s[4:5], 0
.LBB102_1802:
	s_andn2_b64 vcc, exec, s[4:5]
	s_cbranch_vccnz .LBB102_1812
; %bb.1803:
	v_cvt_f32_i32_sdwa v3, sext(v6) dst_sel:DWORD dst_unused:UNUSED_PAD src0_sel:WORD_0
	s_mov_b32 s4, 0x47800000
                                        ; implicit-def: $vgpr4
	v_and_b32_e32 v7, 0x7fffffff, v3
	v_cmp_gt_u32_e32 vcc, s4, v7
	s_and_saveexec_b64 s[4:5], vcc
	s_xor_b64 s[4:5], exec, s[4:5]
	s_cbranch_execz .LBB102_1809
; %bb.1804:
	s_mov_b32 s10, 0x387fffff
	v_cmp_lt_u32_e32 vcc, s10, v7
                                        ; implicit-def: $vgpr4
	s_and_saveexec_b64 s[10:11], vcc
	s_xor_b64 s[10:11], exec, s[10:11]
; %bb.1805:
	v_bfe_u32 v4, v3, 21, 1
	s_mov_b32 s12, 0x80fffff
	v_add3_u32 v4, v3, v4, s12
	v_lshrrev_b32_e32 v4, 21, v4
; %bb.1806:
	s_andn2_saveexec_b64 s[10:11], s[10:11]
; %bb.1807:
	s_mov_b32 s12, 0x43000000
	v_add_f32_e64 v4, |v3|, s12
; %bb.1808:
	s_or_b64 exec, exec, s[10:11]
                                        ; implicit-def: $vgpr7
.LBB102_1809:
	s_andn2_saveexec_b64 s[4:5], s[4:5]
; %bb.1810:
	s_mov_b32 s10, 0x7f800000
	v_mov_b32_e32 v4, 0x7c
	v_mov_b32_e32 v8, 0x7f
	v_cmp_lt_u32_e32 vcc, s10, v7
	v_cndmask_b32_e32 v4, v4, v8, vcc
; %bb.1811:
	s_or_b64 exec, exec, s[4:5]
	v_lshrrev_b32_e32 v3, 24, v3
	s_movk_i32 s4, 0x80
	v_and_or_b32 v3, v3, s4, v4
	global_store_byte v[1:2], v3, off
.LBB102_1812:
	s_mov_b64 s[4:5], 0
	s_mov_b64 s[10:11], -1
.LBB102_1813:
	s_andn2_b64 vcc, exec, s[4:5]
	s_mov_b64 s[4:5], 0
	s_cbranch_vccnz .LBB102_1820
; %bb.1814:
	s_cmp_gt_i32 s21, 14
	s_mov_b64 s[12:13], -1
	s_cbranch_scc0 .LBB102_1818
; %bb.1815:
	s_cmp_eq_u32 s21, 15
	s_mov_b64 s[2:3], -1
	s_cbranch_scc0 .LBB102_1817
; %bb.1816:
	v_cvt_f32_i32_sdwa v3, sext(v6) dst_sel:DWORD dst_unused:UNUSED_PAD src0_sel:WORD_0
	s_movk_i32 s4, 0x7fff
	s_mov_b64 s[2:3], 0
	s_mov_b64 s[10:11], -1
	v_bfe_u32 v4, v3, 16, 1
	v_add3_u32 v3, v3, v4, s4
	global_store_short_d16_hi v[1:2], v3, off
.LBB102_1817:
	s_mov_b64 s[12:13], 0
.LBB102_1818:
	s_mov_b64 s[4:5], 0
	s_and_b64 vcc, exec, s[12:13]
	s_cbranch_vccz .LBB102_1820
; %bb.1819:
	s_cmp_lg_u32 s21, 11
	s_mov_b64 s[4:5], -1
	s_cselect_b64 s[2:3], -1, 0
.LBB102_1820:
	s_and_b64 vcc, exec, s[2:3]
	s_cbranch_vccnz .LBB102_2000
; %bb.1821:
	s_andn2_b64 vcc, exec, s[4:5]
	s_cbranch_vccnz .LBB102_1823
.LBB102_1822:
	v_cmp_ne_u16_e32 vcc, 0, v6
	v_cndmask_b32_e64 v3, 0, 1, vcc
	s_mov_b64 s[10:11], -1
	global_store_byte v[1:2], v3, off
.LBB102_1823:
	s_mov_b64 s[2:3], 0
	s_branch .LBB102_1825
.LBB102_1824:
	s_mov_b64 s[2:3], -1
	s_mov_b64 s[10:11], 0
.LBB102_1825:
	s_and_b64 vcc, exec, s[2:3]
	s_cbranch_vccz .LBB102_1864
; %bb.1826:
	s_and_b32 s4, 0xffff, s22
	s_cmp_lt_i32 s4, 5
	s_mov_b64 s[2:3], -1
	s_cbranch_scc1 .LBB102_1847
; %bb.1827:
	s_cmp_lt_i32 s4, 8
	s_cbranch_scc1 .LBB102_1837
; %bb.1828:
	s_cmp_lt_i32 s4, 9
	s_cbranch_scc1 .LBB102_1834
; %bb.1829:
	s_cmp_gt_i32 s4, 9
	s_cbranch_scc0 .LBB102_1831
; %bb.1830:
	v_bfe_i32 v3, v6, 0, 16
	v_cvt_f64_i32_e32 v[7:8], v3
	v_mov_b32_e32 v9, 0
	v_mov_b32_e32 v10, v9
	s_mov_b64 s[2:3], 0
	global_store_dwordx4 v[1:2], v[7:10], off
.LBB102_1831:
	s_andn2_b64 vcc, exec, s[2:3]
	s_cbranch_vccnz .LBB102_1833
; %bb.1832:
	v_cvt_f32_i32_sdwa v3, sext(v6) dst_sel:DWORD dst_unused:UNUSED_PAD src0_sel:WORD_0
	v_mov_b32_e32 v4, 0
	global_store_dwordx2 v[1:2], v[3:4], off
.LBB102_1833:
	s_mov_b64 s[2:3], 0
.LBB102_1834:
	s_andn2_b64 vcc, exec, s[2:3]
	s_cbranch_vccnz .LBB102_1836
; %bb.1835:
	v_cvt_f16_i16_e32 v3, v6
	global_store_dword v[1:2], v3, off
.LBB102_1836:
	s_mov_b64 s[2:3], 0
.LBB102_1837:
	s_andn2_b64 vcc, exec, s[2:3]
	s_cbranch_vccnz .LBB102_1846
; %bb.1838:
	s_cmp_lt_i32 s4, 6
	s_mov_b64 s[2:3], -1
	s_cbranch_scc1 .LBB102_1844
; %bb.1839:
	s_cmp_gt_i32 s4, 6
	s_cbranch_scc0 .LBB102_1841
; %bb.1840:
	v_bfe_i32 v3, v6, 0, 16
	v_cvt_f64_i32_e32 v[3:4], v3
	s_mov_b64 s[2:3], 0
	global_store_dwordx2 v[1:2], v[3:4], off
.LBB102_1841:
	s_andn2_b64 vcc, exec, s[2:3]
	s_cbranch_vccnz .LBB102_1843
; %bb.1842:
	v_cvt_f32_i32_sdwa v3, sext(v6) dst_sel:DWORD dst_unused:UNUSED_PAD src0_sel:WORD_0
	global_store_dword v[1:2], v3, off
.LBB102_1843:
	s_mov_b64 s[2:3], 0
.LBB102_1844:
	s_andn2_b64 vcc, exec, s[2:3]
	s_cbranch_vccnz .LBB102_1846
; %bb.1845:
	v_cvt_f16_i16_e32 v3, v6
	global_store_short v[1:2], v3, off
.LBB102_1846:
	s_mov_b64 s[2:3], 0
.LBB102_1847:
	s_andn2_b64 vcc, exec, s[2:3]
	s_cbranch_vccnz .LBB102_1863
; %bb.1848:
	s_cmp_lt_i32 s4, 2
	s_mov_b64 s[2:3], -1
	s_cbranch_scc1 .LBB102_1858
; %bb.1849:
	s_cmp_lt_i32 s4, 3
	s_cbranch_scc1 .LBB102_1855
; %bb.1850:
	s_cmp_gt_i32 s4, 3
	v_bfe_i32 v3, v6, 0, 16
	s_cbranch_scc0 .LBB102_1852
; %bb.1851:
	v_ashrrev_i32_e32 v4, 31, v3
	global_store_dwordx2 v[1:2], v[3:4], off
	s_mov_b64 s[2:3], 0
.LBB102_1852:
	s_andn2_b64 vcc, exec, s[2:3]
	s_cbranch_vccnz .LBB102_1854
; %bb.1853:
	global_store_dword v[1:2], v3, off
.LBB102_1854:
	s_mov_b64 s[2:3], 0
.LBB102_1855:
	s_andn2_b64 vcc, exec, s[2:3]
	s_cbranch_vccnz .LBB102_1857
; %bb.1856:
	global_store_short v[1:2], v6, off
.LBB102_1857:
	s_mov_b64 s[2:3], 0
.LBB102_1858:
	s_andn2_b64 vcc, exec, s[2:3]
	s_cbranch_vccnz .LBB102_1863
; %bb.1859:
	s_cmp_gt_i32 s4, 0
	s_mov_b64 s[2:3], -1
	s_cbranch_scc0 .LBB102_1861
; %bb.1860:
	global_store_byte v[1:2], v6, off
	s_mov_b64 s[2:3], 0
.LBB102_1861:
	s_andn2_b64 vcc, exec, s[2:3]
	s_cbranch_vccnz .LBB102_1863
; %bb.1862:
	global_store_byte v[1:2], v6, off
.LBB102_1863:
	s_mov_b64 s[10:11], -1
.LBB102_1864:
	s_andn2_b64 vcc, exec, s[10:11]
	s_cbranch_vccnz .LBB102_1941
; %bb.1865:
	v_mov_b32_e32 v1, s33
	v_cndmask_b32_e64 v4, v1, v0, s[0:1]
	v_add_u32_e32 v0, s20, v5
	v_ashrrev_i32_e32 v1, 31, v0
	v_mov_b32_e32 v2, s9
	v_add_co_u32_e32 v0, vcc, s8, v0
	s_cmp_lt_i32 s22, 11
	v_addc_co_u32_e32 v1, vcc, v2, v1, vcc
	s_cbranch_scc1 .LBB102_1986
; %bb.1866:
	s_and_b32 s12, 0xffff, s22
	s_mov_b64 s[4:5], -1
	s_mov_b64 s[2:3], 0
	s_cmp_gt_i32 s12, 25
	s_mov_b64 s[0:1], 0
	s_cbranch_scc0 .LBB102_1899
; %bb.1867:
	s_cmp_gt_i32 s12, 28
	s_cbranch_scc0 .LBB102_1883
; %bb.1868:
	s_cmp_gt_i32 s12, 43
	;; [unrolled: 3-line block ×3, first 2 shown]
	s_cbranch_scc0 .LBB102_1873
; %bb.1870:
	s_cmp_eq_u32 s12, 46
	s_mov_b64 s[0:1], -1
	s_cbranch_scc0 .LBB102_1872
; %bb.1871:
	v_cvt_f32_i32_sdwa v2, sext(v4) dst_sel:DWORD dst_unused:UNUSED_PAD src0_sel:WORD_0
	s_movk_i32 s0, 0x7fff
	v_bfe_u32 v3, v2, 16, 1
	v_add3_u32 v2, v2, v3, s0
	v_lshrrev_b32_e32 v2, 16, v2
	global_store_dword v[0:1], v2, off
	s_mov_b64 s[0:1], 0
.LBB102_1872:
	s_mov_b64 s[4:5], 0
.LBB102_1873:
	s_and_b64 vcc, exec, s[4:5]
	s_cbranch_vccz .LBB102_1878
; %bb.1874:
	s_cmp_eq_u32 s12, 44
	s_mov_b64 s[0:1], -1
	s_cbranch_scc0 .LBB102_1878
; %bb.1875:
	v_cvt_f32_i32_sdwa v2, sext(v4) dst_sel:DWORD dst_unused:UNUSED_PAD src0_sel:WORD_0
	s_movk_i32 s0, 0xff
	v_mov_b32_e32 v5, 0xff
	v_bfe_u32 v3, v2, 23, 8
	v_cmp_ne_u32_e32 vcc, s0, v3
	s_and_saveexec_b64 s[4:5], vcc
; %bb.1876:
	s_mov_b32 s0, 0x3fffff
	v_lshrrev_b32_e32 v5, 23, v2
	v_and_b32_e32 v6, 0x400000, v2
	v_and_or_b32 v2, v2, s0, v3
	v_cmp_ne_u32_e32 vcc, 0, v6
	v_cmp_ne_u32_e64 s[0:1], 0, v2
	s_and_b64 s[0:1], vcc, s[0:1]
	v_cndmask_b32_e64 v2, 0, 1, s[0:1]
	v_add_u32_e32 v5, v5, v2
; %bb.1877:
	s_or_b64 exec, exec, s[4:5]
	s_mov_b64 s[0:1], 0
	global_store_byte v[0:1], v5, off
.LBB102_1878:
	s_mov_b64 s[4:5], 0
.LBB102_1879:
	s_and_b64 vcc, exec, s[4:5]
	s_cbranch_vccz .LBB102_1882
; %bb.1880:
	s_cmp_eq_u32 s12, 29
	s_mov_b64 s[0:1], -1
	s_cbranch_scc0 .LBB102_1882
; %bb.1881:
	v_bfe_i32 v2, v4, 0, 16
	v_ashrrev_i32_e32 v3, 31, v2
	global_store_dwordx2 v[0:1], v[2:3], off
	s_mov_b64 s[0:1], 0
.LBB102_1882:
	s_mov_b64 s[4:5], 0
.LBB102_1883:
	s_and_b64 vcc, exec, s[4:5]
	s_cbranch_vccz .LBB102_1898
; %bb.1884:
	s_cmp_lt_i32 s12, 27
	s_mov_b64 s[4:5], -1
	s_cbranch_scc1 .LBB102_1890
; %bb.1885:
	s_cmp_gt_i32 s12, 27
	s_cbranch_scc0 .LBB102_1887
; %bb.1886:
	v_bfe_i32 v2, v4, 0, 16
	global_store_dword v[0:1], v2, off
	s_mov_b64 s[4:5], 0
.LBB102_1887:
	s_andn2_b64 vcc, exec, s[4:5]
	s_cbranch_vccnz .LBB102_1889
; %bb.1888:
	global_store_short v[0:1], v4, off
.LBB102_1889:
	s_mov_b64 s[4:5], 0
.LBB102_1890:
	s_andn2_b64 vcc, exec, s[4:5]
	s_cbranch_vccnz .LBB102_1898
; %bb.1891:
	v_cvt_f32_i32_sdwa v2, sext(v4) dst_sel:DWORD dst_unused:UNUSED_PAD src0_sel:WORD_0
	s_mov_b32 s4, 0x43800000
	v_mov_b32_e32 v5, 0x80
	v_and_b32_e32 v3, 0x7fffffff, v2
	v_cmp_gt_u32_e32 vcc, s4, v3
	s_and_saveexec_b64 s[4:5], vcc
	s_cbranch_execz .LBB102_1897
; %bb.1892:
	s_mov_b32 s8, 0x3bffffff
	v_cmp_lt_u32_e32 vcc, s8, v3
	s_mov_b64 s[8:9], 0
                                        ; implicit-def: $vgpr3
	s_and_saveexec_b64 s[10:11], vcc
	s_xor_b64 s[10:11], exec, s[10:11]
	s_cbranch_execz .LBB102_2003
; %bb.1893:
	v_bfe_u32 v3, v2, 20, 1
	s_mov_b32 s13, 0x487ffff
	v_add3_u32 v3, v2, v3, s13
	s_mov_b64 s[8:9], exec
	v_lshrrev_b32_e32 v3, 20, v3
	s_andn2_saveexec_b64 s[10:11], s[10:11]
	s_cbranch_execnz .LBB102_2004
.LBB102_1894:
	s_or_b64 exec, exec, s[10:11]
	v_mov_b32_e32 v5, 0
	s_and_saveexec_b64 s[10:11], s[8:9]
.LBB102_1895:
	v_lshrrev_b32_e32 v2, 24, v2
	s_movk_i32 s8, 0x80
	v_and_or_b32 v5, v2, s8, v3
.LBB102_1896:
	s_or_b64 exec, exec, s[10:11]
.LBB102_1897:
	s_or_b64 exec, exec, s[4:5]
	global_store_byte v[0:1], v5, off
.LBB102_1898:
	s_mov_b64 s[4:5], 0
.LBB102_1899:
	s_and_b64 vcc, exec, s[4:5]
	s_cbranch_vccz .LBB102_1939
; %bb.1900:
	s_cmp_gt_i32 s12, 22
	s_mov_b64 s[2:3], -1
	s_cbranch_scc0 .LBB102_1932
; %bb.1901:
	s_cmp_lt_i32 s12, 24
	s_cbranch_scc1 .LBB102_1921
; %bb.1902:
	s_cmp_gt_i32 s12, 24
	s_cbranch_scc0 .LBB102_1910
; %bb.1903:
	v_cvt_f32_i32_sdwa v2, sext(v4) dst_sel:DWORD dst_unused:UNUSED_PAD src0_sel:WORD_0
	s_mov_b32 s2, 0x47800000
	v_mov_b32_e32 v5, 0x80
	v_and_b32_e32 v3, 0x7fffffff, v2
	v_cmp_gt_u32_e32 vcc, s2, v3
	s_and_saveexec_b64 s[2:3], vcc
	s_cbranch_execz .LBB102_1909
; %bb.1904:
	s_mov_b32 s4, 0x37ffffff
	v_cmp_lt_u32_e32 vcc, s4, v3
	s_mov_b64 s[4:5], 0
                                        ; implicit-def: $vgpr3
	s_and_saveexec_b64 s[8:9], vcc
	s_xor_b64 s[8:9], exec, s[8:9]
	s_cbranch_execz .LBB102_2006
; %bb.1905:
	v_bfe_u32 v3, v2, 21, 1
	s_mov_b32 s10, 0x88fffff
	v_add3_u32 v3, v2, v3, s10
	s_mov_b64 s[4:5], exec
	v_lshrrev_b32_e32 v3, 21, v3
	s_andn2_saveexec_b64 s[8:9], s[8:9]
	s_cbranch_execnz .LBB102_2007
.LBB102_1906:
	s_or_b64 exec, exec, s[8:9]
	v_mov_b32_e32 v5, 0
	s_and_saveexec_b64 s[8:9], s[4:5]
.LBB102_1907:
	v_lshrrev_b32_e32 v2, 24, v2
	s_movk_i32 s4, 0x80
	v_and_or_b32 v5, v2, s4, v3
.LBB102_1908:
	s_or_b64 exec, exec, s[8:9]
.LBB102_1909:
	s_or_b64 exec, exec, s[2:3]
	s_mov_b64 s[2:3], 0
	global_store_byte v[0:1], v5, off
.LBB102_1910:
	s_and_b64 vcc, exec, s[2:3]
	s_cbranch_vccz .LBB102_1920
; %bb.1911:
	v_cvt_f32_i32_sdwa v2, sext(v4) dst_sel:DWORD dst_unused:UNUSED_PAD src0_sel:WORD_0
	s_mov_b32 s2, 0x43f00000
                                        ; implicit-def: $vgpr3
	v_and_b32_e32 v5, 0x7fffffff, v2
	v_cmp_gt_u32_e32 vcc, s2, v5
	s_and_saveexec_b64 s[2:3], vcc
	s_xor_b64 s[2:3], exec, s[2:3]
	s_cbranch_execz .LBB102_1917
; %bb.1912:
	s_mov_b32 s4, 0x3c7fffff
	v_cmp_lt_u32_e32 vcc, s4, v5
                                        ; implicit-def: $vgpr3
	s_and_saveexec_b64 s[4:5], vcc
	s_xor_b64 s[4:5], exec, s[4:5]
; %bb.1913:
	v_bfe_u32 v3, v2, 20, 1
	s_mov_b32 s8, 0x407ffff
	v_add3_u32 v3, v2, v3, s8
	v_lshrrev_b32_e32 v5, 20, v3
	v_and_b32_e32 v3, 0xff00000, v3
	s_mov_b32 s8, 0x7f00000
	v_mov_b32_e32 v6, 0x7e
	v_cmp_ne_u32_e32 vcc, s8, v3
	v_cndmask_b32_e32 v3, v6, v5, vcc
; %bb.1914:
	s_andn2_saveexec_b64 s[4:5], s[4:5]
; %bb.1915:
	s_mov_b32 s8, 0x46800000
	v_add_f32_e64 v3, |v2|, s8
; %bb.1916:
	s_or_b64 exec, exec, s[4:5]
                                        ; implicit-def: $vgpr5
.LBB102_1917:
	s_andn2_saveexec_b64 s[2:3], s[2:3]
; %bb.1918:
	s_mov_b32 s4, 0x7f800000
	v_mov_b32_e32 v3, 0x7e
	v_mov_b32_e32 v6, 0x7f
	v_cmp_lt_u32_e32 vcc, s4, v5
	v_cndmask_b32_e32 v3, v3, v6, vcc
; %bb.1919:
	s_or_b64 exec, exec, s[2:3]
	v_lshrrev_b32_e32 v2, 24, v2
	s_movk_i32 s2, 0x80
	v_and_or_b32 v2, v2, s2, v3
	global_store_byte v[0:1], v2, off
.LBB102_1920:
	s_mov_b64 s[2:3], 0
.LBB102_1921:
	s_andn2_b64 vcc, exec, s[2:3]
	s_cbranch_vccnz .LBB102_1931
; %bb.1922:
	v_cvt_f32_i32_sdwa v2, sext(v4) dst_sel:DWORD dst_unused:UNUSED_PAD src0_sel:WORD_0
	s_mov_b32 s2, 0x47800000
                                        ; implicit-def: $vgpr3
	v_and_b32_e32 v5, 0x7fffffff, v2
	v_cmp_gt_u32_e32 vcc, s2, v5
	s_and_saveexec_b64 s[2:3], vcc
	s_xor_b64 s[2:3], exec, s[2:3]
	s_cbranch_execz .LBB102_1928
; %bb.1923:
	s_mov_b32 s4, 0x387fffff
	v_cmp_lt_u32_e32 vcc, s4, v5
                                        ; implicit-def: $vgpr3
	s_and_saveexec_b64 s[4:5], vcc
	s_xor_b64 s[4:5], exec, s[4:5]
; %bb.1924:
	v_bfe_u32 v3, v2, 21, 1
	s_mov_b32 s8, 0x80fffff
	v_add3_u32 v3, v2, v3, s8
	v_lshrrev_b32_e32 v3, 21, v3
; %bb.1925:
	s_andn2_saveexec_b64 s[4:5], s[4:5]
; %bb.1926:
	s_mov_b32 s8, 0x43000000
	v_add_f32_e64 v3, |v2|, s8
; %bb.1927:
	s_or_b64 exec, exec, s[4:5]
                                        ; implicit-def: $vgpr5
.LBB102_1928:
	s_andn2_saveexec_b64 s[2:3], s[2:3]
; %bb.1929:
	s_mov_b32 s4, 0x7f800000
	v_mov_b32_e32 v3, 0x7c
	v_mov_b32_e32 v6, 0x7f
	v_cmp_lt_u32_e32 vcc, s4, v5
	v_cndmask_b32_e32 v3, v3, v6, vcc
; %bb.1930:
	s_or_b64 exec, exec, s[2:3]
	v_lshrrev_b32_e32 v2, 24, v2
	s_movk_i32 s2, 0x80
	v_and_or_b32 v2, v2, s2, v3
	global_store_byte v[0:1], v2, off
.LBB102_1931:
	s_mov_b64 s[2:3], 0
.LBB102_1932:
	s_andn2_b64 vcc, exec, s[2:3]
	s_mov_b64 s[2:3], 0
	s_cbranch_vccnz .LBB102_1939
; %bb.1933:
	s_cmp_gt_i32 s12, 14
	s_mov_b64 s[4:5], -1
	s_cbranch_scc0 .LBB102_1937
; %bb.1934:
	s_cmp_eq_u32 s12, 15
	s_mov_b64 s[0:1], -1
	s_cbranch_scc0 .LBB102_1936
; %bb.1935:
	v_cvt_f32_i32_sdwa v2, sext(v4) dst_sel:DWORD dst_unused:UNUSED_PAD src0_sel:WORD_0
	s_movk_i32 s0, 0x7fff
	v_bfe_u32 v3, v2, 16, 1
	v_add3_u32 v2, v2, v3, s0
	global_store_short_d16_hi v[0:1], v2, off
	s_mov_b64 s[0:1], 0
.LBB102_1936:
	s_mov_b64 s[4:5], 0
.LBB102_1937:
	s_and_b64 vcc, exec, s[4:5]
	s_cbranch_vccz .LBB102_1939
; %bb.1938:
	s_cmp_lg_u32 s12, 11
	s_mov_b64 s[2:3], -1
	s_cselect_b64 s[0:1], -1, 0
.LBB102_1939:
	s_and_b64 vcc, exec, s[0:1]
	s_cbranch_vccnz .LBB102_2005
.LBB102_1940:
	s_mov_b64 s[0:1], 0
	s_branch .LBB102_1942
.LBB102_1941:
	s_mov_b64 s[0:1], 0
	s_mov_b64 s[2:3], 0
                                        ; implicit-def: $sgpr22
                                        ; implicit-def: $vgpr0_vgpr1
                                        ; implicit-def: $vgpr4
.LBB102_1942:
	s_and_b64 s[4:5], s[2:3], exec
	s_andn2_b64 s[2:3], s[16:17], exec
	s_and_b64 s[8:9], s[18:19], exec
	s_and_b64 s[0:1], s[0:1], exec
	s_or_b64 s[16:17], s[2:3], s[8:9]
.LBB102_1943:
	s_or_b64 exec, exec, s[6:7]
	s_and_saveexec_b64 s[2:3], s[16:17]
	s_cbranch_execz .LBB102_1946
; %bb.1944:
	; divergent unreachable
	s_or_b64 exec, exec, s[2:3]
	s_and_saveexec_b64 s[2:3], s[4:5]
	s_xor_b64 s[2:3], exec, s[2:3]
	s_cbranch_execnz .LBB102_1947
.LBB102_1945:
	s_or_b64 exec, exec, s[2:3]
	s_and_saveexec_b64 s[2:3], s[0:1]
	s_cbranch_execnz .LBB102_1948
	s_branch .LBB102_1985
.LBB102_1946:
	s_or_b64 exec, exec, s[2:3]
	s_and_saveexec_b64 s[2:3], s[4:5]
	s_xor_b64 s[2:3], exec, s[2:3]
	s_cbranch_execz .LBB102_1945
.LBB102_1947:
	s_waitcnt vmcnt(0)
	v_cmp_ne_u16_e32 vcc, 0, v4
	v_cndmask_b32_e64 v2, 0, 1, vcc
	global_store_byte v[0:1], v2, off
	s_or_b64 exec, exec, s[2:3]
	s_and_saveexec_b64 s[2:3], s[0:1]
	s_cbranch_execz .LBB102_1985
.LBB102_1948:
	s_sext_i32_i16 s2, s22
	s_cmp_lt_i32 s2, 5
	s_mov_b64 s[0:1], -1
	s_cbranch_scc1 .LBB102_1969
; %bb.1949:
	s_cmp_lt_i32 s2, 8
	s_cbranch_scc1 .LBB102_1959
; %bb.1950:
	s_cmp_lt_i32 s2, 9
	s_cbranch_scc1 .LBB102_1956
; %bb.1951:
	s_cmp_gt_i32 s2, 9
	s_cbranch_scc0 .LBB102_1953
; %bb.1952:
	s_waitcnt vmcnt(0)
	v_bfe_i32 v2, v4, 0, 16
	v_cvt_f64_i32_e32 v[5:6], v2
	v_mov_b32_e32 v7, 0
	v_mov_b32_e32 v8, v7
	s_mov_b64 s[0:1], 0
	global_store_dwordx4 v[0:1], v[5:8], off
.LBB102_1953:
	s_andn2_b64 vcc, exec, s[0:1]
	s_cbranch_vccnz .LBB102_1955
; %bb.1954:
	s_waitcnt vmcnt(0)
	v_cvt_f32_i32_sdwa v2, sext(v4) dst_sel:DWORD dst_unused:UNUSED_PAD src0_sel:WORD_0
	v_mov_b32_e32 v3, 0
	global_store_dwordx2 v[0:1], v[2:3], off
.LBB102_1955:
	s_mov_b64 s[0:1], 0
.LBB102_1956:
	s_andn2_b64 vcc, exec, s[0:1]
	s_cbranch_vccnz .LBB102_1958
; %bb.1957:
	s_waitcnt vmcnt(0)
	v_cvt_f16_i16_e32 v2, v4
	global_store_dword v[0:1], v2, off
.LBB102_1958:
	s_mov_b64 s[0:1], 0
.LBB102_1959:
	s_andn2_b64 vcc, exec, s[0:1]
	s_cbranch_vccnz .LBB102_1968
; %bb.1960:
	s_sext_i32_i16 s2, s22
	s_cmp_lt_i32 s2, 6
	s_mov_b64 s[0:1], -1
	s_cbranch_scc1 .LBB102_1966
; %bb.1961:
	s_cmp_gt_i32 s2, 6
	s_cbranch_scc0 .LBB102_1963
; %bb.1962:
	s_waitcnt vmcnt(0)
	v_bfe_i32 v2, v4, 0, 16
	v_cvt_f64_i32_e32 v[2:3], v2
	s_mov_b64 s[0:1], 0
	global_store_dwordx2 v[0:1], v[2:3], off
.LBB102_1963:
	s_andn2_b64 vcc, exec, s[0:1]
	s_cbranch_vccnz .LBB102_1965
; %bb.1964:
	s_waitcnt vmcnt(0)
	v_cvt_f32_i32_sdwa v2, sext(v4) dst_sel:DWORD dst_unused:UNUSED_PAD src0_sel:WORD_0
	global_store_dword v[0:1], v2, off
.LBB102_1965:
	s_mov_b64 s[0:1], 0
.LBB102_1966:
	s_andn2_b64 vcc, exec, s[0:1]
	s_cbranch_vccnz .LBB102_1968
; %bb.1967:
	s_waitcnt vmcnt(0)
	v_cvt_f16_i16_e32 v2, v4
	global_store_short v[0:1], v2, off
.LBB102_1968:
	s_mov_b64 s[0:1], 0
.LBB102_1969:
	s_andn2_b64 vcc, exec, s[0:1]
	s_cbranch_vccnz .LBB102_1985
; %bb.1970:
	s_sext_i32_i16 s2, s22
	s_cmp_lt_i32 s2, 2
	s_mov_b64 s[0:1], -1
	s_cbranch_scc1 .LBB102_1980
; %bb.1971:
	s_cmp_lt_i32 s2, 3
	s_cbranch_scc1 .LBB102_1977
; %bb.1972:
	s_cmp_gt_i32 s2, 3
	s_waitcnt vmcnt(0)
	v_bfe_i32 v2, v4, 0, 16
	s_cbranch_scc0 .LBB102_1974
; %bb.1973:
	v_ashrrev_i32_e32 v3, 31, v2
	global_store_dwordx2 v[0:1], v[2:3], off
	s_mov_b64 s[0:1], 0
.LBB102_1974:
	s_andn2_b64 vcc, exec, s[0:1]
	s_cbranch_vccnz .LBB102_1976
; %bb.1975:
	global_store_dword v[0:1], v2, off
.LBB102_1976:
	s_mov_b64 s[0:1], 0
.LBB102_1977:
	s_andn2_b64 vcc, exec, s[0:1]
	s_cbranch_vccnz .LBB102_1979
; %bb.1978:
	s_waitcnt vmcnt(0)
	global_store_short v[0:1], v4, off
.LBB102_1979:
	s_mov_b64 s[0:1], 0
.LBB102_1980:
	s_andn2_b64 vcc, exec, s[0:1]
	s_cbranch_vccnz .LBB102_1985
; %bb.1981:
	s_sext_i32_i16 s0, s22
	s_cmp_gt_i32 s0, 0
	s_mov_b64 s[0:1], -1
	s_cbranch_scc0 .LBB102_1983
; %bb.1982:
	s_waitcnt vmcnt(0)
	global_store_byte v[0:1], v4, off
	s_mov_b64 s[0:1], 0
.LBB102_1983:
	s_andn2_b64 vcc, exec, s[0:1]
	s_cbranch_vccnz .LBB102_1985
; %bb.1984:
	s_waitcnt vmcnt(0)
	global_store_byte v[0:1], v4, off
	s_endpgm
.LBB102_1985:
	s_endpgm
.LBB102_1986:
	s_mov_b64 s[2:3], 0
	s_mov_b64 s[0:1], -1
	s_branch .LBB102_1942
.LBB102_1987:
	s_trap 2
	s_or_b64 s[18:19], s[18:19], exec
	s_cbranch_execz .LBB102_1456
	s_branch .LBB102_1457
.LBB102_1988:
	s_andn2_saveexec_b64 s[20:21], s[20:21]
	s_cbranch_execz .LBB102_1536
.LBB102_1989:
	s_mov_b32 s23, 0x46000000
	v_add_f32_e64 v8, |v7|, s23
	v_and_b32_e32 v8, 0xff, v8
	v_cmp_ne_u32_e32 vcc, 0, v8
	s_andn2_b64 s[14:15], s[14:15], exec
	s_and_b64 s[24:25], vcc, exec
	s_or_b64 s[14:15], s[14:15], s[24:25]
	s_or_b64 exec, exec, s[20:21]
	v_mov_b32_e32 v9, 0
	s_and_saveexec_b64 s[20:21], s[14:15]
	s_cbranch_execnz .LBB102_1537
	s_branch .LBB102_1538
.LBB102_1990:
	s_trap 2
	s_or_b64 s[18:19], s[18:19], exec
	s_cbranch_execz .LBB102_1584
	s_branch .LBB102_1585
.LBB102_1991:
	s_andn2_saveexec_b64 s[14:15], s[14:15]
	s_cbranch_execz .LBB102_1549
.LBB102_1992:
	s_mov_b32 s20, 0x42800000
	v_add_f32_e64 v8, |v7|, s20
	v_and_b32_e32 v8, 0xff, v8
	v_cmp_ne_u32_e32 vcc, 0, v8
	s_andn2_b64 s[10:11], s[10:11], exec
	s_and_b64 s[20:21], vcc, exec
	s_or_b64 s[10:11], s[10:11], s[20:21]
	s_or_b64 exec, exec, s[14:15]
	v_mov_b32_e32 v9, 0
	s_and_saveexec_b64 s[14:15], s[10:11]
	s_cbranch_execnz .LBB102_1550
	s_branch .LBB102_1551
.LBB102_1993:
	s_andn2_saveexec_b64 s[14:15], s[14:15]
	s_cbranch_execz .LBB102_1655
.LBB102_1994:
	s_mov_b32 s23, 0x46000000
	v_add_f32_e64 v6, |v5|, s23
	v_and_b32_e32 v6, 0xff, v6
	v_cmp_ne_u32_e32 vcc, 0, v6
	s_andn2_b64 s[12:13], s[12:13], exec
	s_and_b64 s[24:25], vcc, exec
	s_or_b64 s[12:13], s[12:13], s[24:25]
	s_or_b64 exec, exec, s[14:15]
	v_mov_b32_e32 v8, 0
	s_and_saveexec_b64 s[14:15], s[12:13]
	s_cbranch_execnz .LBB102_1656
	s_branch .LBB102_1657
.LBB102_1995:
	s_trap 2
	s_or_b64 s[18:19], s[18:19], exec
	s_cbranch_execz .LBB102_1703
	s_branch .LBB102_1704
.LBB102_1996:
	s_andn2_saveexec_b64 s[12:13], s[12:13]
	s_cbranch_execz .LBB102_1668
.LBB102_1997:
	s_mov_b32 s14, 0x42800000
	v_add_f32_e64 v6, |v5|, s14
	v_and_b32_e32 v6, 0xff, v6
	v_cmp_ne_u32_e32 vcc, 0, v6
	s_andn2_b64 s[10:11], s[10:11], exec
	s_and_b64 s[14:15], vcc, exec
	s_or_b64 s[10:11], s[10:11], s[14:15]
	s_or_b64 exec, exec, s[12:13]
	v_mov_b32_e32 v8, 0
	s_and_saveexec_b64 s[12:13], s[10:11]
	s_cbranch_execnz .LBB102_1669
	s_branch .LBB102_1670
.LBB102_1998:
	s_andn2_saveexec_b64 s[14:15], s[14:15]
	s_cbranch_execz .LBB102_1774
.LBB102_1999:
	s_mov_b32 s23, 0x46000000
	v_add_f32_e64 v4, |v3|, s23
	v_and_b32_e32 v4, 0xff, v4
	v_cmp_ne_u32_e32 vcc, 0, v4
	s_andn2_b64 s[12:13], s[12:13], exec
	s_and_b64 s[24:25], vcc, exec
	s_or_b64 s[12:13], s[12:13], s[24:25]
	s_or_b64 exec, exec, s[14:15]
	v_mov_b32_e32 v7, 0
	s_and_saveexec_b64 s[14:15], s[12:13]
	s_cbranch_execnz .LBB102_1775
	s_branch .LBB102_1776
.LBB102_2000:
	s_trap 2
	s_or_b64 s[18:19], s[18:19], exec
	s_cbranch_execz .LBB102_1822
	s_branch .LBB102_1823
.LBB102_2001:
	s_andn2_saveexec_b64 s[12:13], s[12:13]
	s_cbranch_execz .LBB102_1787
.LBB102_2002:
	s_mov_b32 s14, 0x42800000
	v_add_f32_e64 v4, |v3|, s14
	v_and_b32_e32 v4, 0xff, v4
	v_cmp_ne_u32_e32 vcc, 0, v4
	s_andn2_b64 s[10:11], s[10:11], exec
	s_and_b64 s[14:15], vcc, exec
	s_or_b64 s[10:11], s[10:11], s[14:15]
	s_or_b64 exec, exec, s[12:13]
	v_mov_b32_e32 v7, 0
	s_and_saveexec_b64 s[12:13], s[10:11]
	s_cbranch_execnz .LBB102_1788
	s_branch .LBB102_1789
.LBB102_2003:
	s_andn2_saveexec_b64 s[10:11], s[10:11]
	s_cbranch_execz .LBB102_1894
.LBB102_2004:
	s_mov_b32 s13, 0x46000000
	v_add_f32_e64 v3, |v2|, s13
	v_and_b32_e32 v3, 0xff, v3
	v_cmp_ne_u32_e32 vcc, 0, v3
	s_andn2_b64 s[8:9], s[8:9], exec
	s_and_b64 s[14:15], vcc, exec
	s_or_b64 s[8:9], s[8:9], s[14:15]
	s_or_b64 exec, exec, s[10:11]
	v_mov_b32_e32 v5, 0
	s_and_saveexec_b64 s[10:11], s[8:9]
	s_cbranch_execnz .LBB102_1895
	s_branch .LBB102_1896
.LBB102_2005:
	s_mov_b64 s[2:3], 0
	s_or_b64 s[18:19], s[18:19], exec
	s_trap 2
	s_branch .LBB102_1940
.LBB102_2006:
	s_andn2_saveexec_b64 s[8:9], s[8:9]
	s_cbranch_execz .LBB102_1906
.LBB102_2007:
	s_mov_b32 s10, 0x42800000
	v_add_f32_e64 v3, |v2|, s10
	v_and_b32_e32 v3, 0xff, v3
	v_cmp_ne_u32_e32 vcc, 0, v3
	s_andn2_b64 s[4:5], s[4:5], exec
	s_and_b64 s[10:11], vcc, exec
	s_or_b64 s[4:5], s[4:5], s[10:11]
	s_or_b64 exec, exec, s[8:9]
	v_mov_b32_e32 v5, 0
	s_and_saveexec_b64 s[8:9], s[4:5]
	s_cbranch_execnz .LBB102_1907
	s_branch .LBB102_1908
	.section	.rodata,"a",@progbits
	.p2align	6, 0x0
	.amdhsa_kernel _ZN2at6native32elementwise_kernel_manual_unrollILi128ELi4EZNS0_15gpu_kernel_implINS0_13AUnaryFunctorIsssZNS0_12_GLOBAL__N_121threshold_kernel_implIsEEvRNS_18TensorIteratorBaseET_S8_EUlssE_EEEEvS7_RKS8_EUlibE_EEviT1_
		.amdhsa_group_segment_fixed_size 0
		.amdhsa_private_segment_fixed_size 0
		.amdhsa_kernarg_size 40
		.amdhsa_user_sgpr_count 6
		.amdhsa_user_sgpr_private_segment_buffer 1
		.amdhsa_user_sgpr_dispatch_ptr 0
		.amdhsa_user_sgpr_queue_ptr 0
		.amdhsa_user_sgpr_kernarg_segment_ptr 1
		.amdhsa_user_sgpr_dispatch_id 0
		.amdhsa_user_sgpr_flat_scratch_init 0
		.amdhsa_user_sgpr_private_segment_size 0
		.amdhsa_uses_dynamic_stack 0
		.amdhsa_system_sgpr_private_segment_wavefront_offset 0
		.amdhsa_system_sgpr_workgroup_id_x 1
		.amdhsa_system_sgpr_workgroup_id_y 0
		.amdhsa_system_sgpr_workgroup_id_z 0
		.amdhsa_system_sgpr_workgroup_info 0
		.amdhsa_system_vgpr_workitem_id 0
		.amdhsa_next_free_vgpr 12
		.amdhsa_next_free_sgpr 50
		.amdhsa_reserve_vcc 1
		.amdhsa_reserve_flat_scratch 0
		.amdhsa_float_round_mode_32 0
		.amdhsa_float_round_mode_16_64 0
		.amdhsa_float_denorm_mode_32 3
		.amdhsa_float_denorm_mode_16_64 3
		.amdhsa_dx10_clamp 1
		.amdhsa_ieee_mode 1
		.amdhsa_fp16_overflow 0
		.amdhsa_exception_fp_ieee_invalid_op 0
		.amdhsa_exception_fp_denorm_src 0
		.amdhsa_exception_fp_ieee_div_zero 0
		.amdhsa_exception_fp_ieee_overflow 0
		.amdhsa_exception_fp_ieee_underflow 0
		.amdhsa_exception_fp_ieee_inexact 0
		.amdhsa_exception_int_div_zero 0
	.end_amdhsa_kernel
	.section	.text._ZN2at6native32elementwise_kernel_manual_unrollILi128ELi4EZNS0_15gpu_kernel_implINS0_13AUnaryFunctorIsssZNS0_12_GLOBAL__N_121threshold_kernel_implIsEEvRNS_18TensorIteratorBaseET_S8_EUlssE_EEEEvS7_RKS8_EUlibE_EEviT1_,"axG",@progbits,_ZN2at6native32elementwise_kernel_manual_unrollILi128ELi4EZNS0_15gpu_kernel_implINS0_13AUnaryFunctorIsssZNS0_12_GLOBAL__N_121threshold_kernel_implIsEEvRNS_18TensorIteratorBaseET_S8_EUlssE_EEEEvS7_RKS8_EUlibE_EEviT1_,comdat
.Lfunc_end102:
	.size	_ZN2at6native32elementwise_kernel_manual_unrollILi128ELi4EZNS0_15gpu_kernel_implINS0_13AUnaryFunctorIsssZNS0_12_GLOBAL__N_121threshold_kernel_implIsEEvRNS_18TensorIteratorBaseET_S8_EUlssE_EEEEvS7_RKS8_EUlibE_EEviT1_, .Lfunc_end102-_ZN2at6native32elementwise_kernel_manual_unrollILi128ELi4EZNS0_15gpu_kernel_implINS0_13AUnaryFunctorIsssZNS0_12_GLOBAL__N_121threshold_kernel_implIsEEvRNS_18TensorIteratorBaseET_S8_EUlssE_EEEEvS7_RKS8_EUlibE_EEviT1_
                                        ; -- End function
	.set _ZN2at6native32elementwise_kernel_manual_unrollILi128ELi4EZNS0_15gpu_kernel_implINS0_13AUnaryFunctorIsssZNS0_12_GLOBAL__N_121threshold_kernel_implIsEEvRNS_18TensorIteratorBaseET_S8_EUlssE_EEEEvS7_RKS8_EUlibE_EEviT1_.num_vgpr, 12
	.set _ZN2at6native32elementwise_kernel_manual_unrollILi128ELi4EZNS0_15gpu_kernel_implINS0_13AUnaryFunctorIsssZNS0_12_GLOBAL__N_121threshold_kernel_implIsEEvRNS_18TensorIteratorBaseET_S8_EUlssE_EEEEvS7_RKS8_EUlibE_EEviT1_.num_agpr, 0
	.set _ZN2at6native32elementwise_kernel_manual_unrollILi128ELi4EZNS0_15gpu_kernel_implINS0_13AUnaryFunctorIsssZNS0_12_GLOBAL__N_121threshold_kernel_implIsEEvRNS_18TensorIteratorBaseET_S8_EUlssE_EEEEvS7_RKS8_EUlibE_EEviT1_.numbered_sgpr, 50
	.set _ZN2at6native32elementwise_kernel_manual_unrollILi128ELi4EZNS0_15gpu_kernel_implINS0_13AUnaryFunctorIsssZNS0_12_GLOBAL__N_121threshold_kernel_implIsEEvRNS_18TensorIteratorBaseET_S8_EUlssE_EEEEvS7_RKS8_EUlibE_EEviT1_.num_named_barrier, 0
	.set _ZN2at6native32elementwise_kernel_manual_unrollILi128ELi4EZNS0_15gpu_kernel_implINS0_13AUnaryFunctorIsssZNS0_12_GLOBAL__N_121threshold_kernel_implIsEEvRNS_18TensorIteratorBaseET_S8_EUlssE_EEEEvS7_RKS8_EUlibE_EEviT1_.private_seg_size, 0
	.set _ZN2at6native32elementwise_kernel_manual_unrollILi128ELi4EZNS0_15gpu_kernel_implINS0_13AUnaryFunctorIsssZNS0_12_GLOBAL__N_121threshold_kernel_implIsEEvRNS_18TensorIteratorBaseET_S8_EUlssE_EEEEvS7_RKS8_EUlibE_EEviT1_.uses_vcc, 1
	.set _ZN2at6native32elementwise_kernel_manual_unrollILi128ELi4EZNS0_15gpu_kernel_implINS0_13AUnaryFunctorIsssZNS0_12_GLOBAL__N_121threshold_kernel_implIsEEvRNS_18TensorIteratorBaseET_S8_EUlssE_EEEEvS7_RKS8_EUlibE_EEviT1_.uses_flat_scratch, 0
	.set _ZN2at6native32elementwise_kernel_manual_unrollILi128ELi4EZNS0_15gpu_kernel_implINS0_13AUnaryFunctorIsssZNS0_12_GLOBAL__N_121threshold_kernel_implIsEEvRNS_18TensorIteratorBaseET_S8_EUlssE_EEEEvS7_RKS8_EUlibE_EEviT1_.has_dyn_sized_stack, 0
	.set _ZN2at6native32elementwise_kernel_manual_unrollILi128ELi4EZNS0_15gpu_kernel_implINS0_13AUnaryFunctorIsssZNS0_12_GLOBAL__N_121threshold_kernel_implIsEEvRNS_18TensorIteratorBaseET_S8_EUlssE_EEEEvS7_RKS8_EUlibE_EEviT1_.has_recursion, 0
	.set _ZN2at6native32elementwise_kernel_manual_unrollILi128ELi4EZNS0_15gpu_kernel_implINS0_13AUnaryFunctorIsssZNS0_12_GLOBAL__N_121threshold_kernel_implIsEEvRNS_18TensorIteratorBaseET_S8_EUlssE_EEEEvS7_RKS8_EUlibE_EEviT1_.has_indirect_call, 0
	.section	.AMDGPU.csdata,"",@progbits
; Kernel info:
; codeLenInByte = 29840
; TotalNumSgprs: 54
; NumVgprs: 12
; ScratchSize: 0
; MemoryBound: 1
; FloatMode: 240
; IeeeMode: 1
; LDSByteSize: 0 bytes/workgroup (compile time only)
; SGPRBlocks: 6
; VGPRBlocks: 2
; NumSGPRsForWavesPerEU: 54
; NumVGPRsForWavesPerEU: 12
; Occupancy: 10
; WaveLimiterHint : 0
; COMPUTE_PGM_RSRC2:SCRATCH_EN: 0
; COMPUTE_PGM_RSRC2:USER_SGPR: 6
; COMPUTE_PGM_RSRC2:TRAP_HANDLER: 0
; COMPUTE_PGM_RSRC2:TGID_X_EN: 1
; COMPUTE_PGM_RSRC2:TGID_Y_EN: 0
; COMPUTE_PGM_RSRC2:TGID_Z_EN: 0
; COMPUTE_PGM_RSRC2:TIDIG_COMP_CNT: 0
	.section	.text._ZN2at6native32elementwise_kernel_manual_unrollILi128ELi4EZNS0_15gpu_kernel_implINS0_13AUnaryFunctorIsssZNS0_12_GLOBAL__N_121threshold_kernel_implIsEEvRNS_18TensorIteratorBaseET_S8_EUlssE_EEEEvS7_RKS8_EUlibE0_EEviT1_,"axG",@progbits,_ZN2at6native32elementwise_kernel_manual_unrollILi128ELi4EZNS0_15gpu_kernel_implINS0_13AUnaryFunctorIsssZNS0_12_GLOBAL__N_121threshold_kernel_implIsEEvRNS_18TensorIteratorBaseET_S8_EUlssE_EEEEvS7_RKS8_EUlibE0_EEviT1_,comdat
	.globl	_ZN2at6native32elementwise_kernel_manual_unrollILi128ELi4EZNS0_15gpu_kernel_implINS0_13AUnaryFunctorIsssZNS0_12_GLOBAL__N_121threshold_kernel_implIsEEvRNS_18TensorIteratorBaseET_S8_EUlssE_EEEEvS7_RKS8_EUlibE0_EEviT1_ ; -- Begin function _ZN2at6native32elementwise_kernel_manual_unrollILi128ELi4EZNS0_15gpu_kernel_implINS0_13AUnaryFunctorIsssZNS0_12_GLOBAL__N_121threshold_kernel_implIsEEvRNS_18TensorIteratorBaseET_S8_EUlssE_EEEEvS7_RKS8_EUlibE0_EEviT1_
	.p2align	8
	.type	_ZN2at6native32elementwise_kernel_manual_unrollILi128ELi4EZNS0_15gpu_kernel_implINS0_13AUnaryFunctorIsssZNS0_12_GLOBAL__N_121threshold_kernel_implIsEEvRNS_18TensorIteratorBaseET_S8_EUlssE_EEEEvS7_RKS8_EUlibE0_EEviT1_,@function
_ZN2at6native32elementwise_kernel_manual_unrollILi128ELi4EZNS0_15gpu_kernel_implINS0_13AUnaryFunctorIsssZNS0_12_GLOBAL__N_121threshold_kernel_implIsEEvRNS_18TensorIteratorBaseET_S8_EUlssE_EEEEvS7_RKS8_EUlibE0_EEviT1_: ; @_ZN2at6native32elementwise_kernel_manual_unrollILi128ELi4EZNS0_15gpu_kernel_implINS0_13AUnaryFunctorIsssZNS0_12_GLOBAL__N_121threshold_kernel_implIsEEvRNS_18TensorIteratorBaseET_S8_EUlssE_EEEEvS7_RKS8_EUlibE0_EEviT1_
; %bb.0:
	s_load_dword s72, s[4:5], 0x0
	s_load_dword s33, s[4:5], 0x8
	s_add_u32 s34, s4, 8
	s_addc_u32 s35, s5, 0
	v_lshl_or_b32 v8, s6, 9, v0
	v_or_b32_e32 v15, 0x180, v8
	s_waitcnt lgkmcnt(0)
	s_add_i32 s74, s33, -1
	s_cmp_gt_u32 s74, 1
	v_cmp_le_i32_e32 vcc, s72, v15
	s_cselect_b64 s[44:45], -1, 0
	s_mov_b64 s[6:7], 0
	s_mov_b64 s[28:29], 0
	s_and_saveexec_b64 s[0:1], vcc
	s_xor_b64 s[46:47], exec, s[0:1]
	s_cbranch_execz .LBB103_1070
; %bb.1:
	s_load_dword s2, s[4:5], 0x164
	s_cmp_lg_u32 s33, 0
	s_cselect_b64 s[54:55], -1, 0
	s_add_u32 s52, s34, 0xc4
	s_load_dwordx4 s[28:31], s[34:35], 0x4
	s_load_dwordx2 s[48:49], s[34:35], 0x14
	s_load_dwordx2 s[0:1], s[34:35], 0x158
	s_load_dwordx4 s[36:39], s[34:35], 0xc4
	s_load_dwordx4 s[24:27], s[34:35], 0x148
	s_addc_u32 s53, s35, 0
	s_min_u32 s78, s74, 15
	s_cmp_gt_u32 s33, 1
	s_cselect_b64 s[50:51], -1, 0
	s_waitcnt lgkmcnt(0)
	s_lshr_b32 s75, s2, 16
	s_lshr_b32 s77, s2, 24
	;; [unrolled: 1-line block ×3, first 2 shown]
	s_sext_i32_i16 s0, s0
	s_sext_i32_i16 s1, s1
	s_cmp_gt_i32 s1, s0
	s_cselect_b64 s[0:1], -1, 0
	v_cmp_gt_i32_e32 vcc, s72, v8
	s_mov_b64 s[2:3], -1
	s_mov_b64 s[64:65], 0
	s_mov_b64 s[58:59], 0
	;; [unrolled: 1-line block ×3, first 2 shown]
	s_and_saveexec_b64 s[60:61], vcc
	s_cbranch_execz .LBB103_262
; %bb.2:
	s_andn2_b64 vcc, exec, s[44:45]
	s_cbranch_vccnz .LBB103_7
; %bb.3:
	s_andn2_b64 vcc, exec, s[54:55]
	s_cbranch_vccnz .LBB103_8
; %bb.4:
	s_add_i32 s59, s78, 1
	s_cmp_eq_u32 s74, 2
	s_cbranch_scc1 .LBB103_9
; %bb.5:
	s_and_b32 s58, s59, 28
	v_mov_b32_e32 v2, 0
	s_mov_b32 s62, 0
	s_mov_b64 s[2:3], s[34:35]
	s_mov_b64 s[56:57], s[52:53]
	v_mov_b32_e32 v0, 0
	v_mov_b32_e32 v1, v8
.LBB103_6:                              ; =>This Inner Loop Header: Depth=1
	s_load_dwordx8 s[16:23], s[2:3], 0x4
	s_load_dwordx4 s[40:43], s[2:3], 0x24
	s_load_dwordx8 s[8:15], s[56:57], 0x0
	s_add_u32 s2, s2, 48
	s_addc_u32 s3, s3, 0
	s_waitcnt lgkmcnt(0)
	v_mul_hi_u32 v3, s17, v1
	s_add_i32 s62, s62, 4
	s_add_u32 s56, s56, 32
	s_addc_u32 s57, s57, 0
	v_add_u32_e32 v3, v1, v3
	v_lshrrev_b32_e32 v3, s18, v3
	v_mul_lo_u32 v4, v3, s16
	v_mul_hi_u32 v5, s20, v3
	s_cmp_lg_u32 s58, s62
	v_sub_u32_e32 v1, v1, v4
	v_add_u32_e32 v4, v3, v5
	v_mul_lo_u32 v5, v1, s8
	v_mul_lo_u32 v6, v1, s9
	v_lshrrev_b32_e32 v1, s21, v4
	v_mul_lo_u32 v4, v1, s19
	v_mul_hi_u32 v7, s23, v1
	v_sub_u32_e32 v3, v3, v4
	v_add_u32_e32 v4, v1, v7
	v_lshrrev_b32_e32 v4, s40, v4
	v_mul_hi_u32 v9, s42, v4
	v_mul_lo_u32 v10, v4, s22
	v_mul_lo_u32 v7, v3, s10
	;; [unrolled: 1-line block ×3, first 2 shown]
	v_sub_u32_e32 v10, v1, v10
	v_add_u32_e32 v1, v4, v9
	v_lshrrev_b32_e32 v1, s43, v1
	v_mul_lo_u32 v9, v1, s41
	v_mul_lo_u32 v11, v10, s12
	;; [unrolled: 1-line block ×3, first 2 shown]
	v_add3_u32 v0, v5, v0, v7
	v_sub_u32_e32 v4, v4, v9
	v_mul_lo_u32 v9, v4, s14
	v_mul_lo_u32 v4, v4, s15
	v_add3_u32 v2, v6, v2, v3
	v_add3_u32 v0, v11, v0, v9
	;; [unrolled: 1-line block ×3, first 2 shown]
	s_cbranch_scc1 .LBB103_6
	s_branch .LBB103_10
.LBB103_7:
                                        ; implicit-def: $vgpr0
                                        ; implicit-def: $vgpr2
	s_andn2_b64 vcc, exec, s[2:3]
	s_cbranch_vccz .LBB103_14
	s_branch .LBB103_16
.LBB103_8:
	v_mov_b32_e32 v0, 0
	v_mov_b32_e32 v2, 0
	s_branch .LBB103_13
.LBB103_9:
	s_mov_b32 s58, 0
	v_mov_b32_e32 v0, 0
	v_mov_b32_e32 v2, 0
	;; [unrolled: 1-line block ×3, first 2 shown]
.LBB103_10:
	s_and_b32 s10, s59, 3
	s_cmp_eq_u32 s10, 0
	s_cbranch_scc1 .LBB103_13
; %bb.11:
	s_lshl_b32 s2, s58, 3
	s_add_u32 s2, s34, s2
	s_addc_u32 s3, s35, 0
	s_add_u32 s2, s2, 0xc4
	s_addc_u32 s3, s3, 0
	s_mul_i32 s8, s58, 12
	s_add_u32 s8, s34, s8
	s_addc_u32 s9, s35, 0
.LBB103_12:                             ; =>This Inner Loop Header: Depth=1
	s_load_dwordx2 s[12:13], s[8:9], 0x4
	s_load_dword s11, s[8:9], 0xc
	s_load_dwordx2 s[14:15], s[2:3], 0x0
	s_add_u32 s8, s8, 12
	s_addc_u32 s9, s9, 0
	s_waitcnt lgkmcnt(0)
	v_mul_hi_u32 v3, s13, v1
	s_add_u32 s2, s2, 8
	s_addc_u32 s3, s3, 0
	s_add_i32 s10, s10, -1
	v_add_u32_e32 v3, v1, v3
	v_lshrrev_b32_e32 v4, s11, v3
	v_mul_lo_u32 v3, v4, s12
	s_cmp_lg_u32 s10, 0
	v_sub_u32_e32 v3, v1, v3
	v_mad_u64_u32 v[0:1], s[12:13], v3, s14, v[0:1]
	v_mad_u64_u32 v[2:3], s[12:13], v3, s15, v[2:3]
	v_mov_b32_e32 v1, v4
	s_cbranch_scc1 .LBB103_12
.LBB103_13:
	s_cbranch_execnz .LBB103_16
.LBB103_14:
	v_mul_hi_u32 v0, s29, v8
	s_andn2_b64 vcc, exec, s[50:51]
	v_add_u32_e32 v0, v8, v0
	v_lshrrev_b32_e32 v1, s30, v0
	v_mul_lo_u32 v0, v1, s28
	v_sub_u32_e32 v2, v8, v0
	v_mul_lo_u32 v0, v2, s36
	v_mul_lo_u32 v2, v2, s37
	s_cbranch_vccnz .LBB103_16
; %bb.15:
	v_mul_hi_u32 v3, s48, v1
	v_add_u32_e32 v3, v1, v3
	v_lshrrev_b32_e32 v3, s49, v3
	v_mul_lo_u32 v3, v3, s31
	v_sub_u32_e32 v3, v1, v3
	v_mad_u64_u32 v[0:1], s[2:3], v3, s38, v[0:1]
	v_mad_u64_u32 v[2:3], s[2:3], v3, s39, v[2:3]
.LBB103_16:
	v_mov_b32_e32 v3, s27
	s_and_b32 s12, 0xffff, s77
	v_add_co_u32_e32 v1, vcc, s26, v2
	s_cmp_lt_i32 s12, 11
	v_addc_co_u32_e32 v2, vcc, 0, v3, vcc
	s_cbranch_scc1 .LBB103_23
; %bb.17:
	s_cmp_gt_i32 s12, 25
	s_cbranch_scc0 .LBB103_32
; %bb.18:
	s_cmp_gt_i32 s12, 28
	s_cbranch_scc0 .LBB103_35
	;; [unrolled: 3-line block ×4, first 2 shown]
; %bb.21:
	s_cmp_eq_u32 s12, 46
	s_mov_b64 s[10:11], 0
	s_cbranch_scc0 .LBB103_41
; %bb.22:
	global_load_dword v3, v[1:2], off
	s_mov_b64 s[2:3], -1
	s_mov_b64 s[8:9], 0
	s_waitcnt vmcnt(0)
	v_lshlrev_b32_e32 v3, 16, v3
	v_cvt_i32_f32_e32 v3, v3
	s_branch .LBB103_43
.LBB103_23:
	s_mov_b64 s[8:9], 0
                                        ; implicit-def: $vgpr3
	s_mov_b64 s[2:3], 0
	s_cbranch_execnz .LBB103_212
.LBB103_24:
	s_andn2_b64 vcc, exec, s[2:3]
	s_cbranch_vccnz .LBB103_259
.LBB103_25:
	v_mov_b32_e32 v1, s76
	s_waitcnt vmcnt(0)
	v_cndmask_b32_e64 v4, v1, v3, s[0:1]
	v_mov_b32_e32 v1, s25
	s_and_b32 s16, s75, 0xff
	v_add_co_u32_e32 v0, vcc, s24, v0
	s_cmp_lt_i32 s16, 11
	v_addc_co_u32_e32 v1, vcc, 0, v1, vcc
	s_cbranch_scc1 .LBB103_33
; %bb.26:
	s_and_b32 s17, 0xffff, s16
	s_cmp_gt_i32 s17, 25
	s_cbranch_scc0 .LBB103_36
; %bb.27:
	s_cmp_gt_i32 s17, 28
	s_cbranch_scc0 .LBB103_38
; %bb.28:
	;; [unrolled: 3-line block ×4, first 2 shown]
	s_mov_b64 s[12:13], 0
	s_mov_b64 s[2:3], -1
	s_cmp_eq_u32 s17, 46
	s_mov_b64 s[10:11], 0
	s_cbranch_scc0 .LBB103_47
; %bb.31:
	v_cvt_f32_i32_sdwa v2, sext(v4) dst_sel:DWORD dst_unused:UNUSED_PAD src0_sel:WORD_0
	s_movk_i32 s2, 0x7fff
	s_mov_b64 s[10:11], -1
	v_bfe_u32 v3, v2, 16, 1
	v_add3_u32 v2, v2, v3, s2
	v_lshrrev_b32_e32 v2, 16, v2
	global_store_dword v[0:1], v2, off
	s_mov_b64 s[2:3], 0
	s_branch .LBB103_47
.LBB103_32:
	s_mov_b64 s[8:9], 0
	s_mov_b64 s[2:3], 0
                                        ; implicit-def: $vgpr3
	s_cbranch_execnz .LBB103_179
	s_branch .LBB103_211
.LBB103_33:
	s_mov_b64 s[2:3], 0
	s_mov_b64 s[10:11], 0
	s_cbranch_execnz .LBB103_116
.LBB103_34:
	s_andn2_b64 vcc, exec, s[10:11]
	s_cbranch_vccnz .LBB103_260
	s_branch .LBB103_154
.LBB103_35:
	s_mov_b64 s[10:11], -1
	s_mov_b64 s[8:9], 0
	s_mov_b64 s[2:3], 0
                                        ; implicit-def: $vgpr3
	s_branch .LBB103_162
.LBB103_36:
	s_mov_b64 s[12:13], -1
	s_mov_b64 s[2:3], 0
	s_mov_b64 s[10:11], 0
	s_branch .LBB103_74
.LBB103_37:
	s_mov_b64 s[10:11], -1
	s_mov_b64 s[8:9], 0
	s_mov_b64 s[2:3], 0
                                        ; implicit-def: $vgpr3
	s_branch .LBB103_157
.LBB103_38:
	s_mov_b64 s[12:13], -1
	s_mov_b64 s[2:3], 0
	s_mov_b64 s[10:11], 0
	s_branch .LBB103_57
.LBB103_39:
	s_mov_b64 s[10:11], -1
	s_mov_b64 s[8:9], 0
	s_branch .LBB103_42
.LBB103_40:
	s_mov_b64 s[12:13], -1
	s_mov_b64 s[2:3], 0
	s_mov_b64 s[10:11], 0
	s_branch .LBB103_53
.LBB103_41:
	s_mov_b64 s[8:9], -1
.LBB103_42:
	s_mov_b64 s[2:3], 0
                                        ; implicit-def: $vgpr3
.LBB103_43:
	s_and_b64 vcc, exec, s[10:11]
	s_cbranch_vccz .LBB103_156
; %bb.44:
	s_cmp_eq_u32 s12, 44
	s_cbranch_scc0 .LBB103_155
; %bb.45:
	global_load_ubyte v3, v[1:2], off
	s_mov_b64 s[2:3], -1
	s_mov_b64 s[8:9], 0
	s_waitcnt vmcnt(0)
	v_lshlrev_b32_e32 v4, 23, v3
	v_cvt_i32_f32_e32 v4, v4
	v_cmp_ne_u32_e32 vcc, 0, v3
	v_cndmask_b32_e32 v3, 0, v4, vcc
	s_branch .LBB103_156
.LBB103_46:
	s_mov_b64 s[12:13], -1
	s_mov_b64 s[2:3], 0
	s_mov_b64 s[10:11], 0
.LBB103_47:
	s_and_b64 vcc, exec, s[12:13]
	s_cbranch_vccz .LBB103_52
; %bb.48:
	s_cmp_eq_u32 s17, 44
	s_mov_b64 s[2:3], -1
	s_cbranch_scc0 .LBB103_52
; %bb.49:
	v_cvt_f32_i32_sdwa v2, sext(v4) dst_sel:DWORD dst_unused:UNUSED_PAD src0_sel:WORD_0
	s_movk_i32 s2, 0xff
	v_mov_b32_e32 v5, 0xff
	v_bfe_u32 v3, v2, 23, 8
	v_cmp_ne_u32_e32 vcc, s2, v3
	s_and_saveexec_b64 s[10:11], vcc
; %bb.50:
	s_mov_b32 s2, 0x3fffff
	v_lshrrev_b32_e32 v5, 23, v2
	v_and_b32_e32 v6, 0x400000, v2
	v_and_or_b32 v2, v2, s2, v3
	v_cmp_ne_u32_e32 vcc, 0, v6
	v_cmp_ne_u32_e64 s[2:3], 0, v2
	s_and_b64 s[2:3], vcc, s[2:3]
	v_cndmask_b32_e64 v2, 0, 1, s[2:3]
	v_add_u32_e32 v5, v5, v2
; %bb.51:
	s_or_b64 exec, exec, s[10:11]
	s_mov_b64 s[10:11], -1
	s_mov_b64 s[2:3], 0
	global_store_byte v[0:1], v5, off
.LBB103_52:
	s_mov_b64 s[12:13], 0
.LBB103_53:
	s_and_b64 vcc, exec, s[12:13]
	s_cbranch_vccz .LBB103_56
; %bb.54:
	s_cmp_eq_u32 s17, 29
	s_mov_b64 s[2:3], -1
	s_cbranch_scc0 .LBB103_56
; %bb.55:
	v_bfe_i32 v2, v4, 0, 16
	v_ashrrev_i32_e32 v3, 31, v2
	global_store_dwordx2 v[0:1], v[2:3], off
	s_mov_b64 s[10:11], -1
	s_mov_b64 s[2:3], 0
.LBB103_56:
	s_mov_b64 s[12:13], 0
.LBB103_57:
	s_and_b64 vcc, exec, s[12:13]
	s_cbranch_vccz .LBB103_73
; %bb.58:
	s_cmp_lt_i32 s17, 27
	s_mov_b64 s[10:11], -1
	s_cbranch_scc1 .LBB103_64
; %bb.59:
	s_cmp_gt_i32 s17, 27
	s_cbranch_scc0 .LBB103_61
; %bb.60:
	v_bfe_i32 v2, v4, 0, 16
	s_mov_b64 s[10:11], 0
	global_store_dword v[0:1], v2, off
.LBB103_61:
	s_andn2_b64 vcc, exec, s[10:11]
	s_cbranch_vccnz .LBB103_63
; %bb.62:
	global_store_short v[0:1], v4, off
.LBB103_63:
	s_mov_b64 s[10:11], 0
.LBB103_64:
	s_andn2_b64 vcc, exec, s[10:11]
	s_cbranch_vccnz .LBB103_72
; %bb.65:
	v_cvt_f32_i32_sdwa v2, sext(v4) dst_sel:DWORD dst_unused:UNUSED_PAD src0_sel:WORD_0
	s_mov_b32 s10, 0x43800000
	v_mov_b32_e32 v5, 0x80
	v_and_b32_e32 v3, 0x7fffffff, v2
	v_cmp_gt_u32_e32 vcc, s10, v3
	s_and_saveexec_b64 s[10:11], vcc
	s_cbranch_execz .LBB103_71
; %bb.66:
	s_mov_b32 s12, 0x3bffffff
	v_cmp_lt_u32_e32 vcc, s12, v3
	s_mov_b64 s[12:13], 0
                                        ; implicit-def: $vgpr3
	s_and_saveexec_b64 s[14:15], vcc
	s_xor_b64 s[14:15], exec, s[14:15]
	s_cbranch_execz .LBB103_303
; %bb.67:
	v_bfe_u32 v3, v2, 20, 1
	s_mov_b32 s18, 0x487ffff
	v_add3_u32 v3, v2, v3, s18
	s_mov_b64 s[12:13], exec
	v_lshrrev_b32_e32 v3, 20, v3
	s_andn2_saveexec_b64 s[14:15], s[14:15]
	s_cbranch_execnz .LBB103_304
.LBB103_68:
	s_or_b64 exec, exec, s[14:15]
	v_mov_b32_e32 v5, 0
	s_and_saveexec_b64 s[14:15], s[12:13]
.LBB103_69:
	v_lshrrev_b32_e32 v2, 24, v2
	s_movk_i32 s12, 0x80
	v_and_or_b32 v5, v2, s12, v3
.LBB103_70:
	s_or_b64 exec, exec, s[14:15]
.LBB103_71:
	s_or_b64 exec, exec, s[10:11]
	global_store_byte v[0:1], v5, off
.LBB103_72:
	s_mov_b64 s[10:11], -1
.LBB103_73:
	s_mov_b64 s[12:13], 0
.LBB103_74:
	s_and_b64 vcc, exec, s[12:13]
	s_cbranch_vccz .LBB103_115
; %bb.75:
	s_cmp_gt_i32 s17, 22
	s_mov_b64 s[12:13], -1
	s_cbranch_scc0 .LBB103_107
; %bb.76:
	s_cmp_lt_i32 s17, 24
	s_mov_b64 s[10:11], -1
	s_cbranch_scc1 .LBB103_96
; %bb.77:
	s_cmp_gt_i32 s17, 24
	s_cbranch_scc0 .LBB103_85
; %bb.78:
	v_cvt_f32_i32_sdwa v2, sext(v4) dst_sel:DWORD dst_unused:UNUSED_PAD src0_sel:WORD_0
	s_mov_b32 s10, 0x47800000
	v_mov_b32_e32 v5, 0x80
	v_and_b32_e32 v3, 0x7fffffff, v2
	v_cmp_gt_u32_e32 vcc, s10, v3
	s_and_saveexec_b64 s[10:11], vcc
	s_cbranch_execz .LBB103_84
; %bb.79:
	s_mov_b32 s12, 0x37ffffff
	v_cmp_lt_u32_e32 vcc, s12, v3
	s_mov_b64 s[12:13], 0
                                        ; implicit-def: $vgpr3
	s_and_saveexec_b64 s[14:15], vcc
	s_xor_b64 s[14:15], exec, s[14:15]
	s_cbranch_execz .LBB103_307
; %bb.80:
	v_bfe_u32 v3, v2, 21, 1
	s_mov_b32 s18, 0x88fffff
	v_add3_u32 v3, v2, v3, s18
	s_mov_b64 s[12:13], exec
	v_lshrrev_b32_e32 v3, 21, v3
	s_andn2_saveexec_b64 s[14:15], s[14:15]
	s_cbranch_execnz .LBB103_308
.LBB103_81:
	s_or_b64 exec, exec, s[14:15]
	v_mov_b32_e32 v5, 0
	s_and_saveexec_b64 s[14:15], s[12:13]
.LBB103_82:
	v_lshrrev_b32_e32 v2, 24, v2
	s_movk_i32 s12, 0x80
	v_and_or_b32 v5, v2, s12, v3
.LBB103_83:
	s_or_b64 exec, exec, s[14:15]
.LBB103_84:
	s_or_b64 exec, exec, s[10:11]
	s_mov_b64 s[10:11], 0
	global_store_byte v[0:1], v5, off
.LBB103_85:
	s_and_b64 vcc, exec, s[10:11]
	s_cbranch_vccz .LBB103_95
; %bb.86:
	v_cvt_f32_i32_sdwa v2, sext(v4) dst_sel:DWORD dst_unused:UNUSED_PAD src0_sel:WORD_0
	s_mov_b32 s10, 0x43f00000
                                        ; implicit-def: $vgpr3
	v_and_b32_e32 v5, 0x7fffffff, v2
	v_cmp_gt_u32_e32 vcc, s10, v5
	s_and_saveexec_b64 s[10:11], vcc
	s_xor_b64 s[10:11], exec, s[10:11]
	s_cbranch_execz .LBB103_92
; %bb.87:
	s_mov_b32 s12, 0x3c7fffff
	v_cmp_lt_u32_e32 vcc, s12, v5
                                        ; implicit-def: $vgpr3
	s_and_saveexec_b64 s[12:13], vcc
	s_xor_b64 s[12:13], exec, s[12:13]
; %bb.88:
	v_bfe_u32 v3, v2, 20, 1
	s_mov_b32 s14, 0x407ffff
	v_add3_u32 v3, v2, v3, s14
	v_lshrrev_b32_e32 v5, 20, v3
	v_and_b32_e32 v3, 0xff00000, v3
	s_mov_b32 s14, 0x7f00000
	v_mov_b32_e32 v6, 0x7e
	v_cmp_ne_u32_e32 vcc, s14, v3
	v_cndmask_b32_e32 v3, v6, v5, vcc
; %bb.89:
	s_andn2_saveexec_b64 s[12:13], s[12:13]
; %bb.90:
	s_mov_b32 s14, 0x46800000
	v_add_f32_e64 v3, |v2|, s14
; %bb.91:
	s_or_b64 exec, exec, s[12:13]
                                        ; implicit-def: $vgpr5
.LBB103_92:
	s_andn2_saveexec_b64 s[10:11], s[10:11]
; %bb.93:
	s_mov_b32 s12, 0x7f800000
	v_mov_b32_e32 v3, 0x7e
	v_mov_b32_e32 v6, 0x7f
	v_cmp_lt_u32_e32 vcc, s12, v5
	v_cndmask_b32_e32 v3, v3, v6, vcc
; %bb.94:
	s_or_b64 exec, exec, s[10:11]
	v_lshrrev_b32_e32 v2, 24, v2
	s_movk_i32 s10, 0x80
	v_and_or_b32 v2, v2, s10, v3
	global_store_byte v[0:1], v2, off
.LBB103_95:
	s_mov_b64 s[10:11], 0
.LBB103_96:
	s_andn2_b64 vcc, exec, s[10:11]
	s_cbranch_vccnz .LBB103_106
; %bb.97:
	v_cvt_f32_i32_sdwa v2, sext(v4) dst_sel:DWORD dst_unused:UNUSED_PAD src0_sel:WORD_0
	s_mov_b32 s10, 0x47800000
                                        ; implicit-def: $vgpr3
	v_and_b32_e32 v5, 0x7fffffff, v2
	v_cmp_gt_u32_e32 vcc, s10, v5
	s_and_saveexec_b64 s[10:11], vcc
	s_xor_b64 s[10:11], exec, s[10:11]
	s_cbranch_execz .LBB103_103
; %bb.98:
	s_mov_b32 s12, 0x387fffff
	v_cmp_lt_u32_e32 vcc, s12, v5
                                        ; implicit-def: $vgpr3
	s_and_saveexec_b64 s[12:13], vcc
	s_xor_b64 s[12:13], exec, s[12:13]
; %bb.99:
	v_bfe_u32 v3, v2, 21, 1
	s_mov_b32 s14, 0x80fffff
	v_add3_u32 v3, v2, v3, s14
	v_lshrrev_b32_e32 v3, 21, v3
; %bb.100:
	s_andn2_saveexec_b64 s[12:13], s[12:13]
; %bb.101:
	s_mov_b32 s14, 0x43000000
	v_add_f32_e64 v3, |v2|, s14
; %bb.102:
	s_or_b64 exec, exec, s[12:13]
                                        ; implicit-def: $vgpr5
.LBB103_103:
	s_andn2_saveexec_b64 s[10:11], s[10:11]
; %bb.104:
	s_mov_b32 s12, 0x7f800000
	v_mov_b32_e32 v3, 0x7c
	v_mov_b32_e32 v6, 0x7f
	v_cmp_lt_u32_e32 vcc, s12, v5
	v_cndmask_b32_e32 v3, v3, v6, vcc
; %bb.105:
	s_or_b64 exec, exec, s[10:11]
	v_lshrrev_b32_e32 v2, 24, v2
	s_movk_i32 s10, 0x80
	v_and_or_b32 v2, v2, s10, v3
	global_store_byte v[0:1], v2, off
.LBB103_106:
	s_mov_b64 s[12:13], 0
	s_mov_b64 s[10:11], -1
.LBB103_107:
	s_andn2_b64 vcc, exec, s[12:13]
	s_cbranch_vccnz .LBB103_115
; %bb.108:
	s_cmp_gt_i32 s17, 14
	s_mov_b64 s[12:13], -1
	s_cbranch_scc0 .LBB103_112
; %bb.109:
	s_cmp_eq_u32 s17, 15
	s_mov_b64 s[2:3], -1
	s_cbranch_scc0 .LBB103_111
; %bb.110:
	v_cvt_f32_i32_sdwa v2, sext(v4) dst_sel:DWORD dst_unused:UNUSED_PAD src0_sel:WORD_0
	s_movk_i32 s2, 0x7fff
	s_mov_b64 s[10:11], -1
	v_bfe_u32 v3, v2, 16, 1
	v_add3_u32 v2, v2, v3, s2
	global_store_short_d16_hi v[0:1], v2, off
	s_mov_b64 s[2:3], 0
.LBB103_111:
	s_mov_b64 s[12:13], 0
.LBB103_112:
	s_and_b64 vcc, exec, s[12:13]
	s_cbranch_vccz .LBB103_115
; %bb.113:
	s_cmp_eq_u32 s17, 11
	s_mov_b64 s[2:3], -1
	s_cbranch_scc0 .LBB103_115
; %bb.114:
	v_cmp_ne_u16_e32 vcc, 0, v4
	v_cndmask_b32_e64 v2, 0, 1, vcc
	s_mov_b64 s[10:11], -1
	s_mov_b64 s[2:3], 0
	global_store_byte v[0:1], v2, off
.LBB103_115:
	s_branch .LBB103_34
.LBB103_116:
	s_and_b32 s12, 0xffff, s16
	s_cmp_lt_i32 s12, 5
	s_mov_b64 s[10:11], -1
	s_cbranch_scc1 .LBB103_137
; %bb.117:
	s_cmp_lt_i32 s12, 8
	s_cbranch_scc1 .LBB103_127
; %bb.118:
	s_cmp_lt_i32 s12, 9
	s_cbranch_scc1 .LBB103_124
; %bb.119:
	s_cmp_gt_i32 s12, 9
	s_cbranch_scc0 .LBB103_121
; %bb.120:
	v_bfe_i32 v2, v4, 0, 16
	v_cvt_f64_i32_e32 v[9:10], v2
	v_mov_b32_e32 v11, 0
	v_mov_b32_e32 v12, v11
	s_mov_b64 s[10:11], 0
	global_store_dwordx4 v[0:1], v[9:12], off
.LBB103_121:
	s_andn2_b64 vcc, exec, s[10:11]
	s_cbranch_vccnz .LBB103_123
; %bb.122:
	v_cvt_f32_i32_sdwa v2, sext(v4) dst_sel:DWORD dst_unused:UNUSED_PAD src0_sel:WORD_0
	v_mov_b32_e32 v3, 0
	global_store_dwordx2 v[0:1], v[2:3], off
.LBB103_123:
	s_mov_b64 s[10:11], 0
.LBB103_124:
	s_andn2_b64 vcc, exec, s[10:11]
	s_cbranch_vccnz .LBB103_126
; %bb.125:
	v_cvt_f16_i16_e32 v2, v4
	global_store_dword v[0:1], v2, off
.LBB103_126:
	s_mov_b64 s[10:11], 0
.LBB103_127:
	s_andn2_b64 vcc, exec, s[10:11]
	s_cbranch_vccnz .LBB103_136
; %bb.128:
	s_cmp_lt_i32 s12, 6
	s_mov_b64 s[10:11], -1
	s_cbranch_scc1 .LBB103_134
; %bb.129:
	s_cmp_gt_i32 s12, 6
	s_cbranch_scc0 .LBB103_131
; %bb.130:
	v_bfe_i32 v2, v4, 0, 16
	v_cvt_f64_i32_e32 v[2:3], v2
	s_mov_b64 s[10:11], 0
	global_store_dwordx2 v[0:1], v[2:3], off
.LBB103_131:
	s_andn2_b64 vcc, exec, s[10:11]
	s_cbranch_vccnz .LBB103_133
; %bb.132:
	v_cvt_f32_i32_sdwa v2, sext(v4) dst_sel:DWORD dst_unused:UNUSED_PAD src0_sel:WORD_0
	global_store_dword v[0:1], v2, off
.LBB103_133:
	s_mov_b64 s[10:11], 0
.LBB103_134:
	s_andn2_b64 vcc, exec, s[10:11]
	s_cbranch_vccnz .LBB103_136
; %bb.135:
	v_cvt_f16_i16_e32 v2, v4
	global_store_short v[0:1], v2, off
.LBB103_136:
	s_mov_b64 s[10:11], 0
.LBB103_137:
	s_andn2_b64 vcc, exec, s[10:11]
	s_cbranch_vccnz .LBB103_153
; %bb.138:
	s_cmp_lt_i32 s12, 2
	s_mov_b64 s[10:11], -1
	s_cbranch_scc1 .LBB103_148
; %bb.139:
	s_cmp_lt_i32 s12, 3
	s_cbranch_scc1 .LBB103_145
; %bb.140:
	s_cmp_gt_i32 s12, 3
	v_bfe_i32 v2, v4, 0, 16
	s_cbranch_scc0 .LBB103_142
; %bb.141:
	v_ashrrev_i32_e32 v3, 31, v2
	global_store_dwordx2 v[0:1], v[2:3], off
	s_mov_b64 s[10:11], 0
.LBB103_142:
	s_andn2_b64 vcc, exec, s[10:11]
	s_cbranch_vccnz .LBB103_144
; %bb.143:
	global_store_dword v[0:1], v2, off
.LBB103_144:
	s_mov_b64 s[10:11], 0
.LBB103_145:
	s_andn2_b64 vcc, exec, s[10:11]
	s_cbranch_vccnz .LBB103_147
; %bb.146:
	global_store_short v[0:1], v4, off
.LBB103_147:
	s_mov_b64 s[10:11], 0
.LBB103_148:
	s_andn2_b64 vcc, exec, s[10:11]
	s_cbranch_vccnz .LBB103_153
; %bb.149:
	s_cmp_gt_i32 s12, 0
	s_mov_b64 s[10:11], -1
	s_cbranch_scc0 .LBB103_151
; %bb.150:
	global_store_byte v[0:1], v4, off
	s_mov_b64 s[10:11], 0
.LBB103_151:
	s_andn2_b64 vcc, exec, s[10:11]
	s_cbranch_vccnz .LBB103_153
; %bb.152:
	global_store_byte v[0:1], v4, off
.LBB103_153:
.LBB103_154:
	v_add_u32_e32 v8, 0x80, v8
	s_mov_b64 s[10:11], -1
	s_branch .LBB103_261
.LBB103_155:
	s_mov_b64 s[8:9], -1
                                        ; implicit-def: $vgpr3
.LBB103_156:
	s_mov_b64 s[10:11], 0
.LBB103_157:
	s_and_b64 vcc, exec, s[10:11]
	s_cbranch_vccz .LBB103_161
; %bb.158:
	s_cmp_eq_u32 s12, 29
	s_cbranch_scc0 .LBB103_160
; %bb.159:
	global_load_dwordx2 v[3:4], v[1:2], off
	s_mov_b64 s[2:3], -1
	s_mov_b64 s[8:9], 0
	s_branch .LBB103_161
.LBB103_160:
	s_mov_b64 s[8:9], -1
                                        ; implicit-def: $vgpr3
.LBB103_161:
	s_mov_b64 s[10:11], 0
.LBB103_162:
	s_and_b64 vcc, exec, s[10:11]
	s_cbranch_vccz .LBB103_178
; %bb.163:
	s_cmp_lt_i32 s12, 27
	s_cbranch_scc1 .LBB103_166
; %bb.164:
	s_cmp_gt_i32 s12, 27
	s_cbranch_scc0 .LBB103_167
; %bb.165:
	global_load_dword v3, v[1:2], off
	s_mov_b64 s[2:3], 0
	s_branch .LBB103_168
.LBB103_166:
	s_mov_b64 s[2:3], -1
                                        ; implicit-def: $vgpr3
	s_branch .LBB103_171
.LBB103_167:
	s_mov_b64 s[2:3], -1
                                        ; implicit-def: $vgpr3
.LBB103_168:
	s_andn2_b64 vcc, exec, s[2:3]
	s_cbranch_vccnz .LBB103_170
; %bb.169:
	global_load_ushort v3, v[1:2], off
.LBB103_170:
	s_mov_b64 s[2:3], 0
.LBB103_171:
	s_andn2_b64 vcc, exec, s[2:3]
	s_cbranch_vccnz .LBB103_177
; %bb.172:
	global_load_ubyte v4, v[1:2], off
	s_movk_i32 s2, 0x7f
	s_mov_b64 s[10:11], 0
	s_waitcnt vmcnt(0)
	v_cmp_lt_i16_e32 vcc, s2, v4
	s_and_saveexec_b64 s[2:3], vcc
	s_xor_b64 s[2:3], exec, s[2:3]
	s_cbranch_execz .LBB103_188
; %bb.173:
	s_movk_i32 s10, 0x80
	v_cmp_ne_u16_e32 vcc, s10, v4
	s_and_b64 s[10:11], vcc, exec
	s_andn2_saveexec_b64 s[2:3], s[2:3]
	s_cbranch_execnz .LBB103_189
.LBB103_174:
	s_or_b64 exec, exec, s[2:3]
	v_mov_b32_e32 v3, 0
	s_and_saveexec_b64 s[2:3], s[10:11]
	s_cbranch_execz .LBB103_176
.LBB103_175:
	v_lshlrev_b32_e32 v3, 24, v4
	v_and_b32_e32 v4, 0xffff, v4
	v_and_b32_e32 v5, 7, v4
	v_ffbh_u32_e32 v7, v5
	v_min_u32_e32 v7, 32, v7
	v_subrev_u32_e32 v9, 28, v7
	v_bfe_u32 v6, v4, 3, 4
	v_lshlrev_b32_e32 v4, v9, v4
	v_sub_u32_e32 v7, 29, v7
	v_and_b32_e32 v4, 7, v4
	v_cmp_eq_u32_e32 vcc, 0, v6
	v_cndmask_b32_e32 v6, v6, v7, vcc
	v_cndmask_b32_e32 v4, v5, v4, vcc
	v_mov_b32_e32 v5, 0x3b800000
	v_lshlrev_b32_e32 v4, 20, v4
	v_and_b32_e32 v3, 0x80000000, v3
	v_lshl_add_u32 v5, v6, 23, v5
	v_or3_b32 v3, v3, v5, v4
	v_cvt_i32_f32_e32 v3, v3
.LBB103_176:
	s_or_b64 exec, exec, s[2:3]
.LBB103_177:
	s_mov_b64 s[2:3], -1
.LBB103_178:
	s_branch .LBB103_211
.LBB103_179:
	s_cmp_gt_i32 s12, 22
	s_cbranch_scc0 .LBB103_187
; %bb.180:
	s_cmp_lt_i32 s12, 24
	s_cbranch_scc1 .LBB103_190
; %bb.181:
	s_cmp_gt_i32 s12, 24
	s_cbranch_scc0 .LBB103_191
; %bb.182:
	global_load_ubyte v4, v[1:2], off
	s_movk_i32 s2, 0x7f
	s_mov_b64 s[10:11], 0
	s_waitcnt vmcnt(0)
	v_cmp_lt_i16_e32 vcc, s2, v4
	s_and_saveexec_b64 s[2:3], vcc
	s_xor_b64 s[2:3], exec, s[2:3]
	s_cbranch_execz .LBB103_203
; %bb.183:
	s_movk_i32 s10, 0x80
	v_cmp_ne_u16_e32 vcc, s10, v4
	s_and_b64 s[10:11], vcc, exec
	s_andn2_saveexec_b64 s[2:3], s[2:3]
	s_cbranch_execnz .LBB103_204
.LBB103_184:
	s_or_b64 exec, exec, s[2:3]
	v_mov_b32_e32 v3, 0
	s_and_saveexec_b64 s[2:3], s[10:11]
	s_cbranch_execz .LBB103_186
.LBB103_185:
	v_lshlrev_b32_e32 v3, 24, v4
	v_and_b32_e32 v4, 0xffff, v4
	v_and_b32_e32 v5, 3, v4
	v_ffbh_u32_e32 v7, v5
	v_min_u32_e32 v7, 32, v7
	v_subrev_u32_e32 v9, 29, v7
	v_bfe_u32 v6, v4, 2, 5
	v_lshlrev_b32_e32 v4, v9, v4
	v_sub_u32_e32 v7, 30, v7
	v_and_b32_e32 v4, 3, v4
	v_cmp_eq_u32_e32 vcc, 0, v6
	v_cndmask_b32_e32 v6, v6, v7, vcc
	v_cndmask_b32_e32 v4, v5, v4, vcc
	v_mov_b32_e32 v5, 0x37800000
	v_lshlrev_b32_e32 v4, 21, v4
	v_and_b32_e32 v3, 0x80000000, v3
	v_lshl_add_u32 v5, v6, 23, v5
	v_or3_b32 v3, v3, v5, v4
	v_cvt_i32_f32_e32 v3, v3
.LBB103_186:
	s_or_b64 exec, exec, s[2:3]
	s_mov_b64 s[2:3], 0
	s_branch .LBB103_192
.LBB103_187:
	s_mov_b64 s[10:11], -1
                                        ; implicit-def: $vgpr3
	s_branch .LBB103_198
.LBB103_188:
	s_andn2_saveexec_b64 s[2:3], s[2:3]
	s_cbranch_execz .LBB103_174
.LBB103_189:
	v_cmp_ne_u16_e32 vcc, 0, v4
	s_andn2_b64 s[10:11], s[10:11], exec
	s_and_b64 s[14:15], vcc, exec
	s_or_b64 s[10:11], s[10:11], s[14:15]
	s_or_b64 exec, exec, s[2:3]
	v_mov_b32_e32 v3, 0
	s_and_saveexec_b64 s[2:3], s[10:11]
	s_cbranch_execnz .LBB103_175
	s_branch .LBB103_176
.LBB103_190:
	s_mov_b64 s[2:3], -1
                                        ; implicit-def: $vgpr3
	s_branch .LBB103_195
.LBB103_191:
	s_mov_b64 s[2:3], -1
                                        ; implicit-def: $vgpr3
.LBB103_192:
	s_and_b64 vcc, exec, s[2:3]
	s_cbranch_vccz .LBB103_194
; %bb.193:
	global_load_ubyte v3, v[1:2], off
	s_mov_b32 s2, 0x7f800000
	s_waitcnt vmcnt(0)
	v_lshlrev_b32_e32 v3, 24, v3
	v_and_b32_e32 v4, 0x7f000000, v3
	v_ffbh_u32_e32 v5, v4
	v_min_u32_e32 v5, 32, v5
	v_sub_u32_e64 v5, v5, 4 clamp
	v_lshlrev_b32_e32 v7, v5, v4
	v_lshlrev_b32_e32 v5, 23, v5
	v_lshrrev_b32_e32 v7, 4, v7
	v_add_u32_e32 v6, 0x1000000, v4
	v_sub_u32_e32 v5, v7, v5
	v_ashrrev_i32_e32 v6, 8, v6
	v_add_u32_e32 v5, 0x3c000000, v5
	v_and_or_b32 v5, v6, s2, v5
	v_cmp_ne_u32_e32 vcc, 0, v4
	v_cndmask_b32_e32 v4, 0, v5, vcc
	s_brev_b32 s2, 1
	v_and_or_b32 v3, v3, s2, v4
	v_cvt_i32_f32_e32 v3, v3
.LBB103_194:
	s_mov_b64 s[2:3], 0
.LBB103_195:
	s_andn2_b64 vcc, exec, s[2:3]
	s_cbranch_vccnz .LBB103_197
; %bb.196:
	global_load_ubyte v3, v[1:2], off
	s_movk_i32 s2, 0x7f00
	s_brev_b32 s3, 16
	s_waitcnt vmcnt(0)
	v_lshlrev_b16_e32 v4, 8, v3
	v_lshlrev_b32_e32 v3, 25, v3
	v_lshrrev_b32_e32 v5, 4, v3
	v_and_or_b32 v6, v4, s2, 0.5
	v_or_b32_e32 v5, 0x70000000, v5
	v_add_f32_e32 v6, -0.5, v6
	v_mul_f32_e32 v5, 0x7800000, v5
	v_cmp_gt_u32_e32 vcc, s3, v3
	v_bfe_i32 v4, v4, 0, 16
	v_cndmask_b32_e32 v3, v5, v6, vcc
	s_brev_b32 s2, 1
	v_and_or_b32 v3, v4, s2, v3
	v_cvt_i32_f32_e32 v3, v3
.LBB103_197:
	s_mov_b64 s[10:11], 0
	s_mov_b64 s[2:3], -1
.LBB103_198:
	s_andn2_b64 vcc, exec, s[10:11]
	s_cbranch_vccnz .LBB103_211
; %bb.199:
	s_cmp_gt_i32 s12, 14
	s_cbranch_scc0 .LBB103_202
; %bb.200:
	s_cmp_eq_u32 s12, 15
	s_cbranch_scc0 .LBB103_205
; %bb.201:
	global_load_ushort v3, v[1:2], off
	s_mov_b64 s[2:3], -1
	s_mov_b64 s[8:9], 0
	s_waitcnt vmcnt(0)
	v_lshlrev_b32_e32 v3, 16, v3
	v_cvt_i32_f32_e32 v3, v3
	s_branch .LBB103_206
.LBB103_202:
	s_mov_b64 s[10:11], -1
                                        ; implicit-def: $vgpr3
	s_branch .LBB103_207
.LBB103_203:
	s_andn2_saveexec_b64 s[2:3], s[2:3]
	s_cbranch_execz .LBB103_184
.LBB103_204:
	v_cmp_ne_u16_e32 vcc, 0, v4
	s_andn2_b64 s[10:11], s[10:11], exec
	s_and_b64 s[14:15], vcc, exec
	s_or_b64 s[10:11], s[10:11], s[14:15]
	s_or_b64 exec, exec, s[2:3]
	v_mov_b32_e32 v3, 0
	s_and_saveexec_b64 s[2:3], s[10:11]
	s_cbranch_execnz .LBB103_185
	s_branch .LBB103_186
.LBB103_205:
	s_mov_b64 s[8:9], -1
                                        ; implicit-def: $vgpr3
.LBB103_206:
	s_mov_b64 s[10:11], 0
.LBB103_207:
	s_and_b64 vcc, exec, s[10:11]
	s_cbranch_vccz .LBB103_211
; %bb.208:
	s_cmp_eq_u32 s12, 11
	s_cbranch_scc0 .LBB103_210
; %bb.209:
	global_load_ubyte v3, v[1:2], off
	s_mov_b64 s[2:3], -1
	s_mov_b64 s[8:9], 0
	s_waitcnt vmcnt(0)
	v_cmp_ne_u16_e32 vcc, 0, v3
	v_cndmask_b32_e64 v3, 0, 1, vcc
	s_branch .LBB103_211
.LBB103_210:
	s_mov_b64 s[8:9], -1
                                        ; implicit-def: $vgpr3
.LBB103_211:
	s_branch .LBB103_24
.LBB103_212:
	s_cmp_lt_i32 s12, 5
	s_cbranch_scc1 .LBB103_217
; %bb.213:
	s_cmp_lt_i32 s12, 8
	s_cbranch_scc1 .LBB103_218
; %bb.214:
	;; [unrolled: 3-line block ×3, first 2 shown]
	s_cmp_gt_i32 s12, 9
	s_cbranch_scc0 .LBB103_220
; %bb.216:
	global_load_dwordx2 v[3:4], v[1:2], off
	s_mov_b64 s[2:3], 0
	s_waitcnt vmcnt(0)
	v_cvt_i32_f64_e32 v3, v[3:4]
	s_branch .LBB103_221
.LBB103_217:
                                        ; implicit-def: $vgpr3
	s_branch .LBB103_239
.LBB103_218:
	s_mov_b64 s[2:3], -1
                                        ; implicit-def: $vgpr3
	s_branch .LBB103_227
.LBB103_219:
	s_mov_b64 s[2:3], -1
                                        ; implicit-def: $vgpr3
	s_branch .LBB103_224
.LBB103_220:
	s_mov_b64 s[2:3], -1
                                        ; implicit-def: $vgpr3
.LBB103_221:
	s_andn2_b64 vcc, exec, s[2:3]
	s_cbranch_vccnz .LBB103_223
; %bb.222:
	global_load_dword v3, v[1:2], off
	s_waitcnt vmcnt(0)
	v_cvt_i32_f32_e32 v3, v3
.LBB103_223:
	s_mov_b64 s[2:3], 0
.LBB103_224:
	s_andn2_b64 vcc, exec, s[2:3]
	s_cbranch_vccnz .LBB103_226
; %bb.225:
	global_load_dword v3, v[1:2], off
	s_waitcnt vmcnt(0)
	v_cvt_i16_f16_e32 v3, v3
.LBB103_226:
	s_mov_b64 s[2:3], 0
.LBB103_227:
	s_andn2_b64 vcc, exec, s[2:3]
	s_cbranch_vccnz .LBB103_238
; %bb.228:
	s_cmp_lt_i32 s12, 6
	s_cbranch_scc1 .LBB103_231
; %bb.229:
	s_cmp_gt_i32 s12, 6
	s_cbranch_scc0 .LBB103_232
; %bb.230:
	global_load_dwordx2 v[3:4], v[1:2], off
	s_mov_b64 s[2:3], 0
	s_waitcnt vmcnt(0)
	v_cvt_i32_f64_e32 v3, v[3:4]
	s_branch .LBB103_233
.LBB103_231:
	s_mov_b64 s[2:3], -1
                                        ; implicit-def: $vgpr3
	s_branch .LBB103_236
.LBB103_232:
	s_mov_b64 s[2:3], -1
                                        ; implicit-def: $vgpr3
.LBB103_233:
	s_andn2_b64 vcc, exec, s[2:3]
	s_cbranch_vccnz .LBB103_235
; %bb.234:
	global_load_dword v3, v[1:2], off
	s_waitcnt vmcnt(0)
	v_cvt_i32_f32_e32 v3, v3
.LBB103_235:
	s_mov_b64 s[2:3], 0
.LBB103_236:
	s_andn2_b64 vcc, exec, s[2:3]
	s_cbranch_vccnz .LBB103_238
; %bb.237:
	global_load_ushort v3, v[1:2], off
	s_waitcnt vmcnt(0)
	v_cvt_i16_f16_e32 v3, v3
.LBB103_238:
	s_cbranch_execnz .LBB103_258
.LBB103_239:
	s_cmp_lt_i32 s12, 2
	s_cbranch_scc1 .LBB103_243
; %bb.240:
	s_cmp_lt_i32 s12, 3
	s_cbranch_scc1 .LBB103_244
; %bb.241:
	s_cmp_gt_i32 s12, 3
	s_cbranch_scc0 .LBB103_245
; %bb.242:
	global_load_dwordx2 v[3:4], v[1:2], off
	s_mov_b64 s[2:3], 0
	s_branch .LBB103_246
.LBB103_243:
	s_mov_b64 s[2:3], -1
                                        ; implicit-def: $vgpr3
	s_branch .LBB103_252
.LBB103_244:
	s_mov_b64 s[2:3], -1
                                        ; implicit-def: $vgpr3
	s_branch .LBB103_249
.LBB103_245:
	s_mov_b64 s[2:3], -1
                                        ; implicit-def: $vgpr3
.LBB103_246:
	s_andn2_b64 vcc, exec, s[2:3]
	s_cbranch_vccnz .LBB103_248
; %bb.247:
	global_load_dword v3, v[1:2], off
.LBB103_248:
	s_mov_b64 s[2:3], 0
.LBB103_249:
	s_andn2_b64 vcc, exec, s[2:3]
	s_cbranch_vccnz .LBB103_251
; %bb.250:
	global_load_ushort v3, v[1:2], off
.LBB103_251:
	s_mov_b64 s[2:3], 0
.LBB103_252:
	s_andn2_b64 vcc, exec, s[2:3]
	s_cbranch_vccnz .LBB103_258
; %bb.253:
	s_cmp_gt_i32 s12, 0
	s_cbranch_scc0 .LBB103_255
; %bb.254:
	global_load_sbyte v3, v[1:2], off
	s_mov_b64 s[2:3], 0
	s_branch .LBB103_256
.LBB103_255:
	s_mov_b64 s[2:3], -1
                                        ; implicit-def: $vgpr3
.LBB103_256:
	s_andn2_b64 vcc, exec, s[2:3]
	s_cbranch_vccnz .LBB103_258
; %bb.257:
	global_load_ubyte v3, v[1:2], off
.LBB103_258:
	s_branch .LBB103_25
.LBB103_259:
	s_mov_b64 s[2:3], 0
.LBB103_260:
	s_mov_b64 s[10:11], 0
                                        ; implicit-def: $vgpr8
.LBB103_261:
	s_and_b64 s[56:57], s[2:3], exec
	s_and_b64 s[58:59], s[8:9], exec
	s_orn2_b64 s[2:3], s[10:11], exec
.LBB103_262:
	s_or_b64 exec, exec, s[60:61]
	s_mov_b64 s[12:13], 0
	s_mov_b64 s[10:11], 0
                                        ; implicit-def: $vgpr1_vgpr2
                                        ; implicit-def: $vgpr0
                                        ; implicit-def: $vgpr3
	s_and_saveexec_b64 s[60:61], s[2:3]
	s_cbranch_execz .LBB103_269
; %bb.263:
	v_cmp_gt_i32_e32 vcc, s72, v8
	s_mov_b64 s[2:3], -1
	s_mov_b64 s[62:63], s[58:59]
	s_mov_b64 s[64:65], s[56:57]
	s_and_saveexec_b64 s[66:67], vcc
	s_cbranch_execz .LBB103_534
; %bb.264:
	s_andn2_b64 vcc, exec, s[44:45]
	s_cbranch_vccnz .LBB103_272
; %bb.265:
	s_andn2_b64 vcc, exec, s[54:55]
	s_cbranch_vccnz .LBB103_273
; %bb.266:
	s_add_i32 s65, s78, 1
	s_cmp_eq_u32 s74, 2
	s_cbranch_scc1 .LBB103_274
; %bb.267:
	s_and_b32 s64, s65, 28
	v_mov_b32_e32 v2, 0
	s_mov_b32 s68, 0
	s_mov_b64 s[2:3], s[34:35]
	s_mov_b64 s[62:63], s[52:53]
	v_mov_b32_e32 v0, 0
	v_mov_b32_e32 v1, v8
.LBB103_268:                            ; =>This Inner Loop Header: Depth=1
	s_load_dwordx8 s[16:23], s[2:3], 0x4
	s_load_dwordx4 s[40:43], s[2:3], 0x24
	s_load_dwordx8 s[8:15], s[62:63], 0x0
	s_add_u32 s2, s2, 48
	s_addc_u32 s3, s3, 0
	s_waitcnt vmcnt(0) lgkmcnt(0)
	v_mul_hi_u32 v3, s17, v1
	s_add_i32 s68, s68, 4
	s_add_u32 s62, s62, 32
	s_addc_u32 s63, s63, 0
	v_add_u32_e32 v3, v1, v3
	v_lshrrev_b32_e32 v3, s18, v3
	v_mul_lo_u32 v4, v3, s16
	v_mul_hi_u32 v5, s20, v3
	s_cmp_eq_u32 s64, s68
	v_sub_u32_e32 v1, v1, v4
	v_add_u32_e32 v4, v3, v5
	v_mul_lo_u32 v5, v1, s8
	v_mul_lo_u32 v6, v1, s9
	v_lshrrev_b32_e32 v1, s21, v4
	v_mul_lo_u32 v4, v1, s19
	v_mul_hi_u32 v7, s23, v1
	v_sub_u32_e32 v3, v3, v4
	v_add_u32_e32 v4, v1, v7
	v_lshrrev_b32_e32 v4, s40, v4
	v_mul_hi_u32 v9, s42, v4
	v_mul_lo_u32 v10, v4, s22
	v_mul_lo_u32 v7, v3, s10
	;; [unrolled: 1-line block ×3, first 2 shown]
	v_sub_u32_e32 v10, v1, v10
	v_add_u32_e32 v1, v4, v9
	v_lshrrev_b32_e32 v1, s43, v1
	v_mul_lo_u32 v9, v1, s41
	v_mul_lo_u32 v11, v10, s12
	;; [unrolled: 1-line block ×3, first 2 shown]
	v_add3_u32 v0, v5, v0, v7
	v_sub_u32_e32 v4, v4, v9
	v_mul_lo_u32 v9, v4, s14
	v_mul_lo_u32 v4, v4, s15
	v_add3_u32 v2, v6, v2, v3
	v_add3_u32 v0, v11, v0, v9
	;; [unrolled: 1-line block ×3, first 2 shown]
	s_cbranch_scc0 .LBB103_268
	s_branch .LBB103_275
.LBB103_269:
	s_or_b64 exec, exec, s[60:61]
	s_mov_b64 s[2:3], 0
	s_and_saveexec_b64 s[8:9], s[58:59]
	s_cbranch_execnz .LBB103_902
.LBB103_270:
	s_or_b64 exec, exec, s[8:9]
	s_and_saveexec_b64 s[8:9], s[64:65]
	s_xor_b64 s[8:9], exec, s[8:9]
	s_cbranch_execz .LBB103_903
.LBB103_271:
	global_load_ubyte v3, v[1:2], off
	s_or_b64 s[10:11], s[10:11], exec
	s_waitcnt vmcnt(0)
	v_cmp_ne_u16_e32 vcc, 0, v3
	v_cndmask_b32_e64 v3, 0, 1, vcc
	s_or_b64 exec, exec, s[8:9]
	s_and_saveexec_b64 s[8:9], s[12:13]
	s_cbranch_execz .LBB103_949
	s_branch .LBB103_904
.LBB103_272:
                                        ; implicit-def: $vgpr0
                                        ; implicit-def: $vgpr2
	s_andn2_b64 vcc, exec, s[2:3]
	s_cbranch_vccz .LBB103_279
	s_branch .LBB103_281
.LBB103_273:
	v_mov_b32_e32 v0, 0
	v_mov_b32_e32 v2, 0
	s_branch .LBB103_278
.LBB103_274:
	s_mov_b32 s64, 0
	v_mov_b32_e32 v0, 0
	v_mov_b32_e32 v2, 0
	;; [unrolled: 1-line block ×3, first 2 shown]
.LBB103_275:
	s_and_b32 s10, s65, 3
	s_cmp_eq_u32 s10, 0
	s_cbranch_scc1 .LBB103_278
; %bb.276:
	s_lshl_b32 s2, s64, 3
	s_add_u32 s2, s34, s2
	s_addc_u32 s3, s35, 0
	s_add_u32 s2, s2, 0xc4
	s_addc_u32 s3, s3, 0
	s_mul_i32 s8, s64, 12
	s_add_u32 s8, s34, s8
	s_addc_u32 s9, s35, 0
.LBB103_277:                            ; =>This Inner Loop Header: Depth=1
	s_load_dwordx2 s[12:13], s[8:9], 0x4
	s_load_dword s11, s[8:9], 0xc
	s_load_dwordx2 s[14:15], s[2:3], 0x0
	s_add_u32 s8, s8, 12
	s_addc_u32 s9, s9, 0
	s_waitcnt vmcnt(0) lgkmcnt(0)
	v_mul_hi_u32 v3, s13, v1
	s_add_u32 s2, s2, 8
	s_addc_u32 s3, s3, 0
	s_add_i32 s10, s10, -1
	v_add_u32_e32 v3, v1, v3
	v_lshrrev_b32_e32 v4, s11, v3
	v_mul_lo_u32 v3, v4, s12
	s_cmp_lg_u32 s10, 0
	v_sub_u32_e32 v3, v1, v3
	v_mad_u64_u32 v[0:1], s[12:13], v3, s14, v[0:1]
	v_mad_u64_u32 v[2:3], s[12:13], v3, s15, v[2:3]
	v_mov_b32_e32 v1, v4
	s_cbranch_scc1 .LBB103_277
.LBB103_278:
	s_cbranch_execnz .LBB103_281
.LBB103_279:
	v_mul_hi_u32 v0, s29, v8
	s_andn2_b64 vcc, exec, s[50:51]
	v_add_u32_e32 v0, v8, v0
	v_lshrrev_b32_e32 v1, s30, v0
	v_mul_lo_u32 v0, v1, s28
	v_sub_u32_e32 v2, v8, v0
	v_mul_lo_u32 v0, v2, s36
	v_mul_lo_u32 v2, v2, s37
	s_cbranch_vccnz .LBB103_281
; %bb.280:
	s_waitcnt vmcnt(0)
	v_mul_hi_u32 v3, s48, v1
	v_add_u32_e32 v3, v1, v3
	v_lshrrev_b32_e32 v3, s49, v3
	v_mul_lo_u32 v3, v3, s31
	v_sub_u32_e32 v3, v1, v3
	v_mad_u64_u32 v[0:1], s[2:3], v3, s38, v[0:1]
	v_mad_u64_u32 v[2:3], s[2:3], v3, s39, v[2:3]
.LBB103_281:
	s_waitcnt vmcnt(0)
	v_mov_b32_e32 v3, s27
	s_and_b32 s12, 0xffff, s77
	v_add_co_u32_e32 v1, vcc, s26, v2
	s_cmp_lt_i32 s12, 11
	v_addc_co_u32_e32 v2, vcc, 0, v3, vcc
	s_cbranch_scc1 .LBB103_288
; %bb.282:
	s_cmp_gt_i32 s12, 25
	s_cbranch_scc0 .LBB103_297
; %bb.283:
	s_cmp_gt_i32 s12, 28
	s_cbranch_scc0 .LBB103_299
	;; [unrolled: 3-line block ×4, first 2 shown]
; %bb.286:
	s_cmp_eq_u32 s12, 46
	s_mov_b64 s[10:11], 0
	s_cbranch_scc0 .LBB103_309
; %bb.287:
	global_load_dword v3, v[1:2], off
	s_mov_b64 s[2:3], -1
	s_mov_b64 s[8:9], 0
	s_waitcnt vmcnt(0)
	v_lshlrev_b32_e32 v3, 16, v3
	v_cvt_i32_f32_e32 v3, v3
	s_branch .LBB103_310
.LBB103_288:
	s_mov_b64 s[2:3], 0
                                        ; implicit-def: $vgpr3
	s_mov_b64 s[8:9], s[58:59]
	s_cbranch_execnz .LBB103_483
.LBB103_289:
	s_andn2_b64 vcc, exec, s[2:3]
	s_cbranch_vccnz .LBB103_531
.LBB103_290:
	v_mov_b32_e32 v1, s76
	s_waitcnt vmcnt(0)
	v_cndmask_b32_e64 v4, v1, v3, s[0:1]
	v_mov_b32_e32 v1, s25
	s_and_b32 s16, s75, 0xff
	v_add_co_u32_e32 v0, vcc, s24, v0
	s_cmp_lt_i32 s16, 11
	v_addc_co_u32_e32 v1, vcc, 0, v1, vcc
	s_cbranch_scc1 .LBB103_298
; %bb.291:
	s_and_b32 s17, 0xffff, s16
	s_cmp_gt_i32 s17, 25
	s_cbranch_scc0 .LBB103_300
; %bb.292:
	s_cmp_gt_i32 s17, 28
	s_cbranch_scc0 .LBB103_302
; %bb.293:
	;; [unrolled: 3-line block ×4, first 2 shown]
	s_mov_b64 s[12:13], 0
	s_mov_b64 s[2:3], -1
	s_cmp_eq_u32 s17, 46
	s_mov_b64 s[10:11], 0
	s_cbranch_scc0 .LBB103_314
; %bb.296:
	v_cvt_f32_i32_sdwa v2, sext(v4) dst_sel:DWORD dst_unused:UNUSED_PAD src0_sel:WORD_0
	s_movk_i32 s2, 0x7fff
	s_mov_b64 s[10:11], -1
	v_bfe_u32 v3, v2, 16, 1
	v_add3_u32 v2, v2, v3, s2
	v_lshrrev_b32_e32 v2, 16, v2
	global_store_dword v[0:1], v2, off
	s_mov_b64 s[2:3], 0
	s_branch .LBB103_314
.LBB103_297:
	s_mov_b64 s[10:11], -1
	s_mov_b64 s[2:3], 0
	s_mov_b64 s[8:9], s[58:59]
                                        ; implicit-def: $vgpr3
	s_branch .LBB103_449
.LBB103_298:
	s_mov_b64 s[12:13], -1
	s_mov_b64 s[10:11], 0
	s_mov_b64 s[2:3], s[56:57]
	s_branch .LBB103_383
.LBB103_299:
	s_mov_b64 s[10:11], -1
	s_mov_b64 s[2:3], 0
	s_mov_b64 s[8:9], s[58:59]
                                        ; implicit-def: $vgpr3
	s_branch .LBB103_432
.LBB103_300:
	s_mov_b64 s[12:13], -1
	s_mov_b64 s[10:11], 0
	s_mov_b64 s[2:3], s[56:57]
	s_branch .LBB103_341
.LBB103_301:
	s_mov_b64 s[10:11], -1
	s_mov_b64 s[2:3], 0
	s_mov_b64 s[8:9], s[58:59]
                                        ; implicit-def: $vgpr3
	s_branch .LBB103_427
.LBB103_302:
	s_mov_b64 s[12:13], -1
	s_mov_b64 s[10:11], 0
	s_mov_b64 s[2:3], s[56:57]
	s_branch .LBB103_324
.LBB103_303:
	s_andn2_saveexec_b64 s[14:15], s[14:15]
	s_cbranch_execz .LBB103_68
.LBB103_304:
	s_mov_b32 s18, 0x46000000
	v_add_f32_e64 v3, |v2|, s18
	v_and_b32_e32 v3, 0xff, v3
	v_cmp_ne_u32_e32 vcc, 0, v3
	s_andn2_b64 s[12:13], s[12:13], exec
	s_and_b64 s[18:19], vcc, exec
	s_or_b64 s[12:13], s[12:13], s[18:19]
	s_or_b64 exec, exec, s[14:15]
	v_mov_b32_e32 v5, 0
	s_and_saveexec_b64 s[14:15], s[12:13]
	s_cbranch_execnz .LBB103_69
	s_branch .LBB103_70
.LBB103_305:
	s_mov_b64 s[10:11], -1
	s_mov_b64 s[2:3], 0
	s_mov_b64 s[8:9], s[58:59]
                                        ; implicit-def: $vgpr3
	s_branch .LBB103_310
.LBB103_306:
	s_mov_b64 s[12:13], -1
	s_mov_b64 s[10:11], 0
	s_mov_b64 s[2:3], s[56:57]
	s_branch .LBB103_320
.LBB103_307:
	s_andn2_saveexec_b64 s[14:15], s[14:15]
	s_cbranch_execz .LBB103_81
.LBB103_308:
	s_mov_b32 s18, 0x42800000
	v_add_f32_e64 v3, |v2|, s18
	v_and_b32_e32 v3, 0xff, v3
	v_cmp_ne_u32_e32 vcc, 0, v3
	s_andn2_b64 s[12:13], s[12:13], exec
	s_and_b64 s[18:19], vcc, exec
	s_or_b64 s[12:13], s[12:13], s[18:19]
	s_or_b64 exec, exec, s[14:15]
	v_mov_b32_e32 v5, 0
	s_and_saveexec_b64 s[14:15], s[12:13]
	s_cbranch_execnz .LBB103_82
	s_branch .LBB103_83
.LBB103_309:
	s_mov_b64 s[8:9], -1
                                        ; implicit-def: $vgpr3
	s_mov_b64 s[2:3], 0
.LBB103_310:
	s_and_b64 vcc, exec, s[10:11]
	s_cbranch_vccz .LBB103_426
; %bb.311:
	s_cmp_eq_u32 s12, 44
	s_cbranch_scc0 .LBB103_425
; %bb.312:
	global_load_ubyte v3, v[1:2], off
	s_mov_b64 s[2:3], -1
	s_mov_b64 s[8:9], 0
	s_waitcnt vmcnt(0)
	v_lshlrev_b32_e32 v4, 23, v3
	v_cvt_i32_f32_e32 v4, v4
	v_cmp_ne_u32_e32 vcc, 0, v3
	v_cndmask_b32_e32 v3, 0, v4, vcc
	s_branch .LBB103_426
.LBB103_313:
	s_mov_b64 s[12:13], -1
	s_mov_b64 s[10:11], 0
	s_mov_b64 s[2:3], s[56:57]
.LBB103_314:
	s_and_b64 vcc, exec, s[12:13]
	s_cbranch_vccz .LBB103_319
; %bb.315:
	s_cmp_eq_u32 s17, 44
	s_mov_b64 s[2:3], -1
	s_cbranch_scc0 .LBB103_319
; %bb.316:
	v_cvt_f32_i32_sdwa v2, sext(v4) dst_sel:DWORD dst_unused:UNUSED_PAD src0_sel:WORD_0
	s_movk_i32 s2, 0xff
	v_mov_b32_e32 v5, 0xff
	v_bfe_u32 v3, v2, 23, 8
	v_cmp_ne_u32_e32 vcc, s2, v3
	s_and_saveexec_b64 s[10:11], vcc
; %bb.317:
	s_mov_b32 s2, 0x3fffff
	v_lshrrev_b32_e32 v5, 23, v2
	v_and_b32_e32 v6, 0x400000, v2
	v_and_or_b32 v2, v2, s2, v3
	v_cmp_ne_u32_e32 vcc, 0, v6
	v_cmp_ne_u32_e64 s[2:3], 0, v2
	s_and_b64 s[2:3], vcc, s[2:3]
	v_cndmask_b32_e64 v2, 0, 1, s[2:3]
	v_add_u32_e32 v5, v5, v2
; %bb.318:
	s_or_b64 exec, exec, s[10:11]
	s_mov_b64 s[10:11], -1
	s_mov_b64 s[2:3], 0
	global_store_byte v[0:1], v5, off
.LBB103_319:
	s_mov_b64 s[12:13], 0
.LBB103_320:
	s_and_b64 vcc, exec, s[12:13]
	s_cbranch_vccz .LBB103_323
; %bb.321:
	s_cmp_eq_u32 s17, 29
	s_mov_b64 s[2:3], -1
	s_cbranch_scc0 .LBB103_323
; %bb.322:
	v_bfe_i32 v2, v4, 0, 16
	v_ashrrev_i32_e32 v3, 31, v2
	global_store_dwordx2 v[0:1], v[2:3], off
	s_mov_b64 s[10:11], -1
	s_mov_b64 s[2:3], 0
.LBB103_323:
	s_mov_b64 s[12:13], 0
.LBB103_324:
	s_and_b64 vcc, exec, s[12:13]
	s_cbranch_vccz .LBB103_340
; %bb.325:
	s_cmp_lt_i32 s17, 27
	s_mov_b64 s[10:11], -1
	s_cbranch_scc1 .LBB103_331
; %bb.326:
	s_cmp_gt_i32 s17, 27
	s_cbranch_scc0 .LBB103_328
; %bb.327:
	v_bfe_i32 v2, v4, 0, 16
	s_mov_b64 s[10:11], 0
	global_store_dword v[0:1], v2, off
.LBB103_328:
	s_andn2_b64 vcc, exec, s[10:11]
	s_cbranch_vccnz .LBB103_330
; %bb.329:
	global_store_short v[0:1], v4, off
.LBB103_330:
	s_mov_b64 s[10:11], 0
.LBB103_331:
	s_andn2_b64 vcc, exec, s[10:11]
	s_cbranch_vccnz .LBB103_339
; %bb.332:
	v_cvt_f32_i32_sdwa v2, sext(v4) dst_sel:DWORD dst_unused:UNUSED_PAD src0_sel:WORD_0
	s_mov_b32 s10, 0x43800000
	v_mov_b32_e32 v5, 0x80
	v_and_b32_e32 v3, 0x7fffffff, v2
	v_cmp_gt_u32_e32 vcc, s10, v3
	s_and_saveexec_b64 s[10:11], vcc
	s_cbranch_execz .LBB103_338
; %bb.333:
	s_mov_b32 s12, 0x3bffffff
	v_cmp_lt_u32_e32 vcc, s12, v3
	s_mov_b64 s[12:13], 0
                                        ; implicit-def: $vgpr3
	s_and_saveexec_b64 s[14:15], vcc
	s_xor_b64 s[14:15], exec, s[14:15]
	s_cbranch_execz .LBB103_562
; %bb.334:
	v_bfe_u32 v3, v2, 20, 1
	s_mov_b32 s18, 0x487ffff
	v_add3_u32 v3, v2, v3, s18
	s_mov_b64 s[12:13], exec
	v_lshrrev_b32_e32 v3, 20, v3
	s_andn2_saveexec_b64 s[14:15], s[14:15]
	s_cbranch_execnz .LBB103_563
.LBB103_335:
	s_or_b64 exec, exec, s[14:15]
	v_mov_b32_e32 v5, 0
	s_and_saveexec_b64 s[14:15], s[12:13]
.LBB103_336:
	v_lshrrev_b32_e32 v2, 24, v2
	s_movk_i32 s12, 0x80
	v_and_or_b32 v5, v2, s12, v3
.LBB103_337:
	s_or_b64 exec, exec, s[14:15]
.LBB103_338:
	s_or_b64 exec, exec, s[10:11]
	global_store_byte v[0:1], v5, off
.LBB103_339:
	s_mov_b64 s[10:11], -1
.LBB103_340:
	s_mov_b64 s[12:13], 0
.LBB103_341:
	s_and_b64 vcc, exec, s[12:13]
	s_cbranch_vccz .LBB103_382
; %bb.342:
	s_cmp_gt_i32 s17, 22
	s_mov_b64 s[12:13], -1
	s_cbranch_scc0 .LBB103_374
; %bb.343:
	s_cmp_lt_i32 s17, 24
	s_mov_b64 s[10:11], -1
	s_cbranch_scc1 .LBB103_363
; %bb.344:
	s_cmp_gt_i32 s17, 24
	s_cbranch_scc0 .LBB103_352
; %bb.345:
	v_cvt_f32_i32_sdwa v2, sext(v4) dst_sel:DWORD dst_unused:UNUSED_PAD src0_sel:WORD_0
	s_mov_b32 s10, 0x47800000
	v_mov_b32_e32 v5, 0x80
	v_and_b32_e32 v3, 0x7fffffff, v2
	v_cmp_gt_u32_e32 vcc, s10, v3
	s_and_saveexec_b64 s[10:11], vcc
	s_cbranch_execz .LBB103_351
; %bb.346:
	s_mov_b32 s12, 0x37ffffff
	v_cmp_lt_u32_e32 vcc, s12, v3
	s_mov_b64 s[12:13], 0
                                        ; implicit-def: $vgpr3
	s_and_saveexec_b64 s[14:15], vcc
	s_xor_b64 s[14:15], exec, s[14:15]
	s_cbranch_execz .LBB103_565
; %bb.347:
	v_bfe_u32 v3, v2, 21, 1
	s_mov_b32 s18, 0x88fffff
	v_add3_u32 v3, v2, v3, s18
	s_mov_b64 s[12:13], exec
	v_lshrrev_b32_e32 v3, 21, v3
	s_andn2_saveexec_b64 s[14:15], s[14:15]
	s_cbranch_execnz .LBB103_566
.LBB103_348:
	s_or_b64 exec, exec, s[14:15]
	v_mov_b32_e32 v5, 0
	s_and_saveexec_b64 s[14:15], s[12:13]
.LBB103_349:
	v_lshrrev_b32_e32 v2, 24, v2
	s_movk_i32 s12, 0x80
	v_and_or_b32 v5, v2, s12, v3
.LBB103_350:
	s_or_b64 exec, exec, s[14:15]
.LBB103_351:
	s_or_b64 exec, exec, s[10:11]
	s_mov_b64 s[10:11], 0
	global_store_byte v[0:1], v5, off
.LBB103_352:
	s_and_b64 vcc, exec, s[10:11]
	s_cbranch_vccz .LBB103_362
; %bb.353:
	v_cvt_f32_i32_sdwa v2, sext(v4) dst_sel:DWORD dst_unused:UNUSED_PAD src0_sel:WORD_0
	s_mov_b32 s10, 0x43f00000
                                        ; implicit-def: $vgpr3
	v_and_b32_e32 v5, 0x7fffffff, v2
	v_cmp_gt_u32_e32 vcc, s10, v5
	s_and_saveexec_b64 s[10:11], vcc
	s_xor_b64 s[10:11], exec, s[10:11]
	s_cbranch_execz .LBB103_359
; %bb.354:
	s_mov_b32 s12, 0x3c7fffff
	v_cmp_lt_u32_e32 vcc, s12, v5
                                        ; implicit-def: $vgpr3
	s_and_saveexec_b64 s[12:13], vcc
	s_xor_b64 s[12:13], exec, s[12:13]
; %bb.355:
	v_bfe_u32 v3, v2, 20, 1
	s_mov_b32 s14, 0x407ffff
	v_add3_u32 v3, v2, v3, s14
	v_lshrrev_b32_e32 v5, 20, v3
	v_and_b32_e32 v3, 0xff00000, v3
	s_mov_b32 s14, 0x7f00000
	v_mov_b32_e32 v6, 0x7e
	v_cmp_ne_u32_e32 vcc, s14, v3
	v_cndmask_b32_e32 v3, v6, v5, vcc
; %bb.356:
	s_andn2_saveexec_b64 s[12:13], s[12:13]
; %bb.357:
	s_mov_b32 s14, 0x46800000
	v_add_f32_e64 v3, |v2|, s14
; %bb.358:
	s_or_b64 exec, exec, s[12:13]
                                        ; implicit-def: $vgpr5
.LBB103_359:
	s_andn2_saveexec_b64 s[10:11], s[10:11]
; %bb.360:
	s_mov_b32 s12, 0x7f800000
	v_mov_b32_e32 v3, 0x7e
	v_mov_b32_e32 v6, 0x7f
	v_cmp_lt_u32_e32 vcc, s12, v5
	v_cndmask_b32_e32 v3, v3, v6, vcc
; %bb.361:
	s_or_b64 exec, exec, s[10:11]
	v_lshrrev_b32_e32 v2, 24, v2
	s_movk_i32 s10, 0x80
	v_and_or_b32 v2, v2, s10, v3
	global_store_byte v[0:1], v2, off
.LBB103_362:
	s_mov_b64 s[10:11], 0
.LBB103_363:
	s_andn2_b64 vcc, exec, s[10:11]
	s_cbranch_vccnz .LBB103_373
; %bb.364:
	v_cvt_f32_i32_sdwa v2, sext(v4) dst_sel:DWORD dst_unused:UNUSED_PAD src0_sel:WORD_0
	s_mov_b32 s10, 0x47800000
                                        ; implicit-def: $vgpr3
	v_and_b32_e32 v5, 0x7fffffff, v2
	v_cmp_gt_u32_e32 vcc, s10, v5
	s_and_saveexec_b64 s[10:11], vcc
	s_xor_b64 s[10:11], exec, s[10:11]
	s_cbranch_execz .LBB103_370
; %bb.365:
	s_mov_b32 s12, 0x387fffff
	v_cmp_lt_u32_e32 vcc, s12, v5
                                        ; implicit-def: $vgpr3
	s_and_saveexec_b64 s[12:13], vcc
	s_xor_b64 s[12:13], exec, s[12:13]
; %bb.366:
	v_bfe_u32 v3, v2, 21, 1
	s_mov_b32 s14, 0x80fffff
	v_add3_u32 v3, v2, v3, s14
	v_lshrrev_b32_e32 v3, 21, v3
; %bb.367:
	s_andn2_saveexec_b64 s[12:13], s[12:13]
; %bb.368:
	s_mov_b32 s14, 0x43000000
	v_add_f32_e64 v3, |v2|, s14
; %bb.369:
	s_or_b64 exec, exec, s[12:13]
                                        ; implicit-def: $vgpr5
.LBB103_370:
	s_andn2_saveexec_b64 s[10:11], s[10:11]
; %bb.371:
	s_mov_b32 s12, 0x7f800000
	v_mov_b32_e32 v3, 0x7c
	v_mov_b32_e32 v6, 0x7f
	v_cmp_lt_u32_e32 vcc, s12, v5
	v_cndmask_b32_e32 v3, v3, v6, vcc
; %bb.372:
	s_or_b64 exec, exec, s[10:11]
	v_lshrrev_b32_e32 v2, 24, v2
	s_movk_i32 s10, 0x80
	v_and_or_b32 v2, v2, s10, v3
	global_store_byte v[0:1], v2, off
.LBB103_373:
	s_mov_b64 s[12:13], 0
	s_mov_b64 s[10:11], -1
.LBB103_374:
	s_andn2_b64 vcc, exec, s[12:13]
	s_cbranch_vccnz .LBB103_382
; %bb.375:
	s_cmp_gt_i32 s17, 14
	s_mov_b64 s[12:13], -1
	s_cbranch_scc0 .LBB103_379
; %bb.376:
	s_cmp_eq_u32 s17, 15
	s_mov_b64 s[2:3], -1
	s_cbranch_scc0 .LBB103_378
; %bb.377:
	v_cvt_f32_i32_sdwa v2, sext(v4) dst_sel:DWORD dst_unused:UNUSED_PAD src0_sel:WORD_0
	s_movk_i32 s2, 0x7fff
	s_mov_b64 s[10:11], -1
	v_bfe_u32 v3, v2, 16, 1
	v_add3_u32 v2, v2, v3, s2
	global_store_short_d16_hi v[0:1], v2, off
	s_mov_b64 s[2:3], 0
.LBB103_378:
	s_mov_b64 s[12:13], 0
.LBB103_379:
	s_and_b64 vcc, exec, s[12:13]
	s_cbranch_vccz .LBB103_382
; %bb.380:
	s_cmp_eq_u32 s17, 11
	s_mov_b64 s[2:3], -1
	s_cbranch_scc0 .LBB103_382
; %bb.381:
	v_cmp_ne_u16_e32 vcc, 0, v4
	v_cndmask_b32_e64 v2, 0, 1, vcc
	s_mov_b64 s[10:11], -1
	s_mov_b64 s[2:3], 0
	global_store_byte v[0:1], v2, off
.LBB103_382:
	s_mov_b64 s[12:13], 0
.LBB103_383:
	s_and_b64 vcc, exec, s[12:13]
	s_cbranch_vccz .LBB103_422
; %bb.384:
	s_and_b32 s12, 0xffff, s16
	s_cmp_lt_i32 s12, 5
	s_mov_b64 s[10:11], -1
	s_cbranch_scc1 .LBB103_405
; %bb.385:
	s_cmp_lt_i32 s12, 8
	s_cbranch_scc1 .LBB103_395
; %bb.386:
	s_cmp_lt_i32 s12, 9
	s_cbranch_scc1 .LBB103_392
; %bb.387:
	s_cmp_gt_i32 s12, 9
	s_cbranch_scc0 .LBB103_389
; %bb.388:
	v_bfe_i32 v2, v4, 0, 16
	v_cvt_f64_i32_e32 v[9:10], v2
	v_mov_b32_e32 v11, 0
	v_mov_b32_e32 v12, v11
	s_mov_b64 s[10:11], 0
	global_store_dwordx4 v[0:1], v[9:12], off
.LBB103_389:
	s_andn2_b64 vcc, exec, s[10:11]
	s_cbranch_vccnz .LBB103_391
; %bb.390:
	v_cvt_f32_i32_sdwa v2, sext(v4) dst_sel:DWORD dst_unused:UNUSED_PAD src0_sel:WORD_0
	v_mov_b32_e32 v3, 0
	global_store_dwordx2 v[0:1], v[2:3], off
.LBB103_391:
	s_mov_b64 s[10:11], 0
.LBB103_392:
	s_andn2_b64 vcc, exec, s[10:11]
	s_cbranch_vccnz .LBB103_394
; %bb.393:
	v_cvt_f16_i16_e32 v2, v4
	global_store_dword v[0:1], v2, off
.LBB103_394:
	s_mov_b64 s[10:11], 0
.LBB103_395:
	s_andn2_b64 vcc, exec, s[10:11]
	s_cbranch_vccnz .LBB103_404
; %bb.396:
	s_cmp_lt_i32 s12, 6
	s_mov_b64 s[10:11], -1
	s_cbranch_scc1 .LBB103_402
; %bb.397:
	s_cmp_gt_i32 s12, 6
	s_cbranch_scc0 .LBB103_399
; %bb.398:
	v_bfe_i32 v2, v4, 0, 16
	v_cvt_f64_i32_e32 v[2:3], v2
	s_mov_b64 s[10:11], 0
	global_store_dwordx2 v[0:1], v[2:3], off
.LBB103_399:
	s_andn2_b64 vcc, exec, s[10:11]
	s_cbranch_vccnz .LBB103_401
; %bb.400:
	v_cvt_f32_i32_sdwa v2, sext(v4) dst_sel:DWORD dst_unused:UNUSED_PAD src0_sel:WORD_0
	global_store_dword v[0:1], v2, off
.LBB103_401:
	s_mov_b64 s[10:11], 0
.LBB103_402:
	s_andn2_b64 vcc, exec, s[10:11]
	s_cbranch_vccnz .LBB103_404
; %bb.403:
	v_cvt_f16_i16_e32 v2, v4
	global_store_short v[0:1], v2, off
.LBB103_404:
	s_mov_b64 s[10:11], 0
.LBB103_405:
	s_andn2_b64 vcc, exec, s[10:11]
	s_cbranch_vccnz .LBB103_421
; %bb.406:
	s_cmp_lt_i32 s12, 2
	s_mov_b64 s[10:11], -1
	s_cbranch_scc1 .LBB103_416
; %bb.407:
	s_cmp_lt_i32 s12, 3
	s_cbranch_scc1 .LBB103_413
; %bb.408:
	s_cmp_gt_i32 s12, 3
	v_bfe_i32 v2, v4, 0, 16
	s_cbranch_scc0 .LBB103_410
; %bb.409:
	v_ashrrev_i32_e32 v3, 31, v2
	s_mov_b64 s[10:11], 0
	global_store_dwordx2 v[0:1], v[2:3], off
.LBB103_410:
	s_andn2_b64 vcc, exec, s[10:11]
	s_cbranch_vccnz .LBB103_412
; %bb.411:
	global_store_dword v[0:1], v2, off
.LBB103_412:
	s_mov_b64 s[10:11], 0
.LBB103_413:
	s_andn2_b64 vcc, exec, s[10:11]
	s_cbranch_vccnz .LBB103_415
; %bb.414:
	global_store_short v[0:1], v4, off
.LBB103_415:
	s_mov_b64 s[10:11], 0
.LBB103_416:
	s_andn2_b64 vcc, exec, s[10:11]
	s_cbranch_vccnz .LBB103_421
; %bb.417:
	s_cmp_gt_i32 s12, 0
	s_mov_b64 s[10:11], -1
	s_cbranch_scc0 .LBB103_419
; %bb.418:
	s_mov_b64 s[10:11], 0
	global_store_byte v[0:1], v4, off
.LBB103_419:
	s_andn2_b64 vcc, exec, s[10:11]
	s_cbranch_vccnz .LBB103_421
; %bb.420:
	global_store_byte v[0:1], v4, off
.LBB103_421:
	s_mov_b64 s[10:11], -1
.LBB103_422:
	s_andn2_b64 vcc, exec, s[10:11]
	s_cbranch_vccnz .LBB103_424
; %bb.423:
	v_add_u32_e32 v8, 0x80, v8
	s_mov_b64 s[10:11], -1
	s_branch .LBB103_533
.LBB103_424:
	s_mov_b64 s[10:11], 0
	s_branch .LBB103_532
.LBB103_425:
	s_mov_b64 s[8:9], -1
                                        ; implicit-def: $vgpr3
.LBB103_426:
	s_mov_b64 s[10:11], 0
.LBB103_427:
	s_and_b64 vcc, exec, s[10:11]
	s_cbranch_vccz .LBB103_431
; %bb.428:
	s_cmp_eq_u32 s12, 29
	s_cbranch_scc0 .LBB103_430
; %bb.429:
	global_load_dwordx2 v[3:4], v[1:2], off
	s_mov_b64 s[2:3], -1
	s_mov_b64 s[8:9], 0
	s_branch .LBB103_431
.LBB103_430:
	s_mov_b64 s[8:9], -1
                                        ; implicit-def: $vgpr3
.LBB103_431:
	s_mov_b64 s[10:11], 0
.LBB103_432:
	s_and_b64 vcc, exec, s[10:11]
	s_cbranch_vccz .LBB103_448
; %bb.433:
	s_cmp_lt_i32 s12, 27
	s_cbranch_scc1 .LBB103_436
; %bb.434:
	s_cmp_gt_i32 s12, 27
	s_cbranch_scc0 .LBB103_437
; %bb.435:
	global_load_dword v3, v[1:2], off
	s_mov_b64 s[2:3], 0
	s_branch .LBB103_438
.LBB103_436:
	s_mov_b64 s[2:3], -1
                                        ; implicit-def: $vgpr3
	s_branch .LBB103_441
.LBB103_437:
	s_mov_b64 s[2:3], -1
                                        ; implicit-def: $vgpr3
.LBB103_438:
	s_andn2_b64 vcc, exec, s[2:3]
	s_cbranch_vccnz .LBB103_440
; %bb.439:
	global_load_ushort v3, v[1:2], off
.LBB103_440:
	s_mov_b64 s[2:3], 0
.LBB103_441:
	s_andn2_b64 vcc, exec, s[2:3]
	s_cbranch_vccnz .LBB103_447
; %bb.442:
	global_load_ubyte v4, v[1:2], off
	s_movk_i32 s2, 0x7f
	s_mov_b64 s[10:11], 0
	s_waitcnt vmcnt(0)
	v_cmp_lt_i16_e32 vcc, s2, v4
	s_and_saveexec_b64 s[2:3], vcc
	s_xor_b64 s[2:3], exec, s[2:3]
	s_cbranch_execz .LBB103_459
; %bb.443:
	s_movk_i32 s10, 0x80
	v_cmp_ne_u16_e32 vcc, s10, v4
	s_and_b64 s[10:11], vcc, exec
	s_andn2_saveexec_b64 s[2:3], s[2:3]
	s_cbranch_execnz .LBB103_460
.LBB103_444:
	s_or_b64 exec, exec, s[2:3]
	v_mov_b32_e32 v3, 0
	s_and_saveexec_b64 s[2:3], s[10:11]
	s_cbranch_execz .LBB103_446
.LBB103_445:
	v_lshlrev_b32_e32 v3, 24, v4
	v_and_b32_e32 v4, 0xffff, v4
	v_and_b32_e32 v5, 7, v4
	v_ffbh_u32_e32 v7, v5
	v_min_u32_e32 v7, 32, v7
	v_subrev_u32_e32 v9, 28, v7
	v_bfe_u32 v6, v4, 3, 4
	v_lshlrev_b32_e32 v4, v9, v4
	v_sub_u32_e32 v7, 29, v7
	v_and_b32_e32 v4, 7, v4
	v_cmp_eq_u32_e32 vcc, 0, v6
	v_cndmask_b32_e32 v6, v6, v7, vcc
	v_cndmask_b32_e32 v4, v5, v4, vcc
	v_mov_b32_e32 v5, 0x3b800000
	v_lshlrev_b32_e32 v4, 20, v4
	v_and_b32_e32 v3, 0x80000000, v3
	v_lshl_add_u32 v5, v6, 23, v5
	v_or3_b32 v3, v3, v5, v4
	v_cvt_i32_f32_e32 v3, v3
.LBB103_446:
	s_or_b64 exec, exec, s[2:3]
.LBB103_447:
	s_mov_b64 s[2:3], -1
.LBB103_448:
	s_mov_b64 s[10:11], 0
.LBB103_449:
	s_and_b64 vcc, exec, s[10:11]
	s_cbranch_vccz .LBB103_482
; %bb.450:
	s_cmp_gt_i32 s12, 22
	s_cbranch_scc0 .LBB103_458
; %bb.451:
	s_cmp_lt_i32 s12, 24
	s_cbranch_scc1 .LBB103_461
; %bb.452:
	s_cmp_gt_i32 s12, 24
	s_cbranch_scc0 .LBB103_462
; %bb.453:
	global_load_ubyte v4, v[1:2], off
	s_movk_i32 s2, 0x7f
	s_mov_b64 s[10:11], 0
	s_waitcnt vmcnt(0)
	v_cmp_lt_i16_e32 vcc, s2, v4
	s_and_saveexec_b64 s[2:3], vcc
	s_xor_b64 s[2:3], exec, s[2:3]
	s_cbranch_execz .LBB103_474
; %bb.454:
	s_movk_i32 s10, 0x80
	v_cmp_ne_u16_e32 vcc, s10, v4
	s_and_b64 s[10:11], vcc, exec
	s_andn2_saveexec_b64 s[2:3], s[2:3]
	s_cbranch_execnz .LBB103_475
.LBB103_455:
	s_or_b64 exec, exec, s[2:3]
	v_mov_b32_e32 v3, 0
	s_and_saveexec_b64 s[2:3], s[10:11]
	s_cbranch_execz .LBB103_457
.LBB103_456:
	v_lshlrev_b32_e32 v3, 24, v4
	v_and_b32_e32 v4, 0xffff, v4
	v_and_b32_e32 v5, 3, v4
	v_ffbh_u32_e32 v7, v5
	v_min_u32_e32 v7, 32, v7
	v_subrev_u32_e32 v9, 29, v7
	v_bfe_u32 v6, v4, 2, 5
	v_lshlrev_b32_e32 v4, v9, v4
	v_sub_u32_e32 v7, 30, v7
	v_and_b32_e32 v4, 3, v4
	v_cmp_eq_u32_e32 vcc, 0, v6
	v_cndmask_b32_e32 v6, v6, v7, vcc
	v_cndmask_b32_e32 v4, v5, v4, vcc
	v_mov_b32_e32 v5, 0x37800000
	v_lshlrev_b32_e32 v4, 21, v4
	v_and_b32_e32 v3, 0x80000000, v3
	v_lshl_add_u32 v5, v6, 23, v5
	v_or3_b32 v3, v3, v5, v4
	v_cvt_i32_f32_e32 v3, v3
.LBB103_457:
	s_or_b64 exec, exec, s[2:3]
	s_mov_b64 s[2:3], 0
	s_branch .LBB103_463
.LBB103_458:
	s_mov_b64 s[10:11], -1
                                        ; implicit-def: $vgpr3
	s_branch .LBB103_469
.LBB103_459:
	s_andn2_saveexec_b64 s[2:3], s[2:3]
	s_cbranch_execz .LBB103_444
.LBB103_460:
	v_cmp_ne_u16_e32 vcc, 0, v4
	s_andn2_b64 s[10:11], s[10:11], exec
	s_and_b64 s[14:15], vcc, exec
	s_or_b64 s[10:11], s[10:11], s[14:15]
	s_or_b64 exec, exec, s[2:3]
	v_mov_b32_e32 v3, 0
	s_and_saveexec_b64 s[2:3], s[10:11]
	s_cbranch_execnz .LBB103_445
	s_branch .LBB103_446
.LBB103_461:
	s_mov_b64 s[2:3], -1
                                        ; implicit-def: $vgpr3
	s_branch .LBB103_466
.LBB103_462:
	s_mov_b64 s[2:3], -1
                                        ; implicit-def: $vgpr3
.LBB103_463:
	s_and_b64 vcc, exec, s[2:3]
	s_cbranch_vccz .LBB103_465
; %bb.464:
	global_load_ubyte v3, v[1:2], off
	s_mov_b32 s2, 0x7f800000
	s_waitcnt vmcnt(0)
	v_lshlrev_b32_e32 v3, 24, v3
	v_and_b32_e32 v4, 0x7f000000, v3
	v_ffbh_u32_e32 v5, v4
	v_min_u32_e32 v5, 32, v5
	v_sub_u32_e64 v5, v5, 4 clamp
	v_lshlrev_b32_e32 v7, v5, v4
	v_lshlrev_b32_e32 v5, 23, v5
	v_lshrrev_b32_e32 v7, 4, v7
	v_add_u32_e32 v6, 0x1000000, v4
	v_sub_u32_e32 v5, v7, v5
	v_ashrrev_i32_e32 v6, 8, v6
	v_add_u32_e32 v5, 0x3c000000, v5
	v_and_or_b32 v5, v6, s2, v5
	v_cmp_ne_u32_e32 vcc, 0, v4
	v_cndmask_b32_e32 v4, 0, v5, vcc
	s_brev_b32 s2, 1
	v_and_or_b32 v3, v3, s2, v4
	v_cvt_i32_f32_e32 v3, v3
.LBB103_465:
	s_mov_b64 s[2:3], 0
.LBB103_466:
	s_andn2_b64 vcc, exec, s[2:3]
	s_cbranch_vccnz .LBB103_468
; %bb.467:
	global_load_ubyte v3, v[1:2], off
	s_movk_i32 s2, 0x7f00
	s_brev_b32 s3, 16
	s_waitcnt vmcnt(0)
	v_lshlrev_b16_e32 v4, 8, v3
	v_lshlrev_b32_e32 v3, 25, v3
	v_lshrrev_b32_e32 v5, 4, v3
	v_and_or_b32 v6, v4, s2, 0.5
	v_or_b32_e32 v5, 0x70000000, v5
	v_add_f32_e32 v6, -0.5, v6
	v_mul_f32_e32 v5, 0x7800000, v5
	v_cmp_gt_u32_e32 vcc, s3, v3
	v_bfe_i32 v4, v4, 0, 16
	v_cndmask_b32_e32 v3, v5, v6, vcc
	s_brev_b32 s2, 1
	v_and_or_b32 v3, v4, s2, v3
	v_cvt_i32_f32_e32 v3, v3
.LBB103_468:
	s_mov_b64 s[10:11], 0
	s_mov_b64 s[2:3], -1
.LBB103_469:
	s_andn2_b64 vcc, exec, s[10:11]
	s_cbranch_vccnz .LBB103_482
; %bb.470:
	s_cmp_gt_i32 s12, 14
	s_cbranch_scc0 .LBB103_473
; %bb.471:
	s_cmp_eq_u32 s12, 15
	s_cbranch_scc0 .LBB103_476
; %bb.472:
	global_load_ushort v3, v[1:2], off
	s_mov_b64 s[2:3], -1
	s_mov_b64 s[8:9], 0
	s_waitcnt vmcnt(0)
	v_lshlrev_b32_e32 v3, 16, v3
	v_cvt_i32_f32_e32 v3, v3
	s_branch .LBB103_477
.LBB103_473:
	s_mov_b64 s[10:11], -1
                                        ; implicit-def: $vgpr3
	s_branch .LBB103_478
.LBB103_474:
	s_andn2_saveexec_b64 s[2:3], s[2:3]
	s_cbranch_execz .LBB103_455
.LBB103_475:
	v_cmp_ne_u16_e32 vcc, 0, v4
	s_andn2_b64 s[10:11], s[10:11], exec
	s_and_b64 s[14:15], vcc, exec
	s_or_b64 s[10:11], s[10:11], s[14:15]
	s_or_b64 exec, exec, s[2:3]
	v_mov_b32_e32 v3, 0
	s_and_saveexec_b64 s[2:3], s[10:11]
	s_cbranch_execnz .LBB103_456
	s_branch .LBB103_457
.LBB103_476:
	s_mov_b64 s[8:9], -1
                                        ; implicit-def: $vgpr3
.LBB103_477:
	s_mov_b64 s[10:11], 0
.LBB103_478:
	s_and_b64 vcc, exec, s[10:11]
	s_cbranch_vccz .LBB103_482
; %bb.479:
	s_cmp_eq_u32 s12, 11
	s_cbranch_scc0 .LBB103_481
; %bb.480:
	global_load_ubyte v3, v[1:2], off
	s_mov_b64 s[2:3], -1
	s_mov_b64 s[8:9], 0
	s_waitcnt vmcnt(0)
	v_cmp_ne_u16_e32 vcc, 0, v3
	v_cndmask_b32_e64 v3, 0, 1, vcc
	s_branch .LBB103_482
.LBB103_481:
	s_mov_b64 s[8:9], -1
                                        ; implicit-def: $vgpr3
.LBB103_482:
	s_branch .LBB103_289
.LBB103_483:
	s_cmp_lt_i32 s12, 5
	s_cbranch_scc1 .LBB103_488
; %bb.484:
	s_cmp_lt_i32 s12, 8
	s_cbranch_scc1 .LBB103_489
; %bb.485:
	;; [unrolled: 3-line block ×3, first 2 shown]
	s_cmp_gt_i32 s12, 9
	s_cbranch_scc0 .LBB103_491
; %bb.487:
	global_load_dwordx2 v[3:4], v[1:2], off
	s_mov_b64 s[2:3], 0
	s_waitcnt vmcnt(0)
	v_cvt_i32_f64_e32 v3, v[3:4]
	s_branch .LBB103_492
.LBB103_488:
	s_mov_b64 s[2:3], -1
                                        ; implicit-def: $vgpr3
	s_branch .LBB103_510
.LBB103_489:
	s_mov_b64 s[2:3], -1
                                        ; implicit-def: $vgpr3
	s_branch .LBB103_498
.LBB103_490:
	s_mov_b64 s[2:3], -1
                                        ; implicit-def: $vgpr3
	s_branch .LBB103_495
.LBB103_491:
	s_mov_b64 s[2:3], -1
                                        ; implicit-def: $vgpr3
.LBB103_492:
	s_andn2_b64 vcc, exec, s[2:3]
	s_cbranch_vccnz .LBB103_494
; %bb.493:
	global_load_dword v3, v[1:2], off
	s_waitcnt vmcnt(0)
	v_cvt_i32_f32_e32 v3, v3
.LBB103_494:
	s_mov_b64 s[2:3], 0
.LBB103_495:
	s_andn2_b64 vcc, exec, s[2:3]
	s_cbranch_vccnz .LBB103_497
; %bb.496:
	global_load_dword v3, v[1:2], off
	s_waitcnt vmcnt(0)
	v_cvt_i16_f16_e32 v3, v3
.LBB103_497:
	s_mov_b64 s[2:3], 0
.LBB103_498:
	s_andn2_b64 vcc, exec, s[2:3]
	s_cbranch_vccnz .LBB103_509
; %bb.499:
	s_cmp_lt_i32 s12, 6
	s_cbranch_scc1 .LBB103_502
; %bb.500:
	s_cmp_gt_i32 s12, 6
	s_cbranch_scc0 .LBB103_503
; %bb.501:
	global_load_dwordx2 v[3:4], v[1:2], off
	s_mov_b64 s[2:3], 0
	s_waitcnt vmcnt(0)
	v_cvt_i32_f64_e32 v3, v[3:4]
	s_branch .LBB103_504
.LBB103_502:
	s_mov_b64 s[2:3], -1
                                        ; implicit-def: $vgpr3
	s_branch .LBB103_507
.LBB103_503:
	s_mov_b64 s[2:3], -1
                                        ; implicit-def: $vgpr3
.LBB103_504:
	s_andn2_b64 vcc, exec, s[2:3]
	s_cbranch_vccnz .LBB103_506
; %bb.505:
	global_load_dword v3, v[1:2], off
	s_waitcnt vmcnt(0)
	v_cvt_i32_f32_e32 v3, v3
.LBB103_506:
	s_mov_b64 s[2:3], 0
.LBB103_507:
	s_andn2_b64 vcc, exec, s[2:3]
	s_cbranch_vccnz .LBB103_509
; %bb.508:
	global_load_ushort v3, v[1:2], off
	s_waitcnt vmcnt(0)
	v_cvt_i16_f16_e32 v3, v3
.LBB103_509:
	s_mov_b64 s[2:3], 0
.LBB103_510:
	s_andn2_b64 vcc, exec, s[2:3]
	s_cbranch_vccnz .LBB103_530
; %bb.511:
	s_cmp_lt_i32 s12, 2
	s_cbranch_scc1 .LBB103_515
; %bb.512:
	s_cmp_lt_i32 s12, 3
	s_cbranch_scc1 .LBB103_516
; %bb.513:
	s_cmp_gt_i32 s12, 3
	s_cbranch_scc0 .LBB103_517
; %bb.514:
	global_load_dwordx2 v[3:4], v[1:2], off
	s_mov_b64 s[2:3], 0
	s_branch .LBB103_518
.LBB103_515:
	s_mov_b64 s[2:3], -1
                                        ; implicit-def: $vgpr3
	s_branch .LBB103_524
.LBB103_516:
	s_mov_b64 s[2:3], -1
                                        ; implicit-def: $vgpr3
	s_branch .LBB103_521
.LBB103_517:
	s_mov_b64 s[2:3], -1
                                        ; implicit-def: $vgpr3
.LBB103_518:
	s_andn2_b64 vcc, exec, s[2:3]
	s_cbranch_vccnz .LBB103_520
; %bb.519:
	global_load_dword v3, v[1:2], off
.LBB103_520:
	s_mov_b64 s[2:3], 0
.LBB103_521:
	s_andn2_b64 vcc, exec, s[2:3]
	s_cbranch_vccnz .LBB103_523
; %bb.522:
	global_load_ushort v3, v[1:2], off
.LBB103_523:
	s_mov_b64 s[2:3], 0
.LBB103_524:
	s_andn2_b64 vcc, exec, s[2:3]
	s_cbranch_vccnz .LBB103_530
; %bb.525:
	s_cmp_gt_i32 s12, 0
	s_cbranch_scc0 .LBB103_527
; %bb.526:
	global_load_sbyte v3, v[1:2], off
	s_mov_b64 s[2:3], 0
	s_branch .LBB103_528
.LBB103_527:
	s_mov_b64 s[2:3], -1
                                        ; implicit-def: $vgpr3
.LBB103_528:
	s_andn2_b64 vcc, exec, s[2:3]
	s_cbranch_vccnz .LBB103_530
; %bb.529:
	global_load_ubyte v3, v[1:2], off
.LBB103_530:
	s_branch .LBB103_290
.LBB103_531:
	s_mov_b64 s[10:11], 0
	s_mov_b64 s[2:3], s[56:57]
.LBB103_532:
                                        ; implicit-def: $vgpr8
.LBB103_533:
	s_andn2_b64 s[12:13], s[56:57], exec
	s_and_b64 s[2:3], s[2:3], exec
	s_or_b64 s[64:65], s[12:13], s[2:3]
	s_andn2_b64 s[2:3], s[58:59], exec
	s_and_b64 s[8:9], s[8:9], exec
	s_or_b64 s[62:63], s[2:3], s[8:9]
	s_orn2_b64 s[2:3], s[10:11], exec
.LBB103_534:
	s_or_b64 exec, exec, s[66:67]
	s_mov_b64 s[8:9], 0
	s_mov_b64 s[12:13], 0
	;; [unrolled: 1-line block ×3, first 2 shown]
                                        ; implicit-def: $vgpr1_vgpr2
                                        ; implicit-def: $vgpr0
                                        ; implicit-def: $vgpr3
	s_and_saveexec_b64 s[66:67], s[2:3]
	s_cbranch_execz .LBB103_901
; %bb.535:
	v_cmp_gt_i32_e32 vcc, s72, v8
	s_mov_b64 s[10:11], -1
	s_mov_b64 s[2:3], s[62:63]
	s_mov_b64 s[70:71], s[64:65]
	s_and_saveexec_b64 s[68:69], vcc
	s_cbranch_execz .LBB103_805
; %bb.536:
	s_andn2_b64 vcc, exec, s[44:45]
	s_cbranch_vccnz .LBB103_541
; %bb.537:
	s_andn2_b64 vcc, exec, s[54:55]
	s_cbranch_vccnz .LBB103_542
; %bb.538:
	s_add_i32 s79, s78, 1
	s_cmp_eq_u32 s74, 2
	s_cbranch_scc1 .LBB103_543
; %bb.539:
	s_and_b32 s73, s79, 28
	v_mov_b32_e32 v2, 0
	s_mov_b32 s80, 0
	s_mov_b64 s[2:3], s[34:35]
	s_mov_b64 s[70:71], s[52:53]
	v_mov_b32_e32 v0, 0
	v_mov_b32_e32 v1, v8
.LBB103_540:                            ; =>This Inner Loop Header: Depth=1
	s_load_dwordx8 s[16:23], s[2:3], 0x4
	s_load_dwordx4 s[40:43], s[2:3], 0x24
	s_load_dwordx8 s[8:15], s[70:71], 0x0
	s_add_u32 s2, s2, 48
	s_addc_u32 s3, s3, 0
	s_waitcnt vmcnt(0) lgkmcnt(0)
	v_mul_hi_u32 v3, s17, v1
	s_add_i32 s80, s80, 4
	s_add_u32 s70, s70, 32
	s_addc_u32 s71, s71, 0
	v_add_u32_e32 v3, v1, v3
	v_lshrrev_b32_e32 v3, s18, v3
	v_mul_lo_u32 v4, v3, s16
	v_mul_hi_u32 v5, s20, v3
	s_cmp_eq_u32 s73, s80
	v_sub_u32_e32 v1, v1, v4
	v_add_u32_e32 v4, v3, v5
	v_mul_lo_u32 v5, v1, s8
	v_mul_lo_u32 v6, v1, s9
	v_lshrrev_b32_e32 v1, s21, v4
	v_mul_lo_u32 v4, v1, s19
	v_mul_hi_u32 v7, s23, v1
	v_sub_u32_e32 v3, v3, v4
	v_add_u32_e32 v4, v1, v7
	v_lshrrev_b32_e32 v4, s40, v4
	v_mul_hi_u32 v9, s42, v4
	v_mul_lo_u32 v10, v4, s22
	v_mul_lo_u32 v7, v3, s10
	;; [unrolled: 1-line block ×3, first 2 shown]
	v_sub_u32_e32 v10, v1, v10
	v_add_u32_e32 v1, v4, v9
	v_lshrrev_b32_e32 v1, s43, v1
	v_mul_lo_u32 v9, v1, s41
	v_mul_lo_u32 v11, v10, s12
	;; [unrolled: 1-line block ×3, first 2 shown]
	v_add3_u32 v0, v5, v0, v7
	v_sub_u32_e32 v4, v4, v9
	v_mul_lo_u32 v9, v4, s14
	v_mul_lo_u32 v4, v4, s15
	v_add3_u32 v2, v6, v2, v3
	v_add3_u32 v0, v11, v0, v9
	;; [unrolled: 1-line block ×3, first 2 shown]
	s_cbranch_scc0 .LBB103_540
	s_branch .LBB103_544
.LBB103_541:
	s_mov_b64 s[2:3], -1
                                        ; implicit-def: $vgpr0
                                        ; implicit-def: $vgpr2
	s_branch .LBB103_548
.LBB103_542:
	v_mov_b32_e32 v0, 0
	v_mov_b32_e32 v2, 0
	s_branch .LBB103_547
.LBB103_543:
	s_mov_b32 s73, 0
	v_mov_b32_e32 v0, 0
	v_mov_b32_e32 v2, 0
	;; [unrolled: 1-line block ×3, first 2 shown]
.LBB103_544:
	s_and_b32 s10, s79, 3
	s_cmp_eq_u32 s10, 0
	s_cbranch_scc1 .LBB103_547
; %bb.545:
	s_lshl_b32 s2, s73, 3
	s_add_u32 s2, s34, s2
	s_addc_u32 s3, s35, 0
	s_add_u32 s2, s2, 0xc4
	s_addc_u32 s3, s3, 0
	s_mul_i32 s8, s73, 12
	s_add_u32 s8, s34, s8
	s_addc_u32 s9, s35, 0
.LBB103_546:                            ; =>This Inner Loop Header: Depth=1
	s_load_dwordx2 s[12:13], s[8:9], 0x4
	s_load_dword s11, s[8:9], 0xc
	s_load_dwordx2 s[14:15], s[2:3], 0x0
	s_add_u32 s8, s8, 12
	s_addc_u32 s9, s9, 0
	s_waitcnt vmcnt(0) lgkmcnt(0)
	v_mul_hi_u32 v3, s13, v1
	s_add_u32 s2, s2, 8
	s_addc_u32 s3, s3, 0
	s_add_i32 s10, s10, -1
	v_add_u32_e32 v3, v1, v3
	v_lshrrev_b32_e32 v4, s11, v3
	v_mul_lo_u32 v3, v4, s12
	s_cmp_lg_u32 s10, 0
	v_sub_u32_e32 v3, v1, v3
	v_mad_u64_u32 v[0:1], s[12:13], v3, s14, v[0:1]
	v_mad_u64_u32 v[2:3], s[12:13], v3, s15, v[2:3]
	v_mov_b32_e32 v1, v4
	s_cbranch_scc1 .LBB103_546
.LBB103_547:
	s_mov_b64 s[2:3], 0
.LBB103_548:
	s_andn2_b64 vcc, exec, s[2:3]
	s_cbranch_vccnz .LBB103_551
; %bb.549:
	v_mul_hi_u32 v0, s29, v8
	s_andn2_b64 vcc, exec, s[50:51]
	v_add_u32_e32 v0, v8, v0
	v_lshrrev_b32_e32 v1, s30, v0
	v_mul_lo_u32 v0, v1, s28
	v_sub_u32_e32 v2, v8, v0
	v_mul_lo_u32 v0, v2, s36
	v_mul_lo_u32 v2, v2, s37
	s_cbranch_vccnz .LBB103_551
; %bb.550:
	s_waitcnt vmcnt(0)
	v_mul_hi_u32 v3, s48, v1
	v_add_u32_e32 v3, v1, v3
	v_lshrrev_b32_e32 v3, s49, v3
	v_mul_lo_u32 v3, v3, s31
	v_sub_u32_e32 v3, v1, v3
	v_mad_u64_u32 v[0:1], s[2:3], v3, s38, v[0:1]
	v_mad_u64_u32 v[2:3], s[2:3], v3, s39, v[2:3]
.LBB103_551:
	s_waitcnt vmcnt(0)
	v_mov_b32_e32 v3, s27
	s_and_b32 s12, 0xffff, s77
	v_add_co_u32_e32 v1, vcc, s26, v2
	s_cmp_lt_i32 s12, 11
	v_addc_co_u32_e32 v2, vcc, 0, v3, vcc
	s_cbranch_scc1 .LBB103_558
; %bb.552:
	s_cmp_gt_i32 s12, 25
	s_cbranch_scc0 .LBB103_559
; %bb.553:
	s_cmp_gt_i32 s12, 28
	s_cbranch_scc0 .LBB103_560
	;; [unrolled: 3-line block ×4, first 2 shown]
; %bb.556:
	s_cmp_eq_u32 s12, 46
	s_mov_b64 s[10:11], 0
	s_cbranch_scc0 .LBB103_567
; %bb.557:
	global_load_dword v3, v[1:2], off
	s_mov_b64 s[2:3], -1
	s_mov_b64 s[8:9], 0
	s_waitcnt vmcnt(0)
	v_lshlrev_b32_e32 v3, 16, v3
	v_cvt_i32_f32_e32 v3, v3
	s_branch .LBB103_568
.LBB103_558:
	s_mov_b64 s[10:11], -1
	s_mov_b64 s[2:3], 0
                                        ; implicit-def: $vgpr3
	s_mov_b64 s[8:9], s[62:63]
	s_branch .LBB103_629
.LBB103_559:
	s_mov_b64 s[10:11], -1
	s_mov_b64 s[2:3], 0
	s_mov_b64 s[8:9], s[62:63]
                                        ; implicit-def: $vgpr3
	s_branch .LBB103_595
.LBB103_560:
	s_mov_b64 s[10:11], -1
	s_mov_b64 s[2:3], 0
	s_mov_b64 s[8:9], s[62:63]
                                        ; implicit-def: $vgpr3
	s_branch .LBB103_578
.LBB103_561:
	s_mov_b64 s[10:11], -1
	s_mov_b64 s[2:3], 0
	s_mov_b64 s[8:9], s[62:63]
                                        ; implicit-def: $vgpr3
	s_branch .LBB103_573
.LBB103_562:
	s_andn2_saveexec_b64 s[14:15], s[14:15]
	s_cbranch_execz .LBB103_335
.LBB103_563:
	s_mov_b32 s18, 0x46000000
	v_add_f32_e64 v3, |v2|, s18
	v_and_b32_e32 v3, 0xff, v3
	v_cmp_ne_u32_e32 vcc, 0, v3
	s_andn2_b64 s[12:13], s[12:13], exec
	s_and_b64 s[18:19], vcc, exec
	s_or_b64 s[12:13], s[12:13], s[18:19]
	s_or_b64 exec, exec, s[14:15]
	v_mov_b32_e32 v5, 0
	s_and_saveexec_b64 s[14:15], s[12:13]
	s_cbranch_execnz .LBB103_336
	s_branch .LBB103_337
.LBB103_564:
	s_mov_b64 s[10:11], -1
	s_mov_b64 s[2:3], 0
	s_mov_b64 s[8:9], s[62:63]
                                        ; implicit-def: $vgpr3
	s_branch .LBB103_568
.LBB103_565:
	s_andn2_saveexec_b64 s[14:15], s[14:15]
	s_cbranch_execz .LBB103_348
.LBB103_566:
	s_mov_b32 s18, 0x42800000
	v_add_f32_e64 v3, |v2|, s18
	v_and_b32_e32 v3, 0xff, v3
	v_cmp_ne_u32_e32 vcc, 0, v3
	s_andn2_b64 s[12:13], s[12:13], exec
	s_and_b64 s[18:19], vcc, exec
	s_or_b64 s[12:13], s[12:13], s[18:19]
	s_or_b64 exec, exec, s[14:15]
	v_mov_b32_e32 v5, 0
	s_and_saveexec_b64 s[14:15], s[12:13]
	s_cbranch_execnz .LBB103_349
	s_branch .LBB103_350
.LBB103_567:
	s_mov_b64 s[8:9], -1
                                        ; implicit-def: $vgpr3
	s_mov_b64 s[2:3], 0
.LBB103_568:
	s_and_b64 vcc, exec, s[10:11]
	s_cbranch_vccz .LBB103_572
; %bb.569:
	s_cmp_eq_u32 s12, 44
	s_cbranch_scc0 .LBB103_571
; %bb.570:
	global_load_ubyte v3, v[1:2], off
	s_mov_b64 s[2:3], -1
	s_mov_b64 s[8:9], 0
	s_waitcnt vmcnt(0)
	v_lshlrev_b32_e32 v4, 23, v3
	v_cvt_i32_f32_e32 v4, v4
	v_cmp_ne_u32_e32 vcc, 0, v3
	v_cndmask_b32_e32 v3, 0, v4, vcc
	s_branch .LBB103_572
.LBB103_571:
	s_mov_b64 s[8:9], -1
                                        ; implicit-def: $vgpr3
.LBB103_572:
	s_mov_b64 s[10:11], 0
.LBB103_573:
	s_and_b64 vcc, exec, s[10:11]
	s_cbranch_vccz .LBB103_577
; %bb.574:
	s_cmp_eq_u32 s12, 29
	s_cbranch_scc0 .LBB103_576
; %bb.575:
	global_load_dwordx2 v[3:4], v[1:2], off
	s_mov_b64 s[2:3], -1
	s_mov_b64 s[8:9], 0
	s_branch .LBB103_577
.LBB103_576:
	s_mov_b64 s[8:9], -1
                                        ; implicit-def: $vgpr3
.LBB103_577:
	s_mov_b64 s[10:11], 0
.LBB103_578:
	s_and_b64 vcc, exec, s[10:11]
	s_cbranch_vccz .LBB103_594
; %bb.579:
	s_cmp_lt_i32 s12, 27
	s_cbranch_scc1 .LBB103_582
; %bb.580:
	s_cmp_gt_i32 s12, 27
	s_cbranch_scc0 .LBB103_583
; %bb.581:
	global_load_dword v3, v[1:2], off
	s_mov_b64 s[2:3], 0
	s_branch .LBB103_584
.LBB103_582:
	s_mov_b64 s[2:3], -1
                                        ; implicit-def: $vgpr3
	s_branch .LBB103_587
.LBB103_583:
	s_mov_b64 s[2:3], -1
                                        ; implicit-def: $vgpr3
.LBB103_584:
	s_andn2_b64 vcc, exec, s[2:3]
	s_cbranch_vccnz .LBB103_586
; %bb.585:
	global_load_ushort v3, v[1:2], off
.LBB103_586:
	s_mov_b64 s[2:3], 0
.LBB103_587:
	s_andn2_b64 vcc, exec, s[2:3]
	s_cbranch_vccnz .LBB103_593
; %bb.588:
	global_load_ubyte v4, v[1:2], off
	s_movk_i32 s2, 0x7f
	s_mov_b64 s[10:11], 0
	s_waitcnt vmcnt(0)
	v_cmp_lt_i16_e32 vcc, s2, v4
	s_and_saveexec_b64 s[2:3], vcc
	s_xor_b64 s[2:3], exec, s[2:3]
	s_cbranch_execz .LBB103_605
; %bb.589:
	s_movk_i32 s10, 0x80
	v_cmp_ne_u16_e32 vcc, s10, v4
	s_and_b64 s[10:11], vcc, exec
	s_andn2_saveexec_b64 s[2:3], s[2:3]
	s_cbranch_execnz .LBB103_606
.LBB103_590:
	s_or_b64 exec, exec, s[2:3]
	v_mov_b32_e32 v3, 0
	s_and_saveexec_b64 s[2:3], s[10:11]
	s_cbranch_execz .LBB103_592
.LBB103_591:
	v_lshlrev_b32_e32 v3, 24, v4
	v_and_b32_e32 v4, 0xffff, v4
	v_and_b32_e32 v5, 7, v4
	v_ffbh_u32_e32 v7, v5
	v_min_u32_e32 v7, 32, v7
	v_subrev_u32_e32 v9, 28, v7
	v_bfe_u32 v6, v4, 3, 4
	v_lshlrev_b32_e32 v4, v9, v4
	v_sub_u32_e32 v7, 29, v7
	v_and_b32_e32 v4, 7, v4
	v_cmp_eq_u32_e32 vcc, 0, v6
	v_cndmask_b32_e32 v6, v6, v7, vcc
	v_cndmask_b32_e32 v4, v5, v4, vcc
	v_mov_b32_e32 v5, 0x3b800000
	v_lshlrev_b32_e32 v4, 20, v4
	v_and_b32_e32 v3, 0x80000000, v3
	v_lshl_add_u32 v5, v6, 23, v5
	v_or3_b32 v3, v3, v5, v4
	v_cvt_i32_f32_e32 v3, v3
.LBB103_592:
	s_or_b64 exec, exec, s[2:3]
.LBB103_593:
	s_mov_b64 s[2:3], -1
.LBB103_594:
	s_mov_b64 s[10:11], 0
.LBB103_595:
	s_and_b64 vcc, exec, s[10:11]
	s_cbranch_vccz .LBB103_628
; %bb.596:
	s_cmp_gt_i32 s12, 22
	s_cbranch_scc0 .LBB103_604
; %bb.597:
	s_cmp_lt_i32 s12, 24
	s_cbranch_scc1 .LBB103_607
; %bb.598:
	s_cmp_gt_i32 s12, 24
	s_cbranch_scc0 .LBB103_608
; %bb.599:
	global_load_ubyte v4, v[1:2], off
	s_movk_i32 s2, 0x7f
	s_mov_b64 s[10:11], 0
	s_waitcnt vmcnt(0)
	v_cmp_lt_i16_e32 vcc, s2, v4
	s_and_saveexec_b64 s[2:3], vcc
	s_xor_b64 s[2:3], exec, s[2:3]
	s_cbranch_execz .LBB103_620
; %bb.600:
	s_movk_i32 s10, 0x80
	v_cmp_ne_u16_e32 vcc, s10, v4
	s_and_b64 s[10:11], vcc, exec
	s_andn2_saveexec_b64 s[2:3], s[2:3]
	s_cbranch_execnz .LBB103_621
.LBB103_601:
	s_or_b64 exec, exec, s[2:3]
	v_mov_b32_e32 v3, 0
	s_and_saveexec_b64 s[2:3], s[10:11]
	s_cbranch_execz .LBB103_603
.LBB103_602:
	v_lshlrev_b32_e32 v3, 24, v4
	v_and_b32_e32 v4, 0xffff, v4
	v_and_b32_e32 v5, 3, v4
	v_ffbh_u32_e32 v7, v5
	v_min_u32_e32 v7, 32, v7
	v_subrev_u32_e32 v9, 29, v7
	v_bfe_u32 v6, v4, 2, 5
	v_lshlrev_b32_e32 v4, v9, v4
	v_sub_u32_e32 v7, 30, v7
	v_and_b32_e32 v4, 3, v4
	v_cmp_eq_u32_e32 vcc, 0, v6
	v_cndmask_b32_e32 v6, v6, v7, vcc
	v_cndmask_b32_e32 v4, v5, v4, vcc
	v_mov_b32_e32 v5, 0x37800000
	v_lshlrev_b32_e32 v4, 21, v4
	v_and_b32_e32 v3, 0x80000000, v3
	v_lshl_add_u32 v5, v6, 23, v5
	v_or3_b32 v3, v3, v5, v4
	v_cvt_i32_f32_e32 v3, v3
.LBB103_603:
	s_or_b64 exec, exec, s[2:3]
	s_mov_b64 s[2:3], 0
	s_branch .LBB103_609
.LBB103_604:
	s_mov_b64 s[10:11], -1
                                        ; implicit-def: $vgpr3
	s_branch .LBB103_615
.LBB103_605:
	s_andn2_saveexec_b64 s[2:3], s[2:3]
	s_cbranch_execz .LBB103_590
.LBB103_606:
	v_cmp_ne_u16_e32 vcc, 0, v4
	s_andn2_b64 s[10:11], s[10:11], exec
	s_and_b64 s[14:15], vcc, exec
	s_or_b64 s[10:11], s[10:11], s[14:15]
	s_or_b64 exec, exec, s[2:3]
	v_mov_b32_e32 v3, 0
	s_and_saveexec_b64 s[2:3], s[10:11]
	s_cbranch_execnz .LBB103_591
	s_branch .LBB103_592
.LBB103_607:
	s_mov_b64 s[2:3], -1
                                        ; implicit-def: $vgpr3
	s_branch .LBB103_612
.LBB103_608:
	s_mov_b64 s[2:3], -1
                                        ; implicit-def: $vgpr3
.LBB103_609:
	s_and_b64 vcc, exec, s[2:3]
	s_cbranch_vccz .LBB103_611
; %bb.610:
	global_load_ubyte v3, v[1:2], off
	s_mov_b32 s2, 0x7f800000
	s_waitcnt vmcnt(0)
	v_lshlrev_b32_e32 v3, 24, v3
	v_and_b32_e32 v4, 0x7f000000, v3
	v_ffbh_u32_e32 v5, v4
	v_min_u32_e32 v5, 32, v5
	v_sub_u32_e64 v5, v5, 4 clamp
	v_lshlrev_b32_e32 v7, v5, v4
	v_lshlrev_b32_e32 v5, 23, v5
	v_lshrrev_b32_e32 v7, 4, v7
	v_add_u32_e32 v6, 0x1000000, v4
	v_sub_u32_e32 v5, v7, v5
	v_ashrrev_i32_e32 v6, 8, v6
	v_add_u32_e32 v5, 0x3c000000, v5
	v_and_or_b32 v5, v6, s2, v5
	v_cmp_ne_u32_e32 vcc, 0, v4
	v_cndmask_b32_e32 v4, 0, v5, vcc
	s_brev_b32 s2, 1
	v_and_or_b32 v3, v3, s2, v4
	v_cvt_i32_f32_e32 v3, v3
.LBB103_611:
	s_mov_b64 s[2:3], 0
.LBB103_612:
	s_andn2_b64 vcc, exec, s[2:3]
	s_cbranch_vccnz .LBB103_614
; %bb.613:
	global_load_ubyte v3, v[1:2], off
	s_movk_i32 s2, 0x7f00
	s_brev_b32 s3, 16
	s_waitcnt vmcnt(0)
	v_lshlrev_b16_e32 v4, 8, v3
	v_lshlrev_b32_e32 v3, 25, v3
	v_lshrrev_b32_e32 v5, 4, v3
	v_and_or_b32 v6, v4, s2, 0.5
	v_or_b32_e32 v5, 0x70000000, v5
	v_add_f32_e32 v6, -0.5, v6
	v_mul_f32_e32 v5, 0x7800000, v5
	v_cmp_gt_u32_e32 vcc, s3, v3
	v_bfe_i32 v4, v4, 0, 16
	v_cndmask_b32_e32 v3, v5, v6, vcc
	s_brev_b32 s2, 1
	v_and_or_b32 v3, v4, s2, v3
	v_cvt_i32_f32_e32 v3, v3
.LBB103_614:
	s_mov_b64 s[10:11], 0
	s_mov_b64 s[2:3], -1
.LBB103_615:
	s_andn2_b64 vcc, exec, s[10:11]
	s_cbranch_vccnz .LBB103_628
; %bb.616:
	s_cmp_gt_i32 s12, 14
	s_cbranch_scc0 .LBB103_619
; %bb.617:
	s_cmp_eq_u32 s12, 15
	s_cbranch_scc0 .LBB103_622
; %bb.618:
	global_load_ushort v3, v[1:2], off
	s_mov_b64 s[2:3], -1
	s_mov_b64 s[8:9], 0
	s_waitcnt vmcnt(0)
	v_lshlrev_b32_e32 v3, 16, v3
	v_cvt_i32_f32_e32 v3, v3
	s_branch .LBB103_623
.LBB103_619:
	s_mov_b64 s[10:11], -1
                                        ; implicit-def: $vgpr3
	s_branch .LBB103_624
.LBB103_620:
	s_andn2_saveexec_b64 s[2:3], s[2:3]
	s_cbranch_execz .LBB103_601
.LBB103_621:
	v_cmp_ne_u16_e32 vcc, 0, v4
	s_andn2_b64 s[10:11], s[10:11], exec
	s_and_b64 s[14:15], vcc, exec
	s_or_b64 s[10:11], s[10:11], s[14:15]
	s_or_b64 exec, exec, s[2:3]
	v_mov_b32_e32 v3, 0
	s_and_saveexec_b64 s[2:3], s[10:11]
	s_cbranch_execnz .LBB103_602
	s_branch .LBB103_603
.LBB103_622:
	s_mov_b64 s[8:9], -1
                                        ; implicit-def: $vgpr3
.LBB103_623:
	s_mov_b64 s[10:11], 0
.LBB103_624:
	s_and_b64 vcc, exec, s[10:11]
	s_cbranch_vccz .LBB103_628
; %bb.625:
	s_cmp_eq_u32 s12, 11
	s_cbranch_scc0 .LBB103_627
; %bb.626:
	global_load_ubyte v3, v[1:2], off
	s_mov_b64 s[2:3], -1
	s_mov_b64 s[8:9], 0
	s_waitcnt vmcnt(0)
	v_cmp_ne_u16_e32 vcc, 0, v3
	v_cndmask_b32_e64 v3, 0, 1, vcc
	s_branch .LBB103_628
.LBB103_627:
	s_mov_b64 s[8:9], -1
                                        ; implicit-def: $vgpr3
.LBB103_628:
	s_mov_b64 s[10:11], 0
.LBB103_629:
	s_and_b64 vcc, exec, s[10:11]
	s_cbranch_vccz .LBB103_678
; %bb.630:
	s_cmp_lt_i32 s12, 5
	s_cbranch_scc1 .LBB103_635
; %bb.631:
	s_cmp_lt_i32 s12, 8
	s_cbranch_scc1 .LBB103_636
	;; [unrolled: 3-line block ×3, first 2 shown]
; %bb.633:
	s_cmp_gt_i32 s12, 9
	s_cbranch_scc0 .LBB103_638
; %bb.634:
	global_load_dwordx2 v[3:4], v[1:2], off
	s_mov_b64 s[2:3], 0
	s_waitcnt vmcnt(0)
	v_cvt_i32_f64_e32 v3, v[3:4]
	s_branch .LBB103_639
.LBB103_635:
	s_mov_b64 s[2:3], -1
                                        ; implicit-def: $vgpr3
	s_branch .LBB103_657
.LBB103_636:
	s_mov_b64 s[2:3], -1
                                        ; implicit-def: $vgpr3
	s_branch .LBB103_645
.LBB103_637:
	s_mov_b64 s[2:3], -1
                                        ; implicit-def: $vgpr3
	s_branch .LBB103_642
.LBB103_638:
	s_mov_b64 s[2:3], -1
                                        ; implicit-def: $vgpr3
.LBB103_639:
	s_andn2_b64 vcc, exec, s[2:3]
	s_cbranch_vccnz .LBB103_641
; %bb.640:
	global_load_dword v3, v[1:2], off
	s_waitcnt vmcnt(0)
	v_cvt_i32_f32_e32 v3, v3
.LBB103_641:
	s_mov_b64 s[2:3], 0
.LBB103_642:
	s_andn2_b64 vcc, exec, s[2:3]
	s_cbranch_vccnz .LBB103_644
; %bb.643:
	global_load_dword v3, v[1:2], off
	s_waitcnt vmcnt(0)
	v_cvt_i16_f16_e32 v3, v3
.LBB103_644:
	s_mov_b64 s[2:3], 0
.LBB103_645:
	s_andn2_b64 vcc, exec, s[2:3]
	s_cbranch_vccnz .LBB103_656
; %bb.646:
	s_cmp_lt_i32 s12, 6
	s_cbranch_scc1 .LBB103_649
; %bb.647:
	s_cmp_gt_i32 s12, 6
	s_cbranch_scc0 .LBB103_650
; %bb.648:
	global_load_dwordx2 v[3:4], v[1:2], off
	s_mov_b64 s[2:3], 0
	s_waitcnt vmcnt(0)
	v_cvt_i32_f64_e32 v3, v[3:4]
	s_branch .LBB103_651
.LBB103_649:
	s_mov_b64 s[2:3], -1
                                        ; implicit-def: $vgpr3
	s_branch .LBB103_654
.LBB103_650:
	s_mov_b64 s[2:3], -1
                                        ; implicit-def: $vgpr3
.LBB103_651:
	s_andn2_b64 vcc, exec, s[2:3]
	s_cbranch_vccnz .LBB103_653
; %bb.652:
	global_load_dword v3, v[1:2], off
	s_waitcnt vmcnt(0)
	v_cvt_i32_f32_e32 v3, v3
.LBB103_653:
	s_mov_b64 s[2:3], 0
.LBB103_654:
	s_andn2_b64 vcc, exec, s[2:3]
	s_cbranch_vccnz .LBB103_656
; %bb.655:
	global_load_ushort v3, v[1:2], off
	s_waitcnt vmcnt(0)
	v_cvt_i16_f16_e32 v3, v3
.LBB103_656:
	s_mov_b64 s[2:3], 0
.LBB103_657:
	s_andn2_b64 vcc, exec, s[2:3]
	s_cbranch_vccnz .LBB103_677
; %bb.658:
	s_cmp_lt_i32 s12, 2
	s_cbranch_scc1 .LBB103_662
; %bb.659:
	s_cmp_lt_i32 s12, 3
	s_cbranch_scc1 .LBB103_663
; %bb.660:
	s_cmp_gt_i32 s12, 3
	s_cbranch_scc0 .LBB103_664
; %bb.661:
	global_load_dwordx2 v[3:4], v[1:2], off
	s_mov_b64 s[2:3], 0
	s_branch .LBB103_665
.LBB103_662:
	s_mov_b64 s[2:3], -1
                                        ; implicit-def: $vgpr3
	s_branch .LBB103_671
.LBB103_663:
	s_mov_b64 s[2:3], -1
                                        ; implicit-def: $vgpr3
	s_branch .LBB103_668
.LBB103_664:
	s_mov_b64 s[2:3], -1
                                        ; implicit-def: $vgpr3
.LBB103_665:
	s_andn2_b64 vcc, exec, s[2:3]
	s_cbranch_vccnz .LBB103_667
; %bb.666:
	global_load_dword v3, v[1:2], off
.LBB103_667:
	s_mov_b64 s[2:3], 0
.LBB103_668:
	s_andn2_b64 vcc, exec, s[2:3]
	s_cbranch_vccnz .LBB103_670
; %bb.669:
	global_load_ushort v3, v[1:2], off
.LBB103_670:
	s_mov_b64 s[2:3], 0
.LBB103_671:
	s_andn2_b64 vcc, exec, s[2:3]
	s_cbranch_vccnz .LBB103_677
; %bb.672:
	s_cmp_gt_i32 s12, 0
	s_cbranch_scc0 .LBB103_674
; %bb.673:
	global_load_sbyte v3, v[1:2], off
	s_mov_b64 s[2:3], 0
	s_branch .LBB103_675
.LBB103_674:
	s_mov_b64 s[2:3], -1
                                        ; implicit-def: $vgpr3
.LBB103_675:
	s_andn2_b64 vcc, exec, s[2:3]
	s_cbranch_vccnz .LBB103_677
; %bb.676:
	global_load_ubyte v3, v[1:2], off
.LBB103_677:
	s_mov_b64 s[2:3], -1
.LBB103_678:
	s_andn2_b64 vcc, exec, s[2:3]
	s_cbranch_vccnz .LBB103_686
; %bb.679:
	v_mov_b32_e32 v1, s76
	s_waitcnt vmcnt(0)
	v_cndmask_b32_e64 v4, v1, v3, s[0:1]
	v_mov_b32_e32 v1, s25
	s_and_b32 s16, s75, 0xff
	v_add_co_u32_e32 v0, vcc, s24, v0
	s_cmp_lt_i32 s16, 11
	v_addc_co_u32_e32 v1, vcc, 0, v1, vcc
	s_cbranch_scc1 .LBB103_687
; %bb.680:
	s_and_b32 s17, 0xffff, s16
	s_cmp_gt_i32 s17, 25
	s_cbranch_scc0 .LBB103_688
; %bb.681:
	s_cmp_gt_i32 s17, 28
	s_cbranch_scc0 .LBB103_689
; %bb.682:
	;; [unrolled: 3-line block ×4, first 2 shown]
	s_mov_b64 s[12:13], 0
	s_mov_b64 s[2:3], -1
	s_cmp_eq_u32 s17, 46
	s_mov_b64 s[10:11], 0
	s_cbranch_scc0 .LBB103_692
; %bb.685:
	v_cvt_f32_i32_sdwa v2, sext(v4) dst_sel:DWORD dst_unused:UNUSED_PAD src0_sel:WORD_0
	s_movk_i32 s2, 0x7fff
	s_mov_b64 s[10:11], -1
	v_bfe_u32 v3, v2, 16, 1
	v_add3_u32 v2, v2, v3, s2
	v_lshrrev_b32_e32 v2, 16, v2
	global_store_dword v[0:1], v2, off
	s_mov_b64 s[2:3], 0
	s_branch .LBB103_692
.LBB103_686:
	s_mov_b64 s[10:11], 0
	s_mov_b64 s[2:3], s[64:65]
	s_branch .LBB103_803
.LBB103_687:
	s_mov_b64 s[12:13], -1
	s_mov_b64 s[10:11], 0
	s_mov_b64 s[2:3], s[64:65]
	s_branch .LBB103_761
.LBB103_688:
	s_mov_b64 s[12:13], -1
	s_mov_b64 s[10:11], 0
	s_mov_b64 s[2:3], s[64:65]
	s_branch .LBB103_719
.LBB103_689:
	s_mov_b64 s[12:13], -1
	s_mov_b64 s[10:11], 0
	s_mov_b64 s[2:3], s[64:65]
	s_branch .LBB103_702
.LBB103_690:
	s_mov_b64 s[12:13], -1
	s_mov_b64 s[10:11], 0
	s_mov_b64 s[2:3], s[64:65]
	s_branch .LBB103_698
.LBB103_691:
	s_mov_b64 s[12:13], -1
	s_mov_b64 s[10:11], 0
	s_mov_b64 s[2:3], s[64:65]
.LBB103_692:
	s_and_b64 vcc, exec, s[12:13]
	s_cbranch_vccz .LBB103_697
; %bb.693:
	s_cmp_eq_u32 s17, 44
	s_mov_b64 s[2:3], -1
	s_cbranch_scc0 .LBB103_697
; %bb.694:
	v_cvt_f32_i32_sdwa v2, sext(v4) dst_sel:DWORD dst_unused:UNUSED_PAD src0_sel:WORD_0
	s_movk_i32 s2, 0xff
	v_mov_b32_e32 v5, 0xff
	v_bfe_u32 v3, v2, 23, 8
	v_cmp_ne_u32_e32 vcc, s2, v3
	s_and_saveexec_b64 s[10:11], vcc
; %bb.695:
	s_mov_b32 s2, 0x3fffff
	v_lshrrev_b32_e32 v5, 23, v2
	v_and_b32_e32 v6, 0x400000, v2
	v_and_or_b32 v2, v2, s2, v3
	v_cmp_ne_u32_e32 vcc, 0, v6
	v_cmp_ne_u32_e64 s[2:3], 0, v2
	s_and_b64 s[2:3], vcc, s[2:3]
	v_cndmask_b32_e64 v2, 0, 1, s[2:3]
	v_add_u32_e32 v5, v5, v2
; %bb.696:
	s_or_b64 exec, exec, s[10:11]
	s_mov_b64 s[10:11], -1
	s_mov_b64 s[2:3], 0
	global_store_byte v[0:1], v5, off
.LBB103_697:
	s_mov_b64 s[12:13], 0
.LBB103_698:
	s_and_b64 vcc, exec, s[12:13]
	s_cbranch_vccz .LBB103_701
; %bb.699:
	s_cmp_eq_u32 s17, 29
	s_mov_b64 s[2:3], -1
	s_cbranch_scc0 .LBB103_701
; %bb.700:
	v_bfe_i32 v2, v4, 0, 16
	v_ashrrev_i32_e32 v3, 31, v2
	global_store_dwordx2 v[0:1], v[2:3], off
	s_mov_b64 s[10:11], -1
	s_mov_b64 s[2:3], 0
.LBB103_701:
	s_mov_b64 s[12:13], 0
.LBB103_702:
	s_and_b64 vcc, exec, s[12:13]
	s_cbranch_vccz .LBB103_718
; %bb.703:
	s_cmp_lt_i32 s17, 27
	s_mov_b64 s[10:11], -1
	s_cbranch_scc1 .LBB103_709
; %bb.704:
	s_cmp_gt_i32 s17, 27
	s_cbranch_scc0 .LBB103_706
; %bb.705:
	v_bfe_i32 v2, v4, 0, 16
	s_mov_b64 s[10:11], 0
	global_store_dword v[0:1], v2, off
.LBB103_706:
	s_andn2_b64 vcc, exec, s[10:11]
	s_cbranch_vccnz .LBB103_708
; %bb.707:
	global_store_short v[0:1], v4, off
.LBB103_708:
	s_mov_b64 s[10:11], 0
.LBB103_709:
	s_andn2_b64 vcc, exec, s[10:11]
	s_cbranch_vccnz .LBB103_717
; %bb.710:
	v_cvt_f32_i32_sdwa v2, sext(v4) dst_sel:DWORD dst_unused:UNUSED_PAD src0_sel:WORD_0
	s_mov_b32 s10, 0x43800000
	v_mov_b32_e32 v5, 0x80
	v_and_b32_e32 v3, 0x7fffffff, v2
	v_cmp_gt_u32_e32 vcc, s10, v3
	s_and_saveexec_b64 s[10:11], vcc
	s_cbranch_execz .LBB103_716
; %bb.711:
	s_mov_b32 s12, 0x3bffffff
	v_cmp_lt_u32_e32 vcc, s12, v3
	s_mov_b64 s[12:13], 0
                                        ; implicit-def: $vgpr3
	s_and_saveexec_b64 s[14:15], vcc
	s_xor_b64 s[14:15], exec, s[14:15]
	s_cbranch_execz .LBB103_833
; %bb.712:
	v_bfe_u32 v3, v2, 20, 1
	s_mov_b32 s18, 0x487ffff
	v_add3_u32 v3, v2, v3, s18
	s_mov_b64 s[12:13], exec
	v_lshrrev_b32_e32 v3, 20, v3
	s_andn2_saveexec_b64 s[14:15], s[14:15]
	s_cbranch_execnz .LBB103_834
.LBB103_713:
	s_or_b64 exec, exec, s[14:15]
	v_mov_b32_e32 v5, 0
	s_and_saveexec_b64 s[14:15], s[12:13]
.LBB103_714:
	v_lshrrev_b32_e32 v2, 24, v2
	s_movk_i32 s12, 0x80
	v_and_or_b32 v5, v2, s12, v3
.LBB103_715:
	s_or_b64 exec, exec, s[14:15]
.LBB103_716:
	s_or_b64 exec, exec, s[10:11]
	global_store_byte v[0:1], v5, off
.LBB103_717:
	s_mov_b64 s[10:11], -1
.LBB103_718:
	s_mov_b64 s[12:13], 0
.LBB103_719:
	s_and_b64 vcc, exec, s[12:13]
	s_cbranch_vccz .LBB103_760
; %bb.720:
	s_cmp_gt_i32 s17, 22
	s_mov_b64 s[12:13], -1
	s_cbranch_scc0 .LBB103_752
; %bb.721:
	s_cmp_lt_i32 s17, 24
	s_mov_b64 s[10:11], -1
	s_cbranch_scc1 .LBB103_741
; %bb.722:
	s_cmp_gt_i32 s17, 24
	s_cbranch_scc0 .LBB103_730
; %bb.723:
	v_cvt_f32_i32_sdwa v2, sext(v4) dst_sel:DWORD dst_unused:UNUSED_PAD src0_sel:WORD_0
	s_mov_b32 s10, 0x47800000
	v_mov_b32_e32 v5, 0x80
	v_and_b32_e32 v3, 0x7fffffff, v2
	v_cmp_gt_u32_e32 vcc, s10, v3
	s_and_saveexec_b64 s[10:11], vcc
	s_cbranch_execz .LBB103_729
; %bb.724:
	s_mov_b32 s12, 0x37ffffff
	v_cmp_lt_u32_e32 vcc, s12, v3
	s_mov_b64 s[12:13], 0
                                        ; implicit-def: $vgpr3
	s_and_saveexec_b64 s[14:15], vcc
	s_xor_b64 s[14:15], exec, s[14:15]
	s_cbranch_execz .LBB103_836
; %bb.725:
	v_bfe_u32 v3, v2, 21, 1
	s_mov_b32 s18, 0x88fffff
	v_add3_u32 v3, v2, v3, s18
	s_mov_b64 s[12:13], exec
	v_lshrrev_b32_e32 v3, 21, v3
	s_andn2_saveexec_b64 s[14:15], s[14:15]
	s_cbranch_execnz .LBB103_837
.LBB103_726:
	s_or_b64 exec, exec, s[14:15]
	v_mov_b32_e32 v5, 0
	s_and_saveexec_b64 s[14:15], s[12:13]
.LBB103_727:
	v_lshrrev_b32_e32 v2, 24, v2
	s_movk_i32 s12, 0x80
	v_and_or_b32 v5, v2, s12, v3
.LBB103_728:
	s_or_b64 exec, exec, s[14:15]
.LBB103_729:
	s_or_b64 exec, exec, s[10:11]
	s_mov_b64 s[10:11], 0
	global_store_byte v[0:1], v5, off
.LBB103_730:
	s_and_b64 vcc, exec, s[10:11]
	s_cbranch_vccz .LBB103_740
; %bb.731:
	v_cvt_f32_i32_sdwa v2, sext(v4) dst_sel:DWORD dst_unused:UNUSED_PAD src0_sel:WORD_0
	s_mov_b32 s10, 0x43f00000
                                        ; implicit-def: $vgpr3
	v_and_b32_e32 v5, 0x7fffffff, v2
	v_cmp_gt_u32_e32 vcc, s10, v5
	s_and_saveexec_b64 s[10:11], vcc
	s_xor_b64 s[10:11], exec, s[10:11]
	s_cbranch_execz .LBB103_737
; %bb.732:
	s_mov_b32 s12, 0x3c7fffff
	v_cmp_lt_u32_e32 vcc, s12, v5
                                        ; implicit-def: $vgpr3
	s_and_saveexec_b64 s[12:13], vcc
	s_xor_b64 s[12:13], exec, s[12:13]
; %bb.733:
	v_bfe_u32 v3, v2, 20, 1
	s_mov_b32 s14, 0x407ffff
	v_add3_u32 v3, v2, v3, s14
	v_lshrrev_b32_e32 v5, 20, v3
	v_and_b32_e32 v3, 0xff00000, v3
	s_mov_b32 s14, 0x7f00000
	v_mov_b32_e32 v6, 0x7e
	v_cmp_ne_u32_e32 vcc, s14, v3
	v_cndmask_b32_e32 v3, v6, v5, vcc
; %bb.734:
	s_andn2_saveexec_b64 s[12:13], s[12:13]
; %bb.735:
	s_mov_b32 s14, 0x46800000
	v_add_f32_e64 v3, |v2|, s14
; %bb.736:
	s_or_b64 exec, exec, s[12:13]
                                        ; implicit-def: $vgpr5
.LBB103_737:
	s_andn2_saveexec_b64 s[10:11], s[10:11]
; %bb.738:
	s_mov_b32 s12, 0x7f800000
	v_mov_b32_e32 v3, 0x7e
	v_mov_b32_e32 v6, 0x7f
	v_cmp_lt_u32_e32 vcc, s12, v5
	v_cndmask_b32_e32 v3, v3, v6, vcc
; %bb.739:
	s_or_b64 exec, exec, s[10:11]
	v_lshrrev_b32_e32 v2, 24, v2
	s_movk_i32 s10, 0x80
	v_and_or_b32 v2, v2, s10, v3
	global_store_byte v[0:1], v2, off
.LBB103_740:
	s_mov_b64 s[10:11], 0
.LBB103_741:
	s_andn2_b64 vcc, exec, s[10:11]
	s_cbranch_vccnz .LBB103_751
; %bb.742:
	v_cvt_f32_i32_sdwa v2, sext(v4) dst_sel:DWORD dst_unused:UNUSED_PAD src0_sel:WORD_0
	s_mov_b32 s10, 0x47800000
                                        ; implicit-def: $vgpr3
	v_and_b32_e32 v5, 0x7fffffff, v2
	v_cmp_gt_u32_e32 vcc, s10, v5
	s_and_saveexec_b64 s[10:11], vcc
	s_xor_b64 s[10:11], exec, s[10:11]
	s_cbranch_execz .LBB103_748
; %bb.743:
	s_mov_b32 s12, 0x387fffff
	v_cmp_lt_u32_e32 vcc, s12, v5
                                        ; implicit-def: $vgpr3
	s_and_saveexec_b64 s[12:13], vcc
	s_xor_b64 s[12:13], exec, s[12:13]
; %bb.744:
	v_bfe_u32 v3, v2, 21, 1
	s_mov_b32 s14, 0x80fffff
	v_add3_u32 v3, v2, v3, s14
	v_lshrrev_b32_e32 v3, 21, v3
; %bb.745:
	s_andn2_saveexec_b64 s[12:13], s[12:13]
; %bb.746:
	s_mov_b32 s14, 0x43000000
	v_add_f32_e64 v3, |v2|, s14
; %bb.747:
	s_or_b64 exec, exec, s[12:13]
                                        ; implicit-def: $vgpr5
.LBB103_748:
	s_andn2_saveexec_b64 s[10:11], s[10:11]
; %bb.749:
	s_mov_b32 s12, 0x7f800000
	v_mov_b32_e32 v3, 0x7c
	v_mov_b32_e32 v6, 0x7f
	v_cmp_lt_u32_e32 vcc, s12, v5
	v_cndmask_b32_e32 v3, v3, v6, vcc
; %bb.750:
	s_or_b64 exec, exec, s[10:11]
	v_lshrrev_b32_e32 v2, 24, v2
	s_movk_i32 s10, 0x80
	v_and_or_b32 v2, v2, s10, v3
	global_store_byte v[0:1], v2, off
.LBB103_751:
	s_mov_b64 s[12:13], 0
	s_mov_b64 s[10:11], -1
.LBB103_752:
	s_andn2_b64 vcc, exec, s[12:13]
	s_cbranch_vccnz .LBB103_760
; %bb.753:
	s_cmp_gt_i32 s17, 14
	s_mov_b64 s[12:13], -1
	s_cbranch_scc0 .LBB103_757
; %bb.754:
	s_cmp_eq_u32 s17, 15
	s_mov_b64 s[2:3], -1
	s_cbranch_scc0 .LBB103_756
; %bb.755:
	v_cvt_f32_i32_sdwa v2, sext(v4) dst_sel:DWORD dst_unused:UNUSED_PAD src0_sel:WORD_0
	s_movk_i32 s2, 0x7fff
	s_mov_b64 s[10:11], -1
	v_bfe_u32 v3, v2, 16, 1
	v_add3_u32 v2, v2, v3, s2
	global_store_short_d16_hi v[0:1], v2, off
	s_mov_b64 s[2:3], 0
.LBB103_756:
	s_mov_b64 s[12:13], 0
.LBB103_757:
	s_and_b64 vcc, exec, s[12:13]
	s_cbranch_vccz .LBB103_760
; %bb.758:
	s_cmp_eq_u32 s17, 11
	s_mov_b64 s[2:3], -1
	s_cbranch_scc0 .LBB103_760
; %bb.759:
	v_cmp_ne_u16_e32 vcc, 0, v4
	v_cndmask_b32_e64 v2, 0, 1, vcc
	s_mov_b64 s[10:11], -1
	s_mov_b64 s[2:3], 0
	global_store_byte v[0:1], v2, off
.LBB103_760:
	s_mov_b64 s[12:13], 0
.LBB103_761:
	s_and_b64 vcc, exec, s[12:13]
	s_cbranch_vccz .LBB103_800
; %bb.762:
	s_and_b32 s12, 0xffff, s16
	s_cmp_lt_i32 s12, 5
	s_mov_b64 s[10:11], -1
	s_cbranch_scc1 .LBB103_783
; %bb.763:
	s_cmp_lt_i32 s12, 8
	s_cbranch_scc1 .LBB103_773
; %bb.764:
	s_cmp_lt_i32 s12, 9
	s_cbranch_scc1 .LBB103_770
; %bb.765:
	s_cmp_gt_i32 s12, 9
	s_cbranch_scc0 .LBB103_767
; %bb.766:
	v_bfe_i32 v2, v4, 0, 16
	v_cvt_f64_i32_e32 v[9:10], v2
	v_mov_b32_e32 v11, 0
	v_mov_b32_e32 v12, v11
	s_mov_b64 s[10:11], 0
	global_store_dwordx4 v[0:1], v[9:12], off
.LBB103_767:
	s_andn2_b64 vcc, exec, s[10:11]
	s_cbranch_vccnz .LBB103_769
; %bb.768:
	v_cvt_f32_i32_sdwa v2, sext(v4) dst_sel:DWORD dst_unused:UNUSED_PAD src0_sel:WORD_0
	v_mov_b32_e32 v3, 0
	global_store_dwordx2 v[0:1], v[2:3], off
.LBB103_769:
	s_mov_b64 s[10:11], 0
.LBB103_770:
	s_andn2_b64 vcc, exec, s[10:11]
	s_cbranch_vccnz .LBB103_772
; %bb.771:
	v_cvt_f16_i16_e32 v2, v4
	global_store_dword v[0:1], v2, off
.LBB103_772:
	s_mov_b64 s[10:11], 0
.LBB103_773:
	s_andn2_b64 vcc, exec, s[10:11]
	s_cbranch_vccnz .LBB103_782
; %bb.774:
	s_cmp_lt_i32 s12, 6
	s_mov_b64 s[10:11], -1
	s_cbranch_scc1 .LBB103_780
; %bb.775:
	s_cmp_gt_i32 s12, 6
	s_cbranch_scc0 .LBB103_777
; %bb.776:
	v_bfe_i32 v2, v4, 0, 16
	v_cvt_f64_i32_e32 v[2:3], v2
	s_mov_b64 s[10:11], 0
	global_store_dwordx2 v[0:1], v[2:3], off
.LBB103_777:
	s_andn2_b64 vcc, exec, s[10:11]
	s_cbranch_vccnz .LBB103_779
; %bb.778:
	v_cvt_f32_i32_sdwa v2, sext(v4) dst_sel:DWORD dst_unused:UNUSED_PAD src0_sel:WORD_0
	global_store_dword v[0:1], v2, off
.LBB103_779:
	s_mov_b64 s[10:11], 0
.LBB103_780:
	s_andn2_b64 vcc, exec, s[10:11]
	s_cbranch_vccnz .LBB103_782
; %bb.781:
	v_cvt_f16_i16_e32 v2, v4
	global_store_short v[0:1], v2, off
.LBB103_782:
	s_mov_b64 s[10:11], 0
.LBB103_783:
	s_andn2_b64 vcc, exec, s[10:11]
	s_cbranch_vccnz .LBB103_799
; %bb.784:
	s_cmp_lt_i32 s12, 2
	s_mov_b64 s[10:11], -1
	s_cbranch_scc1 .LBB103_794
; %bb.785:
	s_cmp_lt_i32 s12, 3
	s_cbranch_scc1 .LBB103_791
; %bb.786:
	s_cmp_gt_i32 s12, 3
	v_bfe_i32 v2, v4, 0, 16
	s_cbranch_scc0 .LBB103_788
; %bb.787:
	v_ashrrev_i32_e32 v3, 31, v2
	s_mov_b64 s[10:11], 0
	global_store_dwordx2 v[0:1], v[2:3], off
.LBB103_788:
	s_andn2_b64 vcc, exec, s[10:11]
	s_cbranch_vccnz .LBB103_790
; %bb.789:
	global_store_dword v[0:1], v2, off
.LBB103_790:
	s_mov_b64 s[10:11], 0
.LBB103_791:
	s_andn2_b64 vcc, exec, s[10:11]
	s_cbranch_vccnz .LBB103_793
; %bb.792:
	global_store_short v[0:1], v4, off
.LBB103_793:
	s_mov_b64 s[10:11], 0
.LBB103_794:
	s_andn2_b64 vcc, exec, s[10:11]
	s_cbranch_vccnz .LBB103_799
; %bb.795:
	s_cmp_gt_i32 s12, 0
	s_mov_b64 s[10:11], -1
	s_cbranch_scc0 .LBB103_797
; %bb.796:
	s_mov_b64 s[10:11], 0
	global_store_byte v[0:1], v4, off
.LBB103_797:
	s_andn2_b64 vcc, exec, s[10:11]
	s_cbranch_vccnz .LBB103_799
; %bb.798:
	global_store_byte v[0:1], v4, off
.LBB103_799:
	s_mov_b64 s[10:11], -1
.LBB103_800:
	s_andn2_b64 vcc, exec, s[10:11]
	s_cbranch_vccnz .LBB103_802
; %bb.801:
	v_add_u32_e32 v8, 0x80, v8
	s_mov_b64 s[10:11], -1
	s_branch .LBB103_804
.LBB103_802:
	s_mov_b64 s[10:11], 0
.LBB103_803:
                                        ; implicit-def: $vgpr8
.LBB103_804:
	s_andn2_b64 s[12:13], s[64:65], exec
	s_and_b64 s[2:3], s[2:3], exec
	s_or_b64 s[70:71], s[12:13], s[2:3]
	s_andn2_b64 s[2:3], s[62:63], exec
	s_and_b64 s[8:9], s[8:9], exec
	s_or_b64 s[2:3], s[2:3], s[8:9]
	s_orn2_b64 s[10:11], s[10:11], exec
.LBB103_805:
	s_or_b64 exec, exec, s[68:69]
	s_mov_b64 s[8:9], 0
	s_mov_b64 s[12:13], 0
	;; [unrolled: 1-line block ×3, first 2 shown]
                                        ; implicit-def: $vgpr1_vgpr2
                                        ; implicit-def: $vgpr0
                                        ; implicit-def: $vgpr3
	s_and_saveexec_b64 s[68:69], s[10:11]
	s_cbranch_execz .LBB103_900
; %bb.806:
	v_cmp_gt_i32_e32 vcc, s72, v8
	s_mov_b64 s[10:11], 0
	s_mov_b64 s[16:17], s[2:3]
                                        ; implicit-def: $vgpr1_vgpr2
                                        ; implicit-def: $vgpr0
                                        ; implicit-def: $vgpr3
	s_and_saveexec_b64 s[72:73], vcc
	s_cbranch_execz .LBB103_899
; %bb.807:
	s_andn2_b64 vcc, exec, s[44:45]
	s_cbranch_vccnz .LBB103_812
; %bb.808:
	s_andn2_b64 vcc, exec, s[54:55]
	s_cbranch_vccnz .LBB103_813
; %bb.809:
	s_add_i32 s79, s78, 1
	s_cmp_eq_u32 s74, 2
	s_cbranch_scc1 .LBB103_814
; %bb.810:
	s_and_b32 s78, s79, 28
	v_mov_b32_e32 v2, 0
	s_mov_b32 s80, 0
	s_mov_b64 s[54:55], s[34:35]
	v_mov_b32_e32 v0, 0
	v_mov_b32_e32 v1, v8
.LBB103_811:                            ; =>This Inner Loop Header: Depth=1
	s_load_dwordx8 s[16:23], s[54:55], 0x4
	s_load_dwordx4 s[40:43], s[54:55], 0x24
	s_load_dwordx8 s[8:15], s[52:53], 0x0
	s_add_u32 s54, s54, 48
	s_addc_u32 s55, s55, 0
	s_waitcnt vmcnt(0) lgkmcnt(0)
	v_mul_hi_u32 v3, s17, v1
	s_add_i32 s80, s80, 4
	s_add_u32 s52, s52, 32
	s_addc_u32 s53, s53, 0
	v_add_u32_e32 v3, v1, v3
	v_lshrrev_b32_e32 v3, s18, v3
	v_mul_lo_u32 v4, v3, s16
	v_mul_hi_u32 v5, s20, v3
	s_cmp_eq_u32 s78, s80
	v_sub_u32_e32 v1, v1, v4
	v_add_u32_e32 v4, v3, v5
	v_mul_lo_u32 v5, v1, s8
	v_mul_lo_u32 v6, v1, s9
	v_lshrrev_b32_e32 v1, s21, v4
	v_mul_lo_u32 v4, v1, s19
	v_mul_hi_u32 v7, s23, v1
	v_sub_u32_e32 v3, v3, v4
	v_add_u32_e32 v4, v1, v7
	v_lshrrev_b32_e32 v4, s40, v4
	v_mul_hi_u32 v9, s42, v4
	v_mul_lo_u32 v10, v4, s22
	v_mul_lo_u32 v7, v3, s10
	;; [unrolled: 1-line block ×3, first 2 shown]
	v_sub_u32_e32 v10, v1, v10
	v_add_u32_e32 v1, v4, v9
	v_lshrrev_b32_e32 v1, s43, v1
	v_mul_lo_u32 v9, v1, s41
	v_mul_lo_u32 v11, v10, s12
	;; [unrolled: 1-line block ×3, first 2 shown]
	v_add3_u32 v0, v5, v0, v7
	v_sub_u32_e32 v4, v4, v9
	v_mul_lo_u32 v9, v4, s14
	v_mul_lo_u32 v4, v4, s15
	v_add3_u32 v2, v6, v2, v3
	v_add3_u32 v0, v11, v0, v9
	v_add3_u32 v2, v10, v2, v4
	s_cbranch_scc0 .LBB103_811
	s_branch .LBB103_815
.LBB103_812:
	s_mov_b64 s[8:9], -1
                                        ; implicit-def: $vgpr0
                                        ; implicit-def: $vgpr2
	s_branch .LBB103_819
.LBB103_813:
	v_mov_b32_e32 v0, 0
	v_mov_b32_e32 v2, 0
	s_branch .LBB103_818
.LBB103_814:
	s_mov_b32 s78, 0
	v_mov_b32_e32 v0, 0
	v_mov_b32_e32 v2, 0
	;; [unrolled: 1-line block ×3, first 2 shown]
.LBB103_815:
	s_and_b32 s12, s79, 3
	s_cmp_eq_u32 s12, 0
	s_cbranch_scc1 .LBB103_818
; %bb.816:
	s_lshl_b32 s8, s78, 3
	s_add_u32 s8, s34, s8
	s_addc_u32 s9, s35, 0
	s_add_u32 s8, s8, 0xc4
	s_addc_u32 s9, s9, 0
	s_mul_i32 s10, s78, 12
	s_add_u32 s10, s34, s10
	s_addc_u32 s11, s35, 0
.LBB103_817:                            ; =>This Inner Loop Header: Depth=1
	s_load_dwordx2 s[14:15], s[10:11], 0x4
	s_load_dword s13, s[10:11], 0xc
	s_load_dwordx2 s[16:17], s[8:9], 0x0
	s_add_u32 s10, s10, 12
	s_addc_u32 s11, s11, 0
	s_waitcnt vmcnt(0) lgkmcnt(0)
	v_mul_hi_u32 v3, s15, v1
	s_add_u32 s8, s8, 8
	s_addc_u32 s9, s9, 0
	s_add_i32 s12, s12, -1
	v_add_u32_e32 v3, v1, v3
	v_lshrrev_b32_e32 v4, s13, v3
	v_mul_lo_u32 v3, v4, s14
	s_cmp_lg_u32 s12, 0
	v_sub_u32_e32 v3, v1, v3
	v_mad_u64_u32 v[0:1], s[14:15], v3, s16, v[0:1]
	v_mad_u64_u32 v[2:3], s[14:15], v3, s17, v[2:3]
	v_mov_b32_e32 v1, v4
	s_cbranch_scc1 .LBB103_817
.LBB103_818:
	s_mov_b64 s[8:9], 0
.LBB103_819:
	s_andn2_b64 vcc, exec, s[8:9]
	s_cbranch_vccnz .LBB103_822
; %bb.820:
	v_mul_hi_u32 v0, s29, v8
	s_andn2_b64 vcc, exec, s[50:51]
	v_add_u32_e32 v0, v8, v0
	v_lshrrev_b32_e32 v1, s30, v0
	v_mul_lo_u32 v0, v1, s28
	v_sub_u32_e32 v2, v8, v0
	v_mul_lo_u32 v0, v2, s36
	v_mul_lo_u32 v2, v2, s37
	s_cbranch_vccnz .LBB103_822
; %bb.821:
	s_waitcnt vmcnt(0)
	v_mul_hi_u32 v3, s48, v1
	v_add_u32_e32 v3, v1, v3
	v_lshrrev_b32_e32 v3, s49, v3
	v_mul_lo_u32 v3, v3, s31
	v_sub_u32_e32 v3, v1, v3
	v_mad_u64_u32 v[0:1], s[8:9], v3, s38, v[0:1]
	v_mad_u64_u32 v[2:3], s[8:9], v3, s39, v[2:3]
.LBB103_822:
	s_waitcnt vmcnt(0)
	v_mov_b32_e32 v3, s27
	s_and_b32 s16, 0xffff, s77
	v_add_co_u32_e32 v1, vcc, s26, v2
	s_cmp_lt_i32 s16, 11
	v_addc_co_u32_e32 v2, vcc, 0, v3, vcc
	s_cbranch_scc1 .LBB103_829
; %bb.823:
	s_cmp_gt_i32 s16, 25
	s_mov_b64 s[10:11], 0
	s_cbranch_scc0 .LBB103_830
; %bb.824:
	s_cmp_gt_i32 s16, 28
	s_cbranch_scc0 .LBB103_831
; %bb.825:
	s_cmp_gt_i32 s16, 43
	;; [unrolled: 3-line block ×3, first 2 shown]
	s_cbranch_scc0 .LBB103_835
; %bb.827:
	s_cmp_eq_u32 s16, 46
	s_mov_b64 s[14:15], 0
	s_cbranch_scc0 .LBB103_838
; %bb.828:
	global_load_dword v3, v[1:2], off
	s_mov_b64 s[8:9], 0
	s_mov_b64 s[12:13], -1
	s_waitcnt vmcnt(0)
	v_lshlrev_b32_e32 v3, 16, v3
	v_cvt_i32_f32_e32 v3, v3
	s_branch .LBB103_839
.LBB103_829:
	s_mov_b64 s[16:17], -1
	s_mov_b64 s[12:13], 0
	s_mov_b64 s[10:11], 0
	;; [unrolled: 1-line block ×3, first 2 shown]
                                        ; implicit-def: $vgpr3
	s_branch .LBB103_898
.LBB103_830:
	s_mov_b64 s[14:15], -1
	s_mov_b64 s[12:13], 0
	s_mov_b64 s[8:9], s[2:3]
                                        ; implicit-def: $vgpr3
	s_branch .LBB103_866
.LBB103_831:
	s_mov_b64 s[14:15], -1
	s_mov_b64 s[12:13], 0
	s_mov_b64 s[8:9], s[2:3]
                                        ; implicit-def: $vgpr3
	s_branch .LBB103_849
.LBB103_832:
	s_mov_b64 s[14:15], -1
	s_mov_b64 s[12:13], 0
	s_mov_b64 s[8:9], s[2:3]
                                        ; implicit-def: $vgpr3
	s_branch .LBB103_844
.LBB103_833:
	s_andn2_saveexec_b64 s[14:15], s[14:15]
	s_cbranch_execz .LBB103_713
.LBB103_834:
	s_mov_b32 s18, 0x46000000
	v_add_f32_e64 v3, |v2|, s18
	v_and_b32_e32 v3, 0xff, v3
	v_cmp_ne_u32_e32 vcc, 0, v3
	s_andn2_b64 s[12:13], s[12:13], exec
	s_and_b64 s[18:19], vcc, exec
	s_or_b64 s[12:13], s[12:13], s[18:19]
	s_or_b64 exec, exec, s[14:15]
	v_mov_b32_e32 v5, 0
	s_and_saveexec_b64 s[14:15], s[12:13]
	s_cbranch_execnz .LBB103_714
	s_branch .LBB103_715
.LBB103_835:
	s_mov_b64 s[14:15], -1
	s_mov_b64 s[12:13], 0
	s_mov_b64 s[8:9], s[2:3]
                                        ; implicit-def: $vgpr3
	s_branch .LBB103_839
.LBB103_836:
	s_andn2_saveexec_b64 s[14:15], s[14:15]
	s_cbranch_execz .LBB103_726
.LBB103_837:
	s_mov_b32 s18, 0x42800000
	v_add_f32_e64 v3, |v2|, s18
	v_and_b32_e32 v3, 0xff, v3
	v_cmp_ne_u32_e32 vcc, 0, v3
	s_andn2_b64 s[12:13], s[12:13], exec
	s_and_b64 s[18:19], vcc, exec
	s_or_b64 s[12:13], s[12:13], s[18:19]
	s_or_b64 exec, exec, s[14:15]
	v_mov_b32_e32 v5, 0
	s_and_saveexec_b64 s[14:15], s[12:13]
	s_cbranch_execnz .LBB103_727
	s_branch .LBB103_728
.LBB103_838:
	s_mov_b64 s[8:9], -1
                                        ; implicit-def: $vgpr3
	s_mov_b64 s[12:13], 0
.LBB103_839:
	s_and_b64 vcc, exec, s[14:15]
	s_cbranch_vccz .LBB103_843
; %bb.840:
	s_cmp_eq_u32 s16, 44
	s_cbranch_scc0 .LBB103_842
; %bb.841:
	global_load_ubyte v3, v[1:2], off
	s_mov_b64 s[8:9], 0
	s_mov_b64 s[12:13], -1
	s_waitcnt vmcnt(0)
	v_lshlrev_b32_e32 v4, 23, v3
	v_cvt_i32_f32_e32 v4, v4
	v_cmp_ne_u32_e32 vcc, 0, v3
	v_cndmask_b32_e32 v3, 0, v4, vcc
	s_branch .LBB103_843
.LBB103_842:
	s_mov_b64 s[8:9], -1
                                        ; implicit-def: $vgpr3
.LBB103_843:
	s_mov_b64 s[14:15], 0
.LBB103_844:
	s_and_b64 vcc, exec, s[14:15]
	s_cbranch_vccz .LBB103_848
; %bb.845:
	s_cmp_eq_u32 s16, 29
	s_cbranch_scc0 .LBB103_847
; %bb.846:
	global_load_dwordx2 v[3:4], v[1:2], off
	s_mov_b64 s[8:9], 0
	s_mov_b64 s[12:13], -1
	s_branch .LBB103_848
.LBB103_847:
	s_mov_b64 s[8:9], -1
                                        ; implicit-def: $vgpr3
.LBB103_848:
	s_mov_b64 s[14:15], 0
.LBB103_849:
	s_and_b64 vcc, exec, s[14:15]
	s_cbranch_vccz .LBB103_865
; %bb.850:
	s_cmp_lt_i32 s16, 27
	s_cbranch_scc1 .LBB103_853
; %bb.851:
	s_cmp_gt_i32 s16, 27
	s_cbranch_scc0 .LBB103_854
; %bb.852:
	global_load_dword v3, v[1:2], off
	s_mov_b64 s[12:13], 0
	s_branch .LBB103_855
.LBB103_853:
	s_mov_b64 s[12:13], -1
                                        ; implicit-def: $vgpr3
	s_branch .LBB103_858
.LBB103_854:
	s_mov_b64 s[12:13], -1
                                        ; implicit-def: $vgpr3
.LBB103_855:
	s_andn2_b64 vcc, exec, s[12:13]
	s_cbranch_vccnz .LBB103_857
; %bb.856:
	global_load_ushort v3, v[1:2], off
.LBB103_857:
	s_mov_b64 s[12:13], 0
.LBB103_858:
	s_andn2_b64 vcc, exec, s[12:13]
	s_cbranch_vccnz .LBB103_864
; %bb.859:
	global_load_ubyte v4, v[1:2], off
	s_movk_i32 s12, 0x7f
	s_mov_b64 s[14:15], 0
	s_waitcnt vmcnt(0)
	v_cmp_lt_i16_e32 vcc, s12, v4
	s_and_saveexec_b64 s[12:13], vcc
	s_xor_b64 s[12:13], exec, s[12:13]
	s_cbranch_execz .LBB103_876
; %bb.860:
	s_movk_i32 s14, 0x80
	v_cmp_ne_u16_e32 vcc, s14, v4
	s_and_b64 s[14:15], vcc, exec
	s_andn2_saveexec_b64 s[12:13], s[12:13]
	s_cbranch_execnz .LBB103_877
.LBB103_861:
	s_or_b64 exec, exec, s[12:13]
	v_mov_b32_e32 v3, 0
	s_and_saveexec_b64 s[12:13], s[14:15]
	s_cbranch_execz .LBB103_863
.LBB103_862:
	v_lshlrev_b32_e32 v3, 24, v4
	v_and_b32_e32 v4, 0xffff, v4
	v_and_b32_e32 v5, 7, v4
	v_ffbh_u32_e32 v7, v5
	v_min_u32_e32 v7, 32, v7
	v_subrev_u32_e32 v8, 28, v7
	v_bfe_u32 v6, v4, 3, 4
	v_lshlrev_b32_e32 v4, v8, v4
	v_sub_u32_e32 v7, 29, v7
	v_and_b32_e32 v4, 7, v4
	v_cmp_eq_u32_e32 vcc, 0, v6
	v_cndmask_b32_e32 v6, v6, v7, vcc
	v_cndmask_b32_e32 v4, v5, v4, vcc
	v_mov_b32_e32 v5, 0x3b800000
	v_lshlrev_b32_e32 v4, 20, v4
	v_and_b32_e32 v3, 0x80000000, v3
	v_lshl_add_u32 v5, v6, 23, v5
	v_or3_b32 v3, v3, v5, v4
	v_cvt_i32_f32_e32 v3, v3
.LBB103_863:
	s_or_b64 exec, exec, s[12:13]
.LBB103_864:
	s_mov_b64 s[12:13], -1
.LBB103_865:
	s_mov_b64 s[14:15], 0
.LBB103_866:
	s_and_b64 vcc, exec, s[14:15]
	s_cbranch_vccz .LBB103_897
; %bb.867:
	s_cmp_gt_i32 s16, 22
	s_cbranch_scc0 .LBB103_875
; %bb.868:
	s_cmp_lt_i32 s16, 24
	s_cbranch_scc1 .LBB103_878
; %bb.869:
	s_cmp_gt_i32 s16, 24
	s_cbranch_scc0 .LBB103_879
; %bb.870:
	global_load_ubyte v4, v[1:2], off
	s_movk_i32 s10, 0x7f
	s_mov_b64 s[12:13], 0
	s_waitcnt vmcnt(0)
	v_cmp_lt_i16_e32 vcc, s10, v4
	s_and_saveexec_b64 s[10:11], vcc
	s_xor_b64 s[10:11], exec, s[10:11]
	s_cbranch_execz .LBB103_891
; %bb.871:
	s_movk_i32 s12, 0x80
	v_cmp_ne_u16_e32 vcc, s12, v4
	s_and_b64 s[12:13], vcc, exec
	s_andn2_saveexec_b64 s[10:11], s[10:11]
	s_cbranch_execnz .LBB103_892
.LBB103_872:
	s_or_b64 exec, exec, s[10:11]
	v_mov_b32_e32 v3, 0
	s_and_saveexec_b64 s[10:11], s[12:13]
	s_cbranch_execz .LBB103_874
.LBB103_873:
	v_lshlrev_b32_e32 v3, 24, v4
	v_and_b32_e32 v4, 0xffff, v4
	v_and_b32_e32 v5, 3, v4
	v_ffbh_u32_e32 v7, v5
	v_min_u32_e32 v7, 32, v7
	v_subrev_u32_e32 v8, 29, v7
	v_bfe_u32 v6, v4, 2, 5
	v_lshlrev_b32_e32 v4, v8, v4
	v_sub_u32_e32 v7, 30, v7
	v_and_b32_e32 v4, 3, v4
	v_cmp_eq_u32_e32 vcc, 0, v6
	v_cndmask_b32_e32 v6, v6, v7, vcc
	v_cndmask_b32_e32 v4, v5, v4, vcc
	v_mov_b32_e32 v5, 0x37800000
	v_lshlrev_b32_e32 v4, 21, v4
	v_and_b32_e32 v3, 0x80000000, v3
	v_lshl_add_u32 v5, v6, 23, v5
	v_or3_b32 v3, v3, v5, v4
	v_cvt_i32_f32_e32 v3, v3
.LBB103_874:
	s_or_b64 exec, exec, s[10:11]
	s_mov_b64 s[10:11], 0
	s_branch .LBB103_880
.LBB103_875:
	s_mov_b64 s[10:11], -1
                                        ; implicit-def: $vgpr3
	s_branch .LBB103_886
.LBB103_876:
	s_andn2_saveexec_b64 s[12:13], s[12:13]
	s_cbranch_execz .LBB103_861
.LBB103_877:
	v_cmp_ne_u16_e32 vcc, 0, v4
	s_andn2_b64 s[14:15], s[14:15], exec
	s_and_b64 s[18:19], vcc, exec
	s_or_b64 s[14:15], s[14:15], s[18:19]
	s_or_b64 exec, exec, s[12:13]
	v_mov_b32_e32 v3, 0
	s_and_saveexec_b64 s[12:13], s[14:15]
	s_cbranch_execnz .LBB103_862
	s_branch .LBB103_863
.LBB103_878:
	s_mov_b64 s[10:11], -1
                                        ; implicit-def: $vgpr3
	s_branch .LBB103_883
.LBB103_879:
	s_mov_b64 s[10:11], -1
                                        ; implicit-def: $vgpr3
.LBB103_880:
	s_and_b64 vcc, exec, s[10:11]
	s_cbranch_vccz .LBB103_882
; %bb.881:
	global_load_ubyte v3, v[1:2], off
	s_mov_b32 s10, 0x7f800000
	s_waitcnt vmcnt(0)
	v_lshlrev_b32_e32 v3, 24, v3
	v_and_b32_e32 v4, 0x7f000000, v3
	v_ffbh_u32_e32 v5, v4
	v_min_u32_e32 v5, 32, v5
	v_sub_u32_e64 v5, v5, 4 clamp
	v_lshlrev_b32_e32 v7, v5, v4
	v_lshlrev_b32_e32 v5, 23, v5
	v_lshrrev_b32_e32 v7, 4, v7
	v_add_u32_e32 v6, 0x1000000, v4
	v_sub_u32_e32 v5, v7, v5
	v_ashrrev_i32_e32 v6, 8, v6
	v_add_u32_e32 v5, 0x3c000000, v5
	v_and_or_b32 v5, v6, s10, v5
	v_cmp_ne_u32_e32 vcc, 0, v4
	v_cndmask_b32_e32 v4, 0, v5, vcc
	s_brev_b32 s10, 1
	v_and_or_b32 v3, v3, s10, v4
	v_cvt_i32_f32_e32 v3, v3
.LBB103_882:
	s_mov_b64 s[10:11], 0
.LBB103_883:
	s_andn2_b64 vcc, exec, s[10:11]
	s_cbranch_vccnz .LBB103_885
; %bb.884:
	global_load_ubyte v3, v[1:2], off
	s_movk_i32 s10, 0x7f00
	s_brev_b32 s11, 16
	s_waitcnt vmcnt(0)
	v_lshlrev_b16_e32 v4, 8, v3
	v_lshlrev_b32_e32 v3, 25, v3
	v_lshrrev_b32_e32 v5, 4, v3
	v_and_or_b32 v6, v4, s10, 0.5
	v_or_b32_e32 v5, 0x70000000, v5
	v_add_f32_e32 v6, -0.5, v6
	v_mul_f32_e32 v5, 0x7800000, v5
	v_cmp_gt_u32_e32 vcc, s11, v3
	v_bfe_i32 v4, v4, 0, 16
	v_cndmask_b32_e32 v3, v5, v6, vcc
	s_brev_b32 s10, 1
	v_and_or_b32 v3, v4, s10, v3
	v_cvt_i32_f32_e32 v3, v3
.LBB103_885:
	s_mov_b64 s[10:11], 0
	s_mov_b64 s[12:13], -1
.LBB103_886:
	s_andn2_b64 vcc, exec, s[10:11]
	s_mov_b64 s[10:11], 0
	s_cbranch_vccnz .LBB103_897
; %bb.887:
	s_cmp_gt_i32 s16, 14
	s_cbranch_scc0 .LBB103_890
; %bb.888:
	s_cmp_eq_u32 s16, 15
	s_cbranch_scc0 .LBB103_893
; %bb.889:
	global_load_ushort v3, v[1:2], off
	s_mov_b64 s[8:9], 0
	s_mov_b64 s[12:13], -1
	s_waitcnt vmcnt(0)
	v_lshlrev_b32_e32 v3, 16, v3
	v_cvt_i32_f32_e32 v3, v3
	s_branch .LBB103_894
.LBB103_890:
	s_mov_b64 s[14:15], -1
                                        ; implicit-def: $vgpr3
	s_branch .LBB103_895
.LBB103_891:
	s_andn2_saveexec_b64 s[10:11], s[10:11]
	s_cbranch_execz .LBB103_872
.LBB103_892:
	v_cmp_ne_u16_e32 vcc, 0, v4
	s_andn2_b64 s[12:13], s[12:13], exec
	s_and_b64 s[14:15], vcc, exec
	s_or_b64 s[12:13], s[12:13], s[14:15]
	s_or_b64 exec, exec, s[10:11]
	v_mov_b32_e32 v3, 0
	s_and_saveexec_b64 s[10:11], s[12:13]
	s_cbranch_execnz .LBB103_873
	s_branch .LBB103_874
.LBB103_893:
	s_mov_b64 s[8:9], -1
                                        ; implicit-def: $vgpr3
.LBB103_894:
	s_mov_b64 s[14:15], 0
.LBB103_895:
	s_and_b64 vcc, exec, s[14:15]
	s_cbranch_vccz .LBB103_897
; %bb.896:
	s_cmp_lg_u32 s16, 11
	s_cselect_b64 s[14:15], -1, 0
	s_andn2_b64 s[8:9], s[8:9], exec
	s_and_b64 s[14:15], s[14:15], exec
	s_mov_b64 s[10:11], -1
	s_or_b64 s[8:9], s[8:9], s[14:15]
.LBB103_897:
	s_mov_b64 s[16:17], 0
.LBB103_898:
	s_and_b64 s[14:15], s[12:13], exec
	s_and_b64 s[12:13], s[16:17], exec
	s_andn2_b64 s[16:17], s[2:3], exec
	s_and_b64 s[8:9], s[8:9], exec
	s_and_b64 s[10:11], s[10:11], exec
	s_or_b64 s[16:17], s[16:17], s[8:9]
.LBB103_899:
	s_or_b64 exec, exec, s[72:73]
	s_and_b64 s[8:9], s[10:11], exec
	s_andn2_b64 s[2:3], s[2:3], exec
	s_and_b64 s[10:11], s[16:17], exec
	s_and_b64 s[14:15], s[14:15], exec
	;; [unrolled: 1-line block ×3, first 2 shown]
	s_or_b64 s[2:3], s[2:3], s[10:11]
.LBB103_900:
	s_or_b64 exec, exec, s[68:69]
	s_andn2_b64 s[10:11], s[64:65], exec
	s_and_b64 s[16:17], s[70:71], exec
	s_or_b64 s[64:65], s[10:11], s[16:17]
	s_and_b64 s[10:11], s[14:15], exec
	s_andn2_b64 s[14:15], s[62:63], exec
	s_and_b64 s[2:3], s[2:3], exec
	s_and_b64 s[12:13], s[12:13], exec
	;; [unrolled: 1-line block ×3, first 2 shown]
	s_or_b64 s[62:63], s[14:15], s[2:3]
.LBB103_901:
	s_or_b64 exec, exec, s[66:67]
	s_andn2_b64 s[2:3], s[56:57], exec
	s_and_b64 s[14:15], s[64:65], exec
	s_or_b64 s[56:57], s[2:3], s[14:15]
	s_and_b64 s[64:65], s[8:9], exec
	s_andn2_b64 s[2:3], s[58:59], exec
	s_and_b64 s[8:9], s[62:63], exec
	s_and_b64 s[10:11], s[10:11], exec
	;; [unrolled: 1-line block ×3, first 2 shown]
	s_or_b64 s[58:59], s[2:3], s[8:9]
	s_or_b64 exec, exec, s[60:61]
	s_mov_b64 s[2:3], 0
	s_and_saveexec_b64 s[8:9], s[58:59]
	s_cbranch_execz .LBB103_270
.LBB103_902:
	s_mov_b64 s[2:3], exec
	s_andn2_b64 s[64:65], s[64:65], exec
	s_trap 2
	s_or_b64 exec, exec, s[8:9]
	s_and_saveexec_b64 s[8:9], s[64:65]
	s_xor_b64 s[8:9], exec, s[8:9]
	s_cbranch_execnz .LBB103_271
.LBB103_903:
	s_or_b64 exec, exec, s[8:9]
	s_and_saveexec_b64 s[8:9], s[12:13]
	s_cbranch_execz .LBB103_949
.LBB103_904:
	s_sext_i32_i16 s12, s77
	s_cmp_lt_i32 s12, 5
	s_cbranch_scc1 .LBB103_909
; %bb.905:
	s_cmp_lt_i32 s12, 8
	s_cbranch_scc1 .LBB103_910
; %bb.906:
	;; [unrolled: 3-line block ×3, first 2 shown]
	s_cmp_gt_i32 s12, 9
	s_cbranch_scc0 .LBB103_912
; %bb.908:
	global_load_dwordx2 v[3:4], v[1:2], off
	s_mov_b64 s[12:13], 0
	s_waitcnt vmcnt(0)
	v_cvt_i32_f64_e32 v3, v[3:4]
	s_branch .LBB103_913
.LBB103_909:
                                        ; implicit-def: $vgpr3
	s_branch .LBB103_930
.LBB103_910:
                                        ; implicit-def: $vgpr3
	s_branch .LBB103_919
.LBB103_911:
	s_mov_b64 s[12:13], -1
                                        ; implicit-def: $vgpr3
	s_branch .LBB103_916
.LBB103_912:
	s_mov_b64 s[12:13], -1
                                        ; implicit-def: $vgpr3
.LBB103_913:
	s_andn2_b64 vcc, exec, s[12:13]
	s_cbranch_vccnz .LBB103_915
; %bb.914:
	global_load_dword v3, v[1:2], off
	s_waitcnt vmcnt(0)
	v_cvt_i32_f32_e32 v3, v3
.LBB103_915:
	s_mov_b64 s[12:13], 0
.LBB103_916:
	s_andn2_b64 vcc, exec, s[12:13]
	s_cbranch_vccnz .LBB103_918
; %bb.917:
	global_load_dword v3, v[1:2], off
	s_waitcnt vmcnt(0)
	v_cvt_i16_f16_e32 v3, v3
.LBB103_918:
	s_cbranch_execnz .LBB103_929
.LBB103_919:
	s_sext_i32_i16 s12, s77
	s_cmp_lt_i32 s12, 6
	s_cbranch_scc1 .LBB103_922
; %bb.920:
	s_cmp_gt_i32 s12, 6
	s_cbranch_scc0 .LBB103_923
; %bb.921:
	global_load_dwordx2 v[3:4], v[1:2], off
	s_mov_b64 s[12:13], 0
	s_waitcnt vmcnt(0)
	v_cvt_i32_f64_e32 v3, v[3:4]
	s_branch .LBB103_924
.LBB103_922:
	s_mov_b64 s[12:13], -1
                                        ; implicit-def: $vgpr3
	s_branch .LBB103_927
.LBB103_923:
	s_mov_b64 s[12:13], -1
                                        ; implicit-def: $vgpr3
.LBB103_924:
	s_andn2_b64 vcc, exec, s[12:13]
	s_cbranch_vccnz .LBB103_926
; %bb.925:
	global_load_dword v3, v[1:2], off
	s_waitcnt vmcnt(0)
	v_cvt_i32_f32_e32 v3, v3
.LBB103_926:
	s_mov_b64 s[12:13], 0
.LBB103_927:
	s_andn2_b64 vcc, exec, s[12:13]
	s_cbranch_vccnz .LBB103_929
; %bb.928:
	global_load_ushort v3, v[1:2], off
	s_waitcnt vmcnt(0)
	v_cvt_i16_f16_e32 v3, v3
.LBB103_929:
	s_cbranch_execnz .LBB103_948
.LBB103_930:
	s_sext_i32_i16 s12, s77
	s_cmp_lt_i32 s12, 2
	s_cbranch_scc1 .LBB103_934
; %bb.931:
	s_cmp_lt_i32 s12, 3
	s_cbranch_scc1 .LBB103_935
; %bb.932:
	s_cmp_gt_i32 s12, 3
	s_cbranch_scc0 .LBB103_936
; %bb.933:
	global_load_dwordx2 v[3:4], v[1:2], off
	s_mov_b64 s[12:13], 0
	s_branch .LBB103_937
.LBB103_934:
                                        ; implicit-def: $vgpr3
	s_branch .LBB103_943
.LBB103_935:
	s_mov_b64 s[12:13], -1
                                        ; implicit-def: $vgpr3
	s_branch .LBB103_940
.LBB103_936:
	s_mov_b64 s[12:13], -1
                                        ; implicit-def: $vgpr3
.LBB103_937:
	s_andn2_b64 vcc, exec, s[12:13]
	s_cbranch_vccnz .LBB103_939
; %bb.938:
	global_load_dword v3, v[1:2], off
.LBB103_939:
	s_mov_b64 s[12:13], 0
.LBB103_940:
	s_andn2_b64 vcc, exec, s[12:13]
	s_cbranch_vccnz .LBB103_942
; %bb.941:
	global_load_ushort v3, v[1:2], off
.LBB103_942:
	s_cbranch_execnz .LBB103_948
.LBB103_943:
	s_sext_i32_i16 s12, s77
	s_cmp_gt_i32 s12, 0
	s_cbranch_scc0 .LBB103_945
; %bb.944:
	global_load_sbyte v3, v[1:2], off
	s_mov_b64 s[12:13], 0
	s_branch .LBB103_946
.LBB103_945:
	s_mov_b64 s[12:13], -1
                                        ; implicit-def: $vgpr3
.LBB103_946:
	s_andn2_b64 vcc, exec, s[12:13]
	s_cbranch_vccnz .LBB103_948
; %bb.947:
	global_load_ubyte v3, v[1:2], off
.LBB103_948:
	s_or_b64 s[10:11], s[10:11], exec
.LBB103_949:
	s_or_b64 exec, exec, s[8:9]
	s_mov_b64 s[14:15], 0
	s_mov_b64 s[12:13], 0
                                        ; implicit-def: $sgpr18
                                        ; implicit-def: $vgpr1_vgpr2
                                        ; implicit-def: $vgpr4
	s_and_saveexec_b64 s[8:9], s[10:11]
	s_cbranch_execz .LBB103_957
; %bb.950:
	v_mov_b32_e32 v1, s76
	s_waitcnt vmcnt(0)
	v_cndmask_b32_e64 v4, v1, v3, s[0:1]
	v_mov_b32_e32 v2, s25
	s_and_b32 s18, s75, 0xff
	v_add_co_u32_e32 v1, vcc, s24, v0
	s_cmp_lt_i32 s18, 11
	v_addc_co_u32_e32 v2, vcc, 0, v2, vcc
	s_cbranch_scc1 .LBB103_960
; %bb.951:
	s_and_b32 s19, 0xffff, s18
	s_mov_b64 s[12:13], -1
	s_cmp_gt_i32 s19, 25
	s_mov_b64 s[0:1], s[56:57]
	s_cbranch_scc0 .LBB103_988
; %bb.952:
	s_mov_b64 s[10:11], -1
	s_cmp_gt_i32 s19, 28
	s_mov_b64 s[0:1], s[56:57]
	s_cbranch_scc0 .LBB103_972
; %bb.953:
	s_cmp_gt_i32 s19, 43
	s_mov_b64 s[0:1], s[56:57]
	s_cbranch_scc0 .LBB103_968
; %bb.954:
	;; [unrolled: 4-line block ×3, first 2 shown]
	s_cmp_eq_u32 s19, 46
	s_mov_b64 s[0:1], -1
	s_cbranch_scc0 .LBB103_961
; %bb.956:
	v_cvt_f32_i32_sdwa v0, sext(v4) dst_sel:DWORD dst_unused:UNUSED_PAD src0_sel:WORD_0
	s_movk_i32 s0, 0x7fff
	s_mov_b64 s[10:11], 0
	v_bfe_u32 v3, v0, 16, 1
	v_add3_u32 v0, v0, v3, s0
	v_lshrrev_b32_e32 v0, 16, v0
	global_store_dword v[1:2], v0, off
	s_mov_b64 s[0:1], 0
	s_branch .LBB103_962
.LBB103_957:
	s_or_b64 exec, exec, s[8:9]
	s_and_saveexec_b64 s[0:1], s[56:57]
	s_cbranch_execnz .LBB103_1030
.LBB103_958:
	s_or_b64 exec, exec, s[0:1]
	s_and_saveexec_b64 s[0:1], s[14:15]
	s_xor_b64 s[0:1], exec, s[0:1]
	s_cbranch_execz .LBB103_1031
.LBB103_959:
	s_waitcnt vmcnt(0)
	v_cmp_ne_u16_e32 vcc, 0, v4
	v_cndmask_b32_e64 v0, 0, 1, vcc
	global_store_byte v[1:2], v0, off
	s_or_b64 exec, exec, s[0:1]
	s_and_saveexec_b64 s[0:1], s[12:13]
	s_xor_b64 s[0:1], exec, s[0:1]
	s_cbranch_execz .LBB103_1069
	s_branch .LBB103_1032
.LBB103_960:
	s_mov_b64 s[10:11], -1
	s_mov_b64 s[0:1], s[56:57]
	s_branch .LBB103_1029
.LBB103_961:
	s_mov_b64 s[10:11], 0
.LBB103_962:
	s_and_b64 vcc, exec, s[10:11]
	s_cbranch_vccz .LBB103_967
; %bb.963:
	s_cmp_eq_u32 s19, 44
	s_mov_b64 s[0:1], -1
	s_cbranch_scc0 .LBB103_967
; %bb.964:
	v_cvt_f32_i32_sdwa v0, sext(v4) dst_sel:DWORD dst_unused:UNUSED_PAD src0_sel:WORD_0
	s_movk_i32 s0, 0xff
	v_mov_b32_e32 v5, 0xff
	v_bfe_u32 v3, v0, 23, 8
	v_cmp_ne_u32_e32 vcc, s0, v3
	s_and_saveexec_b64 s[10:11], vcc
; %bb.965:
	s_mov_b32 s0, 0x3fffff
	v_lshrrev_b32_e32 v5, 23, v0
	v_and_b32_e32 v6, 0x400000, v0
	v_and_or_b32 v0, v0, s0, v3
	v_cmp_ne_u32_e32 vcc, 0, v6
	v_cmp_ne_u32_e64 s[0:1], 0, v0
	s_and_b64 s[0:1], vcc, s[0:1]
	v_cndmask_b32_e64 v0, 0, 1, s[0:1]
	v_add_u32_e32 v5, v5, v0
; %bb.966:
	s_or_b64 exec, exec, s[10:11]
	s_mov_b64 s[0:1], 0
	global_store_byte v[1:2], v5, off
.LBB103_967:
	s_mov_b64 s[10:11], 0
.LBB103_968:
	s_and_b64 vcc, exec, s[10:11]
	s_cbranch_vccz .LBB103_971
; %bb.969:
	s_cmp_eq_u32 s19, 29
	s_mov_b64 s[0:1], -1
	s_cbranch_scc0 .LBB103_971
; %bb.970:
	v_bfe_i32 v5, v4, 0, 16
	v_ashrrev_i32_e32 v6, 31, v5
	global_store_dwordx2 v[1:2], v[5:6], off
	s_mov_b64 s[0:1], 0
.LBB103_971:
	s_mov_b64 s[10:11], 0
.LBB103_972:
	s_and_b64 vcc, exec, s[10:11]
	s_cbranch_vccz .LBB103_987
; %bb.973:
	s_cmp_lt_i32 s19, 27
	s_mov_b64 s[10:11], -1
	s_cbranch_scc1 .LBB103_979
; %bb.974:
	s_cmp_gt_i32 s19, 27
	s_cbranch_scc0 .LBB103_976
; %bb.975:
	v_bfe_i32 v0, v4, 0, 16
	s_mov_b64 s[10:11], 0
	global_store_dword v[1:2], v0, off
.LBB103_976:
	s_andn2_b64 vcc, exec, s[10:11]
	s_cbranch_vccnz .LBB103_978
; %bb.977:
	global_store_short v[1:2], v4, off
.LBB103_978:
	s_mov_b64 s[10:11], 0
.LBB103_979:
	s_andn2_b64 vcc, exec, s[10:11]
	s_cbranch_vccnz .LBB103_987
; %bb.980:
	v_cvt_f32_i32_sdwa v0, sext(v4) dst_sel:DWORD dst_unused:UNUSED_PAD src0_sel:WORD_0
	s_mov_b32 s10, 0x43800000
	v_mov_b32_e32 v5, 0x80
	v_and_b32_e32 v3, 0x7fffffff, v0
	v_cmp_gt_u32_e32 vcc, s10, v3
	s_and_saveexec_b64 s[10:11], vcc
	s_cbranch_execz .LBB103_986
; %bb.981:
	s_mov_b32 s12, 0x3bffffff
	v_cmp_lt_u32_e32 vcc, s12, v3
	s_mov_b64 s[12:13], 0
                                        ; implicit-def: $vgpr3
	s_and_saveexec_b64 s[14:15], vcc
	s_xor_b64 s[14:15], exec, s[14:15]
	s_cbranch_execz .LBB103_1140
; %bb.982:
	v_bfe_u32 v3, v0, 20, 1
	s_mov_b32 s16, 0x487ffff
	v_add3_u32 v3, v0, v3, s16
	s_mov_b64 s[12:13], exec
	v_lshrrev_b32_e32 v3, 20, v3
	s_andn2_saveexec_b64 s[14:15], s[14:15]
	s_cbranch_execnz .LBB103_1141
.LBB103_983:
	s_or_b64 exec, exec, s[14:15]
	v_mov_b32_e32 v5, 0
	s_and_saveexec_b64 s[14:15], s[12:13]
.LBB103_984:
	v_lshrrev_b32_e32 v0, 24, v0
	s_movk_i32 s12, 0x80
	v_and_or_b32 v5, v0, s12, v3
.LBB103_985:
	s_or_b64 exec, exec, s[14:15]
.LBB103_986:
	s_or_b64 exec, exec, s[10:11]
	global_store_byte v[1:2], v5, off
.LBB103_987:
	s_mov_b64 s[12:13], 0
.LBB103_988:
	s_mov_b64 s[10:11], 0
	s_and_b64 vcc, exec, s[12:13]
	s_cbranch_vccz .LBB103_1028
; %bb.989:
	s_cmp_gt_i32 s19, 22
	s_mov_b64 s[12:13], -1
	s_cbranch_scc0 .LBB103_1021
; %bb.990:
	s_cmp_lt_i32 s19, 24
	s_cbranch_scc1 .LBB103_1010
; %bb.991:
	s_cmp_gt_i32 s19, 24
	s_cbranch_scc0 .LBB103_999
; %bb.992:
	v_cvt_f32_i32_sdwa v0, sext(v4) dst_sel:DWORD dst_unused:UNUSED_PAD src0_sel:WORD_0
	s_mov_b32 s12, 0x47800000
	v_mov_b32_e32 v5, 0x80
	v_and_b32_e32 v3, 0x7fffffff, v0
	v_cmp_gt_u32_e32 vcc, s12, v3
	s_and_saveexec_b64 s[12:13], vcc
	s_cbranch_execz .LBB103_998
; %bb.993:
	s_mov_b32 s14, 0x37ffffff
	v_cmp_lt_u32_e32 vcc, s14, v3
	s_mov_b64 s[14:15], 0
                                        ; implicit-def: $vgpr3
	s_and_saveexec_b64 s[16:17], vcc
	s_xor_b64 s[16:17], exec, s[16:17]
	s_cbranch_execz .LBB103_1260
; %bb.994:
	v_bfe_u32 v3, v0, 21, 1
	s_mov_b32 s20, 0x88fffff
	v_add3_u32 v3, v0, v3, s20
	s_mov_b64 s[14:15], exec
	v_lshrrev_b32_e32 v3, 21, v3
	s_andn2_saveexec_b64 s[16:17], s[16:17]
	s_cbranch_execnz .LBB103_1261
.LBB103_995:
	s_or_b64 exec, exec, s[16:17]
	v_mov_b32_e32 v5, 0
	s_and_saveexec_b64 s[16:17], s[14:15]
.LBB103_996:
	v_lshrrev_b32_e32 v0, 24, v0
	s_movk_i32 s14, 0x80
	v_and_or_b32 v5, v0, s14, v3
.LBB103_997:
	s_or_b64 exec, exec, s[16:17]
.LBB103_998:
	s_or_b64 exec, exec, s[12:13]
	s_mov_b64 s[12:13], 0
	global_store_byte v[1:2], v5, off
.LBB103_999:
	s_and_b64 vcc, exec, s[12:13]
	s_cbranch_vccz .LBB103_1009
; %bb.1000:
	v_cvt_f32_i32_sdwa v0, sext(v4) dst_sel:DWORD dst_unused:UNUSED_PAD src0_sel:WORD_0
	s_mov_b32 s12, 0x43f00000
                                        ; implicit-def: $vgpr3
	v_and_b32_e32 v5, 0x7fffffff, v0
	v_cmp_gt_u32_e32 vcc, s12, v5
	s_and_saveexec_b64 s[12:13], vcc
	s_xor_b64 s[12:13], exec, s[12:13]
	s_cbranch_execz .LBB103_1006
; %bb.1001:
	s_mov_b32 s14, 0x3c7fffff
	v_cmp_lt_u32_e32 vcc, s14, v5
                                        ; implicit-def: $vgpr3
	s_and_saveexec_b64 s[14:15], vcc
	s_xor_b64 s[14:15], exec, s[14:15]
; %bb.1002:
	v_bfe_u32 v3, v0, 20, 1
	s_mov_b32 s16, 0x407ffff
	v_add3_u32 v3, v0, v3, s16
	v_lshrrev_b32_e32 v5, 20, v3
	v_and_b32_e32 v3, 0xff00000, v3
	s_mov_b32 s16, 0x7f00000
	v_mov_b32_e32 v6, 0x7e
	v_cmp_ne_u32_e32 vcc, s16, v3
	v_cndmask_b32_e32 v3, v6, v5, vcc
; %bb.1003:
	s_andn2_saveexec_b64 s[14:15], s[14:15]
; %bb.1004:
	s_mov_b32 s16, 0x46800000
	v_add_f32_e64 v3, |v0|, s16
; %bb.1005:
	s_or_b64 exec, exec, s[14:15]
                                        ; implicit-def: $vgpr5
.LBB103_1006:
	s_andn2_saveexec_b64 s[12:13], s[12:13]
; %bb.1007:
	s_mov_b32 s14, 0x7f800000
	v_mov_b32_e32 v3, 0x7e
	v_mov_b32_e32 v6, 0x7f
	v_cmp_lt_u32_e32 vcc, s14, v5
	v_cndmask_b32_e32 v3, v3, v6, vcc
; %bb.1008:
	s_or_b64 exec, exec, s[12:13]
	v_lshrrev_b32_e32 v0, 24, v0
	s_movk_i32 s12, 0x80
	v_and_or_b32 v0, v0, s12, v3
	global_store_byte v[1:2], v0, off
.LBB103_1009:
	s_mov_b64 s[12:13], 0
.LBB103_1010:
	s_andn2_b64 vcc, exec, s[12:13]
	s_cbranch_vccnz .LBB103_1020
; %bb.1011:
	v_cvt_f32_i32_sdwa v0, sext(v4) dst_sel:DWORD dst_unused:UNUSED_PAD src0_sel:WORD_0
	s_mov_b32 s12, 0x47800000
                                        ; implicit-def: $vgpr3
	v_and_b32_e32 v5, 0x7fffffff, v0
	v_cmp_gt_u32_e32 vcc, s12, v5
	s_and_saveexec_b64 s[12:13], vcc
	s_xor_b64 s[12:13], exec, s[12:13]
	s_cbranch_execz .LBB103_1017
; %bb.1012:
	s_mov_b32 s14, 0x387fffff
	v_cmp_lt_u32_e32 vcc, s14, v5
                                        ; implicit-def: $vgpr3
	s_and_saveexec_b64 s[14:15], vcc
	s_xor_b64 s[14:15], exec, s[14:15]
; %bb.1013:
	v_bfe_u32 v3, v0, 21, 1
	s_mov_b32 s16, 0x80fffff
	v_add3_u32 v3, v0, v3, s16
	v_lshrrev_b32_e32 v3, 21, v3
; %bb.1014:
	s_andn2_saveexec_b64 s[14:15], s[14:15]
; %bb.1015:
	s_mov_b32 s16, 0x43000000
	v_add_f32_e64 v3, |v0|, s16
; %bb.1016:
	s_or_b64 exec, exec, s[14:15]
                                        ; implicit-def: $vgpr5
.LBB103_1017:
	s_andn2_saveexec_b64 s[12:13], s[12:13]
; %bb.1018:
	s_mov_b32 s14, 0x7f800000
	v_mov_b32_e32 v3, 0x7c
	v_mov_b32_e32 v6, 0x7f
	v_cmp_lt_u32_e32 vcc, s14, v5
	v_cndmask_b32_e32 v3, v3, v6, vcc
; %bb.1019:
	s_or_b64 exec, exec, s[12:13]
	v_lshrrev_b32_e32 v0, 24, v0
	s_movk_i32 s12, 0x80
	v_and_or_b32 v0, v0, s12, v3
	global_store_byte v[1:2], v0, off
.LBB103_1020:
	s_mov_b64 s[12:13], 0
.LBB103_1021:
	s_andn2_b64 vcc, exec, s[12:13]
	s_mov_b64 s[14:15], 0
	s_cbranch_vccnz .LBB103_1029
; %bb.1022:
	s_cmp_gt_i32 s19, 14
	s_mov_b64 s[12:13], -1
	s_cbranch_scc0 .LBB103_1026
; %bb.1023:
	s_cmp_eq_u32 s19, 15
	s_mov_b64 s[0:1], -1
	s_cbranch_scc0 .LBB103_1025
; %bb.1024:
	v_cvt_f32_i32_sdwa v0, sext(v4) dst_sel:DWORD dst_unused:UNUSED_PAD src0_sel:WORD_0
	s_movk_i32 s0, 0x7fff
	v_bfe_u32 v3, v0, 16, 1
	v_add3_u32 v0, v0, v3, s0
	global_store_short_d16_hi v[1:2], v0, off
	s_mov_b64 s[0:1], 0
.LBB103_1025:
	s_mov_b64 s[12:13], 0
.LBB103_1026:
	s_and_b64 vcc, exec, s[12:13]
	s_cbranch_vccz .LBB103_1029
; %bb.1027:
	s_cmp_lg_u32 s19, 11
	s_cselect_b64 s[12:13], -1, 0
	s_andn2_b64 s[0:1], s[0:1], exec
	s_and_b64 s[12:13], s[12:13], exec
	s_mov_b64 s[14:15], -1
	s_or_b64 s[0:1], s[0:1], s[12:13]
	s_branch .LBB103_1029
.LBB103_1028:
	s_mov_b64 s[14:15], 0
.LBB103_1029:
	s_and_b64 s[12:13], s[10:11], exec
	s_andn2_b64 s[10:11], s[56:57], exec
	s_and_b64 s[0:1], s[0:1], exec
	s_and_b64 s[14:15], s[14:15], exec
	s_or_b64 s[56:57], s[10:11], s[0:1]
	s_or_b64 exec, exec, s[8:9]
	s_and_saveexec_b64 s[0:1], s[56:57]
	s_cbranch_execz .LBB103_958
.LBB103_1030:
	s_or_b64 s[2:3], s[2:3], exec
	s_andn2_b64 s[14:15], s[14:15], exec
	s_trap 2
	s_or_b64 exec, exec, s[0:1]
	s_and_saveexec_b64 s[0:1], s[14:15]
	s_xor_b64 s[0:1], exec, s[0:1]
	s_cbranch_execnz .LBB103_959
.LBB103_1031:
	s_or_b64 exec, exec, s[0:1]
	s_and_saveexec_b64 s[0:1], s[12:13]
	s_xor_b64 s[0:1], exec, s[0:1]
	s_cbranch_execz .LBB103_1069
.LBB103_1032:
	s_sext_i32_i16 s10, s18
	s_cmp_lt_i32 s10, 5
	s_mov_b64 s[8:9], -1
	s_cbranch_scc1 .LBB103_1053
; %bb.1033:
	s_cmp_lt_i32 s10, 8
	s_cbranch_scc1 .LBB103_1043
; %bb.1034:
	s_cmp_lt_i32 s10, 9
	s_cbranch_scc1 .LBB103_1040
; %bb.1035:
	s_cmp_gt_i32 s10, 9
	s_cbranch_scc0 .LBB103_1037
; %bb.1036:
	s_waitcnt vmcnt(0)
	v_bfe_i32 v0, v4, 0, 16
	v_cvt_f64_i32_e32 v[5:6], v0
	v_mov_b32_e32 v7, 0
	v_mov_b32_e32 v8, v7
	s_mov_b64 s[8:9], 0
	global_store_dwordx4 v[1:2], v[5:8], off
.LBB103_1037:
	s_andn2_b64 vcc, exec, s[8:9]
	s_cbranch_vccnz .LBB103_1039
; %bb.1038:
	s_waitcnt vmcnt(0)
	v_cvt_f32_i32_sdwa v5, sext(v4) dst_sel:DWORD dst_unused:UNUSED_PAD src0_sel:WORD_0
	v_mov_b32_e32 v6, 0
	global_store_dwordx2 v[1:2], v[5:6], off
.LBB103_1039:
	s_mov_b64 s[8:9], 0
.LBB103_1040:
	s_andn2_b64 vcc, exec, s[8:9]
	s_cbranch_vccnz .LBB103_1042
; %bb.1041:
	s_waitcnt vmcnt(0)
	v_cvt_f16_i16_e32 v0, v4
	global_store_dword v[1:2], v0, off
.LBB103_1042:
	s_mov_b64 s[8:9], 0
.LBB103_1043:
	s_andn2_b64 vcc, exec, s[8:9]
	s_cbranch_vccnz .LBB103_1052
; %bb.1044:
	s_sext_i32_i16 s10, s18
	s_cmp_lt_i32 s10, 6
	s_mov_b64 s[8:9], -1
	s_cbranch_scc1 .LBB103_1050
; %bb.1045:
	s_cmp_gt_i32 s10, 6
	s_cbranch_scc0 .LBB103_1047
; %bb.1046:
	s_waitcnt vmcnt(0)
	v_bfe_i32 v0, v4, 0, 16
	v_cvt_f64_i32_e32 v[5:6], v0
	s_mov_b64 s[8:9], 0
	global_store_dwordx2 v[1:2], v[5:6], off
.LBB103_1047:
	s_andn2_b64 vcc, exec, s[8:9]
	s_cbranch_vccnz .LBB103_1049
; %bb.1048:
	s_waitcnt vmcnt(0)
	v_cvt_f32_i32_sdwa v0, sext(v4) dst_sel:DWORD dst_unused:UNUSED_PAD src0_sel:WORD_0
	global_store_dword v[1:2], v0, off
.LBB103_1049:
	s_mov_b64 s[8:9], 0
.LBB103_1050:
	s_andn2_b64 vcc, exec, s[8:9]
	s_cbranch_vccnz .LBB103_1052
; %bb.1051:
	s_waitcnt vmcnt(0)
	v_cvt_f16_i16_e32 v0, v4
	global_store_short v[1:2], v0, off
.LBB103_1052:
	s_mov_b64 s[8:9], 0
.LBB103_1053:
	s_andn2_b64 vcc, exec, s[8:9]
	s_cbranch_vccnz .LBB103_1069
; %bb.1054:
	s_sext_i32_i16 s10, s18
	s_cmp_lt_i32 s10, 2
	s_mov_b64 s[8:9], -1
	s_cbranch_scc1 .LBB103_1064
; %bb.1055:
	s_cmp_lt_i32 s10, 3
	s_cbranch_scc1 .LBB103_1061
; %bb.1056:
	s_cmp_gt_i32 s10, 3
	s_cbranch_scc0 .LBB103_1058
; %bb.1057:
	s_waitcnt vmcnt(0)
	v_bfe_i32 v5, v4, 0, 16
	v_ashrrev_i32_e32 v6, 31, v5
	s_mov_b64 s[8:9], 0
	global_store_dwordx2 v[1:2], v[5:6], off
.LBB103_1058:
	s_andn2_b64 vcc, exec, s[8:9]
	s_cbranch_vccnz .LBB103_1060
; %bb.1059:
	s_waitcnt vmcnt(0)
	v_bfe_i32 v0, v4, 0, 16
	global_store_dword v[1:2], v0, off
.LBB103_1060:
	s_mov_b64 s[8:9], 0
.LBB103_1061:
	s_andn2_b64 vcc, exec, s[8:9]
	s_cbranch_vccnz .LBB103_1063
; %bb.1062:
	s_waitcnt vmcnt(0)
	global_store_short v[1:2], v4, off
.LBB103_1063:
	s_mov_b64 s[8:9], 0
.LBB103_1064:
	s_andn2_b64 vcc, exec, s[8:9]
	s_cbranch_vccnz .LBB103_1069
; %bb.1065:
	s_sext_i32_i16 s8, s18
	s_cmp_gt_i32 s8, 0
	s_mov_b64 s[8:9], -1
	s_cbranch_scc0 .LBB103_1067
; %bb.1066:
	s_mov_b64 s[8:9], 0
	s_waitcnt vmcnt(0)
	global_store_byte v[1:2], v4, off
.LBB103_1067:
	s_andn2_b64 vcc, exec, s[8:9]
	s_cbranch_vccnz .LBB103_1069
; %bb.1068:
	s_waitcnt vmcnt(0)
	global_store_byte v[1:2], v4, off
.LBB103_1069:
	s_or_b64 exec, exec, s[0:1]
	s_and_b64 s[28:29], s[2:3], exec
                                        ; implicit-def: $vgpr15
                                        ; implicit-def: $vgpr8
.LBB103_1070:
	s_or_saveexec_b64 s[30:31], s[46:47]
	s_mov_b64 s[0:1], 0
                                        ; implicit-def: $vgpr0_vgpr1
                                        ; implicit-def: $sgpr16
                                        ; implicit-def: $vgpr2
	s_xor_b64 exec, exec, s[30:31]
	s_cbranch_execz .LBB103_2057
; %bb.1071:
	v_cndmask_b32_e64 v0, 0, 1, s[44:45]
	v_cmp_ne_u32_e64 s[0:1], 1, v0
	s_andn2_b64 vcc, exec, s[44:45]
	s_cbranch_vccnz .LBB103_1077
; %bb.1072:
	s_cmp_lg_u32 s33, 0
	s_mov_b32 s36, 0
	s_cbranch_scc0 .LBB103_1078
; %bb.1073:
	s_min_u32 s37, s74, 15
	s_add_i32 s37, s37, 1
	s_cmp_eq_u32 s74, 2
	s_cbranch_scc1 .LBB103_1079
; %bb.1074:
	s_and_b32 s36, s37, 28
	s_add_u32 s2, s34, 0xc4
	s_addc_u32 s3, s35, 0
	v_mov_b32_e32 v13, 0
	s_mov_b32 s38, 0
	s_mov_b64 s[6:7], s[34:35]
	v_mov_b32_e32 v6, 0
	v_mov_b32_e32 v0, v8
.LBB103_1075:                           ; =>This Inner Loop Header: Depth=1
	s_load_dwordx8 s[16:23], s[6:7], 0x4
	s_load_dwordx4 s[24:27], s[6:7], 0x24
	s_load_dwordx8 s[8:15], s[2:3], 0x0
	s_add_u32 s6, s6, 48
	s_addc_u32 s7, s7, 0
	s_waitcnt lgkmcnt(0)
	v_mul_hi_u32 v1, s17, v0
	s_add_i32 s38, s38, 4
	s_add_u32 s2, s2, 32
	s_addc_u32 s3, s3, 0
	v_add_u32_e32 v1, v0, v1
	v_lshrrev_b32_e32 v1, s18, v1
	v_mul_lo_u32 v2, v1, s16
	s_waitcnt vmcnt(0)
	v_mul_hi_u32 v3, s20, v1
	s_cmp_lg_u32 s36, s38
	v_sub_u32_e32 v0, v0, v2
	v_add_u32_e32 v2, v1, v3
	v_mul_lo_u32 v3, v0, s8
	v_mul_lo_u32 v4, v0, s9
	v_lshrrev_b32_e32 v0, s21, v2
	v_mul_lo_u32 v2, v0, s19
	v_mul_hi_u32 v5, s23, v0
	v_sub_u32_e32 v1, v1, v2
	v_add_u32_e32 v2, v0, v5
	v_lshrrev_b32_e32 v2, s24, v2
	v_mul_hi_u32 v7, s26, v2
	v_mul_lo_u32 v9, v2, s22
	v_mul_lo_u32 v5, v1, s10
	v_mul_lo_u32 v1, v1, s11
	v_sub_u32_e32 v9, v0, v9
	v_add_u32_e32 v0, v2, v7
	v_lshrrev_b32_e32 v0, s27, v0
	v_mul_lo_u32 v7, v0, s25
	v_mul_lo_u32 v10, v9, s12
	;; [unrolled: 1-line block ×3, first 2 shown]
	v_add3_u32 v3, v3, v6, v5
	v_sub_u32_e32 v2, v2, v7
	v_mul_lo_u32 v7, v2, s14
	v_mul_lo_u32 v2, v2, s15
	v_add3_u32 v1, v4, v13, v1
	v_add3_u32 v6, v10, v3, v7
	;; [unrolled: 1-line block ×3, first 2 shown]
	s_cbranch_scc1 .LBB103_1075
; %bb.1076:
	s_and_b32 s8, s37, 3
	s_cmp_eq_u32 s8, 0
	s_cbranch_scc0 .LBB103_1080
	s_branch .LBB103_1082
.LBB103_1077:
                                        ; implicit-def: $vgpr6
                                        ; implicit-def: $vgpr13
	s_branch .LBB103_1083
.LBB103_1078:
	v_mov_b32_e32 v6, 0
	v_mov_b32_e32 v13, 0
	s_branch .LBB103_1082
.LBB103_1079:
	v_mov_b32_e32 v6, 0
	v_mov_b32_e32 v13, 0
	v_mov_b32_e32 v0, v8
	s_and_b32 s8, s37, 3
	s_cmp_eq_u32 s8, 0
	s_cbranch_scc1 .LBB103_1082
.LBB103_1080:
	s_lshl_b32 s2, s36, 3
	s_add_u32 s2, s34, s2
	s_addc_u32 s3, s35, 0
	s_add_u32 s2, s2, 0xc4
	s_addc_u32 s3, s3, 0
	s_mul_i32 s6, s36, 12
	s_add_u32 s6, s34, s6
	s_addc_u32 s7, s35, 0
.LBB103_1081:                           ; =>This Inner Loop Header: Depth=1
	s_load_dwordx2 s[10:11], s[6:7], 0x4
	s_load_dword s9, s[6:7], 0xc
	s_load_dwordx2 s[12:13], s[2:3], 0x0
	s_add_u32 s6, s6, 12
	s_addc_u32 s7, s7, 0
	s_waitcnt lgkmcnt(0)
	v_mul_hi_u32 v1, s11, v0
	s_add_u32 s2, s2, 8
	s_addc_u32 s3, s3, 0
	s_add_i32 s8, s8, -1
	v_add_u32_e32 v1, v0, v1
	v_lshrrev_b32_e32 v1, s9, v1
	v_mul_lo_u32 v2, v1, s10
	s_cmp_lg_u32 s8, 0
	v_sub_u32_e32 v0, v0, v2
	v_mad_u64_u32 v[6:7], s[10:11], v0, s12, v[6:7]
	v_mad_u64_u32 v[13:14], s[10:11], v0, s13, v[13:14]
	v_mov_b32_e32 v0, v1
	s_cbranch_scc1 .LBB103_1081
.LBB103_1082:
	s_cbranch_execnz .LBB103_1085
.LBB103_1083:
	s_load_dwordx4 s[8:11], s[34:35], 0x4
	s_load_dwordx2 s[2:3], s[34:35], 0xc4
	s_cmp_lt_u32 s33, 2
	s_waitcnt lgkmcnt(0)
	v_mul_hi_u32 v0, s9, v8
	v_add_u32_e32 v0, v8, v0
	v_lshrrev_b32_e32 v0, s10, v0
	v_mul_lo_u32 v1, v0, s8
	v_sub_u32_e32 v1, v8, v1
	v_mul_lo_u32 v6, v1, s2
	v_mul_lo_u32 v13, v1, s3
	s_cbranch_scc1 .LBB103_1085
; %bb.1084:
	s_load_dwordx4 s[8:11], s[34:35], 0x10
	s_load_dwordx2 s[2:3], s[34:35], 0xcc
	s_waitcnt lgkmcnt(0)
	v_mul_hi_u32 v1, s9, v0
	v_add_u32_e32 v1, v0, v1
	v_lshrrev_b32_e32 v1, s10, v1
	v_mul_lo_u32 v1, v1, s8
	v_sub_u32_e32 v0, v0, v1
	v_mad_u64_u32 v[6:7], s[6:7], v0, s2, v[6:7]
	v_mad_u64_u32 v[13:14], s[2:3], v0, s3, v[13:14]
.LBB103_1085:
	s_and_b64 vcc, exec, s[0:1]
	v_add_u32_e32 v0, 0x80, v8
	s_cbranch_vccnz .LBB103_1091
; %bb.1086:
	s_cmp_lg_u32 s33, 0
	s_mov_b32 s36, 0
	s_cbranch_scc0 .LBB103_1092
; %bb.1087:
	s_min_u32 s37, s74, 15
	s_add_i32 s37, s37, 1
	s_cmp_eq_u32 s74, 2
	s_cbranch_scc1 .LBB103_1093
; %bb.1088:
	s_and_b32 s36, s37, 28
	s_add_u32 s2, s34, 0xc4
	s_addc_u32 s3, s35, 0
	v_mov_b32_e32 v11, 0
	s_mov_b32 s38, 0
	s_mov_b64 s[6:7], s[34:35]
	s_waitcnt vmcnt(0)
	v_mov_b32_e32 v4, 0
	v_mov_b32_e32 v1, v0
.LBB103_1089:                           ; =>This Inner Loop Header: Depth=1
	s_load_dwordx8 s[16:23], s[6:7], 0x4
	s_load_dwordx4 s[24:27], s[6:7], 0x24
	s_load_dwordx8 s[8:15], s[2:3], 0x0
	s_add_u32 s6, s6, 48
	s_addc_u32 s7, s7, 0
	s_waitcnt lgkmcnt(0)
	v_mul_hi_u32 v2, s17, v1
	s_add_i32 s38, s38, 4
	s_add_u32 s2, s2, 32
	s_addc_u32 s3, s3, 0
	v_add_u32_e32 v2, v1, v2
	v_lshrrev_b32_e32 v2, s18, v2
	v_mul_lo_u32 v3, v2, s16
	v_mul_hi_u32 v5, s20, v2
	s_cmp_lg_u32 s36, s38
	v_sub_u32_e32 v1, v1, v3
	v_add_u32_e32 v3, v2, v5
	v_mul_lo_u32 v5, v1, s8
	v_mul_lo_u32 v7, v1, s9
	v_lshrrev_b32_e32 v1, s21, v3
	v_mul_lo_u32 v3, v1, s19
	v_mul_hi_u32 v9, s23, v1
	v_sub_u32_e32 v2, v2, v3
	v_add_u32_e32 v3, v1, v9
	v_lshrrev_b32_e32 v3, s24, v3
	v_mul_hi_u32 v10, s26, v3
	v_mul_lo_u32 v12, v3, s22
	v_mul_lo_u32 v9, v2, s10
	;; [unrolled: 1-line block ×3, first 2 shown]
	v_sub_u32_e32 v12, v1, v12
	v_add_u32_e32 v1, v3, v10
	v_lshrrev_b32_e32 v1, s27, v1
	v_mul_lo_u32 v10, v1, s25
	v_mul_lo_u32 v14, v12, s12
	v_mul_lo_u32 v12, v12, s13
	v_add3_u32 v4, v5, v4, v9
	v_sub_u32_e32 v3, v3, v10
	v_mul_lo_u32 v10, v3, s14
	v_mul_lo_u32 v3, v3, s15
	v_add3_u32 v2, v7, v11, v2
	v_add3_u32 v4, v14, v4, v10
	;; [unrolled: 1-line block ×3, first 2 shown]
	s_cbranch_scc1 .LBB103_1089
; %bb.1090:
	s_and_b32 s8, s37, 3
	s_cmp_eq_u32 s8, 0
	s_cbranch_scc0 .LBB103_1094
	s_branch .LBB103_1096
.LBB103_1091:
                                        ; implicit-def: $vgpr4
                                        ; implicit-def: $vgpr11
	s_branch .LBB103_1097
.LBB103_1092:
	s_waitcnt vmcnt(0)
	v_mov_b32_e32 v4, 0
	v_mov_b32_e32 v11, 0
	s_branch .LBB103_1096
.LBB103_1093:
	s_waitcnt vmcnt(0)
	v_mov_b32_e32 v4, 0
	v_mov_b32_e32 v11, 0
	;; [unrolled: 1-line block ×3, first 2 shown]
	s_and_b32 s8, s37, 3
	s_cmp_eq_u32 s8, 0
	s_cbranch_scc1 .LBB103_1096
.LBB103_1094:
	s_lshl_b32 s2, s36, 3
	s_add_u32 s2, s34, s2
	s_addc_u32 s3, s35, 0
	s_add_u32 s2, s2, 0xc4
	s_addc_u32 s3, s3, 0
	s_mul_i32 s6, s36, 12
	s_add_u32 s6, s34, s6
	s_addc_u32 s7, s35, 0
.LBB103_1095:                           ; =>This Inner Loop Header: Depth=1
	s_load_dwordx2 s[10:11], s[6:7], 0x4
	s_load_dword s9, s[6:7], 0xc
	s_load_dwordx2 s[12:13], s[2:3], 0x0
	s_add_u32 s6, s6, 12
	s_addc_u32 s7, s7, 0
	s_waitcnt lgkmcnt(0)
	v_mul_hi_u32 v2, s11, v1
	s_add_u32 s2, s2, 8
	s_addc_u32 s3, s3, 0
	s_add_i32 s8, s8, -1
	v_add_u32_e32 v2, v1, v2
	v_lshrrev_b32_e32 v2, s9, v2
	v_mul_lo_u32 v3, v2, s10
	s_cmp_lg_u32 s8, 0
	v_sub_u32_e32 v1, v1, v3
	v_mad_u64_u32 v[4:5], s[10:11], v1, s12, v[4:5]
	v_mad_u64_u32 v[11:12], s[10:11], v1, s13, v[11:12]
	v_mov_b32_e32 v1, v2
	s_cbranch_scc1 .LBB103_1095
.LBB103_1096:
	s_cbranch_execnz .LBB103_1099
.LBB103_1097:
	s_load_dwordx4 s[8:11], s[34:35], 0x4
	s_load_dwordx2 s[2:3], s[34:35], 0xc4
	s_cmp_lt_u32 s33, 2
	s_waitcnt lgkmcnt(0)
	v_mul_hi_u32 v1, s9, v0
	v_add_u32_e32 v1, v0, v1
	v_lshrrev_b32_e32 v1, s10, v1
	v_mul_lo_u32 v2, v1, s8
	v_sub_u32_e32 v0, v0, v2
	s_waitcnt vmcnt(0)
	v_mul_lo_u32 v4, v0, s2
	v_mul_lo_u32 v11, v0, s3
	s_cbranch_scc1 .LBB103_1099
; %bb.1098:
	s_load_dwordx4 s[8:11], s[34:35], 0x10
	s_load_dwordx2 s[2:3], s[34:35], 0xcc
	s_waitcnt lgkmcnt(0)
	v_mul_hi_u32 v0, s9, v1
	v_add_u32_e32 v0, v1, v0
	v_lshrrev_b32_e32 v0, s10, v0
	v_mul_lo_u32 v0, v0, s8
	v_sub_u32_e32 v0, v1, v0
	v_mad_u64_u32 v[4:5], s[6:7], v0, s2, v[4:5]
	v_mad_u64_u32 v[11:12], s[2:3], v0, s3, v[11:12]
.LBB103_1099:
	s_and_b64 vcc, exec, s[0:1]
	v_add_u32_e32 v0, 0x100, v8
	s_cbranch_vccnz .LBB103_1105
; %bb.1100:
	s_cmp_lg_u32 s33, 0
	s_mov_b32 s36, 0
	s_cbranch_scc0 .LBB103_1106
; %bb.1101:
	s_min_u32 s37, s74, 15
	s_add_i32 s37, s37, 1
	s_cmp_eq_u32 s74, 2
	s_cbranch_scc1 .LBB103_1107
; %bb.1102:
	s_and_b32 s36, s37, 28
	s_add_u32 s2, s34, 0xc4
	s_addc_u32 s3, s35, 0
	v_mov_b32_e32 v9, 0
	s_mov_b32 s38, 0
	s_mov_b64 s[6:7], s[34:35]
	v_mov_b32_e32 v2, 0
	v_mov_b32_e32 v1, v0
.LBB103_1103:                           ; =>This Inner Loop Header: Depth=1
	s_load_dwordx8 s[16:23], s[6:7], 0x4
	s_load_dwordx4 s[24:27], s[6:7], 0x24
	s_load_dwordx8 s[8:15], s[2:3], 0x0
	s_add_u32 s6, s6, 48
	s_addc_u32 s7, s7, 0
	s_waitcnt vmcnt(0) lgkmcnt(0)
	v_mul_hi_u32 v3, s17, v1
	s_add_i32 s38, s38, 4
	s_add_u32 s2, s2, 32
	s_addc_u32 s3, s3, 0
	v_add_u32_e32 v3, v1, v3
	v_lshrrev_b32_e32 v3, s18, v3
	v_mul_lo_u32 v5, v3, s16
	v_mul_hi_u32 v7, s20, v3
	s_cmp_lg_u32 s36, s38
	v_sub_u32_e32 v1, v1, v5
	v_add_u32_e32 v5, v3, v7
	v_mul_lo_u32 v7, v1, s8
	v_mul_lo_u32 v8, v1, s9
	v_lshrrev_b32_e32 v1, s21, v5
	v_mul_lo_u32 v5, v1, s19
	v_mul_hi_u32 v10, s23, v1
	v_sub_u32_e32 v3, v3, v5
	v_add_u32_e32 v5, v1, v10
	v_lshrrev_b32_e32 v5, s24, v5
	v_mul_hi_u32 v12, s26, v5
	v_mul_lo_u32 v14, v5, s22
	v_mul_lo_u32 v10, v3, s10
	;; [unrolled: 1-line block ×3, first 2 shown]
	v_sub_u32_e32 v14, v1, v14
	v_add_u32_e32 v1, v5, v12
	v_lshrrev_b32_e32 v1, s27, v1
	v_mul_lo_u32 v12, v1, s25
	v_mul_lo_u32 v16, v14, s12
	;; [unrolled: 1-line block ×3, first 2 shown]
	v_add3_u32 v2, v7, v2, v10
	v_sub_u32_e32 v5, v5, v12
	v_mul_lo_u32 v12, v5, s14
	v_mul_lo_u32 v5, v5, s15
	v_add3_u32 v3, v8, v9, v3
	v_add3_u32 v2, v16, v2, v12
	;; [unrolled: 1-line block ×3, first 2 shown]
	s_cbranch_scc1 .LBB103_1103
; %bb.1104:
	s_and_b32 s8, s37, 3
	s_cmp_eq_u32 s8, 0
	s_cbranch_scc0 .LBB103_1108
	s_branch .LBB103_1110
.LBB103_1105:
                                        ; implicit-def: $vgpr2
                                        ; implicit-def: $vgpr9
	s_branch .LBB103_1111
.LBB103_1106:
	v_mov_b32_e32 v2, 0
	v_mov_b32_e32 v9, 0
	s_branch .LBB103_1110
.LBB103_1107:
	v_mov_b32_e32 v2, 0
	v_mov_b32_e32 v9, 0
	;; [unrolled: 1-line block ×3, first 2 shown]
	s_and_b32 s8, s37, 3
	s_cmp_eq_u32 s8, 0
	s_cbranch_scc1 .LBB103_1110
.LBB103_1108:
	s_lshl_b32 s2, s36, 3
	s_add_u32 s2, s34, s2
	s_addc_u32 s3, s35, 0
	s_add_u32 s2, s2, 0xc4
	s_addc_u32 s3, s3, 0
	s_mul_i32 s6, s36, 12
	s_add_u32 s6, s34, s6
	s_addc_u32 s7, s35, 0
.LBB103_1109:                           ; =>This Inner Loop Header: Depth=1
	s_load_dwordx2 s[10:11], s[6:7], 0x4
	s_load_dword s9, s[6:7], 0xc
	s_load_dwordx2 s[12:13], s[2:3], 0x0
	s_add_u32 s6, s6, 12
	s_addc_u32 s7, s7, 0
	s_waitcnt vmcnt(0) lgkmcnt(0)
	v_mul_hi_u32 v3, s11, v1
	s_add_u32 s2, s2, 8
	s_addc_u32 s3, s3, 0
	s_add_i32 s8, s8, -1
	v_add_u32_e32 v3, v1, v3
	v_lshrrev_b32_e32 v5, s9, v3
	v_mul_lo_u32 v3, v5, s10
	s_cmp_lg_u32 s8, 0
	v_sub_u32_e32 v1, v1, v3
	v_mad_u64_u32 v[2:3], s[10:11], v1, s12, v[2:3]
	v_mad_u64_u32 v[9:10], s[10:11], v1, s13, v[9:10]
	v_mov_b32_e32 v1, v5
	s_cbranch_scc1 .LBB103_1109
.LBB103_1110:
	s_cbranch_execnz .LBB103_1113
.LBB103_1111:
	s_load_dwordx4 s[8:11], s[34:35], 0x4
	s_load_dwordx2 s[2:3], s[34:35], 0xc4
	s_cmp_lt_u32 s33, 2
	s_waitcnt lgkmcnt(0)
	v_mul_hi_u32 v1, s9, v0
	v_add_u32_e32 v1, v0, v1
	v_lshrrev_b32_e32 v1, s10, v1
	v_mul_lo_u32 v2, v1, s8
	v_sub_u32_e32 v0, v0, v2
	v_mul_lo_u32 v2, v0, s2
	v_mul_lo_u32 v9, v0, s3
	s_cbranch_scc1 .LBB103_1113
; %bb.1112:
	s_load_dwordx4 s[8:11], s[34:35], 0x10
	s_load_dwordx2 s[2:3], s[34:35], 0xcc
	s_waitcnt lgkmcnt(0)
	v_mul_hi_u32 v0, s9, v1
	v_add_u32_e32 v0, v1, v0
	v_lshrrev_b32_e32 v0, s10, v0
	v_mul_lo_u32 v0, v0, s8
	v_sub_u32_e32 v0, v1, v0
	s_waitcnt vmcnt(0)
	v_mad_u64_u32 v[2:3], s[6:7], v0, s2, v[2:3]
	v_mad_u64_u32 v[9:10], s[2:3], v0, s3, v[9:10]
.LBB103_1113:
	s_and_b64 vcc, exec, s[0:1]
	s_cbranch_vccnz .LBB103_1119
; %bb.1114:
	s_cmp_lg_u32 s33, 0
	s_mov_b32 s26, 0
	s_cbranch_scc0 .LBB103_1120
; %bb.1115:
	s_min_u32 s27, s74, 15
	s_add_i32 s27, s27, 1
	s_cmp_eq_u32 s74, 2
	s_cbranch_scc1 .LBB103_1121
; %bb.1116:
	s_and_b32 s26, s27, 28
	s_add_u32 s6, s34, 0xc4
	s_addc_u32 s7, s35, 0
	v_mov_b32_e32 v7, 0
	s_mov_b32 s36, 0
	s_mov_b64 s[24:25], s[34:35]
	v_mov_b32_e32 v0, 0
	v_mov_b32_e32 v1, v15
.LBB103_1117:                           ; =>This Inner Loop Header: Depth=1
	s_load_dwordx8 s[16:23], s[24:25], 0x4
	s_load_dwordx4 s[0:3], s[24:25], 0x24
	s_load_dwordx8 s[8:15], s[6:7], 0x0
	s_add_u32 s24, s24, 48
	s_addc_u32 s25, s25, 0
	s_waitcnt vmcnt(0) lgkmcnt(0)
	v_mul_hi_u32 v3, s17, v1
	s_add_i32 s36, s36, 4
	s_add_u32 s6, s6, 32
	s_addc_u32 s7, s7, 0
	v_add_u32_e32 v3, v1, v3
	v_lshrrev_b32_e32 v3, s18, v3
	v_mul_lo_u32 v5, v3, s16
	v_mul_hi_u32 v8, s20, v3
	s_cmp_lg_u32 s26, s36
	v_sub_u32_e32 v1, v1, v5
	v_add_u32_e32 v5, v3, v8
	v_mul_lo_u32 v8, v1, s8
	v_mul_lo_u32 v10, v1, s9
	v_lshrrev_b32_e32 v1, s21, v5
	v_mul_lo_u32 v5, v1, s19
	v_mul_hi_u32 v12, s23, v1
	v_sub_u32_e32 v3, v3, v5
	v_add_u32_e32 v5, v1, v12
	v_lshrrev_b32_e32 v5, s0, v5
	v_mul_hi_u32 v14, s2, v5
	v_mul_lo_u32 v16, v5, s22
	v_mul_lo_u32 v12, v3, s10
	;; [unrolled: 1-line block ×3, first 2 shown]
	v_sub_u32_e32 v16, v1, v16
	v_add_u32_e32 v1, v5, v14
	v_lshrrev_b32_e32 v1, s3, v1
	v_mul_lo_u32 v14, v1, s1
	v_mul_lo_u32 v17, v16, s12
	;; [unrolled: 1-line block ×3, first 2 shown]
	v_add3_u32 v0, v8, v0, v12
	v_sub_u32_e32 v5, v5, v14
	v_mul_lo_u32 v14, v5, s14
	v_mul_lo_u32 v5, v5, s15
	v_add3_u32 v3, v10, v7, v3
	v_add3_u32 v0, v17, v0, v14
	;; [unrolled: 1-line block ×3, first 2 shown]
	s_cbranch_scc1 .LBB103_1117
; %bb.1118:
	s_and_b32 s6, s27, 3
	s_cmp_eq_u32 s6, 0
	s_cbranch_scc0 .LBB103_1122
	s_branch .LBB103_1124
.LBB103_1119:
                                        ; implicit-def: $vgpr0
                                        ; implicit-def: $vgpr7
	s_branch .LBB103_1125
.LBB103_1120:
	v_mov_b32_e32 v0, 0
	v_mov_b32_e32 v7, 0
	s_branch .LBB103_1124
.LBB103_1121:
	v_mov_b32_e32 v0, 0
	v_mov_b32_e32 v7, 0
	;; [unrolled: 1-line block ×3, first 2 shown]
	s_and_b32 s6, s27, 3
	s_cmp_eq_u32 s6, 0
	s_cbranch_scc1 .LBB103_1124
.LBB103_1122:
	s_lshl_b32 s0, s26, 3
	s_add_u32 s0, s34, s0
	s_addc_u32 s1, s35, 0
	s_add_u32 s0, s0, 0xc4
	s_addc_u32 s1, s1, 0
	s_mul_i32 s2, s26, 12
	s_add_u32 s2, s34, s2
	s_addc_u32 s3, s35, 0
.LBB103_1123:                           ; =>This Inner Loop Header: Depth=1
	s_load_dwordx2 s[8:9], s[2:3], 0x4
	s_load_dword s7, s[2:3], 0xc
	s_load_dwordx2 s[10:11], s[0:1], 0x0
	s_add_u32 s2, s2, 12
	s_addc_u32 s3, s3, 0
	s_waitcnt vmcnt(0) lgkmcnt(0)
	v_mul_hi_u32 v3, s9, v1
	s_add_u32 s0, s0, 8
	s_addc_u32 s1, s1, 0
	s_add_i32 s6, s6, -1
	v_add_u32_e32 v3, v1, v3
	v_lshrrev_b32_e32 v3, s7, v3
	v_mul_lo_u32 v5, v3, s8
	s_cmp_lg_u32 s6, 0
	v_sub_u32_e32 v5, v1, v5
	v_mad_u64_u32 v[0:1], s[8:9], v5, s10, v[0:1]
	v_mad_u64_u32 v[7:8], s[8:9], v5, s11, v[7:8]
	v_mov_b32_e32 v1, v3
	s_cbranch_scc1 .LBB103_1123
.LBB103_1124:
	s_cbranch_execnz .LBB103_1127
.LBB103_1125:
	s_load_dwordx4 s[0:3], s[34:35], 0x4
	s_load_dwordx2 s[6:7], s[34:35], 0xc4
	s_cmp_lt_u32 s33, 2
	s_waitcnt lgkmcnt(0)
	v_mul_hi_u32 v0, s1, v15
	v_add_u32_e32 v0, v15, v0
	v_lshrrev_b32_e32 v1, s2, v0
	v_mul_lo_u32 v0, v1, s0
	s_waitcnt vmcnt(0)
	v_sub_u32_e32 v3, v15, v0
	v_mul_lo_u32 v0, v3, s6
	v_mul_lo_u32 v7, v3, s7
	s_cbranch_scc1 .LBB103_1127
; %bb.1126:
	s_load_dwordx4 s[0:3], s[34:35], 0x10
	s_load_dwordx2 s[6:7], s[34:35], 0xcc
	s_waitcnt lgkmcnt(0)
	v_mul_hi_u32 v3, s1, v1
	v_add_u32_e32 v3, v1, v3
	v_lshrrev_b32_e32 v3, s2, v3
	v_mul_lo_u32 v3, v3, s0
	v_sub_u32_e32 v3, v1, v3
	v_mad_u64_u32 v[0:1], s[0:1], v3, s6, v[0:1]
	v_mad_u64_u32 v[7:8], s[0:1], v3, s7, v[7:8]
.LBB103_1127:
	s_load_dword s16, s[4:5], 0x164
	s_load_dwordx4 s[8:11], s[34:35], 0x148
	s_waitcnt lgkmcnt(0)
	s_lshr_b32 s12, s16, 24
	v_mov_b32_e32 v1, s11
	v_add_co_u32_e32 v15, vcc, s10, v13
	s_cmp_lt_i32 s12, 11
	v_addc_co_u32_e32 v16, vcc, 0, v1, vcc
	s_cbranch_scc1 .LBB103_1134
; %bb.1128:
	s_and_b32 s13, 0xffff, s12
	s_cmp_gt_i32 s13, 25
	s_mov_b64 s[2:3], 0
	s_cbranch_scc0 .LBB103_1136
; %bb.1129:
	s_cmp_gt_i32 s13, 28
	s_cbranch_scc0 .LBB103_1137
; %bb.1130:
	s_cmp_gt_i32 s13, 43
	;; [unrolled: 3-line block ×3, first 2 shown]
	s_cbranch_scc0 .LBB103_1139
; %bb.1132:
	s_cmp_eq_u32 s13, 46
	s_mov_b64 s[4:5], 0
	s_cbranch_scc0 .LBB103_1142
; %bb.1133:
	global_load_dword v1, v[15:16], off
	s_mov_b64 s[0:1], 0
	s_mov_b64 s[6:7], -1
	s_waitcnt vmcnt(0)
	v_lshlrev_b32_e32 v1, 16, v1
	v_cvt_i32_f32_e32 v13, v1
	s_branch .LBB103_1143
.LBB103_1134:
	s_mov_b64 s[6:7], 0
                                        ; implicit-def: $vgpr13
	s_mov_b64 s[4:5], s[28:29]
	s_cbranch_execnz .LBB103_1201
.LBB103_1135:
	s_andn2_b64 vcc, exec, s[6:7]
	s_cbranch_vccz .LBB103_1246
	s_branch .LBB103_2055
.LBB103_1136:
	s_mov_b64 s[6:7], 0
	s_mov_b64 s[0:1], 0
                                        ; implicit-def: $vgpr13
	s_cbranch_execnz .LBB103_1168
	s_branch .LBB103_1197
.LBB103_1137:
	s_mov_b64 s[6:7], 0
	s_mov_b64 s[0:1], 0
                                        ; implicit-def: $vgpr13
	s_cbranch_execz .LBB103_1167
	s_branch .LBB103_1152
.LBB103_1138:
	s_mov_b64 s[6:7], 0
	s_mov_b64 s[0:1], 0
                                        ; implicit-def: $vgpr13
	s_cbranch_execnz .LBB103_1148
	s_branch .LBB103_1151
.LBB103_1139:
	s_mov_b64 s[4:5], -1
	s_mov_b64 s[6:7], 0
	s_mov_b64 s[0:1], 0
                                        ; implicit-def: $vgpr13
	s_branch .LBB103_1143
.LBB103_1140:
	s_andn2_saveexec_b64 s[14:15], s[14:15]
	s_cbranch_execz .LBB103_983
.LBB103_1141:
	s_mov_b32 s16, 0x46000000
	v_add_f32_e64 v3, |v0|, s16
	v_and_b32_e32 v3, 0xff, v3
	v_cmp_ne_u32_e32 vcc, 0, v3
	s_andn2_b64 s[12:13], s[12:13], exec
	s_and_b64 s[16:17], vcc, exec
	s_or_b64 s[12:13], s[12:13], s[16:17]
	s_or_b64 exec, exec, s[14:15]
	v_mov_b32_e32 v5, 0
	s_and_saveexec_b64 s[14:15], s[12:13]
	s_cbranch_execnz .LBB103_984
	s_branch .LBB103_985
.LBB103_1142:
	s_mov_b64 s[0:1], -1
                                        ; implicit-def: $vgpr13
	s_mov_b64 s[6:7], 0
.LBB103_1143:
	s_and_b64 vcc, exec, s[4:5]
	s_cbranch_vccz .LBB103_1146
; %bb.1144:
	s_cmp_eq_u32 s13, 44
	s_cbranch_scc0 .LBB103_1147
; %bb.1145:
	global_load_ubyte v1, v[15:16], off
	s_mov_b64 s[0:1], 0
	s_mov_b64 s[6:7], -1
	s_waitcnt vmcnt(0)
	v_lshlrev_b32_e32 v3, 23, v1
	v_cvt_i32_f32_e32 v3, v3
	v_cmp_ne_u32_e32 vcc, 0, v1
	v_cndmask_b32_e32 v13, 0, v3, vcc
.LBB103_1146:
	s_branch .LBB103_1151
.LBB103_1147:
	s_mov_b64 s[0:1], -1
                                        ; implicit-def: $vgpr13
	s_branch .LBB103_1151
.LBB103_1148:
	s_cmp_eq_u32 s13, 29
	s_cbranch_scc0 .LBB103_1150
; %bb.1149:
	global_load_dwordx2 v[13:14], v[15:16], off
	s_mov_b64 s[0:1], 0
	s_mov_b64 s[6:7], -1
	s_branch .LBB103_1151
.LBB103_1150:
	s_mov_b64 s[0:1], -1
                                        ; implicit-def: $vgpr13
.LBB103_1151:
	s_branch .LBB103_1167
.LBB103_1152:
	s_cmp_lt_i32 s13, 27
	s_cbranch_scc1 .LBB103_1155
; %bb.1153:
	s_cmp_gt_i32 s13, 27
	s_cbranch_scc0 .LBB103_1156
; %bb.1154:
	global_load_dword v13, v[15:16], off
	s_mov_b64 s[4:5], 0
	s_branch .LBB103_1157
.LBB103_1155:
	s_mov_b64 s[4:5], -1
                                        ; implicit-def: $vgpr13
	s_branch .LBB103_1160
.LBB103_1156:
	s_mov_b64 s[4:5], -1
                                        ; implicit-def: $vgpr13
.LBB103_1157:
	s_andn2_b64 vcc, exec, s[4:5]
	s_cbranch_vccnz .LBB103_1159
; %bb.1158:
	global_load_ushort v13, v[15:16], off
.LBB103_1159:
	s_mov_b64 s[4:5], 0
.LBB103_1160:
	s_andn2_b64 vcc, exec, s[4:5]
	s_cbranch_vccnz .LBB103_1166
; %bb.1161:
	global_load_ubyte v1, v[15:16], off
	s_movk_i32 s4, 0x7f
	s_mov_b64 s[6:7], 0
	s_waitcnt vmcnt(0)
	v_cmp_lt_i16_e32 vcc, s4, v1
	s_and_saveexec_b64 s[4:5], vcc
	s_xor_b64 s[4:5], exec, s[4:5]
	s_cbranch_execz .LBB103_1177
; %bb.1162:
	s_movk_i32 s6, 0x80
	v_cmp_ne_u16_e32 vcc, s6, v1
	s_and_b64 s[6:7], vcc, exec
	s_andn2_saveexec_b64 s[4:5], s[4:5]
	s_cbranch_execnz .LBB103_1178
.LBB103_1163:
	s_or_b64 exec, exec, s[4:5]
	v_mov_b32_e32 v13, 0
	s_and_saveexec_b64 s[4:5], s[6:7]
	s_cbranch_execz .LBB103_1165
.LBB103_1164:
	v_lshlrev_b32_e32 v3, 24, v1
	v_and_b32_e32 v1, 0xffff, v1
	v_and_b32_e32 v5, 7, v1
	v_ffbh_u32_e32 v10, v5
	v_min_u32_e32 v10, 32, v10
	v_subrev_u32_e32 v12, 28, v10
	v_bfe_u32 v8, v1, 3, 4
	v_lshlrev_b32_e32 v1, v12, v1
	v_sub_u32_e32 v10, 29, v10
	v_and_b32_e32 v1, 7, v1
	v_cmp_eq_u32_e32 vcc, 0, v8
	v_cndmask_b32_e32 v8, v8, v10, vcc
	v_cndmask_b32_e32 v1, v5, v1, vcc
	v_mov_b32_e32 v5, 0x3b800000
	v_lshlrev_b32_e32 v1, 20, v1
	v_and_b32_e32 v3, 0x80000000, v3
	v_lshl_add_u32 v5, v8, 23, v5
	v_or3_b32 v1, v3, v5, v1
	v_cvt_i32_f32_e32 v13, v1
.LBB103_1165:
	s_or_b64 exec, exec, s[4:5]
.LBB103_1166:
	s_mov_b64 s[6:7], -1
.LBB103_1167:
	s_branch .LBB103_1197
.LBB103_1168:
	s_cmp_gt_i32 s13, 22
	s_cbranch_scc0 .LBB103_1176
; %bb.1169:
	s_cmp_lt_i32 s13, 24
	s_cbranch_scc1 .LBB103_1179
; %bb.1170:
	s_cmp_gt_i32 s13, 24
	s_cbranch_scc0 .LBB103_1180
; %bb.1171:
	global_load_ubyte v1, v[15:16], off
	s_movk_i32 s2, 0x7f
	s_mov_b64 s[4:5], 0
	s_waitcnt vmcnt(0)
	v_cmp_lt_i16_e32 vcc, s2, v1
	s_and_saveexec_b64 s[2:3], vcc
	s_xor_b64 s[2:3], exec, s[2:3]
	s_cbranch_execz .LBB103_1191
; %bb.1172:
	s_movk_i32 s4, 0x80
	v_cmp_ne_u16_e32 vcc, s4, v1
	s_and_b64 s[4:5], vcc, exec
	s_andn2_saveexec_b64 s[2:3], s[2:3]
	s_cbranch_execnz .LBB103_1192
.LBB103_1173:
	s_or_b64 exec, exec, s[2:3]
	v_mov_b32_e32 v13, 0
	s_and_saveexec_b64 s[2:3], s[4:5]
	s_cbranch_execz .LBB103_1175
.LBB103_1174:
	v_lshlrev_b32_e32 v3, 24, v1
	v_and_b32_e32 v1, 0xffff, v1
	v_and_b32_e32 v5, 3, v1
	v_ffbh_u32_e32 v10, v5
	v_min_u32_e32 v10, 32, v10
	v_subrev_u32_e32 v12, 29, v10
	v_bfe_u32 v8, v1, 2, 5
	v_lshlrev_b32_e32 v1, v12, v1
	v_sub_u32_e32 v10, 30, v10
	v_and_b32_e32 v1, 3, v1
	v_cmp_eq_u32_e32 vcc, 0, v8
	v_cndmask_b32_e32 v8, v8, v10, vcc
	v_cndmask_b32_e32 v1, v5, v1, vcc
	v_mov_b32_e32 v5, 0x37800000
	v_lshlrev_b32_e32 v1, 21, v1
	v_and_b32_e32 v3, 0x80000000, v3
	v_lshl_add_u32 v5, v8, 23, v5
	v_or3_b32 v1, v3, v5, v1
	v_cvt_i32_f32_e32 v13, v1
.LBB103_1175:
	s_or_b64 exec, exec, s[2:3]
	s_mov_b64 s[2:3], 0
	s_branch .LBB103_1181
.LBB103_1176:
                                        ; implicit-def: $vgpr13
	s_mov_b64 s[2:3], 0
	s_branch .LBB103_1187
.LBB103_1177:
	s_andn2_saveexec_b64 s[4:5], s[4:5]
	s_cbranch_execz .LBB103_1163
.LBB103_1178:
	v_cmp_ne_u16_e32 vcc, 0, v1
	s_andn2_b64 s[6:7], s[6:7], exec
	s_and_b64 s[14:15], vcc, exec
	s_or_b64 s[6:7], s[6:7], s[14:15]
	s_or_b64 exec, exec, s[4:5]
	v_mov_b32_e32 v13, 0
	s_and_saveexec_b64 s[4:5], s[6:7]
	s_cbranch_execnz .LBB103_1164
	s_branch .LBB103_1165
.LBB103_1179:
	s_mov_b64 s[2:3], -1
                                        ; implicit-def: $vgpr13
	s_branch .LBB103_1184
.LBB103_1180:
	s_mov_b64 s[2:3], -1
                                        ; implicit-def: $vgpr13
.LBB103_1181:
	s_and_b64 vcc, exec, s[2:3]
	s_cbranch_vccz .LBB103_1183
; %bb.1182:
	global_load_ubyte v1, v[15:16], off
	s_mov_b32 s2, 0x7f800000
	s_waitcnt vmcnt(0)
	v_lshlrev_b32_e32 v1, 24, v1
	v_and_b32_e32 v3, 0x7f000000, v1
	v_ffbh_u32_e32 v5, v3
	v_min_u32_e32 v5, 32, v5
	v_sub_u32_e64 v5, v5, 4 clamp
	v_lshlrev_b32_e32 v10, v5, v3
	v_lshlrev_b32_e32 v5, 23, v5
	v_lshrrev_b32_e32 v10, 4, v10
	v_add_u32_e32 v8, 0x1000000, v3
	v_sub_u32_e32 v5, v10, v5
	v_ashrrev_i32_e32 v8, 8, v8
	v_add_u32_e32 v5, 0x3c000000, v5
	v_and_or_b32 v5, v8, s2, v5
	v_cmp_ne_u32_e32 vcc, 0, v3
	v_cndmask_b32_e32 v3, 0, v5, vcc
	s_brev_b32 s2, 1
	v_and_or_b32 v1, v1, s2, v3
	v_cvt_i32_f32_e32 v13, v1
.LBB103_1183:
	s_mov_b64 s[2:3], 0
.LBB103_1184:
	s_andn2_b64 vcc, exec, s[2:3]
	s_cbranch_vccnz .LBB103_1186
; %bb.1185:
	global_load_ubyte v1, v[15:16], off
	s_movk_i32 s2, 0x7f00
	s_brev_b32 s3, 16
	s_waitcnt vmcnt(0)
	v_lshlrev_b16_e32 v3, 8, v1
	v_lshlrev_b32_e32 v1, 25, v1
	v_lshrrev_b32_e32 v5, 4, v1
	v_and_or_b32 v8, v3, s2, 0.5
	v_or_b32_e32 v5, 0x70000000, v5
	v_add_f32_e32 v8, -0.5, v8
	v_mul_f32_e32 v5, 0x7800000, v5
	v_cmp_gt_u32_e32 vcc, s3, v1
	v_bfe_i32 v3, v3, 0, 16
	v_cndmask_b32_e32 v1, v5, v8, vcc
	s_brev_b32 s2, 1
	v_and_or_b32 v1, v3, s2, v1
	v_cvt_i32_f32_e32 v13, v1
.LBB103_1186:
	s_mov_b64 s[6:7], -1
	s_mov_b64 s[2:3], 0
	s_cbranch_execnz .LBB103_1197
.LBB103_1187:
	s_cmp_gt_i32 s13, 14
	s_cbranch_scc0 .LBB103_1190
; %bb.1188:
	s_cmp_eq_u32 s13, 15
	s_cbranch_scc0 .LBB103_1193
; %bb.1189:
	global_load_ushort v1, v[15:16], off
	s_mov_b64 s[0:1], 0
	s_mov_b64 s[6:7], -1
	s_waitcnt vmcnt(0)
	v_lshlrev_b32_e32 v1, 16, v1
	v_cvt_i32_f32_e32 v13, v1
	s_branch .LBB103_1194
.LBB103_1190:
	s_mov_b64 s[4:5], -1
                                        ; implicit-def: $vgpr13
	s_branch .LBB103_1195
.LBB103_1191:
	s_andn2_saveexec_b64 s[2:3], s[2:3]
	s_cbranch_execz .LBB103_1173
.LBB103_1192:
	v_cmp_ne_u16_e32 vcc, 0, v1
	s_andn2_b64 s[4:5], s[4:5], exec
	s_and_b64 s[6:7], vcc, exec
	s_or_b64 s[4:5], s[4:5], s[6:7]
	s_or_b64 exec, exec, s[2:3]
	v_mov_b32_e32 v13, 0
	s_and_saveexec_b64 s[2:3], s[4:5]
	s_cbranch_execnz .LBB103_1174
	s_branch .LBB103_1175
.LBB103_1193:
	s_mov_b64 s[0:1], -1
                                        ; implicit-def: $vgpr13
.LBB103_1194:
	s_mov_b64 s[4:5], 0
.LBB103_1195:
	s_and_b64 vcc, exec, s[4:5]
	s_cbranch_vccz .LBB103_1197
; %bb.1196:
	s_cmp_lg_u32 s13, 11
	s_mov_b64 s[2:3], -1
	s_cselect_b64 s[0:1], -1, 0
.LBB103_1197:
	s_and_b64 vcc, exec, s[0:1]
	s_mov_b64 s[4:5], s[28:29]
	s_cbranch_vccnz .LBB103_1258
; %bb.1198:
	s_andn2_b64 vcc, exec, s[2:3]
	s_cbranch_vccnz .LBB103_1200
.LBB103_1199:
	global_load_ubyte v1, v[15:16], off
	s_mov_b64 s[6:7], -1
	s_waitcnt vmcnt(0)
	v_cmp_ne_u16_e32 vcc, 0, v1
	v_cndmask_b32_e64 v13, 0, 1, vcc
.LBB103_1200:
	s_branch .LBB103_1135
.LBB103_1201:
	s_and_b32 s2, 0xffff, s12
	s_cmp_lt_i32 s2, 5
	s_cbranch_scc1 .LBB103_1206
; %bb.1202:
	s_cmp_lt_i32 s2, 8
	s_cbranch_scc1 .LBB103_1207
; %bb.1203:
	;; [unrolled: 3-line block ×3, first 2 shown]
	s_cmp_gt_i32 s2, 9
	s_cbranch_scc0 .LBB103_1209
; %bb.1205:
	global_load_dwordx2 v[12:13], v[15:16], off
	s_mov_b64 s[0:1], 0
	s_waitcnt vmcnt(0)
	v_cvt_i32_f64_e32 v13, v[12:13]
	s_branch .LBB103_1210
.LBB103_1206:
                                        ; implicit-def: $vgpr13
	s_branch .LBB103_1227
.LBB103_1207:
                                        ; implicit-def: $vgpr13
	s_branch .LBB103_1216
.LBB103_1208:
	s_mov_b64 s[0:1], -1
                                        ; implicit-def: $vgpr13
	s_branch .LBB103_1213
.LBB103_1209:
	s_mov_b64 s[0:1], -1
                                        ; implicit-def: $vgpr13
.LBB103_1210:
	s_andn2_b64 vcc, exec, s[0:1]
	s_cbranch_vccnz .LBB103_1212
; %bb.1211:
	global_load_dword v1, v[15:16], off
	s_waitcnt vmcnt(0)
	v_cvt_i32_f32_e32 v13, v1
.LBB103_1212:
	s_mov_b64 s[0:1], 0
.LBB103_1213:
	s_andn2_b64 vcc, exec, s[0:1]
	s_cbranch_vccnz .LBB103_1215
; %bb.1214:
	global_load_dword v1, v[15:16], off
	s_waitcnt vmcnt(0)
	v_cvt_i16_f16_e32 v13, v1
.LBB103_1215:
	s_cbranch_execnz .LBB103_1226
.LBB103_1216:
	s_cmp_lt_i32 s2, 6
	s_cbranch_scc1 .LBB103_1219
; %bb.1217:
	s_cmp_gt_i32 s2, 6
	s_cbranch_scc0 .LBB103_1220
; %bb.1218:
	global_load_dwordx2 v[12:13], v[15:16], off
	s_mov_b64 s[0:1], 0
	s_waitcnt vmcnt(0)
	v_cvt_i32_f64_e32 v13, v[12:13]
	s_branch .LBB103_1221
.LBB103_1219:
	s_mov_b64 s[0:1], -1
                                        ; implicit-def: $vgpr13
	s_branch .LBB103_1224
.LBB103_1220:
	s_mov_b64 s[0:1], -1
                                        ; implicit-def: $vgpr13
.LBB103_1221:
	s_andn2_b64 vcc, exec, s[0:1]
	s_cbranch_vccnz .LBB103_1223
; %bb.1222:
	global_load_dword v1, v[15:16], off
	s_waitcnt vmcnt(0)
	v_cvt_i32_f32_e32 v13, v1
.LBB103_1223:
	s_mov_b64 s[0:1], 0
.LBB103_1224:
	s_andn2_b64 vcc, exec, s[0:1]
	s_cbranch_vccnz .LBB103_1226
; %bb.1225:
	global_load_ushort v1, v[15:16], off
	s_waitcnt vmcnt(0)
	v_cvt_i16_f16_e32 v13, v1
.LBB103_1226:
	s_cbranch_execnz .LBB103_1245
.LBB103_1227:
	s_cmp_lt_i32 s2, 2
	s_cbranch_scc1 .LBB103_1231
; %bb.1228:
	s_cmp_lt_i32 s2, 3
	s_cbranch_scc1 .LBB103_1232
; %bb.1229:
	s_cmp_gt_i32 s2, 3
	s_cbranch_scc0 .LBB103_1233
; %bb.1230:
	global_load_dwordx2 v[13:14], v[15:16], off
	s_mov_b64 s[0:1], 0
	s_branch .LBB103_1234
.LBB103_1231:
                                        ; implicit-def: $vgpr13
	s_branch .LBB103_1240
.LBB103_1232:
	s_mov_b64 s[0:1], -1
                                        ; implicit-def: $vgpr13
	s_branch .LBB103_1237
.LBB103_1233:
	s_mov_b64 s[0:1], -1
                                        ; implicit-def: $vgpr13
.LBB103_1234:
	s_andn2_b64 vcc, exec, s[0:1]
	s_cbranch_vccnz .LBB103_1236
; %bb.1235:
	global_load_dword v13, v[15:16], off
.LBB103_1236:
	s_mov_b64 s[0:1], 0
.LBB103_1237:
	s_andn2_b64 vcc, exec, s[0:1]
	s_cbranch_vccnz .LBB103_1239
; %bb.1238:
	global_load_ushort v13, v[15:16], off
.LBB103_1239:
	s_cbranch_execnz .LBB103_1245
.LBB103_1240:
	s_cmp_gt_i32 s2, 0
	s_cbranch_scc0 .LBB103_1242
; %bb.1241:
	global_load_sbyte v13, v[15:16], off
	s_mov_b64 s[0:1], 0
	s_branch .LBB103_1243
.LBB103_1242:
	s_mov_b64 s[0:1], -1
                                        ; implicit-def: $vgpr13
.LBB103_1243:
	s_andn2_b64 vcc, exec, s[0:1]
	s_cbranch_vccnz .LBB103_1245
; %bb.1244:
	global_load_ubyte v13, v[15:16], off
.LBB103_1245:
.LBB103_1246:
	v_mov_b32_e32 v1, s11
	s_and_b32 s14, 0xffff, s12
	s_waitcnt vmcnt(0)
	v_add_co_u32_e32 v14, vcc, s10, v11
	s_cmp_lt_i32 s14, 11
	v_addc_co_u32_e32 v15, vcc, 0, v1, vcc
	s_cbranch_scc1 .LBB103_1253
; %bb.1247:
	s_cmp_gt_i32 s14, 25
	s_mov_b64 s[2:3], 0
	s_cbranch_scc0 .LBB103_1255
; %bb.1248:
	s_cmp_gt_i32 s14, 28
	s_cbranch_scc0 .LBB103_1256
; %bb.1249:
	s_cmp_gt_i32 s14, 43
	s_cbranch_scc0 .LBB103_1257
; %bb.1250:
	s_cmp_gt_i32 s14, 45
	s_cbranch_scc0 .LBB103_1259
; %bb.1251:
	s_cmp_eq_u32 s14, 46
	s_mov_b64 s[12:13], 0
	s_cbranch_scc0 .LBB103_1262
; %bb.1252:
	global_load_dword v1, v[14:15], off
	s_mov_b64 s[0:1], 0
	s_mov_b64 s[6:7], -1
	s_waitcnt vmcnt(0)
	v_lshlrev_b32_e32 v1, 16, v1
	v_cvt_i32_f32_e32 v11, v1
	s_branch .LBB103_1263
.LBB103_1253:
	s_mov_b64 s[6:7], 0
                                        ; implicit-def: $vgpr11
	s_cbranch_execnz .LBB103_1324
.LBB103_1254:
	s_andn2_b64 vcc, exec, s[6:7]
	s_cbranch_vccnz .LBB103_2055
	s_branch .LBB103_1371
.LBB103_1255:
	s_mov_b64 s[6:7], 0
	s_mov_b64 s[0:1], 0
                                        ; implicit-def: $vgpr11
	s_cbranch_execnz .LBB103_1290
	s_branch .LBB103_1320
.LBB103_1256:
	s_mov_b64 s[12:13], -1
	s_mov_b64 s[6:7], 0
	s_mov_b64 s[0:1], 0
                                        ; implicit-def: $vgpr11
	s_branch .LBB103_1273
.LBB103_1257:
	s_mov_b64 s[12:13], -1
	s_mov_b64 s[6:7], 0
	s_mov_b64 s[0:1], 0
                                        ; implicit-def: $vgpr11
	s_branch .LBB103_1268
.LBB103_1258:
	s_or_b64 s[4:5], s[28:29], exec
	s_trap 2
	s_cbranch_execz .LBB103_1199
	s_branch .LBB103_1200
.LBB103_1259:
	s_mov_b64 s[12:13], -1
	s_mov_b64 s[6:7], 0
	s_mov_b64 s[0:1], 0
                                        ; implicit-def: $vgpr11
	s_branch .LBB103_1263
.LBB103_1260:
	s_andn2_saveexec_b64 s[16:17], s[16:17]
	s_cbranch_execz .LBB103_995
.LBB103_1261:
	s_mov_b32 s20, 0x42800000
	v_add_f32_e64 v3, |v0|, s20
	v_and_b32_e32 v3, 0xff, v3
	v_cmp_ne_u32_e32 vcc, 0, v3
	s_andn2_b64 s[14:15], s[14:15], exec
	s_and_b64 s[20:21], vcc, exec
	s_or_b64 s[14:15], s[14:15], s[20:21]
	s_or_b64 exec, exec, s[16:17]
	v_mov_b32_e32 v5, 0
	s_and_saveexec_b64 s[16:17], s[14:15]
	s_cbranch_execnz .LBB103_996
	s_branch .LBB103_997
.LBB103_1262:
	s_mov_b64 s[0:1], -1
                                        ; implicit-def: $vgpr11
	s_mov_b64 s[6:7], 0
.LBB103_1263:
	s_and_b64 vcc, exec, s[12:13]
	s_cbranch_vccz .LBB103_1267
; %bb.1264:
	s_cmp_eq_u32 s14, 44
	s_cbranch_scc0 .LBB103_1266
; %bb.1265:
	global_load_ubyte v1, v[14:15], off
	s_mov_b64 s[0:1], 0
	s_mov_b64 s[6:7], -1
	s_waitcnt vmcnt(0)
	v_lshlrev_b32_e32 v3, 23, v1
	v_cvt_i32_f32_e32 v3, v3
	v_cmp_ne_u32_e32 vcc, 0, v1
	v_cndmask_b32_e32 v11, 0, v3, vcc
	s_branch .LBB103_1267
.LBB103_1266:
	s_mov_b64 s[0:1], -1
                                        ; implicit-def: $vgpr11
.LBB103_1267:
	s_mov_b64 s[12:13], 0
.LBB103_1268:
	s_and_b64 vcc, exec, s[12:13]
	s_cbranch_vccz .LBB103_1272
; %bb.1269:
	s_cmp_eq_u32 s14, 29
	s_cbranch_scc0 .LBB103_1271
; %bb.1270:
	global_load_dwordx2 v[11:12], v[14:15], off
	s_mov_b64 s[0:1], 0
	s_mov_b64 s[6:7], -1
	s_branch .LBB103_1272
.LBB103_1271:
	s_mov_b64 s[0:1], -1
                                        ; implicit-def: $vgpr11
.LBB103_1272:
	s_mov_b64 s[12:13], 0
.LBB103_1273:
	s_and_b64 vcc, exec, s[12:13]
	s_cbranch_vccz .LBB103_1289
; %bb.1274:
	s_cmp_lt_i32 s14, 27
	s_cbranch_scc1 .LBB103_1277
; %bb.1275:
	s_cmp_gt_i32 s14, 27
	s_cbranch_scc0 .LBB103_1278
; %bb.1276:
	global_load_dword v11, v[14:15], off
	s_mov_b64 s[6:7], 0
	s_branch .LBB103_1279
.LBB103_1277:
	s_mov_b64 s[6:7], -1
                                        ; implicit-def: $vgpr11
	s_branch .LBB103_1282
.LBB103_1278:
	s_mov_b64 s[6:7], -1
                                        ; implicit-def: $vgpr11
.LBB103_1279:
	s_andn2_b64 vcc, exec, s[6:7]
	s_cbranch_vccnz .LBB103_1281
; %bb.1280:
	global_load_ushort v11, v[14:15], off
.LBB103_1281:
	s_mov_b64 s[6:7], 0
.LBB103_1282:
	s_andn2_b64 vcc, exec, s[6:7]
	s_cbranch_vccnz .LBB103_1288
; %bb.1283:
	global_load_ubyte v1, v[14:15], off
	s_movk_i32 s6, 0x7f
	s_mov_b64 s[12:13], 0
	s_waitcnt vmcnt(0)
	v_cmp_lt_i16_e32 vcc, s6, v1
	s_and_saveexec_b64 s[6:7], vcc
	s_xor_b64 s[6:7], exec, s[6:7]
	s_cbranch_execz .LBB103_1299
; %bb.1284:
	s_movk_i32 s12, 0x80
	v_cmp_ne_u16_e32 vcc, s12, v1
	s_and_b64 s[12:13], vcc, exec
	s_andn2_saveexec_b64 s[6:7], s[6:7]
	s_cbranch_execnz .LBB103_1300
.LBB103_1285:
	s_or_b64 exec, exec, s[6:7]
	v_mov_b32_e32 v11, 0
	s_and_saveexec_b64 s[6:7], s[12:13]
	s_cbranch_execz .LBB103_1287
.LBB103_1286:
	v_lshlrev_b32_e32 v3, 24, v1
	v_and_b32_e32 v1, 0xffff, v1
	v_and_b32_e32 v5, 7, v1
	v_ffbh_u32_e32 v10, v5
	v_min_u32_e32 v10, 32, v10
	v_subrev_u32_e32 v11, 28, v10
	v_bfe_u32 v8, v1, 3, 4
	v_lshlrev_b32_e32 v1, v11, v1
	v_sub_u32_e32 v10, 29, v10
	v_and_b32_e32 v1, 7, v1
	v_cmp_eq_u32_e32 vcc, 0, v8
	v_cndmask_b32_e32 v8, v8, v10, vcc
	v_cndmask_b32_e32 v1, v5, v1, vcc
	v_mov_b32_e32 v5, 0x3b800000
	v_lshlrev_b32_e32 v1, 20, v1
	v_and_b32_e32 v3, 0x80000000, v3
	v_lshl_add_u32 v5, v8, 23, v5
	v_or3_b32 v1, v3, v5, v1
	v_cvt_i32_f32_e32 v11, v1
.LBB103_1287:
	s_or_b64 exec, exec, s[6:7]
.LBB103_1288:
	s_mov_b64 s[6:7], -1
.LBB103_1289:
	s_branch .LBB103_1320
.LBB103_1290:
	s_cmp_gt_i32 s14, 22
	s_cbranch_scc0 .LBB103_1298
; %bb.1291:
	s_cmp_lt_i32 s14, 24
	s_cbranch_scc1 .LBB103_1301
; %bb.1292:
	s_cmp_gt_i32 s14, 24
	s_cbranch_scc0 .LBB103_1302
; %bb.1293:
	global_load_ubyte v1, v[14:15], off
	s_movk_i32 s2, 0x7f
	s_mov_b64 s[6:7], 0
	s_waitcnt vmcnt(0)
	v_cmp_lt_i16_e32 vcc, s2, v1
	s_and_saveexec_b64 s[2:3], vcc
	s_xor_b64 s[2:3], exec, s[2:3]
	s_cbranch_execz .LBB103_1314
; %bb.1294:
	s_movk_i32 s6, 0x80
	v_cmp_ne_u16_e32 vcc, s6, v1
	s_and_b64 s[6:7], vcc, exec
	s_andn2_saveexec_b64 s[2:3], s[2:3]
	s_cbranch_execnz .LBB103_1315
.LBB103_1295:
	s_or_b64 exec, exec, s[2:3]
	v_mov_b32_e32 v11, 0
	s_and_saveexec_b64 s[2:3], s[6:7]
	s_cbranch_execz .LBB103_1297
.LBB103_1296:
	v_lshlrev_b32_e32 v3, 24, v1
	v_and_b32_e32 v1, 0xffff, v1
	v_and_b32_e32 v5, 3, v1
	v_ffbh_u32_e32 v10, v5
	v_min_u32_e32 v10, 32, v10
	v_subrev_u32_e32 v11, 29, v10
	v_bfe_u32 v8, v1, 2, 5
	v_lshlrev_b32_e32 v1, v11, v1
	v_sub_u32_e32 v10, 30, v10
	v_and_b32_e32 v1, 3, v1
	v_cmp_eq_u32_e32 vcc, 0, v8
	v_cndmask_b32_e32 v8, v8, v10, vcc
	v_cndmask_b32_e32 v1, v5, v1, vcc
	v_mov_b32_e32 v5, 0x37800000
	v_lshlrev_b32_e32 v1, 21, v1
	v_and_b32_e32 v3, 0x80000000, v3
	v_lshl_add_u32 v5, v8, 23, v5
	v_or3_b32 v1, v3, v5, v1
	v_cvt_i32_f32_e32 v11, v1
.LBB103_1297:
	s_or_b64 exec, exec, s[2:3]
	s_mov_b64 s[2:3], 0
	s_branch .LBB103_1303
.LBB103_1298:
	s_mov_b64 s[2:3], -1
                                        ; implicit-def: $vgpr11
	s_branch .LBB103_1309
.LBB103_1299:
	s_andn2_saveexec_b64 s[6:7], s[6:7]
	s_cbranch_execz .LBB103_1285
.LBB103_1300:
	v_cmp_ne_u16_e32 vcc, 0, v1
	s_andn2_b64 s[12:13], s[12:13], exec
	s_and_b64 s[18:19], vcc, exec
	s_or_b64 s[12:13], s[12:13], s[18:19]
	s_or_b64 exec, exec, s[6:7]
	v_mov_b32_e32 v11, 0
	s_and_saveexec_b64 s[6:7], s[12:13]
	s_cbranch_execnz .LBB103_1286
	s_branch .LBB103_1287
.LBB103_1301:
	s_mov_b64 s[2:3], -1
                                        ; implicit-def: $vgpr11
	s_branch .LBB103_1306
.LBB103_1302:
	s_mov_b64 s[2:3], -1
                                        ; implicit-def: $vgpr11
.LBB103_1303:
	s_and_b64 vcc, exec, s[2:3]
	s_cbranch_vccz .LBB103_1305
; %bb.1304:
	global_load_ubyte v1, v[14:15], off
	s_mov_b32 s2, 0x7f800000
	s_waitcnt vmcnt(0)
	v_lshlrev_b32_e32 v1, 24, v1
	v_and_b32_e32 v3, 0x7f000000, v1
	v_ffbh_u32_e32 v5, v3
	v_min_u32_e32 v5, 32, v5
	v_sub_u32_e64 v5, v5, 4 clamp
	v_lshlrev_b32_e32 v10, v5, v3
	v_lshlrev_b32_e32 v5, 23, v5
	v_lshrrev_b32_e32 v10, 4, v10
	v_add_u32_e32 v8, 0x1000000, v3
	v_sub_u32_e32 v5, v10, v5
	v_ashrrev_i32_e32 v8, 8, v8
	v_add_u32_e32 v5, 0x3c000000, v5
	v_and_or_b32 v5, v8, s2, v5
	v_cmp_ne_u32_e32 vcc, 0, v3
	v_cndmask_b32_e32 v3, 0, v5, vcc
	s_brev_b32 s2, 1
	v_and_or_b32 v1, v1, s2, v3
	v_cvt_i32_f32_e32 v11, v1
.LBB103_1305:
	s_mov_b64 s[2:3], 0
.LBB103_1306:
	s_andn2_b64 vcc, exec, s[2:3]
	s_cbranch_vccnz .LBB103_1308
; %bb.1307:
	global_load_ubyte v1, v[14:15], off
	s_movk_i32 s2, 0x7f00
	s_brev_b32 s3, 16
	s_waitcnt vmcnt(0)
	v_lshlrev_b16_e32 v3, 8, v1
	v_lshlrev_b32_e32 v1, 25, v1
	v_lshrrev_b32_e32 v5, 4, v1
	v_and_or_b32 v8, v3, s2, 0.5
	v_or_b32_e32 v5, 0x70000000, v5
	v_add_f32_e32 v8, -0.5, v8
	v_mul_f32_e32 v5, 0x7800000, v5
	v_cmp_gt_u32_e32 vcc, s3, v1
	v_bfe_i32 v3, v3, 0, 16
	v_cndmask_b32_e32 v1, v5, v8, vcc
	s_brev_b32 s2, 1
	v_and_or_b32 v1, v3, s2, v1
	v_cvt_i32_f32_e32 v11, v1
.LBB103_1308:
	s_mov_b64 s[2:3], 0
	s_mov_b64 s[6:7], -1
.LBB103_1309:
	s_andn2_b64 vcc, exec, s[2:3]
	s_mov_b64 s[2:3], 0
	s_cbranch_vccnz .LBB103_1320
; %bb.1310:
	s_cmp_gt_i32 s14, 14
	s_cbranch_scc0 .LBB103_1313
; %bb.1311:
	s_cmp_eq_u32 s14, 15
	s_cbranch_scc0 .LBB103_1316
; %bb.1312:
	global_load_ushort v1, v[14:15], off
	s_mov_b64 s[0:1], 0
	s_mov_b64 s[6:7], -1
	s_waitcnt vmcnt(0)
	v_lshlrev_b32_e32 v1, 16, v1
	v_cvt_i32_f32_e32 v11, v1
	s_branch .LBB103_1317
.LBB103_1313:
	s_mov_b64 s[12:13], -1
                                        ; implicit-def: $vgpr11
	s_branch .LBB103_1318
.LBB103_1314:
	s_andn2_saveexec_b64 s[2:3], s[2:3]
	s_cbranch_execz .LBB103_1295
.LBB103_1315:
	v_cmp_ne_u16_e32 vcc, 0, v1
	s_andn2_b64 s[6:7], s[6:7], exec
	s_and_b64 s[12:13], vcc, exec
	s_or_b64 s[6:7], s[6:7], s[12:13]
	s_or_b64 exec, exec, s[2:3]
	v_mov_b32_e32 v11, 0
	s_and_saveexec_b64 s[2:3], s[6:7]
	s_cbranch_execnz .LBB103_1296
	s_branch .LBB103_1297
.LBB103_1316:
	s_mov_b64 s[0:1], -1
                                        ; implicit-def: $vgpr11
.LBB103_1317:
	s_mov_b64 s[12:13], 0
.LBB103_1318:
	s_and_b64 vcc, exec, s[12:13]
	s_cbranch_vccz .LBB103_1320
; %bb.1319:
	s_cmp_lg_u32 s14, 11
	s_mov_b64 s[2:3], -1
	s_cselect_b64 s[0:1], -1, 0
.LBB103_1320:
	s_and_b64 vcc, exec, s[0:1]
	s_cbranch_vccnz .LBB103_1383
; %bb.1321:
	s_andn2_b64 vcc, exec, s[2:3]
	s_cbranch_vccnz .LBB103_1323
.LBB103_1322:
	global_load_ubyte v1, v[14:15], off
	s_mov_b64 s[6:7], -1
	s_waitcnt vmcnt(0)
	v_cmp_ne_u16_e32 vcc, 0, v1
	v_cndmask_b32_e64 v11, 0, 1, vcc
.LBB103_1323:
	s_branch .LBB103_1254
.LBB103_1324:
	s_cmp_lt_i32 s14, 5
	s_cbranch_scc1 .LBB103_1329
; %bb.1325:
	s_cmp_lt_i32 s14, 8
	s_cbranch_scc1 .LBB103_1330
; %bb.1326:
	s_cmp_lt_i32 s14, 9
	s_cbranch_scc1 .LBB103_1331
; %bb.1327:
	s_cmp_gt_i32 s14, 9
	s_cbranch_scc0 .LBB103_1332
; %bb.1328:
	global_load_dwordx2 v[10:11], v[14:15], off
	s_mov_b64 s[0:1], 0
	s_waitcnt vmcnt(0)
	v_cvt_i32_f64_e32 v11, v[10:11]
	s_branch .LBB103_1333
.LBB103_1329:
                                        ; implicit-def: $vgpr11
	s_branch .LBB103_1351
.LBB103_1330:
	s_mov_b64 s[0:1], -1
                                        ; implicit-def: $vgpr11
	s_branch .LBB103_1339
.LBB103_1331:
	s_mov_b64 s[0:1], -1
                                        ; implicit-def: $vgpr11
	s_branch .LBB103_1336
.LBB103_1332:
	s_mov_b64 s[0:1], -1
                                        ; implicit-def: $vgpr11
.LBB103_1333:
	s_andn2_b64 vcc, exec, s[0:1]
	s_cbranch_vccnz .LBB103_1335
; %bb.1334:
	global_load_dword v1, v[14:15], off
	s_waitcnt vmcnt(0)
	v_cvt_i32_f32_e32 v11, v1
.LBB103_1335:
	s_mov_b64 s[0:1], 0
.LBB103_1336:
	s_andn2_b64 vcc, exec, s[0:1]
	s_cbranch_vccnz .LBB103_1338
; %bb.1337:
	global_load_dword v1, v[14:15], off
	s_waitcnt vmcnt(0)
	v_cvt_i16_f16_e32 v11, v1
.LBB103_1338:
	s_mov_b64 s[0:1], 0
.LBB103_1339:
	s_andn2_b64 vcc, exec, s[0:1]
	s_cbranch_vccnz .LBB103_1350
; %bb.1340:
	s_cmp_lt_i32 s14, 6
	s_cbranch_scc1 .LBB103_1343
; %bb.1341:
	s_cmp_gt_i32 s14, 6
	s_cbranch_scc0 .LBB103_1344
; %bb.1342:
	global_load_dwordx2 v[10:11], v[14:15], off
	s_mov_b64 s[0:1], 0
	s_waitcnt vmcnt(0)
	v_cvt_i32_f64_e32 v11, v[10:11]
	s_branch .LBB103_1345
.LBB103_1343:
	s_mov_b64 s[0:1], -1
                                        ; implicit-def: $vgpr11
	s_branch .LBB103_1348
.LBB103_1344:
	s_mov_b64 s[0:1], -1
                                        ; implicit-def: $vgpr11
.LBB103_1345:
	s_andn2_b64 vcc, exec, s[0:1]
	s_cbranch_vccnz .LBB103_1347
; %bb.1346:
	global_load_dword v1, v[14:15], off
	s_waitcnt vmcnt(0)
	v_cvt_i32_f32_e32 v11, v1
.LBB103_1347:
	s_mov_b64 s[0:1], 0
.LBB103_1348:
	s_andn2_b64 vcc, exec, s[0:1]
	s_cbranch_vccnz .LBB103_1350
; %bb.1349:
	global_load_ushort v1, v[14:15], off
	s_waitcnt vmcnt(0)
	v_cvt_i16_f16_e32 v11, v1
.LBB103_1350:
	s_cbranch_execnz .LBB103_1370
.LBB103_1351:
	s_cmp_lt_i32 s14, 2
	s_cbranch_scc1 .LBB103_1355
; %bb.1352:
	s_cmp_lt_i32 s14, 3
	s_cbranch_scc1 .LBB103_1356
; %bb.1353:
	s_cmp_gt_i32 s14, 3
	s_cbranch_scc0 .LBB103_1357
; %bb.1354:
	global_load_dwordx2 v[11:12], v[14:15], off
	s_mov_b64 s[0:1], 0
	s_branch .LBB103_1358
.LBB103_1355:
	s_mov_b64 s[0:1], -1
                                        ; implicit-def: $vgpr11
	s_branch .LBB103_1364
.LBB103_1356:
	s_mov_b64 s[0:1], -1
                                        ; implicit-def: $vgpr11
	s_branch .LBB103_1361
.LBB103_1357:
	s_mov_b64 s[0:1], -1
                                        ; implicit-def: $vgpr11
.LBB103_1358:
	s_andn2_b64 vcc, exec, s[0:1]
	s_cbranch_vccnz .LBB103_1360
; %bb.1359:
	global_load_dword v11, v[14:15], off
.LBB103_1360:
	s_mov_b64 s[0:1], 0
.LBB103_1361:
	s_andn2_b64 vcc, exec, s[0:1]
	s_cbranch_vccnz .LBB103_1363
; %bb.1362:
	global_load_ushort v11, v[14:15], off
.LBB103_1363:
	s_mov_b64 s[0:1], 0
.LBB103_1364:
	s_andn2_b64 vcc, exec, s[0:1]
	s_cbranch_vccnz .LBB103_1370
; %bb.1365:
	s_cmp_gt_i32 s14, 0
	s_cbranch_scc0 .LBB103_1367
; %bb.1366:
	global_load_sbyte v11, v[14:15], off
	s_mov_b64 s[0:1], 0
	s_branch .LBB103_1368
.LBB103_1367:
	s_mov_b64 s[0:1], -1
                                        ; implicit-def: $vgpr11
.LBB103_1368:
	s_andn2_b64 vcc, exec, s[0:1]
	s_cbranch_vccnz .LBB103_1370
; %bb.1369:
	global_load_ubyte v11, v[14:15], off
.LBB103_1370:
.LBB103_1371:
	v_mov_b32_e32 v1, s11
	v_add_co_u32_e32 v14, vcc, s10, v9
	s_cmp_lt_i32 s14, 11
	v_addc_co_u32_e32 v15, vcc, 0, v1, vcc
	s_cbranch_scc1 .LBB103_1378
; %bb.1372:
	s_cmp_gt_i32 s14, 25
	s_mov_b64 s[2:3], 0
	s_cbranch_scc0 .LBB103_1380
; %bb.1373:
	s_cmp_gt_i32 s14, 28
	s_cbranch_scc0 .LBB103_1381
; %bb.1374:
	s_cmp_gt_i32 s14, 43
	;; [unrolled: 3-line block ×3, first 2 shown]
	s_cbranch_scc0 .LBB103_1384
; %bb.1376:
	s_cmp_eq_u32 s14, 46
	s_mov_b64 s[12:13], 0
	s_cbranch_scc0 .LBB103_1385
; %bb.1377:
	global_load_dword v1, v[14:15], off
	s_mov_b64 s[0:1], 0
	s_mov_b64 s[6:7], -1
	s_waitcnt vmcnt(0)
	v_lshlrev_b32_e32 v1, 16, v1
	v_cvt_i32_f32_e32 v9, v1
	s_branch .LBB103_1386
.LBB103_1378:
	s_mov_b64 s[6:7], 0
                                        ; implicit-def: $vgpr9
	s_cbranch_execnz .LBB103_1448
.LBB103_1379:
	s_andn2_b64 vcc, exec, s[6:7]
	s_cbranch_vccnz .LBB103_2055
	s_branch .LBB103_1496
.LBB103_1380:
	s_mov_b64 s[12:13], -1
	s_mov_b64 s[6:7], 0
	s_mov_b64 s[0:1], 0
                                        ; implicit-def: $vgpr9
	s_branch .LBB103_1413
.LBB103_1381:
	s_mov_b64 s[12:13], -1
	s_mov_b64 s[6:7], 0
	s_mov_b64 s[0:1], 0
                                        ; implicit-def: $vgpr9
	s_branch .LBB103_1396
.LBB103_1382:
	s_mov_b64 s[12:13], -1
	s_mov_b64 s[6:7], 0
	s_mov_b64 s[0:1], 0
                                        ; implicit-def: $vgpr9
	s_branch .LBB103_1391
.LBB103_1383:
	s_trap 2
	s_or_b64 s[4:5], s[4:5], exec
	s_cbranch_execz .LBB103_1322
	s_branch .LBB103_1323
.LBB103_1384:
	s_mov_b64 s[12:13], -1
	s_mov_b64 s[6:7], 0
	s_mov_b64 s[0:1], 0
                                        ; implicit-def: $vgpr9
	s_branch .LBB103_1386
.LBB103_1385:
	s_mov_b64 s[0:1], -1
                                        ; implicit-def: $vgpr9
	s_mov_b64 s[6:7], 0
.LBB103_1386:
	s_and_b64 vcc, exec, s[12:13]
	s_cbranch_vccz .LBB103_1390
; %bb.1387:
	s_cmp_eq_u32 s14, 44
	s_cbranch_scc0 .LBB103_1389
; %bb.1388:
	global_load_ubyte v1, v[14:15], off
	s_mov_b64 s[0:1], 0
	s_mov_b64 s[6:7], -1
	s_waitcnt vmcnt(0)
	v_lshlrev_b32_e32 v3, 23, v1
	v_cvt_i32_f32_e32 v3, v3
	v_cmp_ne_u32_e32 vcc, 0, v1
	v_cndmask_b32_e32 v9, 0, v3, vcc
	s_branch .LBB103_1390
.LBB103_1389:
	s_mov_b64 s[0:1], -1
                                        ; implicit-def: $vgpr9
.LBB103_1390:
	s_mov_b64 s[12:13], 0
.LBB103_1391:
	s_and_b64 vcc, exec, s[12:13]
	s_cbranch_vccz .LBB103_1395
; %bb.1392:
	s_cmp_eq_u32 s14, 29
	s_cbranch_scc0 .LBB103_1394
; %bb.1393:
	global_load_dwordx2 v[9:10], v[14:15], off
	s_mov_b64 s[0:1], 0
	s_mov_b64 s[6:7], -1
	s_branch .LBB103_1395
.LBB103_1394:
	s_mov_b64 s[0:1], -1
                                        ; implicit-def: $vgpr9
.LBB103_1395:
	s_mov_b64 s[12:13], 0
.LBB103_1396:
	s_and_b64 vcc, exec, s[12:13]
	s_cbranch_vccz .LBB103_1412
; %bb.1397:
	s_cmp_lt_i32 s14, 27
	s_cbranch_scc1 .LBB103_1400
; %bb.1398:
	s_cmp_gt_i32 s14, 27
	s_cbranch_scc0 .LBB103_1401
; %bb.1399:
	global_load_dword v9, v[14:15], off
	s_mov_b64 s[6:7], 0
	s_branch .LBB103_1402
.LBB103_1400:
	s_mov_b64 s[6:7], -1
                                        ; implicit-def: $vgpr9
	s_branch .LBB103_1405
.LBB103_1401:
	s_mov_b64 s[6:7], -1
                                        ; implicit-def: $vgpr9
.LBB103_1402:
	s_andn2_b64 vcc, exec, s[6:7]
	s_cbranch_vccnz .LBB103_1404
; %bb.1403:
	global_load_ushort v9, v[14:15], off
.LBB103_1404:
	s_mov_b64 s[6:7], 0
.LBB103_1405:
	s_andn2_b64 vcc, exec, s[6:7]
	s_cbranch_vccnz .LBB103_1411
; %bb.1406:
	global_load_ubyte v1, v[14:15], off
	s_movk_i32 s6, 0x7f
	s_mov_b64 s[12:13], 0
	s_waitcnt vmcnt(0)
	v_cmp_lt_i16_e32 vcc, s6, v1
	s_and_saveexec_b64 s[6:7], vcc
	s_xor_b64 s[6:7], exec, s[6:7]
	s_cbranch_execz .LBB103_1423
; %bb.1407:
	s_movk_i32 s12, 0x80
	v_cmp_ne_u16_e32 vcc, s12, v1
	s_and_b64 s[12:13], vcc, exec
	s_andn2_saveexec_b64 s[6:7], s[6:7]
	s_cbranch_execnz .LBB103_1424
.LBB103_1408:
	s_or_b64 exec, exec, s[6:7]
	v_mov_b32_e32 v9, 0
	s_and_saveexec_b64 s[6:7], s[12:13]
	s_cbranch_execz .LBB103_1410
.LBB103_1409:
	v_lshlrev_b32_e32 v3, 24, v1
	v_and_b32_e32 v1, 0xffff, v1
	v_and_b32_e32 v5, 7, v1
	v_ffbh_u32_e32 v9, v5
	v_min_u32_e32 v9, 32, v9
	v_subrev_u32_e32 v10, 28, v9
	v_bfe_u32 v8, v1, 3, 4
	v_lshlrev_b32_e32 v1, v10, v1
	v_sub_u32_e32 v9, 29, v9
	v_and_b32_e32 v1, 7, v1
	v_cmp_eq_u32_e32 vcc, 0, v8
	v_cndmask_b32_e32 v8, v8, v9, vcc
	v_cndmask_b32_e32 v1, v5, v1, vcc
	v_mov_b32_e32 v5, 0x3b800000
	v_lshlrev_b32_e32 v1, 20, v1
	v_and_b32_e32 v3, 0x80000000, v3
	v_lshl_add_u32 v5, v8, 23, v5
	v_or3_b32 v1, v3, v5, v1
	v_cvt_i32_f32_e32 v9, v1
.LBB103_1410:
	s_or_b64 exec, exec, s[6:7]
.LBB103_1411:
	s_mov_b64 s[6:7], -1
.LBB103_1412:
	s_mov_b64 s[12:13], 0
.LBB103_1413:
	s_and_b64 vcc, exec, s[12:13]
	s_cbranch_vccz .LBB103_1444
; %bb.1414:
	s_cmp_gt_i32 s14, 22
	s_cbranch_scc0 .LBB103_1422
; %bb.1415:
	s_cmp_lt_i32 s14, 24
	s_cbranch_scc1 .LBB103_1425
; %bb.1416:
	s_cmp_gt_i32 s14, 24
	s_cbranch_scc0 .LBB103_1426
; %bb.1417:
	global_load_ubyte v1, v[14:15], off
	s_movk_i32 s2, 0x7f
	s_mov_b64 s[6:7], 0
	s_waitcnt vmcnt(0)
	v_cmp_lt_i16_e32 vcc, s2, v1
	s_and_saveexec_b64 s[2:3], vcc
	s_xor_b64 s[2:3], exec, s[2:3]
	s_cbranch_execz .LBB103_1438
; %bb.1418:
	s_movk_i32 s6, 0x80
	v_cmp_ne_u16_e32 vcc, s6, v1
	s_and_b64 s[6:7], vcc, exec
	s_andn2_saveexec_b64 s[2:3], s[2:3]
	s_cbranch_execnz .LBB103_1439
.LBB103_1419:
	s_or_b64 exec, exec, s[2:3]
	v_mov_b32_e32 v9, 0
	s_and_saveexec_b64 s[2:3], s[6:7]
	s_cbranch_execz .LBB103_1421
.LBB103_1420:
	v_lshlrev_b32_e32 v3, 24, v1
	v_and_b32_e32 v1, 0xffff, v1
	v_and_b32_e32 v5, 3, v1
	v_ffbh_u32_e32 v9, v5
	v_min_u32_e32 v9, 32, v9
	v_subrev_u32_e32 v10, 29, v9
	v_bfe_u32 v8, v1, 2, 5
	v_lshlrev_b32_e32 v1, v10, v1
	v_sub_u32_e32 v9, 30, v9
	v_and_b32_e32 v1, 3, v1
	v_cmp_eq_u32_e32 vcc, 0, v8
	v_cndmask_b32_e32 v8, v8, v9, vcc
	v_cndmask_b32_e32 v1, v5, v1, vcc
	v_mov_b32_e32 v5, 0x37800000
	v_lshlrev_b32_e32 v1, 21, v1
	v_and_b32_e32 v3, 0x80000000, v3
	v_lshl_add_u32 v5, v8, 23, v5
	v_or3_b32 v1, v3, v5, v1
	v_cvt_i32_f32_e32 v9, v1
.LBB103_1421:
	s_or_b64 exec, exec, s[2:3]
	s_mov_b64 s[2:3], 0
	s_branch .LBB103_1427
.LBB103_1422:
	s_mov_b64 s[2:3], -1
                                        ; implicit-def: $vgpr9
	s_branch .LBB103_1433
.LBB103_1423:
	s_andn2_saveexec_b64 s[6:7], s[6:7]
	s_cbranch_execz .LBB103_1408
.LBB103_1424:
	v_cmp_ne_u16_e32 vcc, 0, v1
	s_andn2_b64 s[12:13], s[12:13], exec
	s_and_b64 s[18:19], vcc, exec
	s_or_b64 s[12:13], s[12:13], s[18:19]
	s_or_b64 exec, exec, s[6:7]
	v_mov_b32_e32 v9, 0
	s_and_saveexec_b64 s[6:7], s[12:13]
	s_cbranch_execnz .LBB103_1409
	s_branch .LBB103_1410
.LBB103_1425:
	s_mov_b64 s[2:3], -1
                                        ; implicit-def: $vgpr9
	s_branch .LBB103_1430
.LBB103_1426:
	s_mov_b64 s[2:3], -1
                                        ; implicit-def: $vgpr9
.LBB103_1427:
	s_and_b64 vcc, exec, s[2:3]
	s_cbranch_vccz .LBB103_1429
; %bb.1428:
	global_load_ubyte v1, v[14:15], off
	s_mov_b32 s2, 0x7f800000
	s_waitcnt vmcnt(0)
	v_lshlrev_b32_e32 v1, 24, v1
	v_and_b32_e32 v3, 0x7f000000, v1
	v_ffbh_u32_e32 v5, v3
	v_min_u32_e32 v5, 32, v5
	v_sub_u32_e64 v5, v5, 4 clamp
	v_lshlrev_b32_e32 v9, v5, v3
	v_lshlrev_b32_e32 v5, 23, v5
	v_lshrrev_b32_e32 v9, 4, v9
	v_add_u32_e32 v8, 0x1000000, v3
	v_sub_u32_e32 v5, v9, v5
	v_ashrrev_i32_e32 v8, 8, v8
	v_add_u32_e32 v5, 0x3c000000, v5
	v_and_or_b32 v5, v8, s2, v5
	v_cmp_ne_u32_e32 vcc, 0, v3
	v_cndmask_b32_e32 v3, 0, v5, vcc
	s_brev_b32 s2, 1
	v_and_or_b32 v1, v1, s2, v3
	v_cvt_i32_f32_e32 v9, v1
.LBB103_1429:
	s_mov_b64 s[2:3], 0
.LBB103_1430:
	s_andn2_b64 vcc, exec, s[2:3]
	s_cbranch_vccnz .LBB103_1432
; %bb.1431:
	global_load_ubyte v1, v[14:15], off
	s_movk_i32 s2, 0x7f00
	s_brev_b32 s3, 16
	s_waitcnt vmcnt(0)
	v_lshlrev_b16_e32 v3, 8, v1
	v_lshlrev_b32_e32 v1, 25, v1
	v_lshrrev_b32_e32 v5, 4, v1
	v_and_or_b32 v8, v3, s2, 0.5
	v_or_b32_e32 v5, 0x70000000, v5
	v_add_f32_e32 v8, -0.5, v8
	v_mul_f32_e32 v5, 0x7800000, v5
	v_cmp_gt_u32_e32 vcc, s3, v1
	v_bfe_i32 v3, v3, 0, 16
	v_cndmask_b32_e32 v1, v5, v8, vcc
	s_brev_b32 s2, 1
	v_and_or_b32 v1, v3, s2, v1
	v_cvt_i32_f32_e32 v9, v1
.LBB103_1432:
	s_mov_b64 s[2:3], 0
	s_mov_b64 s[6:7], -1
.LBB103_1433:
	s_andn2_b64 vcc, exec, s[2:3]
	s_mov_b64 s[2:3], 0
	s_cbranch_vccnz .LBB103_1444
; %bb.1434:
	s_cmp_gt_i32 s14, 14
	s_cbranch_scc0 .LBB103_1437
; %bb.1435:
	s_cmp_eq_u32 s14, 15
	s_cbranch_scc0 .LBB103_1440
; %bb.1436:
	global_load_ushort v1, v[14:15], off
	s_mov_b64 s[0:1], 0
	s_mov_b64 s[6:7], -1
	s_waitcnt vmcnt(0)
	v_lshlrev_b32_e32 v1, 16, v1
	v_cvt_i32_f32_e32 v9, v1
	s_branch .LBB103_1441
.LBB103_1437:
	s_mov_b64 s[12:13], -1
                                        ; implicit-def: $vgpr9
	s_branch .LBB103_1442
.LBB103_1438:
	s_andn2_saveexec_b64 s[2:3], s[2:3]
	s_cbranch_execz .LBB103_1419
.LBB103_1439:
	v_cmp_ne_u16_e32 vcc, 0, v1
	s_andn2_b64 s[6:7], s[6:7], exec
	s_and_b64 s[12:13], vcc, exec
	s_or_b64 s[6:7], s[6:7], s[12:13]
	s_or_b64 exec, exec, s[2:3]
	v_mov_b32_e32 v9, 0
	s_and_saveexec_b64 s[2:3], s[6:7]
	s_cbranch_execnz .LBB103_1420
	s_branch .LBB103_1421
.LBB103_1440:
	s_mov_b64 s[0:1], -1
                                        ; implicit-def: $vgpr9
.LBB103_1441:
	s_mov_b64 s[12:13], 0
.LBB103_1442:
	s_and_b64 vcc, exec, s[12:13]
	s_cbranch_vccz .LBB103_1444
; %bb.1443:
	s_cmp_lg_u32 s14, 11
	s_mov_b64 s[2:3], -1
	s_cselect_b64 s[0:1], -1, 0
.LBB103_1444:
	s_and_b64 vcc, exec, s[0:1]
	s_cbranch_vccnz .LBB103_1507
; %bb.1445:
	s_andn2_b64 vcc, exec, s[2:3]
	s_cbranch_vccnz .LBB103_1447
.LBB103_1446:
	global_load_ubyte v1, v[14:15], off
	s_mov_b64 s[6:7], -1
	s_waitcnt vmcnt(0)
	v_cmp_ne_u16_e32 vcc, 0, v1
	v_cndmask_b32_e64 v9, 0, 1, vcc
.LBB103_1447:
	s_branch .LBB103_1379
.LBB103_1448:
	s_cmp_lt_i32 s14, 5
	s_cbranch_scc1 .LBB103_1453
; %bb.1449:
	s_cmp_lt_i32 s14, 8
	s_cbranch_scc1 .LBB103_1454
; %bb.1450:
	;; [unrolled: 3-line block ×3, first 2 shown]
	s_cmp_gt_i32 s14, 9
	s_cbranch_scc0 .LBB103_1456
; %bb.1452:
	global_load_dwordx2 v[8:9], v[14:15], off
	s_mov_b64 s[0:1], 0
	s_waitcnt vmcnt(0)
	v_cvt_i32_f64_e32 v9, v[8:9]
	s_branch .LBB103_1457
.LBB103_1453:
	s_mov_b64 s[0:1], -1
                                        ; implicit-def: $vgpr9
	s_branch .LBB103_1475
.LBB103_1454:
	s_mov_b64 s[0:1], -1
                                        ; implicit-def: $vgpr9
	s_branch .LBB103_1463
.LBB103_1455:
	s_mov_b64 s[0:1], -1
                                        ; implicit-def: $vgpr9
	s_branch .LBB103_1460
.LBB103_1456:
	s_mov_b64 s[0:1], -1
                                        ; implicit-def: $vgpr9
.LBB103_1457:
	s_andn2_b64 vcc, exec, s[0:1]
	s_cbranch_vccnz .LBB103_1459
; %bb.1458:
	global_load_dword v1, v[14:15], off
	s_waitcnt vmcnt(0)
	v_cvt_i32_f32_e32 v9, v1
.LBB103_1459:
	s_mov_b64 s[0:1], 0
.LBB103_1460:
	s_andn2_b64 vcc, exec, s[0:1]
	s_cbranch_vccnz .LBB103_1462
; %bb.1461:
	global_load_dword v1, v[14:15], off
	s_waitcnt vmcnt(0)
	v_cvt_i16_f16_e32 v9, v1
.LBB103_1462:
	s_mov_b64 s[0:1], 0
.LBB103_1463:
	s_andn2_b64 vcc, exec, s[0:1]
	s_cbranch_vccnz .LBB103_1474
; %bb.1464:
	s_cmp_lt_i32 s14, 6
	s_cbranch_scc1 .LBB103_1467
; %bb.1465:
	s_cmp_gt_i32 s14, 6
	s_cbranch_scc0 .LBB103_1468
; %bb.1466:
	global_load_dwordx2 v[8:9], v[14:15], off
	s_mov_b64 s[0:1], 0
	s_waitcnt vmcnt(0)
	v_cvt_i32_f64_e32 v9, v[8:9]
	s_branch .LBB103_1469
.LBB103_1467:
	s_mov_b64 s[0:1], -1
                                        ; implicit-def: $vgpr9
	s_branch .LBB103_1472
.LBB103_1468:
	s_mov_b64 s[0:1], -1
                                        ; implicit-def: $vgpr9
.LBB103_1469:
	s_andn2_b64 vcc, exec, s[0:1]
	s_cbranch_vccnz .LBB103_1471
; %bb.1470:
	global_load_dword v1, v[14:15], off
	s_waitcnt vmcnt(0)
	v_cvt_i32_f32_e32 v9, v1
.LBB103_1471:
	s_mov_b64 s[0:1], 0
.LBB103_1472:
	s_andn2_b64 vcc, exec, s[0:1]
	s_cbranch_vccnz .LBB103_1474
; %bb.1473:
	global_load_ushort v1, v[14:15], off
	s_waitcnt vmcnt(0)
	v_cvt_i16_f16_e32 v9, v1
.LBB103_1474:
	s_mov_b64 s[0:1], 0
.LBB103_1475:
	s_andn2_b64 vcc, exec, s[0:1]
	s_cbranch_vccnz .LBB103_1495
; %bb.1476:
	s_cmp_lt_i32 s14, 2
	s_cbranch_scc1 .LBB103_1480
; %bb.1477:
	s_cmp_lt_i32 s14, 3
	s_cbranch_scc1 .LBB103_1481
; %bb.1478:
	s_cmp_gt_i32 s14, 3
	s_cbranch_scc0 .LBB103_1482
; %bb.1479:
	global_load_dwordx2 v[9:10], v[14:15], off
	s_mov_b64 s[0:1], 0
	s_branch .LBB103_1483
.LBB103_1480:
	s_mov_b64 s[0:1], -1
                                        ; implicit-def: $vgpr9
	s_branch .LBB103_1489
.LBB103_1481:
	s_mov_b64 s[0:1], -1
                                        ; implicit-def: $vgpr9
	s_branch .LBB103_1486
.LBB103_1482:
	s_mov_b64 s[0:1], -1
                                        ; implicit-def: $vgpr9
.LBB103_1483:
	s_andn2_b64 vcc, exec, s[0:1]
	s_cbranch_vccnz .LBB103_1485
; %bb.1484:
	global_load_dword v9, v[14:15], off
.LBB103_1485:
	s_mov_b64 s[0:1], 0
.LBB103_1486:
	s_andn2_b64 vcc, exec, s[0:1]
	s_cbranch_vccnz .LBB103_1488
; %bb.1487:
	global_load_ushort v9, v[14:15], off
.LBB103_1488:
	s_mov_b64 s[0:1], 0
.LBB103_1489:
	s_andn2_b64 vcc, exec, s[0:1]
	s_cbranch_vccnz .LBB103_1495
; %bb.1490:
	s_cmp_gt_i32 s14, 0
	s_cbranch_scc0 .LBB103_1492
; %bb.1491:
	global_load_sbyte v9, v[14:15], off
	s_mov_b64 s[0:1], 0
	s_branch .LBB103_1493
.LBB103_1492:
	s_mov_b64 s[0:1], -1
                                        ; implicit-def: $vgpr9
.LBB103_1493:
	s_andn2_b64 vcc, exec, s[0:1]
	s_cbranch_vccnz .LBB103_1495
; %bb.1494:
	global_load_ubyte v9, v[14:15], off
.LBB103_1495:
.LBB103_1496:
	v_mov_b32_e32 v1, s11
	v_add_co_u32_e32 v14, vcc, s10, v7
	s_cmp_lt_i32 s14, 11
	v_addc_co_u32_e32 v15, vcc, 0, v1, vcc
	s_cbranch_scc1 .LBB103_1503
; %bb.1497:
	s_cmp_gt_i32 s14, 25
	s_mov_b64 s[2:3], 0
	s_cbranch_scc0 .LBB103_1504
; %bb.1498:
	s_cmp_gt_i32 s14, 28
	s_cbranch_scc0 .LBB103_1505
; %bb.1499:
	s_cmp_gt_i32 s14, 43
	;; [unrolled: 3-line block ×3, first 2 shown]
	s_cbranch_scc0 .LBB103_1508
; %bb.1501:
	s_cmp_eq_u32 s14, 46
	s_mov_b64 s[10:11], 0
	s_cbranch_scc0 .LBB103_1509
; %bb.1502:
	global_load_dword v1, v[14:15], off
	s_mov_b64 s[0:1], 0
	s_mov_b64 s[6:7], -1
	s_waitcnt vmcnt(0)
	v_lshlrev_b32_e32 v1, 16, v1
	v_cvt_i32_f32_e32 v7, v1
	s_branch .LBB103_1510
.LBB103_1503:
	s_mov_b64 s[0:1], -1
	s_mov_b64 s[6:7], 0
                                        ; implicit-def: $vgpr7
	s_branch .LBB103_1572
.LBB103_1504:
	s_mov_b64 s[10:11], -1
	s_mov_b64 s[6:7], 0
	s_mov_b64 s[0:1], 0
                                        ; implicit-def: $vgpr7
	s_branch .LBB103_1537
.LBB103_1505:
	s_mov_b64 s[10:11], -1
	s_mov_b64 s[6:7], 0
	s_mov_b64 s[0:1], 0
                                        ; implicit-def: $vgpr7
	s_branch .LBB103_1520
.LBB103_1506:
	s_mov_b64 s[10:11], -1
	s_mov_b64 s[6:7], 0
	s_mov_b64 s[0:1], 0
                                        ; implicit-def: $vgpr7
	s_branch .LBB103_1515
.LBB103_1507:
	s_trap 2
	s_or_b64 s[4:5], s[4:5], exec
	s_cbranch_execz .LBB103_1446
	s_branch .LBB103_1447
.LBB103_1508:
	s_mov_b64 s[10:11], -1
	s_mov_b64 s[6:7], 0
	s_mov_b64 s[0:1], 0
                                        ; implicit-def: $vgpr7
	s_branch .LBB103_1510
.LBB103_1509:
	s_mov_b64 s[0:1], -1
                                        ; implicit-def: $vgpr7
	s_mov_b64 s[6:7], 0
.LBB103_1510:
	s_and_b64 vcc, exec, s[10:11]
	s_cbranch_vccz .LBB103_1514
; %bb.1511:
	s_cmp_eq_u32 s14, 44
	s_cbranch_scc0 .LBB103_1513
; %bb.1512:
	global_load_ubyte v1, v[14:15], off
	s_mov_b64 s[0:1], 0
	s_mov_b64 s[6:7], -1
	s_waitcnt vmcnt(0)
	v_lshlrev_b32_e32 v3, 23, v1
	v_cvt_i32_f32_e32 v3, v3
	v_cmp_ne_u32_e32 vcc, 0, v1
	v_cndmask_b32_e32 v7, 0, v3, vcc
	s_branch .LBB103_1514
.LBB103_1513:
	s_mov_b64 s[0:1], -1
                                        ; implicit-def: $vgpr7
.LBB103_1514:
	s_mov_b64 s[10:11], 0
.LBB103_1515:
	s_and_b64 vcc, exec, s[10:11]
	s_cbranch_vccz .LBB103_1519
; %bb.1516:
	s_cmp_eq_u32 s14, 29
	s_cbranch_scc0 .LBB103_1518
; %bb.1517:
	global_load_dwordx2 v[7:8], v[14:15], off
	s_mov_b64 s[0:1], 0
	s_mov_b64 s[6:7], -1
	s_branch .LBB103_1519
.LBB103_1518:
	s_mov_b64 s[0:1], -1
                                        ; implicit-def: $vgpr7
.LBB103_1519:
	s_mov_b64 s[10:11], 0
.LBB103_1520:
	s_and_b64 vcc, exec, s[10:11]
	s_cbranch_vccz .LBB103_1536
; %bb.1521:
	s_cmp_lt_i32 s14, 27
	s_cbranch_scc1 .LBB103_1524
; %bb.1522:
	s_cmp_gt_i32 s14, 27
	s_cbranch_scc0 .LBB103_1525
; %bb.1523:
	global_load_dword v7, v[14:15], off
	s_mov_b64 s[6:7], 0
	s_branch .LBB103_1526
.LBB103_1524:
	s_mov_b64 s[6:7], -1
                                        ; implicit-def: $vgpr7
	s_branch .LBB103_1529
.LBB103_1525:
	s_mov_b64 s[6:7], -1
                                        ; implicit-def: $vgpr7
.LBB103_1526:
	s_andn2_b64 vcc, exec, s[6:7]
	s_cbranch_vccnz .LBB103_1528
; %bb.1527:
	global_load_ushort v7, v[14:15], off
.LBB103_1528:
	s_mov_b64 s[6:7], 0
.LBB103_1529:
	s_andn2_b64 vcc, exec, s[6:7]
	s_cbranch_vccnz .LBB103_1535
; %bb.1530:
	global_load_ubyte v1, v[14:15], off
	s_movk_i32 s6, 0x7f
	s_mov_b64 s[10:11], 0
	s_waitcnt vmcnt(0)
	v_cmp_lt_i16_e32 vcc, s6, v1
	s_and_saveexec_b64 s[6:7], vcc
	s_xor_b64 s[6:7], exec, s[6:7]
	s_cbranch_execz .LBB103_1547
; %bb.1531:
	s_movk_i32 s10, 0x80
	v_cmp_ne_u16_e32 vcc, s10, v1
	s_and_b64 s[10:11], vcc, exec
	s_andn2_saveexec_b64 s[6:7], s[6:7]
	s_cbranch_execnz .LBB103_1548
.LBB103_1532:
	s_or_b64 exec, exec, s[6:7]
	v_mov_b32_e32 v7, 0
	s_and_saveexec_b64 s[6:7], s[10:11]
	s_cbranch_execz .LBB103_1534
.LBB103_1533:
	v_lshlrev_b32_e32 v3, 24, v1
	v_and_b32_e32 v1, 0xffff, v1
	v_and_b32_e32 v5, 7, v1
	v_ffbh_u32_e32 v8, v5
	v_min_u32_e32 v8, 32, v8
	v_subrev_u32_e32 v10, 28, v8
	v_bfe_u32 v7, v1, 3, 4
	v_lshlrev_b32_e32 v1, v10, v1
	v_sub_u32_e32 v8, 29, v8
	v_and_b32_e32 v1, 7, v1
	v_cmp_eq_u32_e32 vcc, 0, v7
	v_cndmask_b32_e32 v7, v7, v8, vcc
	v_cndmask_b32_e32 v1, v5, v1, vcc
	v_mov_b32_e32 v5, 0x3b800000
	v_lshlrev_b32_e32 v1, 20, v1
	v_and_b32_e32 v3, 0x80000000, v3
	v_lshl_add_u32 v5, v7, 23, v5
	v_or3_b32 v1, v3, v5, v1
	v_cvt_i32_f32_e32 v7, v1
.LBB103_1534:
	s_or_b64 exec, exec, s[6:7]
.LBB103_1535:
	s_mov_b64 s[6:7], -1
.LBB103_1536:
	s_mov_b64 s[10:11], 0
.LBB103_1537:
	s_and_b64 vcc, exec, s[10:11]
	s_cbranch_vccz .LBB103_1568
; %bb.1538:
	s_cmp_gt_i32 s14, 22
	s_cbranch_scc0 .LBB103_1546
; %bb.1539:
	s_cmp_lt_i32 s14, 24
	s_cbranch_scc1 .LBB103_1549
; %bb.1540:
	s_cmp_gt_i32 s14, 24
	s_cbranch_scc0 .LBB103_1550
; %bb.1541:
	global_load_ubyte v1, v[14:15], off
	s_movk_i32 s2, 0x7f
	s_mov_b64 s[6:7], 0
	s_waitcnt vmcnt(0)
	v_cmp_lt_i16_e32 vcc, s2, v1
	s_and_saveexec_b64 s[2:3], vcc
	s_xor_b64 s[2:3], exec, s[2:3]
	s_cbranch_execz .LBB103_1562
; %bb.1542:
	s_movk_i32 s6, 0x80
	v_cmp_ne_u16_e32 vcc, s6, v1
	s_and_b64 s[6:7], vcc, exec
	s_andn2_saveexec_b64 s[2:3], s[2:3]
	s_cbranch_execnz .LBB103_1563
.LBB103_1543:
	s_or_b64 exec, exec, s[2:3]
	v_mov_b32_e32 v7, 0
	s_and_saveexec_b64 s[2:3], s[6:7]
	s_cbranch_execz .LBB103_1545
.LBB103_1544:
	v_lshlrev_b32_e32 v3, 24, v1
	v_and_b32_e32 v1, 0xffff, v1
	v_and_b32_e32 v5, 3, v1
	v_ffbh_u32_e32 v8, v5
	v_min_u32_e32 v8, 32, v8
	v_subrev_u32_e32 v10, 29, v8
	v_bfe_u32 v7, v1, 2, 5
	v_lshlrev_b32_e32 v1, v10, v1
	v_sub_u32_e32 v8, 30, v8
	v_and_b32_e32 v1, 3, v1
	v_cmp_eq_u32_e32 vcc, 0, v7
	v_cndmask_b32_e32 v7, v7, v8, vcc
	v_cndmask_b32_e32 v1, v5, v1, vcc
	v_mov_b32_e32 v5, 0x37800000
	v_lshlrev_b32_e32 v1, 21, v1
	v_and_b32_e32 v3, 0x80000000, v3
	v_lshl_add_u32 v5, v7, 23, v5
	v_or3_b32 v1, v3, v5, v1
	v_cvt_i32_f32_e32 v7, v1
.LBB103_1545:
	s_or_b64 exec, exec, s[2:3]
	s_mov_b64 s[2:3], 0
	s_branch .LBB103_1551
.LBB103_1546:
	s_mov_b64 s[2:3], -1
                                        ; implicit-def: $vgpr7
	s_branch .LBB103_1557
.LBB103_1547:
	s_andn2_saveexec_b64 s[6:7], s[6:7]
	s_cbranch_execz .LBB103_1532
.LBB103_1548:
	v_cmp_ne_u16_e32 vcc, 0, v1
	s_andn2_b64 s[10:11], s[10:11], exec
	s_and_b64 s[12:13], vcc, exec
	s_or_b64 s[10:11], s[10:11], s[12:13]
	s_or_b64 exec, exec, s[6:7]
	v_mov_b32_e32 v7, 0
	s_and_saveexec_b64 s[6:7], s[10:11]
	s_cbranch_execnz .LBB103_1533
	s_branch .LBB103_1534
.LBB103_1549:
	s_mov_b64 s[2:3], -1
                                        ; implicit-def: $vgpr7
	s_branch .LBB103_1554
.LBB103_1550:
	s_mov_b64 s[2:3], -1
                                        ; implicit-def: $vgpr7
.LBB103_1551:
	s_and_b64 vcc, exec, s[2:3]
	s_cbranch_vccz .LBB103_1553
; %bb.1552:
	global_load_ubyte v1, v[14:15], off
	s_mov_b32 s2, 0x7f800000
	s_waitcnt vmcnt(0)
	v_lshlrev_b32_e32 v1, 24, v1
	v_and_b32_e32 v3, 0x7f000000, v1
	v_ffbh_u32_e32 v5, v3
	v_min_u32_e32 v5, 32, v5
	v_sub_u32_e64 v5, v5, 4 clamp
	v_lshlrev_b32_e32 v8, v5, v3
	v_lshlrev_b32_e32 v5, 23, v5
	v_lshrrev_b32_e32 v8, 4, v8
	v_add_u32_e32 v7, 0x1000000, v3
	v_sub_u32_e32 v5, v8, v5
	v_ashrrev_i32_e32 v7, 8, v7
	v_add_u32_e32 v5, 0x3c000000, v5
	v_and_or_b32 v5, v7, s2, v5
	v_cmp_ne_u32_e32 vcc, 0, v3
	v_cndmask_b32_e32 v3, 0, v5, vcc
	s_brev_b32 s2, 1
	v_and_or_b32 v1, v1, s2, v3
	v_cvt_i32_f32_e32 v7, v1
.LBB103_1553:
	s_mov_b64 s[2:3], 0
.LBB103_1554:
	s_andn2_b64 vcc, exec, s[2:3]
	s_cbranch_vccnz .LBB103_1556
; %bb.1555:
	global_load_ubyte v1, v[14:15], off
	s_movk_i32 s2, 0x7f00
	s_brev_b32 s3, 16
	s_waitcnt vmcnt(0)
	v_lshlrev_b16_e32 v3, 8, v1
	v_lshlrev_b32_e32 v1, 25, v1
	v_lshrrev_b32_e32 v5, 4, v1
	v_and_or_b32 v7, v3, s2, 0.5
	v_or_b32_e32 v5, 0x70000000, v5
	v_add_f32_e32 v7, -0.5, v7
	v_mul_f32_e32 v5, 0x7800000, v5
	v_cmp_gt_u32_e32 vcc, s3, v1
	v_bfe_i32 v3, v3, 0, 16
	v_cndmask_b32_e32 v1, v5, v7, vcc
	s_brev_b32 s2, 1
	v_and_or_b32 v1, v3, s2, v1
	v_cvt_i32_f32_e32 v7, v1
.LBB103_1556:
	s_mov_b64 s[2:3], 0
	s_mov_b64 s[6:7], -1
.LBB103_1557:
	s_andn2_b64 vcc, exec, s[2:3]
	s_mov_b64 s[2:3], 0
	s_cbranch_vccnz .LBB103_1568
; %bb.1558:
	s_cmp_gt_i32 s14, 14
	s_cbranch_scc0 .LBB103_1561
; %bb.1559:
	s_cmp_eq_u32 s14, 15
	s_cbranch_scc0 .LBB103_1564
; %bb.1560:
	global_load_ushort v1, v[14:15], off
	s_mov_b64 s[0:1], 0
	s_mov_b64 s[6:7], -1
	s_waitcnt vmcnt(0)
	v_lshlrev_b32_e32 v1, 16, v1
	v_cvt_i32_f32_e32 v7, v1
	s_branch .LBB103_1565
.LBB103_1561:
	s_mov_b64 s[10:11], -1
                                        ; implicit-def: $vgpr7
	s_branch .LBB103_1566
.LBB103_1562:
	s_andn2_saveexec_b64 s[2:3], s[2:3]
	s_cbranch_execz .LBB103_1543
.LBB103_1563:
	v_cmp_ne_u16_e32 vcc, 0, v1
	s_andn2_b64 s[6:7], s[6:7], exec
	s_and_b64 s[10:11], vcc, exec
	s_or_b64 s[6:7], s[6:7], s[10:11]
	s_or_b64 exec, exec, s[2:3]
	v_mov_b32_e32 v7, 0
	s_and_saveexec_b64 s[2:3], s[6:7]
	s_cbranch_execnz .LBB103_1544
	s_branch .LBB103_1545
.LBB103_1564:
	s_mov_b64 s[0:1], -1
                                        ; implicit-def: $vgpr7
.LBB103_1565:
	s_mov_b64 s[10:11], 0
.LBB103_1566:
	s_and_b64 vcc, exec, s[10:11]
	s_cbranch_vccz .LBB103_1568
; %bb.1567:
	s_cmp_lg_u32 s14, 11
	s_mov_b64 s[2:3], -1
	s_cselect_b64 s[0:1], -1, 0
.LBB103_1568:
	s_and_b64 vcc, exec, s[0:1]
	s_cbranch_vccnz .LBB103_2101
; %bb.1569:
	s_andn2_b64 vcc, exec, s[2:3]
	s_cbranch_vccnz .LBB103_1571
.LBB103_1570:
	global_load_ubyte v1, v[14:15], off
	s_mov_b64 s[6:7], -1
	s_waitcnt vmcnt(0)
	v_cmp_ne_u16_e32 vcc, 0, v1
	v_cndmask_b32_e64 v7, 0, 1, vcc
.LBB103_1571:
	s_mov_b64 s[0:1], 0
.LBB103_1572:
	s_and_b64 vcc, exec, s[0:1]
	s_cbranch_vccz .LBB103_1621
; %bb.1573:
	s_cmp_lt_i32 s14, 5
	s_cbranch_scc1 .LBB103_1578
; %bb.1574:
	s_cmp_lt_i32 s14, 8
	s_cbranch_scc1 .LBB103_1579
	;; [unrolled: 3-line block ×3, first 2 shown]
; %bb.1576:
	s_cmp_gt_i32 s14, 9
	s_cbranch_scc0 .LBB103_1581
; %bb.1577:
	global_load_dwordx2 v[7:8], v[14:15], off
	s_mov_b64 s[0:1], 0
	s_waitcnt vmcnt(0)
	v_cvt_i32_f64_e32 v7, v[7:8]
	s_branch .LBB103_1582
.LBB103_1578:
	s_mov_b64 s[0:1], -1
                                        ; implicit-def: $vgpr7
	s_branch .LBB103_1600
.LBB103_1579:
	s_mov_b64 s[0:1], -1
                                        ; implicit-def: $vgpr7
	s_branch .LBB103_1588
.LBB103_1580:
	s_mov_b64 s[0:1], -1
                                        ; implicit-def: $vgpr7
	s_branch .LBB103_1585
.LBB103_1581:
	s_mov_b64 s[0:1], -1
                                        ; implicit-def: $vgpr7
.LBB103_1582:
	s_andn2_b64 vcc, exec, s[0:1]
	s_cbranch_vccnz .LBB103_1584
; %bb.1583:
	global_load_dword v1, v[14:15], off
	s_waitcnt vmcnt(0)
	v_cvt_i32_f32_e32 v7, v1
.LBB103_1584:
	s_mov_b64 s[0:1], 0
.LBB103_1585:
	s_andn2_b64 vcc, exec, s[0:1]
	s_cbranch_vccnz .LBB103_1587
; %bb.1586:
	global_load_dword v1, v[14:15], off
	s_waitcnt vmcnt(0)
	v_cvt_i16_f16_e32 v7, v1
.LBB103_1587:
	s_mov_b64 s[0:1], 0
.LBB103_1588:
	s_andn2_b64 vcc, exec, s[0:1]
	s_cbranch_vccnz .LBB103_1599
; %bb.1589:
	s_cmp_lt_i32 s14, 6
	s_cbranch_scc1 .LBB103_1592
; %bb.1590:
	s_cmp_gt_i32 s14, 6
	s_cbranch_scc0 .LBB103_1593
; %bb.1591:
	global_load_dwordx2 v[7:8], v[14:15], off
	s_mov_b64 s[0:1], 0
	s_waitcnt vmcnt(0)
	v_cvt_i32_f64_e32 v7, v[7:8]
	s_branch .LBB103_1594
.LBB103_1592:
	s_mov_b64 s[0:1], -1
                                        ; implicit-def: $vgpr7
	s_branch .LBB103_1597
.LBB103_1593:
	s_mov_b64 s[0:1], -1
                                        ; implicit-def: $vgpr7
.LBB103_1594:
	s_andn2_b64 vcc, exec, s[0:1]
	s_cbranch_vccnz .LBB103_1596
; %bb.1595:
	global_load_dword v1, v[14:15], off
	s_waitcnt vmcnt(0)
	v_cvt_i32_f32_e32 v7, v1
.LBB103_1596:
	s_mov_b64 s[0:1], 0
.LBB103_1597:
	s_andn2_b64 vcc, exec, s[0:1]
	s_cbranch_vccnz .LBB103_1599
; %bb.1598:
	global_load_ushort v1, v[14:15], off
	s_waitcnt vmcnt(0)
	v_cvt_i16_f16_e32 v7, v1
.LBB103_1599:
	s_mov_b64 s[0:1], 0
.LBB103_1600:
	s_andn2_b64 vcc, exec, s[0:1]
	s_cbranch_vccnz .LBB103_1620
; %bb.1601:
	s_cmp_lt_i32 s14, 2
	s_cbranch_scc1 .LBB103_1605
; %bb.1602:
	s_cmp_lt_i32 s14, 3
	s_cbranch_scc1 .LBB103_1606
; %bb.1603:
	s_cmp_gt_i32 s14, 3
	s_cbranch_scc0 .LBB103_1607
; %bb.1604:
	global_load_dwordx2 v[7:8], v[14:15], off
	s_mov_b64 s[0:1], 0
	s_branch .LBB103_1608
.LBB103_1605:
	s_mov_b64 s[0:1], -1
                                        ; implicit-def: $vgpr7
	s_branch .LBB103_1614
.LBB103_1606:
	s_mov_b64 s[0:1], -1
                                        ; implicit-def: $vgpr7
	s_branch .LBB103_1611
.LBB103_1607:
	s_mov_b64 s[0:1], -1
                                        ; implicit-def: $vgpr7
.LBB103_1608:
	s_andn2_b64 vcc, exec, s[0:1]
	s_cbranch_vccnz .LBB103_1610
; %bb.1609:
	global_load_dword v7, v[14:15], off
.LBB103_1610:
	s_mov_b64 s[0:1], 0
.LBB103_1611:
	s_andn2_b64 vcc, exec, s[0:1]
	s_cbranch_vccnz .LBB103_1613
; %bb.1612:
	global_load_ushort v7, v[14:15], off
.LBB103_1613:
	s_mov_b64 s[0:1], 0
.LBB103_1614:
	s_andn2_b64 vcc, exec, s[0:1]
	s_cbranch_vccnz .LBB103_1620
; %bb.1615:
	s_cmp_gt_i32 s14, 0
	s_cbranch_scc0 .LBB103_1617
; %bb.1616:
	global_load_sbyte v7, v[14:15], off
	s_mov_b64 s[0:1], 0
	s_branch .LBB103_1618
.LBB103_1617:
	s_mov_b64 s[0:1], -1
                                        ; implicit-def: $vgpr7
.LBB103_1618:
	s_andn2_b64 vcc, exec, s[0:1]
	s_cbranch_vccnz .LBB103_1620
; %bb.1619:
	global_load_ubyte v7, v[14:15], off
.LBB103_1620:
	s_mov_b64 s[6:7], -1
.LBB103_1621:
	s_andn2_b64 vcc, exec, s[6:7]
	s_cbranch_vccnz .LBB103_2055
; %bb.1622:
	s_load_dwordx2 s[0:1], s[34:35], 0x158
	v_mov_b32_e32 v3, s9
	v_add_co_u32_e32 v5, vcc, s8, v6
	v_addc_co_u32_e32 v6, vcc, 0, v3, vcc
	s_waitcnt lgkmcnt(0)
	s_lshr_b32 s17, s0, 16
	s_sext_i32_i16 s0, s0
	s_sext_i32_i16 s1, s1
	s_cmp_gt_i32 s1, s0
	v_mov_b32_e32 v1, s17
	s_cselect_b64 s[0:1], -1, 0
	s_bfe_u32 s18, s16, 0x80010
	v_cndmask_b32_e64 v1, v1, v13, s[0:1]
	s_cmp_lt_i32 s18, 11
	s_cbranch_scc1 .LBB103_1700
; %bb.1623:
	s_and_b32 s19, 0xffff, s18
	s_mov_b64 s[12:13], -1
	s_mov_b64 s[6:7], 0
	s_cmp_gt_i32 s19, 25
	s_mov_b64 s[10:11], 0
	s_mov_b64 s[2:3], 0
	s_cbranch_scc0 .LBB103_1656
; %bb.1624:
	s_cmp_gt_i32 s19, 28
	s_cbranch_scc0 .LBB103_1639
; %bb.1625:
	s_cmp_gt_i32 s19, 43
	;; [unrolled: 3-line block ×3, first 2 shown]
	s_cbranch_scc0 .LBB103_1629
; %bb.1627:
	s_mov_b64 s[2:3], -1
	s_mov_b64 s[12:13], 0
	s_cmp_eq_u32 s19, 46
	s_cbranch_scc0 .LBB103_1629
; %bb.1628:
	v_cvt_f32_i32_sdwa v3, sext(v1) dst_sel:DWORD dst_unused:UNUSED_PAD src0_sel:WORD_0
	s_movk_i32 s10, 0x7fff
	s_mov_b64 s[2:3], 0
	s_waitcnt vmcnt(0)
	v_bfe_u32 v8, v3, 16, 1
	v_add3_u32 v3, v3, v8, s10
	v_lshrrev_b32_e32 v3, 16, v3
	global_store_dword v[5:6], v3, off
	s_mov_b64 s[10:11], -1
.LBB103_1629:
	s_and_b64 vcc, exec, s[12:13]
	s_cbranch_vccz .LBB103_1634
; %bb.1630:
	s_cmp_eq_u32 s19, 44
	s_mov_b64 s[2:3], -1
	s_cbranch_scc0 .LBB103_1634
; %bb.1631:
	v_cvt_f32_i32_sdwa v3, sext(v1) dst_sel:DWORD dst_unused:UNUSED_PAD src0_sel:WORD_0
	s_movk_i32 s2, 0xff
	s_waitcnt vmcnt(0)
	v_mov_b32_e32 v10, 0xff
	v_bfe_u32 v8, v3, 23, 8
	v_cmp_ne_u32_e32 vcc, s2, v8
	s_and_saveexec_b64 s[10:11], vcc
; %bb.1632:
	s_mov_b32 s2, 0x3fffff
	v_lshrrev_b32_e32 v10, 23, v3
	v_and_b32_e32 v12, 0x400000, v3
	v_and_or_b32 v3, v3, s2, v8
	v_cmp_ne_u32_e32 vcc, 0, v12
	v_cmp_ne_u32_e64 s[2:3], 0, v3
	s_and_b64 s[2:3], vcc, s[2:3]
	v_cndmask_b32_e64 v3, 0, 1, s[2:3]
	v_add_u32_e32 v10, v10, v3
; %bb.1633:
	s_or_b64 exec, exec, s[10:11]
	s_mov_b64 s[2:3], 0
	s_mov_b64 s[10:11], -1
	global_store_byte v[5:6], v10, off
.LBB103_1634:
	s_mov_b64 s[12:13], 0
.LBB103_1635:
	s_and_b64 vcc, exec, s[12:13]
	s_cbranch_vccz .LBB103_1638
; %bb.1636:
	s_cmp_eq_u32 s19, 29
	s_mov_b64 s[2:3], -1
	s_cbranch_scc0 .LBB103_1638
; %bb.1637:
	s_waitcnt vmcnt(0)
	v_bfe_i32 v12, v1, 0, 16
	v_ashrrev_i32_e32 v13, 31, v12
	global_store_dwordx2 v[5:6], v[12:13], off
	s_mov_b64 s[2:3], 0
	s_mov_b64 s[10:11], -1
.LBB103_1638:
	s_mov_b64 s[12:13], 0
.LBB103_1639:
	s_and_b64 vcc, exec, s[12:13]
	s_cbranch_vccz .LBB103_1655
; %bb.1640:
	s_cmp_lt_i32 s19, 27
	s_mov_b64 s[10:11], -1
	s_cbranch_scc1 .LBB103_1646
; %bb.1641:
	s_cmp_gt_i32 s19, 27
	s_cbranch_scc0 .LBB103_1643
; %bb.1642:
	v_bfe_i32 v3, v1, 0, 16
	s_mov_b64 s[10:11], 0
	global_store_dword v[5:6], v3, off
.LBB103_1643:
	s_andn2_b64 vcc, exec, s[10:11]
	s_cbranch_vccnz .LBB103_1645
; %bb.1644:
	global_store_short v[5:6], v1, off
.LBB103_1645:
	s_mov_b64 s[10:11], 0
.LBB103_1646:
	s_andn2_b64 vcc, exec, s[10:11]
	s_cbranch_vccnz .LBB103_1654
; %bb.1647:
	v_cvt_f32_i32_sdwa v3, sext(v1) dst_sel:DWORD dst_unused:UNUSED_PAD src0_sel:WORD_0
	s_mov_b32 s10, 0x43800000
	s_waitcnt vmcnt(0)
	v_mov_b32_e32 v10, 0x80
	v_and_b32_e32 v8, 0x7fffffff, v3
	v_cmp_gt_u32_e32 vcc, s10, v8
	s_and_saveexec_b64 s[10:11], vcc
	s_cbranch_execz .LBB103_1653
; %bb.1648:
	s_mov_b32 s12, 0x3bffffff
	v_cmp_lt_u32_e32 vcc, s12, v8
	s_mov_b64 s[12:13], 0
                                        ; implicit-def: $vgpr8
	s_and_saveexec_b64 s[14:15], vcc
	s_xor_b64 s[14:15], exec, s[14:15]
	s_cbranch_execz .LBB103_2102
; %bb.1649:
	v_bfe_u32 v8, v3, 20, 1
	s_mov_b32 s20, 0x487ffff
	v_add3_u32 v8, v3, v8, s20
	s_mov_b64 s[12:13], exec
	v_lshrrev_b32_e32 v8, 20, v8
	s_andn2_saveexec_b64 s[14:15], s[14:15]
	s_cbranch_execnz .LBB103_2103
.LBB103_1650:
	s_or_b64 exec, exec, s[14:15]
	v_mov_b32_e32 v10, 0
	s_and_saveexec_b64 s[14:15], s[12:13]
.LBB103_1651:
	v_lshrrev_b32_e32 v3, 24, v3
	s_movk_i32 s12, 0x80
	v_and_or_b32 v10, v3, s12, v8
.LBB103_1652:
	s_or_b64 exec, exec, s[14:15]
.LBB103_1653:
	s_or_b64 exec, exec, s[10:11]
	global_store_byte v[5:6], v10, off
.LBB103_1654:
	s_mov_b64 s[10:11], -1
.LBB103_1655:
	s_mov_b64 s[12:13], 0
.LBB103_1656:
	s_and_b64 vcc, exec, s[12:13]
	s_cbranch_vccz .LBB103_1696
; %bb.1657:
	s_cmp_gt_i32 s19, 22
	s_mov_b64 s[6:7], -1
	s_cbranch_scc0 .LBB103_1689
; %bb.1658:
	s_cmp_lt_i32 s19, 24
	s_cbranch_scc1 .LBB103_1678
; %bb.1659:
	s_cmp_gt_i32 s19, 24
	s_cbranch_scc0 .LBB103_1667
; %bb.1660:
	v_cvt_f32_i32_sdwa v3, sext(v1) dst_sel:DWORD dst_unused:UNUSED_PAD src0_sel:WORD_0
	s_mov_b32 s6, 0x47800000
	s_waitcnt vmcnt(0)
	v_mov_b32_e32 v10, 0x80
	v_and_b32_e32 v8, 0x7fffffff, v3
	v_cmp_gt_u32_e32 vcc, s6, v8
	s_and_saveexec_b64 s[6:7], vcc
	s_cbranch_execz .LBB103_1666
; %bb.1661:
	s_mov_b32 s10, 0x37ffffff
	v_cmp_lt_u32_e32 vcc, s10, v8
	s_mov_b64 s[10:11], 0
                                        ; implicit-def: $vgpr8
	s_and_saveexec_b64 s[12:13], vcc
	s_xor_b64 s[12:13], exec, s[12:13]
	s_cbranch_execz .LBB103_2105
; %bb.1662:
	v_bfe_u32 v8, v3, 21, 1
	s_mov_b32 s14, 0x88fffff
	v_add3_u32 v8, v3, v8, s14
	s_mov_b64 s[10:11], exec
	v_lshrrev_b32_e32 v8, 21, v8
	s_andn2_saveexec_b64 s[12:13], s[12:13]
	s_cbranch_execnz .LBB103_2106
.LBB103_1663:
	s_or_b64 exec, exec, s[12:13]
	v_mov_b32_e32 v10, 0
	s_and_saveexec_b64 s[12:13], s[10:11]
.LBB103_1664:
	v_lshrrev_b32_e32 v3, 24, v3
	s_movk_i32 s10, 0x80
	v_and_or_b32 v10, v3, s10, v8
.LBB103_1665:
	s_or_b64 exec, exec, s[12:13]
.LBB103_1666:
	s_or_b64 exec, exec, s[6:7]
	s_mov_b64 s[6:7], 0
	global_store_byte v[5:6], v10, off
.LBB103_1667:
	s_and_b64 vcc, exec, s[6:7]
	s_cbranch_vccz .LBB103_1677
; %bb.1668:
	v_cvt_f32_i32_sdwa v3, sext(v1) dst_sel:DWORD dst_unused:UNUSED_PAD src0_sel:WORD_0
	s_mov_b32 s6, 0x43f00000
                                        ; implicit-def: $vgpr8
	s_waitcnt vmcnt(0)
	v_and_b32_e32 v10, 0x7fffffff, v3
	v_cmp_gt_u32_e32 vcc, s6, v10
	s_and_saveexec_b64 s[6:7], vcc
	s_xor_b64 s[6:7], exec, s[6:7]
	s_cbranch_execz .LBB103_1674
; %bb.1669:
	s_mov_b32 s10, 0x3c7fffff
	v_cmp_lt_u32_e32 vcc, s10, v10
                                        ; implicit-def: $vgpr8
	s_and_saveexec_b64 s[10:11], vcc
	s_xor_b64 s[10:11], exec, s[10:11]
; %bb.1670:
	v_bfe_u32 v8, v3, 20, 1
	s_mov_b32 s12, 0x407ffff
	v_add3_u32 v8, v3, v8, s12
	v_lshrrev_b32_e32 v10, 20, v8
	v_and_b32_e32 v8, 0xff00000, v8
	s_mov_b32 s12, 0x7f00000
	v_mov_b32_e32 v12, 0x7e
	v_cmp_ne_u32_e32 vcc, s12, v8
	v_cndmask_b32_e32 v8, v12, v10, vcc
; %bb.1671:
	s_andn2_saveexec_b64 s[10:11], s[10:11]
; %bb.1672:
	s_mov_b32 s12, 0x46800000
	v_add_f32_e64 v8, |v3|, s12
; %bb.1673:
	s_or_b64 exec, exec, s[10:11]
                                        ; implicit-def: $vgpr10
.LBB103_1674:
	s_andn2_saveexec_b64 s[6:7], s[6:7]
; %bb.1675:
	s_mov_b32 s10, 0x7f800000
	v_mov_b32_e32 v8, 0x7e
	v_mov_b32_e32 v12, 0x7f
	v_cmp_lt_u32_e32 vcc, s10, v10
	v_cndmask_b32_e32 v8, v8, v12, vcc
; %bb.1676:
	s_or_b64 exec, exec, s[6:7]
	v_lshrrev_b32_e32 v3, 24, v3
	s_movk_i32 s6, 0x80
	v_and_or_b32 v3, v3, s6, v8
	global_store_byte v[5:6], v3, off
.LBB103_1677:
	s_mov_b64 s[6:7], 0
.LBB103_1678:
	s_andn2_b64 vcc, exec, s[6:7]
	s_cbranch_vccnz .LBB103_1688
; %bb.1679:
	v_cvt_f32_i32_sdwa v3, sext(v1) dst_sel:DWORD dst_unused:UNUSED_PAD src0_sel:WORD_0
	s_mov_b32 s6, 0x47800000
                                        ; implicit-def: $vgpr8
	s_waitcnt vmcnt(0)
	v_and_b32_e32 v10, 0x7fffffff, v3
	v_cmp_gt_u32_e32 vcc, s6, v10
	s_and_saveexec_b64 s[6:7], vcc
	s_xor_b64 s[6:7], exec, s[6:7]
	s_cbranch_execz .LBB103_1685
; %bb.1680:
	s_mov_b32 s10, 0x387fffff
	v_cmp_lt_u32_e32 vcc, s10, v10
                                        ; implicit-def: $vgpr8
	s_and_saveexec_b64 s[10:11], vcc
	s_xor_b64 s[10:11], exec, s[10:11]
; %bb.1681:
	v_bfe_u32 v8, v3, 21, 1
	s_mov_b32 s12, 0x80fffff
	v_add3_u32 v8, v3, v8, s12
	v_lshrrev_b32_e32 v8, 21, v8
; %bb.1682:
	s_andn2_saveexec_b64 s[10:11], s[10:11]
; %bb.1683:
	s_mov_b32 s12, 0x43000000
	v_add_f32_e64 v8, |v3|, s12
; %bb.1684:
	s_or_b64 exec, exec, s[10:11]
                                        ; implicit-def: $vgpr10
.LBB103_1685:
	s_andn2_saveexec_b64 s[6:7], s[6:7]
; %bb.1686:
	s_mov_b32 s10, 0x7f800000
	v_mov_b32_e32 v8, 0x7c
	v_mov_b32_e32 v12, 0x7f
	v_cmp_lt_u32_e32 vcc, s10, v10
	v_cndmask_b32_e32 v8, v8, v12, vcc
; %bb.1687:
	s_or_b64 exec, exec, s[6:7]
	v_lshrrev_b32_e32 v3, 24, v3
	s_movk_i32 s6, 0x80
	v_and_or_b32 v3, v3, s6, v8
	global_store_byte v[5:6], v3, off
.LBB103_1688:
	s_mov_b64 s[6:7], 0
	s_mov_b64 s[10:11], -1
.LBB103_1689:
	s_andn2_b64 vcc, exec, s[6:7]
	s_mov_b64 s[6:7], 0
	s_cbranch_vccnz .LBB103_1696
; %bb.1690:
	s_cmp_gt_i32 s19, 14
	s_mov_b64 s[12:13], -1
	s_cbranch_scc0 .LBB103_1694
; %bb.1691:
	s_cmp_eq_u32 s19, 15
	s_mov_b64 s[2:3], -1
	s_cbranch_scc0 .LBB103_1693
; %bb.1692:
	v_cvt_f32_i32_sdwa v3, sext(v1) dst_sel:DWORD dst_unused:UNUSED_PAD src0_sel:WORD_0
	s_movk_i32 s6, 0x7fff
	s_mov_b64 s[2:3], 0
	s_mov_b64 s[10:11], -1
	s_waitcnt vmcnt(0)
	v_bfe_u32 v8, v3, 16, 1
	v_add3_u32 v3, v3, v8, s6
	global_store_short_d16_hi v[5:6], v3, off
.LBB103_1693:
	s_mov_b64 s[12:13], 0
.LBB103_1694:
	s_mov_b64 s[6:7], 0
	s_and_b64 vcc, exec, s[12:13]
	s_cbranch_vccz .LBB103_1696
; %bb.1695:
	s_cmp_lg_u32 s19, 11
	s_mov_b64 s[6:7], -1
	s_cselect_b64 s[2:3], -1, 0
.LBB103_1696:
	s_and_b64 vcc, exec, s[2:3]
	s_cbranch_vccnz .LBB103_2104
; %bb.1697:
	s_andn2_b64 vcc, exec, s[6:7]
	s_cbranch_vccnz .LBB103_1699
.LBB103_1698:
	v_cmp_ne_u16_e32 vcc, 0, v1
	v_cndmask_b32_e64 v3, 0, 1, vcc
	s_mov_b64 s[10:11], -1
	global_store_byte v[5:6], v3, off
.LBB103_1699:
	s_mov_b64 s[2:3], 0
	s_branch .LBB103_1701
.LBB103_1700:
	s_mov_b64 s[2:3], -1
	s_mov_b64 s[10:11], 0
.LBB103_1701:
	s_and_b64 vcc, exec, s[2:3]
	s_cbranch_vccz .LBB103_1740
; %bb.1702:
	s_and_b32 s6, 0xffff, s18
	s_cmp_lt_i32 s6, 5
	s_mov_b64 s[2:3], -1
	s_cbranch_scc1 .LBB103_1723
; %bb.1703:
	s_cmp_lt_i32 s6, 8
	s_cbranch_scc1 .LBB103_1713
; %bb.1704:
	s_cmp_lt_i32 s6, 9
	s_cbranch_scc1 .LBB103_1710
; %bb.1705:
	s_cmp_gt_i32 s6, 9
	s_cbranch_scc0 .LBB103_1707
; %bb.1706:
	v_bfe_i32 v3, v1, 0, 16
	s_waitcnt vmcnt(0)
	v_cvt_f64_i32_e32 v[12:13], v3
	v_mov_b32_e32 v14, 0
	v_mov_b32_e32 v15, v14
	s_mov_b64 s[2:3], 0
	global_store_dwordx4 v[5:6], v[12:15], off
.LBB103_1707:
	s_andn2_b64 vcc, exec, s[2:3]
	s_cbranch_vccnz .LBB103_1709
; %bb.1708:
	s_waitcnt vmcnt(0)
	v_cvt_f32_i32_sdwa v12, sext(v1) dst_sel:DWORD dst_unused:UNUSED_PAD src0_sel:WORD_0
	v_mov_b32_e32 v13, 0
	global_store_dwordx2 v[5:6], v[12:13], off
.LBB103_1709:
	s_mov_b64 s[2:3], 0
.LBB103_1710:
	s_andn2_b64 vcc, exec, s[2:3]
	s_cbranch_vccnz .LBB103_1712
; %bb.1711:
	v_cvt_f16_i16_e32 v3, v1
	global_store_dword v[5:6], v3, off
.LBB103_1712:
	s_mov_b64 s[2:3], 0
.LBB103_1713:
	s_andn2_b64 vcc, exec, s[2:3]
	s_cbranch_vccnz .LBB103_1722
; %bb.1714:
	s_cmp_lt_i32 s6, 6
	s_mov_b64 s[2:3], -1
	s_cbranch_scc1 .LBB103_1720
; %bb.1715:
	s_cmp_gt_i32 s6, 6
	s_cbranch_scc0 .LBB103_1717
; %bb.1716:
	v_bfe_i32 v3, v1, 0, 16
	s_waitcnt vmcnt(0)
	v_cvt_f64_i32_e32 v[12:13], v3
	s_mov_b64 s[2:3], 0
	global_store_dwordx2 v[5:6], v[12:13], off
.LBB103_1717:
	s_andn2_b64 vcc, exec, s[2:3]
	s_cbranch_vccnz .LBB103_1719
; %bb.1718:
	v_cvt_f32_i32_sdwa v3, sext(v1) dst_sel:DWORD dst_unused:UNUSED_PAD src0_sel:WORD_0
	global_store_dword v[5:6], v3, off
.LBB103_1719:
	s_mov_b64 s[2:3], 0
.LBB103_1720:
	s_andn2_b64 vcc, exec, s[2:3]
	s_cbranch_vccnz .LBB103_1722
; %bb.1721:
	v_cvt_f16_i16_e32 v3, v1
	global_store_short v[5:6], v3, off
.LBB103_1722:
	s_mov_b64 s[2:3], 0
.LBB103_1723:
	s_andn2_b64 vcc, exec, s[2:3]
	s_cbranch_vccnz .LBB103_1739
; %bb.1724:
	s_cmp_lt_i32 s6, 2
	s_mov_b64 s[2:3], -1
	s_cbranch_scc1 .LBB103_1734
; %bb.1725:
	s_cmp_lt_i32 s6, 3
	s_cbranch_scc1 .LBB103_1731
; %bb.1726:
	s_cmp_gt_i32 s6, 3
	s_waitcnt vmcnt(0)
	v_bfe_i32 v12, v1, 0, 16
	s_cbranch_scc0 .LBB103_1728
; %bb.1727:
	v_ashrrev_i32_e32 v13, 31, v12
	global_store_dwordx2 v[5:6], v[12:13], off
	s_mov_b64 s[2:3], 0
.LBB103_1728:
	s_andn2_b64 vcc, exec, s[2:3]
	s_cbranch_vccnz .LBB103_1730
; %bb.1729:
	global_store_dword v[5:6], v12, off
.LBB103_1730:
	s_mov_b64 s[2:3], 0
.LBB103_1731:
	s_andn2_b64 vcc, exec, s[2:3]
	s_cbranch_vccnz .LBB103_1733
; %bb.1732:
	global_store_short v[5:6], v1, off
.LBB103_1733:
	s_mov_b64 s[2:3], 0
.LBB103_1734:
	s_andn2_b64 vcc, exec, s[2:3]
	s_cbranch_vccnz .LBB103_1739
; %bb.1735:
	s_cmp_gt_i32 s6, 0
	s_mov_b64 s[2:3], -1
	s_cbranch_scc0 .LBB103_1737
; %bb.1736:
	global_store_byte v[5:6], v1, off
	s_mov_b64 s[2:3], 0
.LBB103_1737:
	s_andn2_b64 vcc, exec, s[2:3]
	s_cbranch_vccnz .LBB103_1739
; %bb.1738:
	global_store_byte v[5:6], v1, off
.LBB103_1739:
	s_mov_b64 s[10:11], -1
.LBB103_1740:
	s_andn2_b64 vcc, exec, s[10:11]
	s_cbranch_vccnz .LBB103_2055
; %bb.1741:
	s_lshr_b32 s2, s16, 16
	s_and_b32 s16, s2, 0xff
	v_mov_b32_e32 v1, s17
	v_mov_b32_e32 v5, s9
	v_add_co_u32_e32 v3, vcc, s8, v4
	s_waitcnt vmcnt(0)
	v_cndmask_b32_e64 v1, v1, v11, s[0:1]
	s_cmp_lt_i32 s16, 11
	v_addc_co_u32_e32 v4, vcc, 0, v5, vcc
	s_cbranch_scc1 .LBB103_1819
; %bb.1742:
	s_and_b32 s18, 0xffff, s16
	s_mov_b64 s[12:13], -1
	s_mov_b64 s[6:7], 0
	s_cmp_gt_i32 s18, 25
	s_mov_b64 s[10:11], 0
	s_mov_b64 s[2:3], 0
	s_cbranch_scc0 .LBB103_1775
; %bb.1743:
	s_cmp_gt_i32 s18, 28
	s_cbranch_scc0 .LBB103_1758
; %bb.1744:
	s_cmp_gt_i32 s18, 43
	;; [unrolled: 3-line block ×3, first 2 shown]
	s_cbranch_scc0 .LBB103_1748
; %bb.1746:
	s_mov_b64 s[2:3], -1
	s_mov_b64 s[12:13], 0
	s_cmp_eq_u32 s18, 46
	s_cbranch_scc0 .LBB103_1748
; %bb.1747:
	v_cvt_f32_i32_sdwa v5, sext(v1) dst_sel:DWORD dst_unused:UNUSED_PAD src0_sel:WORD_0
	s_movk_i32 s10, 0x7fff
	s_mov_b64 s[2:3], 0
	v_bfe_u32 v6, v5, 16, 1
	v_add3_u32 v5, v5, v6, s10
	v_lshrrev_b32_e32 v5, 16, v5
	global_store_dword v[3:4], v5, off
	s_mov_b64 s[10:11], -1
.LBB103_1748:
	s_and_b64 vcc, exec, s[12:13]
	s_cbranch_vccz .LBB103_1753
; %bb.1749:
	s_cmp_eq_u32 s18, 44
	s_mov_b64 s[2:3], -1
	s_cbranch_scc0 .LBB103_1753
; %bb.1750:
	v_cvt_f32_i32_sdwa v5, sext(v1) dst_sel:DWORD dst_unused:UNUSED_PAD src0_sel:WORD_0
	s_movk_i32 s2, 0xff
	v_mov_b32_e32 v8, 0xff
	v_bfe_u32 v6, v5, 23, 8
	v_cmp_ne_u32_e32 vcc, s2, v6
	s_and_saveexec_b64 s[10:11], vcc
; %bb.1751:
	s_mov_b32 s2, 0x3fffff
	v_lshrrev_b32_e32 v8, 23, v5
	v_and_b32_e32 v10, 0x400000, v5
	v_and_or_b32 v5, v5, s2, v6
	v_cmp_ne_u32_e32 vcc, 0, v10
	v_cmp_ne_u32_e64 s[2:3], 0, v5
	s_and_b64 s[2:3], vcc, s[2:3]
	v_cndmask_b32_e64 v5, 0, 1, s[2:3]
	v_add_u32_e32 v8, v8, v5
; %bb.1752:
	s_or_b64 exec, exec, s[10:11]
	s_mov_b64 s[2:3], 0
	s_mov_b64 s[10:11], -1
	global_store_byte v[3:4], v8, off
.LBB103_1753:
	s_mov_b64 s[12:13], 0
.LBB103_1754:
	s_and_b64 vcc, exec, s[12:13]
	s_cbranch_vccz .LBB103_1757
; %bb.1755:
	s_cmp_eq_u32 s18, 29
	s_mov_b64 s[2:3], -1
	s_cbranch_scc0 .LBB103_1757
; %bb.1756:
	v_bfe_i32 v5, v1, 0, 16
	v_ashrrev_i32_e32 v6, 31, v5
	global_store_dwordx2 v[3:4], v[5:6], off
	s_mov_b64 s[2:3], 0
	s_mov_b64 s[10:11], -1
.LBB103_1757:
	s_mov_b64 s[12:13], 0
.LBB103_1758:
	s_and_b64 vcc, exec, s[12:13]
	s_cbranch_vccz .LBB103_1774
; %bb.1759:
	s_cmp_lt_i32 s18, 27
	s_mov_b64 s[10:11], -1
	s_cbranch_scc1 .LBB103_1765
; %bb.1760:
	s_cmp_gt_i32 s18, 27
	s_cbranch_scc0 .LBB103_1762
; %bb.1761:
	v_bfe_i32 v5, v1, 0, 16
	s_mov_b64 s[10:11], 0
	global_store_dword v[3:4], v5, off
.LBB103_1762:
	s_andn2_b64 vcc, exec, s[10:11]
	s_cbranch_vccnz .LBB103_1764
; %bb.1763:
	global_store_short v[3:4], v1, off
.LBB103_1764:
	s_mov_b64 s[10:11], 0
.LBB103_1765:
	s_andn2_b64 vcc, exec, s[10:11]
	s_cbranch_vccnz .LBB103_1773
; %bb.1766:
	v_cvt_f32_i32_sdwa v5, sext(v1) dst_sel:DWORD dst_unused:UNUSED_PAD src0_sel:WORD_0
	s_mov_b32 s10, 0x43800000
	v_mov_b32_e32 v8, 0x80
	v_and_b32_e32 v6, 0x7fffffff, v5
	v_cmp_gt_u32_e32 vcc, s10, v6
	s_and_saveexec_b64 s[10:11], vcc
	s_cbranch_execz .LBB103_1772
; %bb.1767:
	s_mov_b32 s12, 0x3bffffff
	v_cmp_lt_u32_e32 vcc, s12, v6
	s_mov_b64 s[12:13], 0
                                        ; implicit-def: $vgpr6
	s_and_saveexec_b64 s[14:15], vcc
	s_xor_b64 s[14:15], exec, s[14:15]
	s_cbranch_execz .LBB103_2107
; %bb.1768:
	v_bfe_u32 v6, v5, 20, 1
	s_mov_b32 s19, 0x487ffff
	v_add3_u32 v6, v5, v6, s19
	s_mov_b64 s[12:13], exec
	v_lshrrev_b32_e32 v6, 20, v6
	s_andn2_saveexec_b64 s[14:15], s[14:15]
	s_cbranch_execnz .LBB103_2108
.LBB103_1769:
	s_or_b64 exec, exec, s[14:15]
	v_mov_b32_e32 v8, 0
	s_and_saveexec_b64 s[14:15], s[12:13]
.LBB103_1770:
	v_lshrrev_b32_e32 v5, 24, v5
	s_movk_i32 s12, 0x80
	v_and_or_b32 v8, v5, s12, v6
.LBB103_1771:
	s_or_b64 exec, exec, s[14:15]
.LBB103_1772:
	s_or_b64 exec, exec, s[10:11]
	global_store_byte v[3:4], v8, off
.LBB103_1773:
	s_mov_b64 s[10:11], -1
.LBB103_1774:
	s_mov_b64 s[12:13], 0
.LBB103_1775:
	s_and_b64 vcc, exec, s[12:13]
	s_cbranch_vccz .LBB103_1815
; %bb.1776:
	s_cmp_gt_i32 s18, 22
	s_mov_b64 s[6:7], -1
	s_cbranch_scc0 .LBB103_1808
; %bb.1777:
	s_cmp_lt_i32 s18, 24
	s_cbranch_scc1 .LBB103_1797
; %bb.1778:
	s_cmp_gt_i32 s18, 24
	s_cbranch_scc0 .LBB103_1786
; %bb.1779:
	v_cvt_f32_i32_sdwa v5, sext(v1) dst_sel:DWORD dst_unused:UNUSED_PAD src0_sel:WORD_0
	s_mov_b32 s6, 0x47800000
	v_mov_b32_e32 v8, 0x80
	v_and_b32_e32 v6, 0x7fffffff, v5
	v_cmp_gt_u32_e32 vcc, s6, v6
	s_and_saveexec_b64 s[6:7], vcc
	s_cbranch_execz .LBB103_1785
; %bb.1780:
	s_mov_b32 s10, 0x37ffffff
	v_cmp_lt_u32_e32 vcc, s10, v6
	s_mov_b64 s[10:11], 0
                                        ; implicit-def: $vgpr6
	s_and_saveexec_b64 s[12:13], vcc
	s_xor_b64 s[12:13], exec, s[12:13]
	s_cbranch_execz .LBB103_2110
; %bb.1781:
	v_bfe_u32 v6, v5, 21, 1
	s_mov_b32 s14, 0x88fffff
	v_add3_u32 v6, v5, v6, s14
	s_mov_b64 s[10:11], exec
	v_lshrrev_b32_e32 v6, 21, v6
	s_andn2_saveexec_b64 s[12:13], s[12:13]
	s_cbranch_execnz .LBB103_2111
.LBB103_1782:
	s_or_b64 exec, exec, s[12:13]
	v_mov_b32_e32 v8, 0
	s_and_saveexec_b64 s[12:13], s[10:11]
.LBB103_1783:
	v_lshrrev_b32_e32 v5, 24, v5
	s_movk_i32 s10, 0x80
	v_and_or_b32 v8, v5, s10, v6
.LBB103_1784:
	s_or_b64 exec, exec, s[12:13]
.LBB103_1785:
	s_or_b64 exec, exec, s[6:7]
	s_mov_b64 s[6:7], 0
	global_store_byte v[3:4], v8, off
.LBB103_1786:
	s_and_b64 vcc, exec, s[6:7]
	s_cbranch_vccz .LBB103_1796
; %bb.1787:
	v_cvt_f32_i32_sdwa v5, sext(v1) dst_sel:DWORD dst_unused:UNUSED_PAD src0_sel:WORD_0
	s_mov_b32 s6, 0x43f00000
                                        ; implicit-def: $vgpr6
	v_and_b32_e32 v8, 0x7fffffff, v5
	v_cmp_gt_u32_e32 vcc, s6, v8
	s_and_saveexec_b64 s[6:7], vcc
	s_xor_b64 s[6:7], exec, s[6:7]
	s_cbranch_execz .LBB103_1793
; %bb.1788:
	s_mov_b32 s10, 0x3c7fffff
	v_cmp_lt_u32_e32 vcc, s10, v8
                                        ; implicit-def: $vgpr6
	s_and_saveexec_b64 s[10:11], vcc
	s_xor_b64 s[10:11], exec, s[10:11]
; %bb.1789:
	v_bfe_u32 v6, v5, 20, 1
	s_mov_b32 s12, 0x407ffff
	v_add3_u32 v6, v5, v6, s12
	v_lshrrev_b32_e32 v8, 20, v6
	v_and_b32_e32 v6, 0xff00000, v6
	s_mov_b32 s12, 0x7f00000
	v_mov_b32_e32 v10, 0x7e
	v_cmp_ne_u32_e32 vcc, s12, v6
	v_cndmask_b32_e32 v6, v10, v8, vcc
; %bb.1790:
	s_andn2_saveexec_b64 s[10:11], s[10:11]
; %bb.1791:
	s_mov_b32 s12, 0x46800000
	v_add_f32_e64 v6, |v5|, s12
; %bb.1792:
	s_or_b64 exec, exec, s[10:11]
                                        ; implicit-def: $vgpr8
.LBB103_1793:
	s_andn2_saveexec_b64 s[6:7], s[6:7]
; %bb.1794:
	s_mov_b32 s10, 0x7f800000
	v_mov_b32_e32 v6, 0x7e
	v_mov_b32_e32 v10, 0x7f
	v_cmp_lt_u32_e32 vcc, s10, v8
	v_cndmask_b32_e32 v6, v6, v10, vcc
; %bb.1795:
	s_or_b64 exec, exec, s[6:7]
	v_lshrrev_b32_e32 v5, 24, v5
	s_movk_i32 s6, 0x80
	v_and_or_b32 v5, v5, s6, v6
	global_store_byte v[3:4], v5, off
.LBB103_1796:
	s_mov_b64 s[6:7], 0
.LBB103_1797:
	s_andn2_b64 vcc, exec, s[6:7]
	s_cbranch_vccnz .LBB103_1807
; %bb.1798:
	v_cvt_f32_i32_sdwa v5, sext(v1) dst_sel:DWORD dst_unused:UNUSED_PAD src0_sel:WORD_0
	s_mov_b32 s6, 0x47800000
                                        ; implicit-def: $vgpr6
	v_and_b32_e32 v8, 0x7fffffff, v5
	v_cmp_gt_u32_e32 vcc, s6, v8
	s_and_saveexec_b64 s[6:7], vcc
	s_xor_b64 s[6:7], exec, s[6:7]
	s_cbranch_execz .LBB103_1804
; %bb.1799:
	s_mov_b32 s10, 0x387fffff
	v_cmp_lt_u32_e32 vcc, s10, v8
                                        ; implicit-def: $vgpr6
	s_and_saveexec_b64 s[10:11], vcc
	s_xor_b64 s[10:11], exec, s[10:11]
; %bb.1800:
	v_bfe_u32 v6, v5, 21, 1
	s_mov_b32 s12, 0x80fffff
	v_add3_u32 v6, v5, v6, s12
	v_lshrrev_b32_e32 v6, 21, v6
; %bb.1801:
	s_andn2_saveexec_b64 s[10:11], s[10:11]
; %bb.1802:
	s_mov_b32 s12, 0x43000000
	v_add_f32_e64 v6, |v5|, s12
; %bb.1803:
	s_or_b64 exec, exec, s[10:11]
                                        ; implicit-def: $vgpr8
.LBB103_1804:
	s_andn2_saveexec_b64 s[6:7], s[6:7]
; %bb.1805:
	s_mov_b32 s10, 0x7f800000
	v_mov_b32_e32 v6, 0x7c
	v_mov_b32_e32 v10, 0x7f
	v_cmp_lt_u32_e32 vcc, s10, v8
	v_cndmask_b32_e32 v6, v6, v10, vcc
; %bb.1806:
	s_or_b64 exec, exec, s[6:7]
	v_lshrrev_b32_e32 v5, 24, v5
	s_movk_i32 s6, 0x80
	v_and_or_b32 v5, v5, s6, v6
	global_store_byte v[3:4], v5, off
.LBB103_1807:
	s_mov_b64 s[6:7], 0
	s_mov_b64 s[10:11], -1
.LBB103_1808:
	s_andn2_b64 vcc, exec, s[6:7]
	s_mov_b64 s[6:7], 0
	s_cbranch_vccnz .LBB103_1815
; %bb.1809:
	s_cmp_gt_i32 s18, 14
	s_mov_b64 s[12:13], -1
	s_cbranch_scc0 .LBB103_1813
; %bb.1810:
	s_cmp_eq_u32 s18, 15
	s_mov_b64 s[2:3], -1
	s_cbranch_scc0 .LBB103_1812
; %bb.1811:
	v_cvt_f32_i32_sdwa v5, sext(v1) dst_sel:DWORD dst_unused:UNUSED_PAD src0_sel:WORD_0
	s_movk_i32 s6, 0x7fff
	s_mov_b64 s[2:3], 0
	s_mov_b64 s[10:11], -1
	v_bfe_u32 v6, v5, 16, 1
	v_add3_u32 v5, v5, v6, s6
	global_store_short_d16_hi v[3:4], v5, off
.LBB103_1812:
	s_mov_b64 s[12:13], 0
.LBB103_1813:
	s_mov_b64 s[6:7], 0
	s_and_b64 vcc, exec, s[12:13]
	s_cbranch_vccz .LBB103_1815
; %bb.1814:
	s_cmp_lg_u32 s18, 11
	s_mov_b64 s[6:7], -1
	s_cselect_b64 s[2:3], -1, 0
.LBB103_1815:
	s_and_b64 vcc, exec, s[2:3]
	s_cbranch_vccnz .LBB103_2109
; %bb.1816:
	s_andn2_b64 vcc, exec, s[6:7]
	s_cbranch_vccnz .LBB103_1818
.LBB103_1817:
	v_cmp_ne_u16_e32 vcc, 0, v1
	v_cndmask_b32_e64 v5, 0, 1, vcc
	s_mov_b64 s[10:11], -1
	global_store_byte v[3:4], v5, off
.LBB103_1818:
	s_mov_b64 s[2:3], 0
	s_branch .LBB103_1820
.LBB103_1819:
	s_mov_b64 s[2:3], -1
	s_mov_b64 s[10:11], 0
.LBB103_1820:
	s_and_b64 vcc, exec, s[2:3]
	s_cbranch_vccz .LBB103_1859
; %bb.1821:
	s_and_b32 s6, 0xffff, s16
	s_cmp_lt_i32 s6, 5
	s_mov_b64 s[2:3], -1
	s_cbranch_scc1 .LBB103_1842
; %bb.1822:
	s_cmp_lt_i32 s6, 8
	s_cbranch_scc1 .LBB103_1832
; %bb.1823:
	s_cmp_lt_i32 s6, 9
	s_cbranch_scc1 .LBB103_1829
; %bb.1824:
	s_cmp_gt_i32 s6, 9
	s_cbranch_scc0 .LBB103_1826
; %bb.1825:
	v_bfe_i32 v5, v1, 0, 16
	v_cvt_f64_i32_e32 v[10:11], v5
	v_mov_b32_e32 v12, 0
	v_mov_b32_e32 v13, v12
	s_mov_b64 s[2:3], 0
	global_store_dwordx4 v[3:4], v[10:13], off
.LBB103_1826:
	s_andn2_b64 vcc, exec, s[2:3]
	s_cbranch_vccnz .LBB103_1828
; %bb.1827:
	v_cvt_f32_i32_sdwa v5, sext(v1) dst_sel:DWORD dst_unused:UNUSED_PAD src0_sel:WORD_0
	v_mov_b32_e32 v6, 0
	global_store_dwordx2 v[3:4], v[5:6], off
.LBB103_1828:
	s_mov_b64 s[2:3], 0
.LBB103_1829:
	s_andn2_b64 vcc, exec, s[2:3]
	s_cbranch_vccnz .LBB103_1831
; %bb.1830:
	v_cvt_f16_i16_e32 v5, v1
	global_store_dword v[3:4], v5, off
.LBB103_1831:
	s_mov_b64 s[2:3], 0
.LBB103_1832:
	s_andn2_b64 vcc, exec, s[2:3]
	s_cbranch_vccnz .LBB103_1841
; %bb.1833:
	s_cmp_lt_i32 s6, 6
	s_mov_b64 s[2:3], -1
	s_cbranch_scc1 .LBB103_1839
; %bb.1834:
	s_cmp_gt_i32 s6, 6
	s_cbranch_scc0 .LBB103_1836
; %bb.1835:
	v_bfe_i32 v5, v1, 0, 16
	v_cvt_f64_i32_e32 v[5:6], v5
	s_mov_b64 s[2:3], 0
	global_store_dwordx2 v[3:4], v[5:6], off
.LBB103_1836:
	s_andn2_b64 vcc, exec, s[2:3]
	s_cbranch_vccnz .LBB103_1838
; %bb.1837:
	v_cvt_f32_i32_sdwa v5, sext(v1) dst_sel:DWORD dst_unused:UNUSED_PAD src0_sel:WORD_0
	global_store_dword v[3:4], v5, off
.LBB103_1838:
	s_mov_b64 s[2:3], 0
.LBB103_1839:
	s_andn2_b64 vcc, exec, s[2:3]
	s_cbranch_vccnz .LBB103_1841
; %bb.1840:
	v_cvt_f16_i16_e32 v5, v1
	global_store_short v[3:4], v5, off
.LBB103_1841:
	s_mov_b64 s[2:3], 0
.LBB103_1842:
	s_andn2_b64 vcc, exec, s[2:3]
	s_cbranch_vccnz .LBB103_1858
; %bb.1843:
	s_cmp_lt_i32 s6, 2
	s_mov_b64 s[2:3], -1
	s_cbranch_scc1 .LBB103_1853
; %bb.1844:
	s_cmp_lt_i32 s6, 3
	s_cbranch_scc1 .LBB103_1850
; %bb.1845:
	s_cmp_gt_i32 s6, 3
	s_cbranch_scc0 .LBB103_1847
; %bb.1846:
	v_bfe_i32 v5, v1, 0, 16
	v_ashrrev_i32_e32 v6, 31, v5
	global_store_dwordx2 v[3:4], v[5:6], off
	s_mov_b64 s[2:3], 0
.LBB103_1847:
	s_andn2_b64 vcc, exec, s[2:3]
	s_cbranch_vccnz .LBB103_1849
; %bb.1848:
	v_bfe_i32 v5, v1, 0, 16
	global_store_dword v[3:4], v5, off
.LBB103_1849:
	s_mov_b64 s[2:3], 0
.LBB103_1850:
	s_andn2_b64 vcc, exec, s[2:3]
	s_cbranch_vccnz .LBB103_1852
; %bb.1851:
	global_store_short v[3:4], v1, off
.LBB103_1852:
	s_mov_b64 s[2:3], 0
.LBB103_1853:
	s_andn2_b64 vcc, exec, s[2:3]
	s_cbranch_vccnz .LBB103_1858
; %bb.1854:
	s_cmp_gt_i32 s6, 0
	s_mov_b64 s[2:3], -1
	s_cbranch_scc0 .LBB103_1856
; %bb.1855:
	global_store_byte v[3:4], v1, off
	s_mov_b64 s[2:3], 0
.LBB103_1856:
	s_andn2_b64 vcc, exec, s[2:3]
	s_cbranch_vccnz .LBB103_1858
; %bb.1857:
	global_store_byte v[3:4], v1, off
.LBB103_1858:
	s_mov_b64 s[10:11], -1
.LBB103_1859:
	s_andn2_b64 vcc, exec, s[10:11]
	s_cbranch_vccnz .LBB103_2055
; %bb.1860:
	v_mov_b32_e32 v1, s17
	v_cndmask_b32_e64 v5, v1, v9, s[0:1]
	v_mov_b32_e32 v3, s9
	v_add_co_u32_e32 v1, vcc, s8, v2
	s_cmp_lt_i32 s16, 11
	v_addc_co_u32_e32 v2, vcc, 0, v3, vcc
	s_cbranch_scc1 .LBB103_1938
; %bb.1861:
	s_and_b32 s18, 0xffff, s16
	s_mov_b64 s[12:13], -1
	s_mov_b64 s[6:7], 0
	s_cmp_gt_i32 s18, 25
	s_mov_b64 s[10:11], 0
	s_mov_b64 s[2:3], 0
	s_cbranch_scc0 .LBB103_1894
; %bb.1862:
	s_cmp_gt_i32 s18, 28
	s_cbranch_scc0 .LBB103_1877
; %bb.1863:
	s_cmp_gt_i32 s18, 43
	;; [unrolled: 3-line block ×3, first 2 shown]
	s_cbranch_scc0 .LBB103_1867
; %bb.1865:
	s_mov_b64 s[2:3], -1
	s_mov_b64 s[12:13], 0
	s_cmp_eq_u32 s18, 46
	s_cbranch_scc0 .LBB103_1867
; %bb.1866:
	v_cvt_f32_i32_sdwa v3, sext(v5) dst_sel:DWORD dst_unused:UNUSED_PAD src0_sel:WORD_0
	s_movk_i32 s10, 0x7fff
	s_mov_b64 s[2:3], 0
	v_bfe_u32 v4, v3, 16, 1
	v_add3_u32 v3, v3, v4, s10
	v_lshrrev_b32_e32 v3, 16, v3
	global_store_dword v[1:2], v3, off
	s_mov_b64 s[10:11], -1
.LBB103_1867:
	s_and_b64 vcc, exec, s[12:13]
	s_cbranch_vccz .LBB103_1872
; %bb.1868:
	s_cmp_eq_u32 s18, 44
	s_mov_b64 s[2:3], -1
	s_cbranch_scc0 .LBB103_1872
; %bb.1869:
	v_cvt_f32_i32_sdwa v3, sext(v5) dst_sel:DWORD dst_unused:UNUSED_PAD src0_sel:WORD_0
	s_movk_i32 s2, 0xff
	v_mov_b32_e32 v6, 0xff
	v_bfe_u32 v4, v3, 23, 8
	v_cmp_ne_u32_e32 vcc, s2, v4
	s_and_saveexec_b64 s[10:11], vcc
; %bb.1870:
	s_mov_b32 s2, 0x3fffff
	v_lshrrev_b32_e32 v6, 23, v3
	v_and_b32_e32 v8, 0x400000, v3
	v_and_or_b32 v3, v3, s2, v4
	v_cmp_ne_u32_e32 vcc, 0, v8
	v_cmp_ne_u32_e64 s[2:3], 0, v3
	s_and_b64 s[2:3], vcc, s[2:3]
	v_cndmask_b32_e64 v3, 0, 1, s[2:3]
	v_add_u32_e32 v6, v6, v3
; %bb.1871:
	s_or_b64 exec, exec, s[10:11]
	s_mov_b64 s[2:3], 0
	s_mov_b64 s[10:11], -1
	global_store_byte v[1:2], v6, off
.LBB103_1872:
	s_mov_b64 s[12:13], 0
.LBB103_1873:
	s_and_b64 vcc, exec, s[12:13]
	s_cbranch_vccz .LBB103_1876
; %bb.1874:
	s_cmp_eq_u32 s18, 29
	s_mov_b64 s[2:3], -1
	s_cbranch_scc0 .LBB103_1876
; %bb.1875:
	v_bfe_i32 v3, v5, 0, 16
	v_ashrrev_i32_e32 v4, 31, v3
	global_store_dwordx2 v[1:2], v[3:4], off
	s_mov_b64 s[2:3], 0
	s_mov_b64 s[10:11], -1
.LBB103_1876:
	s_mov_b64 s[12:13], 0
.LBB103_1877:
	s_and_b64 vcc, exec, s[12:13]
	s_cbranch_vccz .LBB103_1893
; %bb.1878:
	s_cmp_lt_i32 s18, 27
	s_mov_b64 s[10:11], -1
	s_cbranch_scc1 .LBB103_1884
; %bb.1879:
	s_cmp_gt_i32 s18, 27
	s_cbranch_scc0 .LBB103_1881
; %bb.1880:
	v_bfe_i32 v3, v5, 0, 16
	s_mov_b64 s[10:11], 0
	global_store_dword v[1:2], v3, off
.LBB103_1881:
	s_andn2_b64 vcc, exec, s[10:11]
	s_cbranch_vccnz .LBB103_1883
; %bb.1882:
	global_store_short v[1:2], v5, off
.LBB103_1883:
	s_mov_b64 s[10:11], 0
.LBB103_1884:
	s_andn2_b64 vcc, exec, s[10:11]
	s_cbranch_vccnz .LBB103_1892
; %bb.1885:
	v_cvt_f32_i32_sdwa v3, sext(v5) dst_sel:DWORD dst_unused:UNUSED_PAD src0_sel:WORD_0
	s_mov_b32 s10, 0x43800000
	v_mov_b32_e32 v6, 0x80
	v_and_b32_e32 v4, 0x7fffffff, v3
	v_cmp_gt_u32_e32 vcc, s10, v4
	s_and_saveexec_b64 s[10:11], vcc
	s_cbranch_execz .LBB103_1891
; %bb.1886:
	s_mov_b32 s12, 0x3bffffff
	v_cmp_lt_u32_e32 vcc, s12, v4
	s_mov_b64 s[12:13], 0
                                        ; implicit-def: $vgpr4
	s_and_saveexec_b64 s[14:15], vcc
	s_xor_b64 s[14:15], exec, s[14:15]
	s_cbranch_execz .LBB103_2112
; %bb.1887:
	v_bfe_u32 v4, v3, 20, 1
	s_mov_b32 s19, 0x487ffff
	v_add3_u32 v4, v3, v4, s19
	s_mov_b64 s[12:13], exec
	v_lshrrev_b32_e32 v4, 20, v4
	s_andn2_saveexec_b64 s[14:15], s[14:15]
	s_cbranch_execnz .LBB103_2113
.LBB103_1888:
	s_or_b64 exec, exec, s[14:15]
	v_mov_b32_e32 v6, 0
	s_and_saveexec_b64 s[14:15], s[12:13]
.LBB103_1889:
	v_lshrrev_b32_e32 v3, 24, v3
	s_movk_i32 s12, 0x80
	v_and_or_b32 v6, v3, s12, v4
.LBB103_1890:
	s_or_b64 exec, exec, s[14:15]
.LBB103_1891:
	s_or_b64 exec, exec, s[10:11]
	global_store_byte v[1:2], v6, off
.LBB103_1892:
	s_mov_b64 s[10:11], -1
.LBB103_1893:
	s_mov_b64 s[12:13], 0
.LBB103_1894:
	s_and_b64 vcc, exec, s[12:13]
	s_cbranch_vccz .LBB103_1934
; %bb.1895:
	s_cmp_gt_i32 s18, 22
	s_mov_b64 s[6:7], -1
	s_cbranch_scc0 .LBB103_1927
; %bb.1896:
	s_cmp_lt_i32 s18, 24
	s_cbranch_scc1 .LBB103_1916
; %bb.1897:
	s_cmp_gt_i32 s18, 24
	s_cbranch_scc0 .LBB103_1905
; %bb.1898:
	v_cvt_f32_i32_sdwa v3, sext(v5) dst_sel:DWORD dst_unused:UNUSED_PAD src0_sel:WORD_0
	s_mov_b32 s6, 0x47800000
	v_mov_b32_e32 v6, 0x80
	v_and_b32_e32 v4, 0x7fffffff, v3
	v_cmp_gt_u32_e32 vcc, s6, v4
	s_and_saveexec_b64 s[6:7], vcc
	s_cbranch_execz .LBB103_1904
; %bb.1899:
	s_mov_b32 s10, 0x37ffffff
	v_cmp_lt_u32_e32 vcc, s10, v4
	s_mov_b64 s[10:11], 0
                                        ; implicit-def: $vgpr4
	s_and_saveexec_b64 s[12:13], vcc
	s_xor_b64 s[12:13], exec, s[12:13]
	s_cbranch_execz .LBB103_2115
; %bb.1900:
	v_bfe_u32 v4, v3, 21, 1
	s_mov_b32 s14, 0x88fffff
	v_add3_u32 v4, v3, v4, s14
	s_mov_b64 s[10:11], exec
	v_lshrrev_b32_e32 v4, 21, v4
	s_andn2_saveexec_b64 s[12:13], s[12:13]
	s_cbranch_execnz .LBB103_2116
.LBB103_1901:
	s_or_b64 exec, exec, s[12:13]
	v_mov_b32_e32 v6, 0
	s_and_saveexec_b64 s[12:13], s[10:11]
.LBB103_1902:
	v_lshrrev_b32_e32 v3, 24, v3
	s_movk_i32 s10, 0x80
	v_and_or_b32 v6, v3, s10, v4
.LBB103_1903:
	s_or_b64 exec, exec, s[12:13]
.LBB103_1904:
	s_or_b64 exec, exec, s[6:7]
	s_mov_b64 s[6:7], 0
	global_store_byte v[1:2], v6, off
.LBB103_1905:
	s_and_b64 vcc, exec, s[6:7]
	s_cbranch_vccz .LBB103_1915
; %bb.1906:
	v_cvt_f32_i32_sdwa v3, sext(v5) dst_sel:DWORD dst_unused:UNUSED_PAD src0_sel:WORD_0
	s_mov_b32 s6, 0x43f00000
                                        ; implicit-def: $vgpr4
	v_and_b32_e32 v6, 0x7fffffff, v3
	v_cmp_gt_u32_e32 vcc, s6, v6
	s_and_saveexec_b64 s[6:7], vcc
	s_xor_b64 s[6:7], exec, s[6:7]
	s_cbranch_execz .LBB103_1912
; %bb.1907:
	s_mov_b32 s10, 0x3c7fffff
	v_cmp_lt_u32_e32 vcc, s10, v6
                                        ; implicit-def: $vgpr4
	s_and_saveexec_b64 s[10:11], vcc
	s_xor_b64 s[10:11], exec, s[10:11]
; %bb.1908:
	v_bfe_u32 v4, v3, 20, 1
	s_mov_b32 s12, 0x407ffff
	v_add3_u32 v4, v3, v4, s12
	v_lshrrev_b32_e32 v6, 20, v4
	v_and_b32_e32 v4, 0xff00000, v4
	s_mov_b32 s12, 0x7f00000
	v_mov_b32_e32 v8, 0x7e
	v_cmp_ne_u32_e32 vcc, s12, v4
	v_cndmask_b32_e32 v4, v8, v6, vcc
; %bb.1909:
	s_andn2_saveexec_b64 s[10:11], s[10:11]
; %bb.1910:
	s_mov_b32 s12, 0x46800000
	v_add_f32_e64 v4, |v3|, s12
; %bb.1911:
	s_or_b64 exec, exec, s[10:11]
                                        ; implicit-def: $vgpr6
.LBB103_1912:
	s_andn2_saveexec_b64 s[6:7], s[6:7]
; %bb.1913:
	s_mov_b32 s10, 0x7f800000
	v_mov_b32_e32 v4, 0x7e
	v_mov_b32_e32 v8, 0x7f
	v_cmp_lt_u32_e32 vcc, s10, v6
	v_cndmask_b32_e32 v4, v4, v8, vcc
; %bb.1914:
	s_or_b64 exec, exec, s[6:7]
	v_lshrrev_b32_e32 v3, 24, v3
	s_movk_i32 s6, 0x80
	v_and_or_b32 v3, v3, s6, v4
	global_store_byte v[1:2], v3, off
.LBB103_1915:
	s_mov_b64 s[6:7], 0
.LBB103_1916:
	s_andn2_b64 vcc, exec, s[6:7]
	s_cbranch_vccnz .LBB103_1926
; %bb.1917:
	v_cvt_f32_i32_sdwa v3, sext(v5) dst_sel:DWORD dst_unused:UNUSED_PAD src0_sel:WORD_0
	s_mov_b32 s6, 0x47800000
                                        ; implicit-def: $vgpr4
	v_and_b32_e32 v6, 0x7fffffff, v3
	v_cmp_gt_u32_e32 vcc, s6, v6
	s_and_saveexec_b64 s[6:7], vcc
	s_xor_b64 s[6:7], exec, s[6:7]
	s_cbranch_execz .LBB103_1923
; %bb.1918:
	s_mov_b32 s10, 0x387fffff
	v_cmp_lt_u32_e32 vcc, s10, v6
                                        ; implicit-def: $vgpr4
	s_and_saveexec_b64 s[10:11], vcc
	s_xor_b64 s[10:11], exec, s[10:11]
; %bb.1919:
	v_bfe_u32 v4, v3, 21, 1
	s_mov_b32 s12, 0x80fffff
	v_add3_u32 v4, v3, v4, s12
	v_lshrrev_b32_e32 v4, 21, v4
; %bb.1920:
	s_andn2_saveexec_b64 s[10:11], s[10:11]
; %bb.1921:
	s_mov_b32 s12, 0x43000000
	v_add_f32_e64 v4, |v3|, s12
; %bb.1922:
	s_or_b64 exec, exec, s[10:11]
                                        ; implicit-def: $vgpr6
.LBB103_1923:
	s_andn2_saveexec_b64 s[6:7], s[6:7]
; %bb.1924:
	s_mov_b32 s10, 0x7f800000
	v_mov_b32_e32 v4, 0x7c
	v_mov_b32_e32 v8, 0x7f
	v_cmp_lt_u32_e32 vcc, s10, v6
	v_cndmask_b32_e32 v4, v4, v8, vcc
; %bb.1925:
	s_or_b64 exec, exec, s[6:7]
	v_lshrrev_b32_e32 v3, 24, v3
	s_movk_i32 s6, 0x80
	v_and_or_b32 v3, v3, s6, v4
	global_store_byte v[1:2], v3, off
.LBB103_1926:
	s_mov_b64 s[6:7], 0
	s_mov_b64 s[10:11], -1
.LBB103_1927:
	s_andn2_b64 vcc, exec, s[6:7]
	s_mov_b64 s[6:7], 0
	s_cbranch_vccnz .LBB103_1934
; %bb.1928:
	s_cmp_gt_i32 s18, 14
	s_mov_b64 s[12:13], -1
	s_cbranch_scc0 .LBB103_1932
; %bb.1929:
	s_cmp_eq_u32 s18, 15
	s_mov_b64 s[2:3], -1
	s_cbranch_scc0 .LBB103_1931
; %bb.1930:
	v_cvt_f32_i32_sdwa v3, sext(v5) dst_sel:DWORD dst_unused:UNUSED_PAD src0_sel:WORD_0
	s_movk_i32 s6, 0x7fff
	s_mov_b64 s[2:3], 0
	s_mov_b64 s[10:11], -1
	v_bfe_u32 v4, v3, 16, 1
	v_add3_u32 v3, v3, v4, s6
	global_store_short_d16_hi v[1:2], v3, off
.LBB103_1931:
	s_mov_b64 s[12:13], 0
.LBB103_1932:
	s_mov_b64 s[6:7], 0
	s_and_b64 vcc, exec, s[12:13]
	s_cbranch_vccz .LBB103_1934
; %bb.1933:
	s_cmp_lg_u32 s18, 11
	s_mov_b64 s[6:7], -1
	s_cselect_b64 s[2:3], -1, 0
.LBB103_1934:
	s_and_b64 vcc, exec, s[2:3]
	s_cbranch_vccnz .LBB103_2114
; %bb.1935:
	s_andn2_b64 vcc, exec, s[6:7]
	s_cbranch_vccnz .LBB103_1937
.LBB103_1936:
	v_cmp_ne_u16_e32 vcc, 0, v5
	v_cndmask_b32_e64 v3, 0, 1, vcc
	s_mov_b64 s[10:11], -1
	global_store_byte v[1:2], v3, off
.LBB103_1937:
	s_mov_b64 s[2:3], 0
	s_branch .LBB103_1939
.LBB103_1938:
	s_mov_b64 s[2:3], -1
	s_mov_b64 s[10:11], 0
.LBB103_1939:
	s_and_b64 vcc, exec, s[2:3]
	s_cbranch_vccz .LBB103_1978
; %bb.1940:
	s_and_b32 s6, 0xffff, s16
	s_cmp_lt_i32 s6, 5
	s_mov_b64 s[2:3], -1
	s_cbranch_scc1 .LBB103_1961
; %bb.1941:
	s_cmp_lt_i32 s6, 8
	s_cbranch_scc1 .LBB103_1951
; %bb.1942:
	s_cmp_lt_i32 s6, 9
	s_cbranch_scc1 .LBB103_1948
; %bb.1943:
	s_cmp_gt_i32 s6, 9
	s_cbranch_scc0 .LBB103_1945
; %bb.1944:
	v_bfe_i32 v3, v5, 0, 16
	v_cvt_f64_i32_e32 v[8:9], v3
	v_mov_b32_e32 v10, 0
	v_mov_b32_e32 v11, v10
	s_mov_b64 s[2:3], 0
	global_store_dwordx4 v[1:2], v[8:11], off
.LBB103_1945:
	s_andn2_b64 vcc, exec, s[2:3]
	s_cbranch_vccnz .LBB103_1947
; %bb.1946:
	v_cvt_f32_i32_sdwa v3, sext(v5) dst_sel:DWORD dst_unused:UNUSED_PAD src0_sel:WORD_0
	v_mov_b32_e32 v4, 0
	global_store_dwordx2 v[1:2], v[3:4], off
.LBB103_1947:
	s_mov_b64 s[2:3], 0
.LBB103_1948:
	s_andn2_b64 vcc, exec, s[2:3]
	s_cbranch_vccnz .LBB103_1950
; %bb.1949:
	v_cvt_f16_i16_e32 v3, v5
	global_store_dword v[1:2], v3, off
.LBB103_1950:
	s_mov_b64 s[2:3], 0
.LBB103_1951:
	s_andn2_b64 vcc, exec, s[2:3]
	s_cbranch_vccnz .LBB103_1960
; %bb.1952:
	s_cmp_lt_i32 s6, 6
	s_mov_b64 s[2:3], -1
	s_cbranch_scc1 .LBB103_1958
; %bb.1953:
	s_cmp_gt_i32 s6, 6
	s_cbranch_scc0 .LBB103_1955
; %bb.1954:
	v_bfe_i32 v3, v5, 0, 16
	v_cvt_f64_i32_e32 v[3:4], v3
	s_mov_b64 s[2:3], 0
	global_store_dwordx2 v[1:2], v[3:4], off
.LBB103_1955:
	s_andn2_b64 vcc, exec, s[2:3]
	s_cbranch_vccnz .LBB103_1957
; %bb.1956:
	v_cvt_f32_i32_sdwa v3, sext(v5) dst_sel:DWORD dst_unused:UNUSED_PAD src0_sel:WORD_0
	global_store_dword v[1:2], v3, off
.LBB103_1957:
	s_mov_b64 s[2:3], 0
.LBB103_1958:
	s_andn2_b64 vcc, exec, s[2:3]
	s_cbranch_vccnz .LBB103_1960
; %bb.1959:
	v_cvt_f16_i16_e32 v3, v5
	global_store_short v[1:2], v3, off
.LBB103_1960:
	s_mov_b64 s[2:3], 0
.LBB103_1961:
	s_andn2_b64 vcc, exec, s[2:3]
	s_cbranch_vccnz .LBB103_1977
; %bb.1962:
	s_cmp_lt_i32 s6, 2
	s_mov_b64 s[2:3], -1
	s_cbranch_scc1 .LBB103_1972
; %bb.1963:
	s_cmp_lt_i32 s6, 3
	s_cbranch_scc1 .LBB103_1969
; %bb.1964:
	s_cmp_gt_i32 s6, 3
	v_bfe_i32 v3, v5, 0, 16
	s_cbranch_scc0 .LBB103_1966
; %bb.1965:
	v_ashrrev_i32_e32 v4, 31, v3
	global_store_dwordx2 v[1:2], v[3:4], off
	s_mov_b64 s[2:3], 0
.LBB103_1966:
	s_andn2_b64 vcc, exec, s[2:3]
	s_cbranch_vccnz .LBB103_1968
; %bb.1967:
	global_store_dword v[1:2], v3, off
.LBB103_1968:
	s_mov_b64 s[2:3], 0
.LBB103_1969:
	s_andn2_b64 vcc, exec, s[2:3]
	s_cbranch_vccnz .LBB103_1971
; %bb.1970:
	global_store_short v[1:2], v5, off
.LBB103_1971:
	s_mov_b64 s[2:3], 0
.LBB103_1972:
	s_andn2_b64 vcc, exec, s[2:3]
	s_cbranch_vccnz .LBB103_1977
; %bb.1973:
	s_cmp_gt_i32 s6, 0
	s_mov_b64 s[2:3], -1
	s_cbranch_scc0 .LBB103_1975
; %bb.1974:
	global_store_byte v[1:2], v5, off
	s_mov_b64 s[2:3], 0
.LBB103_1975:
	s_andn2_b64 vcc, exec, s[2:3]
	s_cbranch_vccnz .LBB103_1977
; %bb.1976:
	global_store_byte v[1:2], v5, off
.LBB103_1977:
	s_mov_b64 s[10:11], -1
.LBB103_1978:
	s_andn2_b64 vcc, exec, s[10:11]
	s_cbranch_vccnz .LBB103_2055
; %bb.1979:
	v_mov_b32_e32 v1, s17
	v_cndmask_b32_e64 v2, v1, v7, s[0:1]
	v_mov_b32_e32 v1, s9
	v_add_co_u32_e32 v0, vcc, s8, v0
	s_cmp_lt_i32 s16, 11
	v_addc_co_u32_e32 v1, vcc, 0, v1, vcc
	s_cbranch_scc1 .LBB103_2100
; %bb.1980:
	s_and_b32 s12, 0xffff, s16
	s_mov_b64 s[6:7], -1
	s_mov_b64 s[2:3], 0
	s_cmp_gt_i32 s12, 25
	s_mov_b64 s[0:1], 0
	s_cbranch_scc0 .LBB103_2013
; %bb.1981:
	s_cmp_gt_i32 s12, 28
	s_cbranch_scc0 .LBB103_1997
; %bb.1982:
	s_cmp_gt_i32 s12, 43
	;; [unrolled: 3-line block ×3, first 2 shown]
	s_cbranch_scc0 .LBB103_1987
; %bb.1984:
	s_cmp_eq_u32 s12, 46
	s_mov_b64 s[0:1], -1
	s_cbranch_scc0 .LBB103_1986
; %bb.1985:
	v_cvt_f32_i32_sdwa v3, sext(v2) dst_sel:DWORD dst_unused:UNUSED_PAD src0_sel:WORD_0
	s_movk_i32 s0, 0x7fff
	v_bfe_u32 v4, v3, 16, 1
	v_add3_u32 v3, v3, v4, s0
	v_lshrrev_b32_e32 v3, 16, v3
	global_store_dword v[0:1], v3, off
	s_mov_b64 s[0:1], 0
.LBB103_1986:
	s_mov_b64 s[6:7], 0
.LBB103_1987:
	s_and_b64 vcc, exec, s[6:7]
	s_cbranch_vccz .LBB103_1992
; %bb.1988:
	s_cmp_eq_u32 s12, 44
	s_mov_b64 s[0:1], -1
	s_cbranch_scc0 .LBB103_1992
; %bb.1989:
	v_cvt_f32_i32_sdwa v3, sext(v2) dst_sel:DWORD dst_unused:UNUSED_PAD src0_sel:WORD_0
	s_movk_i32 s0, 0xff
	v_mov_b32_e32 v5, 0xff
	v_bfe_u32 v4, v3, 23, 8
	v_cmp_ne_u32_e32 vcc, s0, v4
	s_and_saveexec_b64 s[6:7], vcc
; %bb.1990:
	s_mov_b32 s0, 0x3fffff
	v_lshrrev_b32_e32 v5, 23, v3
	v_and_b32_e32 v6, 0x400000, v3
	v_and_or_b32 v3, v3, s0, v4
	v_cmp_ne_u32_e32 vcc, 0, v6
	v_cmp_ne_u32_e64 s[0:1], 0, v3
	s_and_b64 s[0:1], vcc, s[0:1]
	v_cndmask_b32_e64 v3, 0, 1, s[0:1]
	v_add_u32_e32 v5, v5, v3
; %bb.1991:
	s_or_b64 exec, exec, s[6:7]
	s_mov_b64 s[0:1], 0
	global_store_byte v[0:1], v5, off
.LBB103_1992:
	s_mov_b64 s[6:7], 0
.LBB103_1993:
	s_and_b64 vcc, exec, s[6:7]
	s_cbranch_vccz .LBB103_1996
; %bb.1994:
	s_cmp_eq_u32 s12, 29
	s_mov_b64 s[0:1], -1
	s_cbranch_scc0 .LBB103_1996
; %bb.1995:
	v_bfe_i32 v3, v2, 0, 16
	v_ashrrev_i32_e32 v4, 31, v3
	global_store_dwordx2 v[0:1], v[3:4], off
	s_mov_b64 s[0:1], 0
.LBB103_1996:
	s_mov_b64 s[6:7], 0
.LBB103_1997:
	s_and_b64 vcc, exec, s[6:7]
	s_cbranch_vccz .LBB103_2012
; %bb.1998:
	s_cmp_lt_i32 s12, 27
	s_mov_b64 s[6:7], -1
	s_cbranch_scc1 .LBB103_2004
; %bb.1999:
	s_cmp_gt_i32 s12, 27
	s_cbranch_scc0 .LBB103_2001
; %bb.2000:
	v_bfe_i32 v3, v2, 0, 16
	global_store_dword v[0:1], v3, off
	s_mov_b64 s[6:7], 0
.LBB103_2001:
	s_andn2_b64 vcc, exec, s[6:7]
	s_cbranch_vccnz .LBB103_2003
; %bb.2002:
	global_store_short v[0:1], v2, off
.LBB103_2003:
	s_mov_b64 s[6:7], 0
.LBB103_2004:
	s_andn2_b64 vcc, exec, s[6:7]
	s_cbranch_vccnz .LBB103_2012
; %bb.2005:
	v_cvt_f32_i32_sdwa v3, sext(v2) dst_sel:DWORD dst_unused:UNUSED_PAD src0_sel:WORD_0
	s_mov_b32 s6, 0x43800000
	v_mov_b32_e32 v5, 0x80
	v_and_b32_e32 v4, 0x7fffffff, v3
	v_cmp_gt_u32_e32 vcc, s6, v4
	s_and_saveexec_b64 s[6:7], vcc
	s_cbranch_execz .LBB103_2011
; %bb.2006:
	s_mov_b32 s8, 0x3bffffff
	v_cmp_lt_u32_e32 vcc, s8, v4
	s_mov_b64 s[8:9], 0
                                        ; implicit-def: $vgpr4
	s_and_saveexec_b64 s[10:11], vcc
	s_xor_b64 s[10:11], exec, s[10:11]
	s_cbranch_execz .LBB103_2117
; %bb.2007:
	v_bfe_u32 v4, v3, 20, 1
	s_mov_b32 s13, 0x487ffff
	v_add3_u32 v4, v3, v4, s13
	s_mov_b64 s[8:9], exec
	v_lshrrev_b32_e32 v4, 20, v4
	s_andn2_saveexec_b64 s[10:11], s[10:11]
	s_cbranch_execnz .LBB103_2118
.LBB103_2008:
	s_or_b64 exec, exec, s[10:11]
	v_mov_b32_e32 v5, 0
	s_and_saveexec_b64 s[10:11], s[8:9]
.LBB103_2009:
	v_lshrrev_b32_e32 v3, 24, v3
	s_movk_i32 s8, 0x80
	v_and_or_b32 v5, v3, s8, v4
.LBB103_2010:
	s_or_b64 exec, exec, s[10:11]
.LBB103_2011:
	s_or_b64 exec, exec, s[6:7]
	global_store_byte v[0:1], v5, off
.LBB103_2012:
	s_mov_b64 s[6:7], 0
.LBB103_2013:
	s_and_b64 vcc, exec, s[6:7]
	s_cbranch_vccz .LBB103_2053
; %bb.2014:
	s_cmp_gt_i32 s12, 22
	s_mov_b64 s[2:3], -1
	s_cbranch_scc0 .LBB103_2046
; %bb.2015:
	s_cmp_lt_i32 s12, 24
	s_cbranch_scc1 .LBB103_2035
; %bb.2016:
	s_cmp_gt_i32 s12, 24
	s_cbranch_scc0 .LBB103_2024
; %bb.2017:
	v_cvt_f32_i32_sdwa v3, sext(v2) dst_sel:DWORD dst_unused:UNUSED_PAD src0_sel:WORD_0
	s_mov_b32 s2, 0x47800000
	v_mov_b32_e32 v5, 0x80
	v_and_b32_e32 v4, 0x7fffffff, v3
	v_cmp_gt_u32_e32 vcc, s2, v4
	s_and_saveexec_b64 s[2:3], vcc
	s_cbranch_execz .LBB103_2023
; %bb.2018:
	s_mov_b32 s6, 0x37ffffff
	v_cmp_lt_u32_e32 vcc, s6, v4
	s_mov_b64 s[6:7], 0
                                        ; implicit-def: $vgpr4
	s_and_saveexec_b64 s[8:9], vcc
	s_xor_b64 s[8:9], exec, s[8:9]
	s_cbranch_execz .LBB103_2120
; %bb.2019:
	v_bfe_u32 v4, v3, 21, 1
	s_mov_b32 s10, 0x88fffff
	v_add3_u32 v4, v3, v4, s10
	s_mov_b64 s[6:7], exec
	v_lshrrev_b32_e32 v4, 21, v4
	s_andn2_saveexec_b64 s[8:9], s[8:9]
	s_cbranch_execnz .LBB103_2121
.LBB103_2020:
	s_or_b64 exec, exec, s[8:9]
	v_mov_b32_e32 v5, 0
	s_and_saveexec_b64 s[8:9], s[6:7]
.LBB103_2021:
	v_lshrrev_b32_e32 v3, 24, v3
	s_movk_i32 s6, 0x80
	v_and_or_b32 v5, v3, s6, v4
.LBB103_2022:
	s_or_b64 exec, exec, s[8:9]
.LBB103_2023:
	s_or_b64 exec, exec, s[2:3]
	s_mov_b64 s[2:3], 0
	global_store_byte v[0:1], v5, off
.LBB103_2024:
	s_and_b64 vcc, exec, s[2:3]
	s_cbranch_vccz .LBB103_2034
; %bb.2025:
	v_cvt_f32_i32_sdwa v3, sext(v2) dst_sel:DWORD dst_unused:UNUSED_PAD src0_sel:WORD_0
	s_mov_b32 s2, 0x43f00000
                                        ; implicit-def: $vgpr4
	v_and_b32_e32 v5, 0x7fffffff, v3
	v_cmp_gt_u32_e32 vcc, s2, v5
	s_and_saveexec_b64 s[2:3], vcc
	s_xor_b64 s[2:3], exec, s[2:3]
	s_cbranch_execz .LBB103_2031
; %bb.2026:
	s_mov_b32 s6, 0x3c7fffff
	v_cmp_lt_u32_e32 vcc, s6, v5
                                        ; implicit-def: $vgpr4
	s_and_saveexec_b64 s[6:7], vcc
	s_xor_b64 s[6:7], exec, s[6:7]
; %bb.2027:
	v_bfe_u32 v4, v3, 20, 1
	s_mov_b32 s8, 0x407ffff
	v_add3_u32 v4, v3, v4, s8
	v_lshrrev_b32_e32 v5, 20, v4
	v_and_b32_e32 v4, 0xff00000, v4
	s_mov_b32 s8, 0x7f00000
	v_mov_b32_e32 v6, 0x7e
	v_cmp_ne_u32_e32 vcc, s8, v4
	v_cndmask_b32_e32 v4, v6, v5, vcc
; %bb.2028:
	s_andn2_saveexec_b64 s[6:7], s[6:7]
; %bb.2029:
	s_mov_b32 s8, 0x46800000
	v_add_f32_e64 v4, |v3|, s8
; %bb.2030:
	s_or_b64 exec, exec, s[6:7]
                                        ; implicit-def: $vgpr5
.LBB103_2031:
	s_andn2_saveexec_b64 s[2:3], s[2:3]
; %bb.2032:
	s_mov_b32 s6, 0x7f800000
	v_mov_b32_e32 v4, 0x7e
	v_mov_b32_e32 v6, 0x7f
	v_cmp_lt_u32_e32 vcc, s6, v5
	v_cndmask_b32_e32 v4, v4, v6, vcc
; %bb.2033:
	s_or_b64 exec, exec, s[2:3]
	v_lshrrev_b32_e32 v3, 24, v3
	s_movk_i32 s2, 0x80
	v_and_or_b32 v3, v3, s2, v4
	global_store_byte v[0:1], v3, off
.LBB103_2034:
	s_mov_b64 s[2:3], 0
.LBB103_2035:
	s_andn2_b64 vcc, exec, s[2:3]
	s_cbranch_vccnz .LBB103_2045
; %bb.2036:
	v_cvt_f32_i32_sdwa v3, sext(v2) dst_sel:DWORD dst_unused:UNUSED_PAD src0_sel:WORD_0
	s_mov_b32 s2, 0x47800000
                                        ; implicit-def: $vgpr4
	v_and_b32_e32 v5, 0x7fffffff, v3
	v_cmp_gt_u32_e32 vcc, s2, v5
	s_and_saveexec_b64 s[2:3], vcc
	s_xor_b64 s[2:3], exec, s[2:3]
	s_cbranch_execz .LBB103_2042
; %bb.2037:
	s_mov_b32 s6, 0x387fffff
	v_cmp_lt_u32_e32 vcc, s6, v5
                                        ; implicit-def: $vgpr4
	s_and_saveexec_b64 s[6:7], vcc
	s_xor_b64 s[6:7], exec, s[6:7]
; %bb.2038:
	v_bfe_u32 v4, v3, 21, 1
	s_mov_b32 s8, 0x80fffff
	v_add3_u32 v4, v3, v4, s8
	v_lshrrev_b32_e32 v4, 21, v4
; %bb.2039:
	s_andn2_saveexec_b64 s[6:7], s[6:7]
; %bb.2040:
	s_mov_b32 s8, 0x43000000
	v_add_f32_e64 v4, |v3|, s8
; %bb.2041:
	s_or_b64 exec, exec, s[6:7]
                                        ; implicit-def: $vgpr5
.LBB103_2042:
	s_andn2_saveexec_b64 s[2:3], s[2:3]
; %bb.2043:
	s_mov_b32 s6, 0x7f800000
	v_mov_b32_e32 v4, 0x7c
	v_mov_b32_e32 v6, 0x7f
	v_cmp_lt_u32_e32 vcc, s6, v5
	v_cndmask_b32_e32 v4, v4, v6, vcc
; %bb.2044:
	s_or_b64 exec, exec, s[2:3]
	v_lshrrev_b32_e32 v3, 24, v3
	s_movk_i32 s2, 0x80
	v_and_or_b32 v3, v3, s2, v4
	global_store_byte v[0:1], v3, off
.LBB103_2045:
	s_mov_b64 s[2:3], 0
.LBB103_2046:
	s_andn2_b64 vcc, exec, s[2:3]
	s_mov_b64 s[2:3], 0
	s_cbranch_vccnz .LBB103_2053
; %bb.2047:
	s_cmp_gt_i32 s12, 14
	s_mov_b64 s[6:7], -1
	s_cbranch_scc0 .LBB103_2051
; %bb.2048:
	s_cmp_eq_u32 s12, 15
	s_mov_b64 s[0:1], -1
	s_cbranch_scc0 .LBB103_2050
; %bb.2049:
	v_cvt_f32_i32_sdwa v3, sext(v2) dst_sel:DWORD dst_unused:UNUSED_PAD src0_sel:WORD_0
	s_movk_i32 s0, 0x7fff
	v_bfe_u32 v4, v3, 16, 1
	v_add3_u32 v3, v3, v4, s0
	global_store_short_d16_hi v[0:1], v3, off
	s_mov_b64 s[0:1], 0
.LBB103_2050:
	s_mov_b64 s[6:7], 0
.LBB103_2051:
	s_and_b64 vcc, exec, s[6:7]
	s_cbranch_vccz .LBB103_2053
; %bb.2052:
	s_cmp_lg_u32 s12, 11
	s_mov_b64 s[2:3], -1
	s_cselect_b64 s[0:1], -1, 0
.LBB103_2053:
	s_and_b64 vcc, exec, s[0:1]
	s_cbranch_vccnz .LBB103_2119
.LBB103_2054:
	s_mov_b64 s[0:1], 0
	s_branch .LBB103_2056
.LBB103_2055:
	s_mov_b64 s[0:1], 0
	s_mov_b64 s[2:3], 0
                                        ; implicit-def: $vgpr0_vgpr1
                                        ; implicit-def: $sgpr16
                                        ; implicit-def: $vgpr2
.LBB103_2056:
	s_and_b64 s[6:7], s[2:3], exec
	s_andn2_b64 s[2:3], s[28:29], exec
	s_and_b64 s[4:5], s[4:5], exec
	s_and_b64 s[0:1], s[0:1], exec
	s_or_b64 s[28:29], s[2:3], s[4:5]
.LBB103_2057:
	s_or_b64 exec, exec, s[30:31]
	s_and_saveexec_b64 s[2:3], s[28:29]
	s_cbranch_execz .LBB103_2060
; %bb.2058:
	; divergent unreachable
	s_or_b64 exec, exec, s[2:3]
	s_and_saveexec_b64 s[2:3], s[6:7]
	s_xor_b64 s[2:3], exec, s[2:3]
	s_cbranch_execnz .LBB103_2061
.LBB103_2059:
	s_or_b64 exec, exec, s[2:3]
	s_and_saveexec_b64 s[2:3], s[0:1]
	s_cbranch_execnz .LBB103_2062
	s_branch .LBB103_2099
.LBB103_2060:
	s_or_b64 exec, exec, s[2:3]
	s_and_saveexec_b64 s[2:3], s[6:7]
	s_xor_b64 s[2:3], exec, s[2:3]
	s_cbranch_execz .LBB103_2059
.LBB103_2061:
	v_cmp_ne_u16_e32 vcc, 0, v2
	s_waitcnt vmcnt(0)
	v_cndmask_b32_e64 v3, 0, 1, vcc
	global_store_byte v[0:1], v3, off
	s_or_b64 exec, exec, s[2:3]
	s_and_saveexec_b64 s[2:3], s[0:1]
	s_cbranch_execz .LBB103_2099
.LBB103_2062:
	s_sext_i32_i16 s2, s16
	s_cmp_lt_i32 s2, 5
	s_mov_b64 s[0:1], -1
	s_cbranch_scc1 .LBB103_2083
; %bb.2063:
	s_cmp_lt_i32 s2, 8
	s_cbranch_scc1 .LBB103_2073
; %bb.2064:
	s_cmp_lt_i32 s2, 9
	s_cbranch_scc1 .LBB103_2070
; %bb.2065:
	s_cmp_gt_i32 s2, 9
	s_cbranch_scc0 .LBB103_2067
; %bb.2066:
	s_waitcnt vmcnt(0)
	v_bfe_i32 v3, v2, 0, 16
	v_cvt_f64_i32_e32 v[3:4], v3
	v_mov_b32_e32 v5, 0
	v_mov_b32_e32 v6, v5
	s_mov_b64 s[0:1], 0
	global_store_dwordx4 v[0:1], v[3:6], off
.LBB103_2067:
	s_andn2_b64 vcc, exec, s[0:1]
	s_cbranch_vccnz .LBB103_2069
; %bb.2068:
	s_waitcnt vmcnt(0)
	v_cvt_f32_i32_sdwa v3, sext(v2) dst_sel:DWORD dst_unused:UNUSED_PAD src0_sel:WORD_0
	v_mov_b32_e32 v4, 0
	global_store_dwordx2 v[0:1], v[3:4], off
.LBB103_2069:
	s_mov_b64 s[0:1], 0
.LBB103_2070:
	s_andn2_b64 vcc, exec, s[0:1]
	s_cbranch_vccnz .LBB103_2072
; %bb.2071:
	s_waitcnt vmcnt(0)
	v_cvt_f16_i16_e32 v3, v2
	global_store_dword v[0:1], v3, off
.LBB103_2072:
	s_mov_b64 s[0:1], 0
.LBB103_2073:
	s_andn2_b64 vcc, exec, s[0:1]
	s_cbranch_vccnz .LBB103_2082
; %bb.2074:
	s_sext_i32_i16 s2, s16
	s_cmp_lt_i32 s2, 6
	s_mov_b64 s[0:1], -1
	s_cbranch_scc1 .LBB103_2080
; %bb.2075:
	s_cmp_gt_i32 s2, 6
	s_cbranch_scc0 .LBB103_2077
; %bb.2076:
	s_waitcnt vmcnt(0)
	v_bfe_i32 v3, v2, 0, 16
	v_cvt_f64_i32_e32 v[3:4], v3
	s_mov_b64 s[0:1], 0
	global_store_dwordx2 v[0:1], v[3:4], off
.LBB103_2077:
	s_andn2_b64 vcc, exec, s[0:1]
	s_cbranch_vccnz .LBB103_2079
; %bb.2078:
	s_waitcnt vmcnt(0)
	v_cvt_f32_i32_sdwa v3, sext(v2) dst_sel:DWORD dst_unused:UNUSED_PAD src0_sel:WORD_0
	global_store_dword v[0:1], v3, off
.LBB103_2079:
	s_mov_b64 s[0:1], 0
.LBB103_2080:
	s_andn2_b64 vcc, exec, s[0:1]
	s_cbranch_vccnz .LBB103_2082
; %bb.2081:
	s_waitcnt vmcnt(0)
	v_cvt_f16_i16_e32 v3, v2
	global_store_short v[0:1], v3, off
.LBB103_2082:
	s_mov_b64 s[0:1], 0
.LBB103_2083:
	s_andn2_b64 vcc, exec, s[0:1]
	s_cbranch_vccnz .LBB103_2099
; %bb.2084:
	s_sext_i32_i16 s2, s16
	s_cmp_lt_i32 s2, 2
	s_mov_b64 s[0:1], -1
	s_cbranch_scc1 .LBB103_2094
; %bb.2085:
	s_cmp_lt_i32 s2, 3
	s_cbranch_scc1 .LBB103_2091
; %bb.2086:
	s_cmp_gt_i32 s2, 3
	s_cbranch_scc0 .LBB103_2088
; %bb.2087:
	s_waitcnt vmcnt(0)
	v_bfe_i32 v3, v2, 0, 16
	v_ashrrev_i32_e32 v4, 31, v3
	global_store_dwordx2 v[0:1], v[3:4], off
	s_mov_b64 s[0:1], 0
.LBB103_2088:
	s_andn2_b64 vcc, exec, s[0:1]
	s_cbranch_vccnz .LBB103_2090
; %bb.2089:
	s_waitcnt vmcnt(0)
	v_bfe_i32 v3, v2, 0, 16
	global_store_dword v[0:1], v3, off
.LBB103_2090:
	s_mov_b64 s[0:1], 0
.LBB103_2091:
	s_andn2_b64 vcc, exec, s[0:1]
	s_cbranch_vccnz .LBB103_2093
; %bb.2092:
	global_store_short v[0:1], v2, off
.LBB103_2093:
	s_mov_b64 s[0:1], 0
.LBB103_2094:
	s_andn2_b64 vcc, exec, s[0:1]
	s_cbranch_vccnz .LBB103_2099
; %bb.2095:
	s_sext_i32_i16 s0, s16
	s_cmp_gt_i32 s0, 0
	s_mov_b64 s[0:1], -1
	s_cbranch_scc0 .LBB103_2097
; %bb.2096:
	global_store_byte v[0:1], v2, off
	s_mov_b64 s[0:1], 0
.LBB103_2097:
	s_andn2_b64 vcc, exec, s[0:1]
	s_cbranch_vccnz .LBB103_2099
; %bb.2098:
	global_store_byte v[0:1], v2, off
	s_endpgm
.LBB103_2099:
	s_endpgm
.LBB103_2100:
	s_mov_b64 s[2:3], 0
	s_mov_b64 s[0:1], -1
	s_branch .LBB103_2056
.LBB103_2101:
	s_trap 2
	s_or_b64 s[4:5], s[4:5], exec
	s_cbranch_execz .LBB103_1570
	s_branch .LBB103_1571
.LBB103_2102:
	s_andn2_saveexec_b64 s[14:15], s[14:15]
	s_cbranch_execz .LBB103_1650
.LBB103_2103:
	s_mov_b32 s20, 0x46000000
	v_add_f32_e64 v8, |v3|, s20
	v_and_b32_e32 v8, 0xff, v8
	v_cmp_ne_u32_e32 vcc, 0, v8
	s_andn2_b64 s[12:13], s[12:13], exec
	s_and_b64 s[20:21], vcc, exec
	s_or_b64 s[12:13], s[12:13], s[20:21]
	s_or_b64 exec, exec, s[14:15]
	v_mov_b32_e32 v10, 0
	s_and_saveexec_b64 s[14:15], s[12:13]
	s_cbranch_execnz .LBB103_1651
	s_branch .LBB103_1652
.LBB103_2104:
	s_trap 2
	s_or_b64 s[4:5], s[4:5], exec
	s_cbranch_execz .LBB103_1698
	s_branch .LBB103_1699
.LBB103_2105:
	s_andn2_saveexec_b64 s[12:13], s[12:13]
	s_cbranch_execz .LBB103_1663
.LBB103_2106:
	s_mov_b32 s14, 0x42800000
	v_add_f32_e64 v8, |v3|, s14
	v_and_b32_e32 v8, 0xff, v8
	v_cmp_ne_u32_e32 vcc, 0, v8
	s_andn2_b64 s[10:11], s[10:11], exec
	s_and_b64 s[14:15], vcc, exec
	s_or_b64 s[10:11], s[10:11], s[14:15]
	s_or_b64 exec, exec, s[12:13]
	v_mov_b32_e32 v10, 0
	s_and_saveexec_b64 s[12:13], s[10:11]
	s_cbranch_execnz .LBB103_1664
	s_branch .LBB103_1665
.LBB103_2107:
	s_andn2_saveexec_b64 s[14:15], s[14:15]
	s_cbranch_execz .LBB103_1769
.LBB103_2108:
	s_mov_b32 s19, 0x46000000
	v_add_f32_e64 v6, |v5|, s19
	v_and_b32_e32 v6, 0xff, v6
	v_cmp_ne_u32_e32 vcc, 0, v6
	s_andn2_b64 s[12:13], s[12:13], exec
	s_and_b64 s[20:21], vcc, exec
	s_or_b64 s[12:13], s[12:13], s[20:21]
	s_or_b64 exec, exec, s[14:15]
	v_mov_b32_e32 v8, 0
	s_and_saveexec_b64 s[14:15], s[12:13]
	s_cbranch_execnz .LBB103_1770
	s_branch .LBB103_1771
.LBB103_2109:
	s_trap 2
	s_or_b64 s[4:5], s[4:5], exec
	s_cbranch_execz .LBB103_1817
	s_branch .LBB103_1818
.LBB103_2110:
	s_andn2_saveexec_b64 s[12:13], s[12:13]
	s_cbranch_execz .LBB103_1782
.LBB103_2111:
	s_mov_b32 s14, 0x42800000
	v_add_f32_e64 v6, |v5|, s14
	v_and_b32_e32 v6, 0xff, v6
	v_cmp_ne_u32_e32 vcc, 0, v6
	s_andn2_b64 s[10:11], s[10:11], exec
	s_and_b64 s[14:15], vcc, exec
	s_or_b64 s[10:11], s[10:11], s[14:15]
	s_or_b64 exec, exec, s[12:13]
	v_mov_b32_e32 v8, 0
	s_and_saveexec_b64 s[12:13], s[10:11]
	s_cbranch_execnz .LBB103_1783
	s_branch .LBB103_1784
.LBB103_2112:
	s_andn2_saveexec_b64 s[14:15], s[14:15]
	s_cbranch_execz .LBB103_1888
.LBB103_2113:
	s_mov_b32 s19, 0x46000000
	v_add_f32_e64 v4, |v3|, s19
	v_and_b32_e32 v4, 0xff, v4
	v_cmp_ne_u32_e32 vcc, 0, v4
	s_andn2_b64 s[12:13], s[12:13], exec
	s_and_b64 s[20:21], vcc, exec
	s_or_b64 s[12:13], s[12:13], s[20:21]
	s_or_b64 exec, exec, s[14:15]
	v_mov_b32_e32 v6, 0
	s_and_saveexec_b64 s[14:15], s[12:13]
	s_cbranch_execnz .LBB103_1889
	s_branch .LBB103_1890
.LBB103_2114:
	s_trap 2
	s_or_b64 s[4:5], s[4:5], exec
	s_cbranch_execz .LBB103_1936
	s_branch .LBB103_1937
.LBB103_2115:
	s_andn2_saveexec_b64 s[12:13], s[12:13]
	s_cbranch_execz .LBB103_1901
.LBB103_2116:
	s_mov_b32 s14, 0x42800000
	v_add_f32_e64 v4, |v3|, s14
	v_and_b32_e32 v4, 0xff, v4
	v_cmp_ne_u32_e32 vcc, 0, v4
	s_andn2_b64 s[10:11], s[10:11], exec
	s_and_b64 s[14:15], vcc, exec
	s_or_b64 s[10:11], s[10:11], s[14:15]
	s_or_b64 exec, exec, s[12:13]
	v_mov_b32_e32 v6, 0
	s_and_saveexec_b64 s[12:13], s[10:11]
	s_cbranch_execnz .LBB103_1902
	s_branch .LBB103_1903
.LBB103_2117:
	s_andn2_saveexec_b64 s[10:11], s[10:11]
	s_cbranch_execz .LBB103_2008
.LBB103_2118:
	s_mov_b32 s13, 0x46000000
	v_add_f32_e64 v4, |v3|, s13
	v_and_b32_e32 v4, 0xff, v4
	v_cmp_ne_u32_e32 vcc, 0, v4
	s_andn2_b64 s[8:9], s[8:9], exec
	s_and_b64 s[14:15], vcc, exec
	s_or_b64 s[8:9], s[8:9], s[14:15]
	s_or_b64 exec, exec, s[10:11]
	v_mov_b32_e32 v5, 0
	s_and_saveexec_b64 s[10:11], s[8:9]
	s_cbranch_execnz .LBB103_2009
	s_branch .LBB103_2010
.LBB103_2119:
	s_mov_b64 s[2:3], 0
	s_or_b64 s[4:5], s[4:5], exec
	s_trap 2
	s_branch .LBB103_2054
.LBB103_2120:
	s_andn2_saveexec_b64 s[8:9], s[8:9]
	s_cbranch_execz .LBB103_2020
.LBB103_2121:
	s_mov_b32 s10, 0x42800000
	v_add_f32_e64 v4, |v3|, s10
	v_and_b32_e32 v4, 0xff, v4
	v_cmp_ne_u32_e32 vcc, 0, v4
	s_andn2_b64 s[6:7], s[6:7], exec
	s_and_b64 s[10:11], vcc, exec
	s_or_b64 s[6:7], s[6:7], s[10:11]
	s_or_b64 exec, exec, s[8:9]
	v_mov_b32_e32 v5, 0
	s_and_saveexec_b64 s[8:9], s[6:7]
	s_cbranch_execnz .LBB103_2021
	s_branch .LBB103_2022
	.section	.rodata,"a",@progbits
	.p2align	6, 0x0
	.amdhsa_kernel _ZN2at6native32elementwise_kernel_manual_unrollILi128ELi4EZNS0_15gpu_kernel_implINS0_13AUnaryFunctorIsssZNS0_12_GLOBAL__N_121threshold_kernel_implIsEEvRNS_18TensorIteratorBaseET_S8_EUlssE_EEEEvS7_RKS8_EUlibE0_EEviT1_
		.amdhsa_group_segment_fixed_size 0
		.amdhsa_private_segment_fixed_size 0
		.amdhsa_kernarg_size 360
		.amdhsa_user_sgpr_count 6
		.amdhsa_user_sgpr_private_segment_buffer 1
		.amdhsa_user_sgpr_dispatch_ptr 0
		.amdhsa_user_sgpr_queue_ptr 0
		.amdhsa_user_sgpr_kernarg_segment_ptr 1
		.amdhsa_user_sgpr_dispatch_id 0
		.amdhsa_user_sgpr_flat_scratch_init 0
		.amdhsa_user_sgpr_private_segment_size 0
		.amdhsa_uses_dynamic_stack 0
		.amdhsa_system_sgpr_private_segment_wavefront_offset 0
		.amdhsa_system_sgpr_workgroup_id_x 1
		.amdhsa_system_sgpr_workgroup_id_y 0
		.amdhsa_system_sgpr_workgroup_id_z 0
		.amdhsa_system_sgpr_workgroup_info 0
		.amdhsa_system_vgpr_workitem_id 0
		.amdhsa_next_free_vgpr 18
		.amdhsa_next_free_sgpr 81
		.amdhsa_reserve_vcc 1
		.amdhsa_reserve_flat_scratch 0
		.amdhsa_float_round_mode_32 0
		.amdhsa_float_round_mode_16_64 0
		.amdhsa_float_denorm_mode_32 3
		.amdhsa_float_denorm_mode_16_64 3
		.amdhsa_dx10_clamp 1
		.amdhsa_ieee_mode 1
		.amdhsa_fp16_overflow 0
		.amdhsa_exception_fp_ieee_invalid_op 0
		.amdhsa_exception_fp_denorm_src 0
		.amdhsa_exception_fp_ieee_div_zero 0
		.amdhsa_exception_fp_ieee_overflow 0
		.amdhsa_exception_fp_ieee_underflow 0
		.amdhsa_exception_fp_ieee_inexact 0
		.amdhsa_exception_int_div_zero 0
	.end_amdhsa_kernel
	.section	.text._ZN2at6native32elementwise_kernel_manual_unrollILi128ELi4EZNS0_15gpu_kernel_implINS0_13AUnaryFunctorIsssZNS0_12_GLOBAL__N_121threshold_kernel_implIsEEvRNS_18TensorIteratorBaseET_S8_EUlssE_EEEEvS7_RKS8_EUlibE0_EEviT1_,"axG",@progbits,_ZN2at6native32elementwise_kernel_manual_unrollILi128ELi4EZNS0_15gpu_kernel_implINS0_13AUnaryFunctorIsssZNS0_12_GLOBAL__N_121threshold_kernel_implIsEEvRNS_18TensorIteratorBaseET_S8_EUlssE_EEEEvS7_RKS8_EUlibE0_EEviT1_,comdat
.Lfunc_end103:
	.size	_ZN2at6native32elementwise_kernel_manual_unrollILi128ELi4EZNS0_15gpu_kernel_implINS0_13AUnaryFunctorIsssZNS0_12_GLOBAL__N_121threshold_kernel_implIsEEvRNS_18TensorIteratorBaseET_S8_EUlssE_EEEEvS7_RKS8_EUlibE0_EEviT1_, .Lfunc_end103-_ZN2at6native32elementwise_kernel_manual_unrollILi128ELi4EZNS0_15gpu_kernel_implINS0_13AUnaryFunctorIsssZNS0_12_GLOBAL__N_121threshold_kernel_implIsEEvRNS_18TensorIteratorBaseET_S8_EUlssE_EEEEvS7_RKS8_EUlibE0_EEviT1_
                                        ; -- End function
	.set _ZN2at6native32elementwise_kernel_manual_unrollILi128ELi4EZNS0_15gpu_kernel_implINS0_13AUnaryFunctorIsssZNS0_12_GLOBAL__N_121threshold_kernel_implIsEEvRNS_18TensorIteratorBaseET_S8_EUlssE_EEEEvS7_RKS8_EUlibE0_EEviT1_.num_vgpr, 18
	.set _ZN2at6native32elementwise_kernel_manual_unrollILi128ELi4EZNS0_15gpu_kernel_implINS0_13AUnaryFunctorIsssZNS0_12_GLOBAL__N_121threshold_kernel_implIsEEvRNS_18TensorIteratorBaseET_S8_EUlssE_EEEEvS7_RKS8_EUlibE0_EEviT1_.num_agpr, 0
	.set _ZN2at6native32elementwise_kernel_manual_unrollILi128ELi4EZNS0_15gpu_kernel_implINS0_13AUnaryFunctorIsssZNS0_12_GLOBAL__N_121threshold_kernel_implIsEEvRNS_18TensorIteratorBaseET_S8_EUlssE_EEEEvS7_RKS8_EUlibE0_EEviT1_.numbered_sgpr, 81
	.set _ZN2at6native32elementwise_kernel_manual_unrollILi128ELi4EZNS0_15gpu_kernel_implINS0_13AUnaryFunctorIsssZNS0_12_GLOBAL__N_121threshold_kernel_implIsEEvRNS_18TensorIteratorBaseET_S8_EUlssE_EEEEvS7_RKS8_EUlibE0_EEviT1_.num_named_barrier, 0
	.set _ZN2at6native32elementwise_kernel_manual_unrollILi128ELi4EZNS0_15gpu_kernel_implINS0_13AUnaryFunctorIsssZNS0_12_GLOBAL__N_121threshold_kernel_implIsEEvRNS_18TensorIteratorBaseET_S8_EUlssE_EEEEvS7_RKS8_EUlibE0_EEviT1_.private_seg_size, 0
	.set _ZN2at6native32elementwise_kernel_manual_unrollILi128ELi4EZNS0_15gpu_kernel_implINS0_13AUnaryFunctorIsssZNS0_12_GLOBAL__N_121threshold_kernel_implIsEEvRNS_18TensorIteratorBaseET_S8_EUlssE_EEEEvS7_RKS8_EUlibE0_EEviT1_.uses_vcc, 1
	.set _ZN2at6native32elementwise_kernel_manual_unrollILi128ELi4EZNS0_15gpu_kernel_implINS0_13AUnaryFunctorIsssZNS0_12_GLOBAL__N_121threshold_kernel_implIsEEvRNS_18TensorIteratorBaseET_S8_EUlssE_EEEEvS7_RKS8_EUlibE0_EEviT1_.uses_flat_scratch, 0
	.set _ZN2at6native32elementwise_kernel_manual_unrollILi128ELi4EZNS0_15gpu_kernel_implINS0_13AUnaryFunctorIsssZNS0_12_GLOBAL__N_121threshold_kernel_implIsEEvRNS_18TensorIteratorBaseET_S8_EUlssE_EEEEvS7_RKS8_EUlibE0_EEviT1_.has_dyn_sized_stack, 0
	.set _ZN2at6native32elementwise_kernel_manual_unrollILi128ELi4EZNS0_15gpu_kernel_implINS0_13AUnaryFunctorIsssZNS0_12_GLOBAL__N_121threshold_kernel_implIsEEvRNS_18TensorIteratorBaseET_S8_EUlssE_EEEEvS7_RKS8_EUlibE0_EEviT1_.has_recursion, 0
	.set _ZN2at6native32elementwise_kernel_manual_unrollILi128ELi4EZNS0_15gpu_kernel_implINS0_13AUnaryFunctorIsssZNS0_12_GLOBAL__N_121threshold_kernel_implIsEEvRNS_18TensorIteratorBaseET_S8_EUlssE_EEEEvS7_RKS8_EUlibE0_EEviT1_.has_indirect_call, 0
	.section	.AMDGPU.csdata,"",@progbits
; Kernel info:
; codeLenInByte = 35240
; TotalNumSgprs: 85
; NumVgprs: 18
; ScratchSize: 0
; MemoryBound: 1
; FloatMode: 240
; IeeeMode: 1
; LDSByteSize: 0 bytes/workgroup (compile time only)
; SGPRBlocks: 10
; VGPRBlocks: 4
; NumSGPRsForWavesPerEU: 85
; NumVGPRsForWavesPerEU: 18
; Occupancy: 9
; WaveLimiterHint : 1
; COMPUTE_PGM_RSRC2:SCRATCH_EN: 0
; COMPUTE_PGM_RSRC2:USER_SGPR: 6
; COMPUTE_PGM_RSRC2:TRAP_HANDLER: 0
; COMPUTE_PGM_RSRC2:TGID_X_EN: 1
; COMPUTE_PGM_RSRC2:TGID_Y_EN: 0
; COMPUTE_PGM_RSRC2:TGID_Z_EN: 0
; COMPUTE_PGM_RSRC2:TIDIG_COMP_CNT: 0
	.section	.text._ZN2at6native29vectorized_elementwise_kernelILi16ENS0_13BUnaryFunctorIsssZNS0_12_GLOBAL__N_121threshold_kernel_implIsEEvRNS_18TensorIteratorBaseET_S7_EUlssE_EESt5arrayIPcLm2EEEEviT0_T1_,"axG",@progbits,_ZN2at6native29vectorized_elementwise_kernelILi16ENS0_13BUnaryFunctorIsssZNS0_12_GLOBAL__N_121threshold_kernel_implIsEEvRNS_18TensorIteratorBaseET_S7_EUlssE_EESt5arrayIPcLm2EEEEviT0_T1_,comdat
	.globl	_ZN2at6native29vectorized_elementwise_kernelILi16ENS0_13BUnaryFunctorIsssZNS0_12_GLOBAL__N_121threshold_kernel_implIsEEvRNS_18TensorIteratorBaseET_S7_EUlssE_EESt5arrayIPcLm2EEEEviT0_T1_ ; -- Begin function _ZN2at6native29vectorized_elementwise_kernelILi16ENS0_13BUnaryFunctorIsssZNS0_12_GLOBAL__N_121threshold_kernel_implIsEEvRNS_18TensorIteratorBaseET_S7_EUlssE_EESt5arrayIPcLm2EEEEviT0_T1_
	.p2align	8
	.type	_ZN2at6native29vectorized_elementwise_kernelILi16ENS0_13BUnaryFunctorIsssZNS0_12_GLOBAL__N_121threshold_kernel_implIsEEvRNS_18TensorIteratorBaseET_S7_EUlssE_EESt5arrayIPcLm2EEEEviT0_T1_,@function
_ZN2at6native29vectorized_elementwise_kernelILi16ENS0_13BUnaryFunctorIsssZNS0_12_GLOBAL__N_121threshold_kernel_implIsEEvRNS_18TensorIteratorBaseET_S7_EUlssE_EESt5arrayIPcLm2EEEEviT0_T1_: ; @_ZN2at6native29vectorized_elementwise_kernelILi16ENS0_13BUnaryFunctorIsssZNS0_12_GLOBAL__N_121threshold_kernel_implIsEEvRNS_18TensorIteratorBaseET_S7_EUlssE_EESt5arrayIPcLm2EEEEviT0_T1_
; %bb.0:
	s_load_dwordx2 s[12:13], s[4:5], 0x0
	s_load_dword s7, s[4:5], 0x8
	s_load_dwordx4 s[8:11], s[4:5], 0x10
	s_lshl_b32 s4, s6, 11
	s_mov_b64 s[0:1], -1
	s_waitcnt lgkmcnt(0)
	s_sub_i32 s6, s12, s4
	s_cmpk_gt_i32 s6, 0x7ff
	s_cbranch_scc0 .LBB104_2
; %bb.1:
	s_ashr_i32 s5, s4, 31
	s_lshr_b32 s12, s13, 16
	s_lshl_b64 s[0:1], s[4:5], 1
	s_add_u32 s2, s10, s0
	s_addc_u32 s3, s11, s1
	v_lshlrev_b32_e32 v5, 4, v0
	global_load_dwordx4 v[1:4], v5, s[2:3]
	v_mov_b32_e32 v6, s7
	v_mov_b32_e32 v7, s12
	s_mov_b32 s2, 0x5040100
	s_add_u32 s0, s8, s0
	s_addc_u32 s1, s9, s1
	s_waitcnt vmcnt(0)
	v_cmp_lt_i16_e32 vcc, s13, v1
	v_cndmask_b32_e32 v8, v7, v6, vcc
	v_cmp_gt_i16_sdwa vcc, v1, s13 src0_sel:WORD_1 src1_sel:DWORD
	v_cndmask_b32_e32 v1, v7, v6, vcc
	v_cmp_lt_i16_e32 vcc, s13, v2
	v_cndmask_b32_e32 v9, v7, v6, vcc
	v_cmp_gt_i16_sdwa vcc, v2, s13 src0_sel:WORD_1 src1_sel:DWORD
	v_cndmask_b32_e32 v2, v7, v6, vcc
	v_cmp_lt_i16_e32 vcc, s13, v3
	v_cndmask_b32_e32 v10, v7, v6, vcc
	v_cmp_gt_i16_sdwa vcc, v3, s13 src0_sel:WORD_1 src1_sel:DWORD
	v_cndmask_b32_e32 v3, v7, v6, vcc
	v_cmp_lt_i16_e32 vcc, s13, v4
	v_cndmask_b32_e32 v11, v7, v6, vcc
	v_cmp_gt_i16_sdwa vcc, v4, s13 src0_sel:WORD_1 src1_sel:DWORD
	v_cndmask_b32_e32 v4, v7, v6, vcc
	v_perm_b32 v4, v4, v11, s2
	v_perm_b32 v3, v3, v10, s2
	;; [unrolled: 1-line block ×4, first 2 shown]
	global_store_dwordx4 v5, v[1:4], s[0:1]
	s_mov_b64 s[0:1], 0
.LBB104_2:
	s_andn2_b64 vcc, exec, s[0:1]
	s_cbranch_vccnz .LBB104_28
; %bb.3:
	v_cmp_gt_i32_e64 s[0:1], s6, v0
	v_mov_b32_e32 v3, 0
	v_or_b32_e32 v1, s4, v0
	v_mov_b32_e32 v2, 0
	v_mov_b32_e32 v4, v0
	s_and_saveexec_b64 s[2:3], s[0:1]
	s_cbranch_execz .LBB104_5
; %bb.4:
	v_mov_b32_e32 v2, 0
	v_lshlrev_b64 v[4:5], 1, v[1:2]
	v_mov_b32_e32 v2, s11
	v_add_co_u32_e32 v4, vcc, s10, v4
	v_addc_co_u32_e32 v5, vcc, v2, v5, vcc
	global_load_ushort v2, v[4:5], off
	v_or_b32_e32 v4, 0x100, v0
.LBB104_5:
	s_or_b64 exec, exec, s[2:3]
	v_cmp_gt_i32_e32 vcc, s6, v4
	s_and_saveexec_b64 s[2:3], vcc
	s_cbranch_execz .LBB104_7
; %bb.6:
	v_add_u32_e32 v5, s4, v4
	v_mov_b32_e32 v6, 0
	v_lshlrev_b64 v[5:6], 1, v[5:6]
	v_mov_b32_e32 v3, s11
	v_add_co_u32_e32 v5, vcc, s10, v5
	v_addc_co_u32_e32 v6, vcc, v3, v6, vcc
	global_load_ushort v3, v[5:6], off
	v_add_u32_e32 v4, 0x100, v4
.LBB104_7:
	s_or_b64 exec, exec, s[2:3]
	v_cmp_gt_i32_e32 vcc, s6, v4
	v_mov_b32_e32 v5, 0
	v_mov_b32_e32 v6, 0
	s_and_saveexec_b64 s[2:3], vcc
	s_cbranch_execz .LBB104_9
; %bb.8:
	v_add_u32_e32 v6, s4, v4
	v_mov_b32_e32 v7, 0
	v_lshlrev_b64 v[6:7], 1, v[6:7]
	v_mov_b32_e32 v8, s11
	v_add_co_u32_e32 v6, vcc, s10, v6
	v_addc_co_u32_e32 v7, vcc, v8, v7, vcc
	global_load_ushort v6, v[6:7], off
	v_add_u32_e32 v4, 0x100, v4
.LBB104_9:
	s_or_b64 exec, exec, s[2:3]
	v_cmp_gt_i32_e32 vcc, s6, v4
	s_and_saveexec_b64 s[2:3], vcc
	s_cbranch_execz .LBB104_11
; %bb.10:
	v_add_u32_e32 v7, s4, v4
	v_mov_b32_e32 v8, 0
	v_lshlrev_b64 v[7:8], 1, v[7:8]
	v_mov_b32_e32 v5, s11
	v_add_co_u32_e32 v7, vcc, s10, v7
	v_addc_co_u32_e32 v8, vcc, v5, v8, vcc
	global_load_ushort v5, v[7:8], off
	v_add_u32_e32 v4, 0x100, v4
.LBB104_11:
	s_or_b64 exec, exec, s[2:3]
	v_cmp_gt_i32_e32 vcc, s6, v4
	v_mov_b32_e32 v7, 0
	v_mov_b32_e32 v8, 0
	s_and_saveexec_b64 s[2:3], vcc
	s_cbranch_execz .LBB104_13
; %bb.12:
	v_add_u32_e32 v8, s4, v4
	v_mov_b32_e32 v9, 0
	v_lshlrev_b64 v[8:9], 1, v[8:9]
	v_mov_b32_e32 v10, s11
	v_add_co_u32_e32 v8, vcc, s10, v8
	v_addc_co_u32_e32 v9, vcc, v10, v9, vcc
	global_load_ushort v8, v[8:9], off
	v_add_u32_e32 v4, 0x100, v4
.LBB104_13:
	s_or_b64 exec, exec, s[2:3]
	v_cmp_gt_i32_e32 vcc, s6, v4
	s_and_saveexec_b64 s[2:3], vcc
	s_cbranch_execz .LBB104_15
; %bb.14:
	v_add_u32_e32 v9, s4, v4
	v_mov_b32_e32 v10, 0
	v_lshlrev_b64 v[9:10], 1, v[9:10]
	v_mov_b32_e32 v7, s11
	v_add_co_u32_e32 v9, vcc, s10, v9
	v_addc_co_u32_e32 v10, vcc, v7, v10, vcc
	global_load_ushort v7, v[9:10], off
	v_add_u32_e32 v4, 0x100, v4
.LBB104_15:
	s_or_b64 exec, exec, s[2:3]
	v_cmp_gt_i32_e32 vcc, s6, v4
	v_mov_b32_e32 v9, 0
	v_mov_b32_e32 v10, 0
	s_and_saveexec_b64 s[2:3], vcc
	s_cbranch_execz .LBB104_17
; %bb.16:
	v_add_u32_e32 v10, s4, v4
	v_mov_b32_e32 v11, 0
	v_lshlrev_b64 v[10:11], 1, v[10:11]
	v_mov_b32_e32 v12, s11
	v_add_co_u32_e32 v10, vcc, s10, v10
	v_addc_co_u32_e32 v11, vcc, v12, v11, vcc
	global_load_ushort v10, v[10:11], off
	v_add_u32_e32 v4, 0x100, v4
.LBB104_17:
	s_or_b64 exec, exec, s[2:3]
	v_cmp_gt_i32_e32 vcc, s6, v4
	s_and_saveexec_b64 s[2:3], vcc
	s_cbranch_execz .LBB104_19
; %bb.18:
	v_add_u32_e32 v11, s4, v4
	v_mov_b32_e32 v12, 0
	v_lshlrev_b64 v[11:12], 1, v[11:12]
	v_mov_b32_e32 v4, s11
	v_add_co_u32_e32 v11, vcc, s10, v11
	v_addc_co_u32_e32 v12, vcc, v4, v12, vcc
	global_load_ushort v9, v[11:12], off
.LBB104_19:
	s_or_b64 exec, exec, s[2:3]
	s_lshr_b32 s2, s13, 16
	v_mov_b32_e32 v13, s2
	v_mov_b32_e32 v14, s7
	s_waitcnt vmcnt(0)
	v_cmp_lt_i16_e64 s[2:3], s13, v2
	s_mov_b64 vcc, s[0:1]
	v_cndmask_b32_e64 v4, v13, v14, s[2:3]
	v_mov_b32_e32 v2, 0
	v_cndmask_b32_sdwa v4, v2, v4, vcc dst_sel:DWORD dst_unused:UNUSED_PAD src0_sel:DWORD src1_sel:WORD_0
	v_cmp_lt_i16_e32 vcc, s13, v3
	v_or_b32_e32 v12, 0x100, v0
	v_cndmask_b32_e32 v3, v13, v14, vcc
	s_mov_b32 s5, 0x5040100
	v_perm_b32 v3, v3, v4, s5
	v_cmp_gt_i32_e32 vcc, s6, v12
	v_cndmask_b32_e32 v11, v4, v3, vcc
	v_cmp_lt_i16_e32 vcc, s13, v6
	v_or_b32_e32 v3, 0x200, v0
	v_cndmask_b32_e32 v4, v13, v14, vcc
	v_and_b32_e32 v4, 0xffff, v4
	v_cmp_gt_i32_e32 vcc, s6, v3
	v_cndmask_b32_e32 v3, 0, v4, vcc
	v_cmp_lt_i16_e32 vcc, s13, v5
	v_or_b32_e32 v4, 0x300, v0
	v_cndmask_b32_e32 v5, v13, v14, vcc
	v_perm_b32 v5, v5, v3, s5
	v_cmp_gt_i32_e32 vcc, s6, v4
	v_cndmask_b32_e32 v5, v3, v5, vcc
	v_cmp_lt_i16_e32 vcc, s13, v8
	v_or_b32_e32 v3, 0x400, v0
	v_cndmask_b32_e32 v4, v13, v14, vcc
	v_and_b32_e32 v4, 0xffff, v4
	v_cmp_gt_i32_e32 vcc, s6, v3
	v_cndmask_b32_e32 v3, 0, v4, vcc
	v_cmp_lt_i16_e32 vcc, s13, v7
	v_or_b32_e32 v4, 0x500, v0
	v_cndmask_b32_e32 v6, v13, v14, vcc
	v_perm_b32 v6, v6, v3, s5
	v_cmp_gt_i32_e32 vcc, s6, v4
	v_cndmask_b32_e32 v4, v3, v6, vcc
	v_or_b32_e32 v3, 0x600, v0
	v_cmp_lt_i16_e64 s[2:3], s13, v10
	v_cmp_gt_i32_e32 vcc, s6, v3
	v_cndmask_b32_e64 v3, v13, v14, s[2:3]
	v_cndmask_b32_sdwa v3, v2, v3, vcc dst_sel:DWORD dst_unused:UNUSED_PAD src0_sel:DWORD src1_sel:WORD_0
	v_cmp_lt_i16_e32 vcc, s13, v9
	v_or_b32_e32 v6, 0x700, v0
	v_cndmask_b32_e32 v7, v13, v14, vcc
	v_perm_b32 v7, v7, v3, s5
	v_cmp_gt_i32_e32 vcc, s6, v6
	v_cndmask_b32_e32 v3, v3, v7, vcc
	s_and_saveexec_b64 s[2:3], s[0:1]
	s_cbranch_execnz .LBB104_29
; %bb.20:
	s_or_b64 exec, exec, s[2:3]
	v_cmp_gt_i32_e32 vcc, s6, v0
	s_and_saveexec_b64 s[0:1], vcc
	s_cbranch_execnz .LBB104_30
.LBB104_21:
	s_or_b64 exec, exec, s[0:1]
	v_cmp_gt_i32_e32 vcc, s6, v0
	s_and_saveexec_b64 s[0:1], vcc
	s_cbranch_execnz .LBB104_31
.LBB104_22:
	s_or_b64 exec, exec, s[0:1]
	v_cmp_gt_i32_e32 vcc, s6, v0
	s_and_saveexec_b64 s[0:1], vcc
	s_cbranch_execnz .LBB104_32
.LBB104_23:
	s_or_b64 exec, exec, s[0:1]
	v_cmp_gt_i32_e32 vcc, s6, v0
	s_and_saveexec_b64 s[0:1], vcc
	s_cbranch_execnz .LBB104_33
.LBB104_24:
	s_or_b64 exec, exec, s[0:1]
	v_cmp_gt_i32_e32 vcc, s6, v0
	s_and_saveexec_b64 s[0:1], vcc
	s_cbranch_execnz .LBB104_34
.LBB104_25:
	s_or_b64 exec, exec, s[0:1]
	v_cmp_gt_i32_e32 vcc, s6, v0
	s_and_saveexec_b64 s[0:1], vcc
	s_cbranch_execnz .LBB104_35
.LBB104_26:
	s_or_b64 exec, exec, s[0:1]
	v_cmp_gt_i32_e32 vcc, s6, v0
	s_and_saveexec_b64 s[0:1], vcc
	s_cbranch_execz .LBB104_28
.LBB104_27:
	v_add_u32_e32 v0, s4, v0
	v_mov_b32_e32 v1, 0
	v_lshlrev_b64 v[0:1], 1, v[0:1]
	v_mov_b32_e32 v2, s9
	v_add_co_u32_e32 v0, vcc, s8, v0
	v_addc_co_u32_e32 v1, vcc, v2, v1, vcc
	global_store_short_d16_hi v[0:1], v3, off
.LBB104_28:
	s_endpgm
.LBB104_29:
	v_lshlrev_b64 v[0:1], 1, v[1:2]
	v_mov_b32_e32 v2, s9
	v_add_co_u32_e32 v0, vcc, s8, v0
	v_addc_co_u32_e32 v1, vcc, v2, v1, vcc
	global_store_short v[0:1], v11, off
	v_mov_b32_e32 v0, v12
	s_or_b64 exec, exec, s[2:3]
	v_cmp_gt_i32_e32 vcc, s6, v0
	s_and_saveexec_b64 s[0:1], vcc
	s_cbranch_execz .LBB104_21
.LBB104_30:
	v_add_u32_e32 v1, s4, v0
	v_mov_b32_e32 v2, 0
	v_lshlrev_b64 v[1:2], 1, v[1:2]
	v_mov_b32_e32 v6, s9
	v_add_co_u32_e32 v1, vcc, s8, v1
	v_addc_co_u32_e32 v2, vcc, v6, v2, vcc
	v_add_u32_e32 v0, 0x100, v0
	global_store_short_d16_hi v[1:2], v11, off
	s_or_b64 exec, exec, s[0:1]
	v_cmp_gt_i32_e32 vcc, s6, v0
	s_and_saveexec_b64 s[0:1], vcc
	s_cbranch_execz .LBB104_22
.LBB104_31:
	v_add_u32_e32 v1, s4, v0
	v_mov_b32_e32 v2, 0
	v_lshlrev_b64 v[1:2], 1, v[1:2]
	v_mov_b32_e32 v6, s9
	v_add_co_u32_e32 v1, vcc, s8, v1
	v_addc_co_u32_e32 v2, vcc, v6, v2, vcc
	v_add_u32_e32 v0, 0x100, v0
	global_store_short v[1:2], v5, off
	s_or_b64 exec, exec, s[0:1]
	v_cmp_gt_i32_e32 vcc, s6, v0
	s_and_saveexec_b64 s[0:1], vcc
	s_cbranch_execz .LBB104_23
.LBB104_32:
	v_add_u32_e32 v1, s4, v0
	v_mov_b32_e32 v2, 0
	v_lshlrev_b64 v[1:2], 1, v[1:2]
	v_mov_b32_e32 v6, s9
	v_add_co_u32_e32 v1, vcc, s8, v1
	v_addc_co_u32_e32 v2, vcc, v6, v2, vcc
	v_add_u32_e32 v0, 0x100, v0
	global_store_short_d16_hi v[1:2], v5, off
	s_or_b64 exec, exec, s[0:1]
	v_cmp_gt_i32_e32 vcc, s6, v0
	s_and_saveexec_b64 s[0:1], vcc
	s_cbranch_execz .LBB104_24
.LBB104_33:
	v_add_u32_e32 v1, s4, v0
	v_mov_b32_e32 v2, 0
	v_lshlrev_b64 v[1:2], 1, v[1:2]
	v_mov_b32_e32 v5, s9
	v_add_co_u32_e32 v1, vcc, s8, v1
	v_addc_co_u32_e32 v2, vcc, v5, v2, vcc
	v_add_u32_e32 v0, 0x100, v0
	global_store_short v[1:2], v4, off
	s_or_b64 exec, exec, s[0:1]
	v_cmp_gt_i32_e32 vcc, s6, v0
	s_and_saveexec_b64 s[0:1], vcc
	s_cbranch_execz .LBB104_25
.LBB104_34:
	v_add_u32_e32 v1, s4, v0
	v_mov_b32_e32 v2, 0
	v_lshlrev_b64 v[1:2], 1, v[1:2]
	v_mov_b32_e32 v5, s9
	v_add_co_u32_e32 v1, vcc, s8, v1
	v_addc_co_u32_e32 v2, vcc, v5, v2, vcc
	v_add_u32_e32 v0, 0x100, v0
	global_store_short_d16_hi v[1:2], v4, off
	s_or_b64 exec, exec, s[0:1]
	v_cmp_gt_i32_e32 vcc, s6, v0
	s_and_saveexec_b64 s[0:1], vcc
	s_cbranch_execz .LBB104_26
.LBB104_35:
	v_add_u32_e32 v1, s4, v0
	v_mov_b32_e32 v2, 0
	v_lshlrev_b64 v[1:2], 1, v[1:2]
	v_mov_b32_e32 v4, s9
	v_add_co_u32_e32 v1, vcc, s8, v1
	v_addc_co_u32_e32 v2, vcc, v4, v2, vcc
	v_add_u32_e32 v0, 0x100, v0
	global_store_short v[1:2], v3, off
	s_or_b64 exec, exec, s[0:1]
	v_cmp_gt_i32_e32 vcc, s6, v0
	s_and_saveexec_b64 s[0:1], vcc
	s_cbranch_execnz .LBB104_27
	s_branch .LBB104_28
	.section	.rodata,"a",@progbits
	.p2align	6, 0x0
	.amdhsa_kernel _ZN2at6native29vectorized_elementwise_kernelILi16ENS0_13BUnaryFunctorIsssZNS0_12_GLOBAL__N_121threshold_kernel_implIsEEvRNS_18TensorIteratorBaseET_S7_EUlssE_EESt5arrayIPcLm2EEEEviT0_T1_
		.amdhsa_group_segment_fixed_size 0
		.amdhsa_private_segment_fixed_size 0
		.amdhsa_kernarg_size 32
		.amdhsa_user_sgpr_count 6
		.amdhsa_user_sgpr_private_segment_buffer 1
		.amdhsa_user_sgpr_dispatch_ptr 0
		.amdhsa_user_sgpr_queue_ptr 0
		.amdhsa_user_sgpr_kernarg_segment_ptr 1
		.amdhsa_user_sgpr_dispatch_id 0
		.amdhsa_user_sgpr_flat_scratch_init 0
		.amdhsa_user_sgpr_private_segment_size 0
		.amdhsa_uses_dynamic_stack 0
		.amdhsa_system_sgpr_private_segment_wavefront_offset 0
		.amdhsa_system_sgpr_workgroup_id_x 1
		.amdhsa_system_sgpr_workgroup_id_y 0
		.amdhsa_system_sgpr_workgroup_id_z 0
		.amdhsa_system_sgpr_workgroup_info 0
		.amdhsa_system_vgpr_workitem_id 0
		.amdhsa_next_free_vgpr 15
		.amdhsa_next_free_sgpr 14
		.amdhsa_reserve_vcc 1
		.amdhsa_reserve_flat_scratch 0
		.amdhsa_float_round_mode_32 0
		.amdhsa_float_round_mode_16_64 0
		.amdhsa_float_denorm_mode_32 3
		.amdhsa_float_denorm_mode_16_64 3
		.amdhsa_dx10_clamp 1
		.amdhsa_ieee_mode 1
		.amdhsa_fp16_overflow 0
		.amdhsa_exception_fp_ieee_invalid_op 0
		.amdhsa_exception_fp_denorm_src 0
		.amdhsa_exception_fp_ieee_div_zero 0
		.amdhsa_exception_fp_ieee_overflow 0
		.amdhsa_exception_fp_ieee_underflow 0
		.amdhsa_exception_fp_ieee_inexact 0
		.amdhsa_exception_int_div_zero 0
	.end_amdhsa_kernel
	.section	.text._ZN2at6native29vectorized_elementwise_kernelILi16ENS0_13BUnaryFunctorIsssZNS0_12_GLOBAL__N_121threshold_kernel_implIsEEvRNS_18TensorIteratorBaseET_S7_EUlssE_EESt5arrayIPcLm2EEEEviT0_T1_,"axG",@progbits,_ZN2at6native29vectorized_elementwise_kernelILi16ENS0_13BUnaryFunctorIsssZNS0_12_GLOBAL__N_121threshold_kernel_implIsEEvRNS_18TensorIteratorBaseET_S7_EUlssE_EESt5arrayIPcLm2EEEEviT0_T1_,comdat
.Lfunc_end104:
	.size	_ZN2at6native29vectorized_elementwise_kernelILi16ENS0_13BUnaryFunctorIsssZNS0_12_GLOBAL__N_121threshold_kernel_implIsEEvRNS_18TensorIteratorBaseET_S7_EUlssE_EESt5arrayIPcLm2EEEEviT0_T1_, .Lfunc_end104-_ZN2at6native29vectorized_elementwise_kernelILi16ENS0_13BUnaryFunctorIsssZNS0_12_GLOBAL__N_121threshold_kernel_implIsEEvRNS_18TensorIteratorBaseET_S7_EUlssE_EESt5arrayIPcLm2EEEEviT0_T1_
                                        ; -- End function
	.set _ZN2at6native29vectorized_elementwise_kernelILi16ENS0_13BUnaryFunctorIsssZNS0_12_GLOBAL__N_121threshold_kernel_implIsEEvRNS_18TensorIteratorBaseET_S7_EUlssE_EESt5arrayIPcLm2EEEEviT0_T1_.num_vgpr, 15
	.set _ZN2at6native29vectorized_elementwise_kernelILi16ENS0_13BUnaryFunctorIsssZNS0_12_GLOBAL__N_121threshold_kernel_implIsEEvRNS_18TensorIteratorBaseET_S7_EUlssE_EESt5arrayIPcLm2EEEEviT0_T1_.num_agpr, 0
	.set _ZN2at6native29vectorized_elementwise_kernelILi16ENS0_13BUnaryFunctorIsssZNS0_12_GLOBAL__N_121threshold_kernel_implIsEEvRNS_18TensorIteratorBaseET_S7_EUlssE_EESt5arrayIPcLm2EEEEviT0_T1_.numbered_sgpr, 14
	.set _ZN2at6native29vectorized_elementwise_kernelILi16ENS0_13BUnaryFunctorIsssZNS0_12_GLOBAL__N_121threshold_kernel_implIsEEvRNS_18TensorIteratorBaseET_S7_EUlssE_EESt5arrayIPcLm2EEEEviT0_T1_.num_named_barrier, 0
	.set _ZN2at6native29vectorized_elementwise_kernelILi16ENS0_13BUnaryFunctorIsssZNS0_12_GLOBAL__N_121threshold_kernel_implIsEEvRNS_18TensorIteratorBaseET_S7_EUlssE_EESt5arrayIPcLm2EEEEviT0_T1_.private_seg_size, 0
	.set _ZN2at6native29vectorized_elementwise_kernelILi16ENS0_13BUnaryFunctorIsssZNS0_12_GLOBAL__N_121threshold_kernel_implIsEEvRNS_18TensorIteratorBaseET_S7_EUlssE_EESt5arrayIPcLm2EEEEviT0_T1_.uses_vcc, 1
	.set _ZN2at6native29vectorized_elementwise_kernelILi16ENS0_13BUnaryFunctorIsssZNS0_12_GLOBAL__N_121threshold_kernel_implIsEEvRNS_18TensorIteratorBaseET_S7_EUlssE_EESt5arrayIPcLm2EEEEviT0_T1_.uses_flat_scratch, 0
	.set _ZN2at6native29vectorized_elementwise_kernelILi16ENS0_13BUnaryFunctorIsssZNS0_12_GLOBAL__N_121threshold_kernel_implIsEEvRNS_18TensorIteratorBaseET_S7_EUlssE_EESt5arrayIPcLm2EEEEviT0_T1_.has_dyn_sized_stack, 0
	.set _ZN2at6native29vectorized_elementwise_kernelILi16ENS0_13BUnaryFunctorIsssZNS0_12_GLOBAL__N_121threshold_kernel_implIsEEvRNS_18TensorIteratorBaseET_S7_EUlssE_EESt5arrayIPcLm2EEEEviT0_T1_.has_recursion, 0
	.set _ZN2at6native29vectorized_elementwise_kernelILi16ENS0_13BUnaryFunctorIsssZNS0_12_GLOBAL__N_121threshold_kernel_implIsEEvRNS_18TensorIteratorBaseET_S7_EUlssE_EESt5arrayIPcLm2EEEEviT0_T1_.has_indirect_call, 0
	.section	.AMDGPU.csdata,"",@progbits
; Kernel info:
; codeLenInByte = 1608
; TotalNumSgprs: 18
; NumVgprs: 15
; ScratchSize: 0
; MemoryBound: 0
; FloatMode: 240
; IeeeMode: 1
; LDSByteSize: 0 bytes/workgroup (compile time only)
; SGPRBlocks: 2
; VGPRBlocks: 3
; NumSGPRsForWavesPerEU: 18
; NumVGPRsForWavesPerEU: 15
; Occupancy: 10
; WaveLimiterHint : 0
; COMPUTE_PGM_RSRC2:SCRATCH_EN: 0
; COMPUTE_PGM_RSRC2:USER_SGPR: 6
; COMPUTE_PGM_RSRC2:TRAP_HANDLER: 0
; COMPUTE_PGM_RSRC2:TGID_X_EN: 1
; COMPUTE_PGM_RSRC2:TGID_Y_EN: 0
; COMPUTE_PGM_RSRC2:TGID_Z_EN: 0
; COMPUTE_PGM_RSRC2:TIDIG_COMP_CNT: 0
	.section	.text._ZN2at6native29vectorized_elementwise_kernelILi8ENS0_13BUnaryFunctorIsssZNS0_12_GLOBAL__N_121threshold_kernel_implIsEEvRNS_18TensorIteratorBaseET_S7_EUlssE_EESt5arrayIPcLm2EEEEviT0_T1_,"axG",@progbits,_ZN2at6native29vectorized_elementwise_kernelILi8ENS0_13BUnaryFunctorIsssZNS0_12_GLOBAL__N_121threshold_kernel_implIsEEvRNS_18TensorIteratorBaseET_S7_EUlssE_EESt5arrayIPcLm2EEEEviT0_T1_,comdat
	.globl	_ZN2at6native29vectorized_elementwise_kernelILi8ENS0_13BUnaryFunctorIsssZNS0_12_GLOBAL__N_121threshold_kernel_implIsEEvRNS_18TensorIteratorBaseET_S7_EUlssE_EESt5arrayIPcLm2EEEEviT0_T1_ ; -- Begin function _ZN2at6native29vectorized_elementwise_kernelILi8ENS0_13BUnaryFunctorIsssZNS0_12_GLOBAL__N_121threshold_kernel_implIsEEvRNS_18TensorIteratorBaseET_S7_EUlssE_EESt5arrayIPcLm2EEEEviT0_T1_
	.p2align	8
	.type	_ZN2at6native29vectorized_elementwise_kernelILi8ENS0_13BUnaryFunctorIsssZNS0_12_GLOBAL__N_121threshold_kernel_implIsEEvRNS_18TensorIteratorBaseET_S7_EUlssE_EESt5arrayIPcLm2EEEEviT0_T1_,@function
_ZN2at6native29vectorized_elementwise_kernelILi8ENS0_13BUnaryFunctorIsssZNS0_12_GLOBAL__N_121threshold_kernel_implIsEEvRNS_18TensorIteratorBaseET_S7_EUlssE_EESt5arrayIPcLm2EEEEviT0_T1_: ; @_ZN2at6native29vectorized_elementwise_kernelILi8ENS0_13BUnaryFunctorIsssZNS0_12_GLOBAL__N_121threshold_kernel_implIsEEvRNS_18TensorIteratorBaseET_S7_EUlssE_EESt5arrayIPcLm2EEEEviT0_T1_
; %bb.0:
	s_load_dwordx2 s[12:13], s[4:5], 0x0
	s_load_dword s7, s[4:5], 0x8
	s_load_dwordx4 s[8:11], s[4:5], 0x10
	s_lshl_b32 s4, s6, 11
	s_mov_b64 s[0:1], -1
	s_waitcnt lgkmcnt(0)
	s_sub_i32 s6, s12, s4
	s_cmpk_gt_i32 s6, 0x7ff
	s_cbranch_scc0 .LBB105_2
; %bb.1:
	s_ashr_i32 s5, s4, 31
	s_lshr_b32 s12, s13, 16
	s_lshl_b64 s[0:1], s[4:5], 1
	s_add_u32 s2, s10, s0
	s_addc_u32 s3, s11, s1
	v_lshlrev_b32_e32 v5, 4, v0
	global_load_dwordx4 v[1:4], v5, s[2:3]
	v_mov_b32_e32 v6, s7
	v_mov_b32_e32 v7, s12
	s_mov_b32 s2, 0x5040100
	s_add_u32 s0, s8, s0
	s_addc_u32 s1, s9, s1
	s_waitcnt vmcnt(0)
	v_cmp_lt_i16_e32 vcc, s13, v1
	v_cndmask_b32_e32 v8, v7, v6, vcc
	v_cmp_gt_i16_sdwa vcc, v1, s13 src0_sel:WORD_1 src1_sel:DWORD
	v_cndmask_b32_e32 v1, v7, v6, vcc
	v_cmp_lt_i16_e32 vcc, s13, v2
	v_cndmask_b32_e32 v9, v7, v6, vcc
	v_cmp_gt_i16_sdwa vcc, v2, s13 src0_sel:WORD_1 src1_sel:DWORD
	v_cndmask_b32_e32 v2, v7, v6, vcc
	;; [unrolled: 4-line block ×4, first 2 shown]
	v_perm_b32 v4, v4, v11, s2
	v_perm_b32 v3, v3, v10, s2
	;; [unrolled: 1-line block ×4, first 2 shown]
	global_store_dwordx4 v5, v[1:4], s[0:1]
	s_mov_b64 s[0:1], 0
.LBB105_2:
	s_andn2_b64 vcc, exec, s[0:1]
	s_cbranch_vccnz .LBB105_28
; %bb.3:
	v_cmp_gt_i32_e64 s[0:1], s6, v0
	v_mov_b32_e32 v3, 0
	v_or_b32_e32 v1, s4, v0
	v_mov_b32_e32 v2, 0
	v_mov_b32_e32 v4, v0
	s_and_saveexec_b64 s[2:3], s[0:1]
	s_cbranch_execz .LBB105_5
; %bb.4:
	v_mov_b32_e32 v2, 0
	v_lshlrev_b64 v[4:5], 1, v[1:2]
	v_mov_b32_e32 v2, s11
	v_add_co_u32_e32 v4, vcc, s10, v4
	v_addc_co_u32_e32 v5, vcc, v2, v5, vcc
	global_load_ushort v2, v[4:5], off
	v_or_b32_e32 v4, 0x100, v0
.LBB105_5:
	s_or_b64 exec, exec, s[2:3]
	v_cmp_gt_i32_e32 vcc, s6, v4
	s_and_saveexec_b64 s[2:3], vcc
	s_cbranch_execz .LBB105_7
; %bb.6:
	v_add_u32_e32 v5, s4, v4
	v_mov_b32_e32 v6, 0
	v_lshlrev_b64 v[5:6], 1, v[5:6]
	v_mov_b32_e32 v3, s11
	v_add_co_u32_e32 v5, vcc, s10, v5
	v_addc_co_u32_e32 v6, vcc, v3, v6, vcc
	global_load_ushort v3, v[5:6], off
	v_add_u32_e32 v4, 0x100, v4
.LBB105_7:
	s_or_b64 exec, exec, s[2:3]
	v_cmp_gt_i32_e32 vcc, s6, v4
	v_mov_b32_e32 v5, 0
	v_mov_b32_e32 v6, 0
	s_and_saveexec_b64 s[2:3], vcc
	s_cbranch_execz .LBB105_9
; %bb.8:
	v_add_u32_e32 v6, s4, v4
	v_mov_b32_e32 v7, 0
	v_lshlrev_b64 v[6:7], 1, v[6:7]
	v_mov_b32_e32 v8, s11
	v_add_co_u32_e32 v6, vcc, s10, v6
	v_addc_co_u32_e32 v7, vcc, v8, v7, vcc
	global_load_ushort v6, v[6:7], off
	v_add_u32_e32 v4, 0x100, v4
.LBB105_9:
	s_or_b64 exec, exec, s[2:3]
	v_cmp_gt_i32_e32 vcc, s6, v4
	s_and_saveexec_b64 s[2:3], vcc
	s_cbranch_execz .LBB105_11
; %bb.10:
	v_add_u32_e32 v7, s4, v4
	v_mov_b32_e32 v8, 0
	v_lshlrev_b64 v[7:8], 1, v[7:8]
	v_mov_b32_e32 v5, s11
	v_add_co_u32_e32 v7, vcc, s10, v7
	v_addc_co_u32_e32 v8, vcc, v5, v8, vcc
	global_load_ushort v5, v[7:8], off
	v_add_u32_e32 v4, 0x100, v4
.LBB105_11:
	s_or_b64 exec, exec, s[2:3]
	v_cmp_gt_i32_e32 vcc, s6, v4
	v_mov_b32_e32 v7, 0
	v_mov_b32_e32 v8, 0
	s_and_saveexec_b64 s[2:3], vcc
	s_cbranch_execz .LBB105_13
; %bb.12:
	v_add_u32_e32 v8, s4, v4
	v_mov_b32_e32 v9, 0
	v_lshlrev_b64 v[8:9], 1, v[8:9]
	v_mov_b32_e32 v10, s11
	v_add_co_u32_e32 v8, vcc, s10, v8
	v_addc_co_u32_e32 v9, vcc, v10, v9, vcc
	global_load_ushort v8, v[8:9], off
	v_add_u32_e32 v4, 0x100, v4
.LBB105_13:
	;; [unrolled: 30-line block ×3, first 2 shown]
	s_or_b64 exec, exec, s[2:3]
	v_cmp_gt_i32_e32 vcc, s6, v4
	s_and_saveexec_b64 s[2:3], vcc
	s_cbranch_execz .LBB105_19
; %bb.18:
	v_add_u32_e32 v11, s4, v4
	v_mov_b32_e32 v12, 0
	v_lshlrev_b64 v[11:12], 1, v[11:12]
	v_mov_b32_e32 v4, s11
	v_add_co_u32_e32 v11, vcc, s10, v11
	v_addc_co_u32_e32 v12, vcc, v4, v12, vcc
	global_load_ushort v9, v[11:12], off
.LBB105_19:
	s_or_b64 exec, exec, s[2:3]
	s_lshr_b32 s2, s13, 16
	v_mov_b32_e32 v13, s2
	v_mov_b32_e32 v14, s7
	s_waitcnt vmcnt(0)
	v_cmp_lt_i16_e64 s[2:3], s13, v2
	s_mov_b64 vcc, s[0:1]
	v_cndmask_b32_e64 v4, v13, v14, s[2:3]
	v_mov_b32_e32 v2, 0
	v_cndmask_b32_sdwa v4, v2, v4, vcc dst_sel:DWORD dst_unused:UNUSED_PAD src0_sel:DWORD src1_sel:WORD_0
	v_cmp_lt_i16_e32 vcc, s13, v3
	v_or_b32_e32 v12, 0x100, v0
	v_cndmask_b32_e32 v3, v13, v14, vcc
	s_mov_b32 s5, 0x5040100
	v_perm_b32 v3, v3, v4, s5
	v_cmp_gt_i32_e32 vcc, s6, v12
	v_cndmask_b32_e32 v11, v4, v3, vcc
	v_cmp_lt_i16_e32 vcc, s13, v6
	v_or_b32_e32 v3, 0x200, v0
	v_cndmask_b32_e32 v4, v13, v14, vcc
	v_and_b32_e32 v4, 0xffff, v4
	v_cmp_gt_i32_e32 vcc, s6, v3
	v_cndmask_b32_e32 v3, 0, v4, vcc
	v_cmp_lt_i16_e32 vcc, s13, v5
	v_or_b32_e32 v4, 0x300, v0
	v_cndmask_b32_e32 v5, v13, v14, vcc
	v_perm_b32 v5, v5, v3, s5
	v_cmp_gt_i32_e32 vcc, s6, v4
	v_cndmask_b32_e32 v5, v3, v5, vcc
	v_cmp_lt_i16_e32 vcc, s13, v8
	v_or_b32_e32 v3, 0x400, v0
	v_cndmask_b32_e32 v4, v13, v14, vcc
	v_and_b32_e32 v4, 0xffff, v4
	v_cmp_gt_i32_e32 vcc, s6, v3
	v_cndmask_b32_e32 v3, 0, v4, vcc
	v_cmp_lt_i16_e32 vcc, s13, v7
	v_or_b32_e32 v4, 0x500, v0
	v_cndmask_b32_e32 v6, v13, v14, vcc
	v_perm_b32 v6, v6, v3, s5
	v_cmp_gt_i32_e32 vcc, s6, v4
	v_cndmask_b32_e32 v4, v3, v6, vcc
	v_or_b32_e32 v3, 0x600, v0
	v_cmp_lt_i16_e64 s[2:3], s13, v10
	v_cmp_gt_i32_e32 vcc, s6, v3
	v_cndmask_b32_e64 v3, v13, v14, s[2:3]
	v_cndmask_b32_sdwa v3, v2, v3, vcc dst_sel:DWORD dst_unused:UNUSED_PAD src0_sel:DWORD src1_sel:WORD_0
	v_cmp_lt_i16_e32 vcc, s13, v9
	v_or_b32_e32 v6, 0x700, v0
	v_cndmask_b32_e32 v7, v13, v14, vcc
	v_perm_b32 v7, v7, v3, s5
	v_cmp_gt_i32_e32 vcc, s6, v6
	v_cndmask_b32_e32 v3, v3, v7, vcc
	s_and_saveexec_b64 s[2:3], s[0:1]
	s_cbranch_execnz .LBB105_29
; %bb.20:
	s_or_b64 exec, exec, s[2:3]
	v_cmp_gt_i32_e32 vcc, s6, v0
	s_and_saveexec_b64 s[0:1], vcc
	s_cbranch_execnz .LBB105_30
.LBB105_21:
	s_or_b64 exec, exec, s[0:1]
	v_cmp_gt_i32_e32 vcc, s6, v0
	s_and_saveexec_b64 s[0:1], vcc
	s_cbranch_execnz .LBB105_31
.LBB105_22:
	s_or_b64 exec, exec, s[0:1]
	v_cmp_gt_i32_e32 vcc, s6, v0
	s_and_saveexec_b64 s[0:1], vcc
	s_cbranch_execnz .LBB105_32
.LBB105_23:
	s_or_b64 exec, exec, s[0:1]
	v_cmp_gt_i32_e32 vcc, s6, v0
	s_and_saveexec_b64 s[0:1], vcc
	s_cbranch_execnz .LBB105_33
.LBB105_24:
	s_or_b64 exec, exec, s[0:1]
	v_cmp_gt_i32_e32 vcc, s6, v0
	s_and_saveexec_b64 s[0:1], vcc
	s_cbranch_execnz .LBB105_34
.LBB105_25:
	s_or_b64 exec, exec, s[0:1]
	v_cmp_gt_i32_e32 vcc, s6, v0
	s_and_saveexec_b64 s[0:1], vcc
	s_cbranch_execnz .LBB105_35
.LBB105_26:
	s_or_b64 exec, exec, s[0:1]
	v_cmp_gt_i32_e32 vcc, s6, v0
	s_and_saveexec_b64 s[0:1], vcc
	s_cbranch_execz .LBB105_28
.LBB105_27:
	v_add_u32_e32 v0, s4, v0
	v_mov_b32_e32 v1, 0
	v_lshlrev_b64 v[0:1], 1, v[0:1]
	v_mov_b32_e32 v2, s9
	v_add_co_u32_e32 v0, vcc, s8, v0
	v_addc_co_u32_e32 v1, vcc, v2, v1, vcc
	global_store_short_d16_hi v[0:1], v3, off
.LBB105_28:
	s_endpgm
.LBB105_29:
	v_lshlrev_b64 v[0:1], 1, v[1:2]
	v_mov_b32_e32 v2, s9
	v_add_co_u32_e32 v0, vcc, s8, v0
	v_addc_co_u32_e32 v1, vcc, v2, v1, vcc
	global_store_short v[0:1], v11, off
	v_mov_b32_e32 v0, v12
	s_or_b64 exec, exec, s[2:3]
	v_cmp_gt_i32_e32 vcc, s6, v0
	s_and_saveexec_b64 s[0:1], vcc
	s_cbranch_execz .LBB105_21
.LBB105_30:
	v_add_u32_e32 v1, s4, v0
	v_mov_b32_e32 v2, 0
	v_lshlrev_b64 v[1:2], 1, v[1:2]
	v_mov_b32_e32 v6, s9
	v_add_co_u32_e32 v1, vcc, s8, v1
	v_addc_co_u32_e32 v2, vcc, v6, v2, vcc
	v_add_u32_e32 v0, 0x100, v0
	global_store_short_d16_hi v[1:2], v11, off
	s_or_b64 exec, exec, s[0:1]
	v_cmp_gt_i32_e32 vcc, s6, v0
	s_and_saveexec_b64 s[0:1], vcc
	s_cbranch_execz .LBB105_22
.LBB105_31:
	v_add_u32_e32 v1, s4, v0
	v_mov_b32_e32 v2, 0
	v_lshlrev_b64 v[1:2], 1, v[1:2]
	v_mov_b32_e32 v6, s9
	v_add_co_u32_e32 v1, vcc, s8, v1
	v_addc_co_u32_e32 v2, vcc, v6, v2, vcc
	v_add_u32_e32 v0, 0x100, v0
	global_store_short v[1:2], v5, off
	s_or_b64 exec, exec, s[0:1]
	v_cmp_gt_i32_e32 vcc, s6, v0
	s_and_saveexec_b64 s[0:1], vcc
	s_cbranch_execz .LBB105_23
.LBB105_32:
	v_add_u32_e32 v1, s4, v0
	v_mov_b32_e32 v2, 0
	v_lshlrev_b64 v[1:2], 1, v[1:2]
	v_mov_b32_e32 v6, s9
	v_add_co_u32_e32 v1, vcc, s8, v1
	v_addc_co_u32_e32 v2, vcc, v6, v2, vcc
	v_add_u32_e32 v0, 0x100, v0
	global_store_short_d16_hi v[1:2], v5, off
	s_or_b64 exec, exec, s[0:1]
	v_cmp_gt_i32_e32 vcc, s6, v0
	s_and_saveexec_b64 s[0:1], vcc
	s_cbranch_execz .LBB105_24
.LBB105_33:
	v_add_u32_e32 v1, s4, v0
	v_mov_b32_e32 v2, 0
	v_lshlrev_b64 v[1:2], 1, v[1:2]
	v_mov_b32_e32 v5, s9
	v_add_co_u32_e32 v1, vcc, s8, v1
	v_addc_co_u32_e32 v2, vcc, v5, v2, vcc
	v_add_u32_e32 v0, 0x100, v0
	global_store_short v[1:2], v4, off
	s_or_b64 exec, exec, s[0:1]
	v_cmp_gt_i32_e32 vcc, s6, v0
	s_and_saveexec_b64 s[0:1], vcc
	s_cbranch_execz .LBB105_25
.LBB105_34:
	v_add_u32_e32 v1, s4, v0
	v_mov_b32_e32 v2, 0
	v_lshlrev_b64 v[1:2], 1, v[1:2]
	v_mov_b32_e32 v5, s9
	v_add_co_u32_e32 v1, vcc, s8, v1
	v_addc_co_u32_e32 v2, vcc, v5, v2, vcc
	v_add_u32_e32 v0, 0x100, v0
	global_store_short_d16_hi v[1:2], v4, off
	s_or_b64 exec, exec, s[0:1]
	v_cmp_gt_i32_e32 vcc, s6, v0
	s_and_saveexec_b64 s[0:1], vcc
	s_cbranch_execz .LBB105_26
.LBB105_35:
	v_add_u32_e32 v1, s4, v0
	v_mov_b32_e32 v2, 0
	v_lshlrev_b64 v[1:2], 1, v[1:2]
	v_mov_b32_e32 v4, s9
	v_add_co_u32_e32 v1, vcc, s8, v1
	v_addc_co_u32_e32 v2, vcc, v4, v2, vcc
	v_add_u32_e32 v0, 0x100, v0
	global_store_short v[1:2], v3, off
	s_or_b64 exec, exec, s[0:1]
	v_cmp_gt_i32_e32 vcc, s6, v0
	s_and_saveexec_b64 s[0:1], vcc
	s_cbranch_execnz .LBB105_27
	s_branch .LBB105_28
	.section	.rodata,"a",@progbits
	.p2align	6, 0x0
	.amdhsa_kernel _ZN2at6native29vectorized_elementwise_kernelILi8ENS0_13BUnaryFunctorIsssZNS0_12_GLOBAL__N_121threshold_kernel_implIsEEvRNS_18TensorIteratorBaseET_S7_EUlssE_EESt5arrayIPcLm2EEEEviT0_T1_
		.amdhsa_group_segment_fixed_size 0
		.amdhsa_private_segment_fixed_size 0
		.amdhsa_kernarg_size 32
		.amdhsa_user_sgpr_count 6
		.amdhsa_user_sgpr_private_segment_buffer 1
		.amdhsa_user_sgpr_dispatch_ptr 0
		.amdhsa_user_sgpr_queue_ptr 0
		.amdhsa_user_sgpr_kernarg_segment_ptr 1
		.amdhsa_user_sgpr_dispatch_id 0
		.amdhsa_user_sgpr_flat_scratch_init 0
		.amdhsa_user_sgpr_private_segment_size 0
		.amdhsa_uses_dynamic_stack 0
		.amdhsa_system_sgpr_private_segment_wavefront_offset 0
		.amdhsa_system_sgpr_workgroup_id_x 1
		.amdhsa_system_sgpr_workgroup_id_y 0
		.amdhsa_system_sgpr_workgroup_id_z 0
		.amdhsa_system_sgpr_workgroup_info 0
		.amdhsa_system_vgpr_workitem_id 0
		.amdhsa_next_free_vgpr 15
		.amdhsa_next_free_sgpr 14
		.amdhsa_reserve_vcc 1
		.amdhsa_reserve_flat_scratch 0
		.amdhsa_float_round_mode_32 0
		.amdhsa_float_round_mode_16_64 0
		.amdhsa_float_denorm_mode_32 3
		.amdhsa_float_denorm_mode_16_64 3
		.amdhsa_dx10_clamp 1
		.amdhsa_ieee_mode 1
		.amdhsa_fp16_overflow 0
		.amdhsa_exception_fp_ieee_invalid_op 0
		.amdhsa_exception_fp_denorm_src 0
		.amdhsa_exception_fp_ieee_div_zero 0
		.amdhsa_exception_fp_ieee_overflow 0
		.amdhsa_exception_fp_ieee_underflow 0
		.amdhsa_exception_fp_ieee_inexact 0
		.amdhsa_exception_int_div_zero 0
	.end_amdhsa_kernel
	.section	.text._ZN2at6native29vectorized_elementwise_kernelILi8ENS0_13BUnaryFunctorIsssZNS0_12_GLOBAL__N_121threshold_kernel_implIsEEvRNS_18TensorIteratorBaseET_S7_EUlssE_EESt5arrayIPcLm2EEEEviT0_T1_,"axG",@progbits,_ZN2at6native29vectorized_elementwise_kernelILi8ENS0_13BUnaryFunctorIsssZNS0_12_GLOBAL__N_121threshold_kernel_implIsEEvRNS_18TensorIteratorBaseET_S7_EUlssE_EESt5arrayIPcLm2EEEEviT0_T1_,comdat
.Lfunc_end105:
	.size	_ZN2at6native29vectorized_elementwise_kernelILi8ENS0_13BUnaryFunctorIsssZNS0_12_GLOBAL__N_121threshold_kernel_implIsEEvRNS_18TensorIteratorBaseET_S7_EUlssE_EESt5arrayIPcLm2EEEEviT0_T1_, .Lfunc_end105-_ZN2at6native29vectorized_elementwise_kernelILi8ENS0_13BUnaryFunctorIsssZNS0_12_GLOBAL__N_121threshold_kernel_implIsEEvRNS_18TensorIteratorBaseET_S7_EUlssE_EESt5arrayIPcLm2EEEEviT0_T1_
                                        ; -- End function
	.set _ZN2at6native29vectorized_elementwise_kernelILi8ENS0_13BUnaryFunctorIsssZNS0_12_GLOBAL__N_121threshold_kernel_implIsEEvRNS_18TensorIteratorBaseET_S7_EUlssE_EESt5arrayIPcLm2EEEEviT0_T1_.num_vgpr, 15
	.set _ZN2at6native29vectorized_elementwise_kernelILi8ENS0_13BUnaryFunctorIsssZNS0_12_GLOBAL__N_121threshold_kernel_implIsEEvRNS_18TensorIteratorBaseET_S7_EUlssE_EESt5arrayIPcLm2EEEEviT0_T1_.num_agpr, 0
	.set _ZN2at6native29vectorized_elementwise_kernelILi8ENS0_13BUnaryFunctorIsssZNS0_12_GLOBAL__N_121threshold_kernel_implIsEEvRNS_18TensorIteratorBaseET_S7_EUlssE_EESt5arrayIPcLm2EEEEviT0_T1_.numbered_sgpr, 14
	.set _ZN2at6native29vectorized_elementwise_kernelILi8ENS0_13BUnaryFunctorIsssZNS0_12_GLOBAL__N_121threshold_kernel_implIsEEvRNS_18TensorIteratorBaseET_S7_EUlssE_EESt5arrayIPcLm2EEEEviT0_T1_.num_named_barrier, 0
	.set _ZN2at6native29vectorized_elementwise_kernelILi8ENS0_13BUnaryFunctorIsssZNS0_12_GLOBAL__N_121threshold_kernel_implIsEEvRNS_18TensorIteratorBaseET_S7_EUlssE_EESt5arrayIPcLm2EEEEviT0_T1_.private_seg_size, 0
	.set _ZN2at6native29vectorized_elementwise_kernelILi8ENS0_13BUnaryFunctorIsssZNS0_12_GLOBAL__N_121threshold_kernel_implIsEEvRNS_18TensorIteratorBaseET_S7_EUlssE_EESt5arrayIPcLm2EEEEviT0_T1_.uses_vcc, 1
	.set _ZN2at6native29vectorized_elementwise_kernelILi8ENS0_13BUnaryFunctorIsssZNS0_12_GLOBAL__N_121threshold_kernel_implIsEEvRNS_18TensorIteratorBaseET_S7_EUlssE_EESt5arrayIPcLm2EEEEviT0_T1_.uses_flat_scratch, 0
	.set _ZN2at6native29vectorized_elementwise_kernelILi8ENS0_13BUnaryFunctorIsssZNS0_12_GLOBAL__N_121threshold_kernel_implIsEEvRNS_18TensorIteratorBaseET_S7_EUlssE_EESt5arrayIPcLm2EEEEviT0_T1_.has_dyn_sized_stack, 0
	.set _ZN2at6native29vectorized_elementwise_kernelILi8ENS0_13BUnaryFunctorIsssZNS0_12_GLOBAL__N_121threshold_kernel_implIsEEvRNS_18TensorIteratorBaseET_S7_EUlssE_EESt5arrayIPcLm2EEEEviT0_T1_.has_recursion, 0
	.set _ZN2at6native29vectorized_elementwise_kernelILi8ENS0_13BUnaryFunctorIsssZNS0_12_GLOBAL__N_121threshold_kernel_implIsEEvRNS_18TensorIteratorBaseET_S7_EUlssE_EESt5arrayIPcLm2EEEEviT0_T1_.has_indirect_call, 0
	.section	.AMDGPU.csdata,"",@progbits
; Kernel info:
; codeLenInByte = 1608
; TotalNumSgprs: 18
; NumVgprs: 15
; ScratchSize: 0
; MemoryBound: 0
; FloatMode: 240
; IeeeMode: 1
; LDSByteSize: 0 bytes/workgroup (compile time only)
; SGPRBlocks: 2
; VGPRBlocks: 3
; NumSGPRsForWavesPerEU: 18
; NumVGPRsForWavesPerEU: 15
; Occupancy: 10
; WaveLimiterHint : 0
; COMPUTE_PGM_RSRC2:SCRATCH_EN: 0
; COMPUTE_PGM_RSRC2:USER_SGPR: 6
; COMPUTE_PGM_RSRC2:TRAP_HANDLER: 0
; COMPUTE_PGM_RSRC2:TGID_X_EN: 1
; COMPUTE_PGM_RSRC2:TGID_Y_EN: 0
; COMPUTE_PGM_RSRC2:TGID_Z_EN: 0
; COMPUTE_PGM_RSRC2:TIDIG_COMP_CNT: 0
	.section	.text._ZN2at6native29vectorized_elementwise_kernelILi4ENS0_13BUnaryFunctorIsssZNS0_12_GLOBAL__N_121threshold_kernel_implIsEEvRNS_18TensorIteratorBaseET_S7_EUlssE_EESt5arrayIPcLm2EEEEviT0_T1_,"axG",@progbits,_ZN2at6native29vectorized_elementwise_kernelILi4ENS0_13BUnaryFunctorIsssZNS0_12_GLOBAL__N_121threshold_kernel_implIsEEvRNS_18TensorIteratorBaseET_S7_EUlssE_EESt5arrayIPcLm2EEEEviT0_T1_,comdat
	.globl	_ZN2at6native29vectorized_elementwise_kernelILi4ENS0_13BUnaryFunctorIsssZNS0_12_GLOBAL__N_121threshold_kernel_implIsEEvRNS_18TensorIteratorBaseET_S7_EUlssE_EESt5arrayIPcLm2EEEEviT0_T1_ ; -- Begin function _ZN2at6native29vectorized_elementwise_kernelILi4ENS0_13BUnaryFunctorIsssZNS0_12_GLOBAL__N_121threshold_kernel_implIsEEvRNS_18TensorIteratorBaseET_S7_EUlssE_EESt5arrayIPcLm2EEEEviT0_T1_
	.p2align	8
	.type	_ZN2at6native29vectorized_elementwise_kernelILi4ENS0_13BUnaryFunctorIsssZNS0_12_GLOBAL__N_121threshold_kernel_implIsEEvRNS_18TensorIteratorBaseET_S7_EUlssE_EESt5arrayIPcLm2EEEEviT0_T1_,@function
_ZN2at6native29vectorized_elementwise_kernelILi4ENS0_13BUnaryFunctorIsssZNS0_12_GLOBAL__N_121threshold_kernel_implIsEEvRNS_18TensorIteratorBaseET_S7_EUlssE_EESt5arrayIPcLm2EEEEviT0_T1_: ; @_ZN2at6native29vectorized_elementwise_kernelILi4ENS0_13BUnaryFunctorIsssZNS0_12_GLOBAL__N_121threshold_kernel_implIsEEvRNS_18TensorIteratorBaseET_S7_EUlssE_EESt5arrayIPcLm2EEEEviT0_T1_
; %bb.0:
	s_load_dwordx2 s[12:13], s[4:5], 0x0
	s_load_dword s7, s[4:5], 0x8
	s_load_dwordx4 s[8:11], s[4:5], 0x10
	s_lshl_b32 s4, s6, 11
	s_mov_b64 s[0:1], -1
	s_waitcnt lgkmcnt(0)
	s_sub_i32 s6, s12, s4
	s_cmpk_gt_i32 s6, 0x7ff
	s_cbranch_scc0 .LBB106_2
; %bb.1:
	s_ashr_i32 s5, s4, 31
	s_lshr_b32 s12, s13, 16
	s_lshl_b64 s[0:1], s[4:5], 1
	s_add_u32 s2, s10, s0
	s_addc_u32 s3, s11, s1
	v_lshlrev_b32_e32 v5, 3, v0
	global_load_dwordx2 v[1:2], v5, s[2:3]
	global_load_dwordx2 v[3:4], v5, s[2:3] offset:2048
	v_mov_b32_e32 v6, s7
	v_mov_b32_e32 v7, s12
	s_mov_b32 s2, 0x5040100
	s_add_u32 s0, s8, s0
	s_addc_u32 s1, s9, s1
	s_waitcnt vmcnt(1)
	v_cmp_lt_i16_e32 vcc, s13, v1
	v_cndmask_b32_e32 v8, v7, v6, vcc
	v_cmp_gt_i16_sdwa vcc, v1, s13 src0_sel:WORD_1 src1_sel:DWORD
	v_cndmask_b32_e32 v9, v7, v6, vcc
	v_cmp_lt_i16_e32 vcc, s13, v2
	v_cndmask_b32_e32 v10, v7, v6, vcc
	v_cmp_gt_i16_sdwa vcc, v2, s13 src0_sel:WORD_1 src1_sel:DWORD
	v_cndmask_b32_e32 v11, v7, v6, vcc
	s_waitcnt vmcnt(0)
	v_cmp_lt_i16_e32 vcc, s13, v3
	v_cndmask_b32_e32 v1, v7, v6, vcc
	v_cmp_gt_i16_sdwa vcc, v3, s13 src0_sel:WORD_1 src1_sel:DWORD
	v_cndmask_b32_e32 v3, v7, v6, vcc
	v_cmp_lt_i16_e32 vcc, s13, v4
	v_cndmask_b32_e32 v2, v7, v6, vcc
	v_cmp_gt_i16_sdwa vcc, v4, s13 src0_sel:WORD_1 src1_sel:DWORD
	v_cndmask_b32_e32 v4, v7, v6, vcc
	v_perm_b32 v2, v4, v2, s2
	v_perm_b32 v1, v3, v1, s2
	;; [unrolled: 1-line block ×4, first 2 shown]
	global_store_dwordx2 v5, v[3:4], s[0:1]
	global_store_dwordx2 v5, v[1:2], s[0:1] offset:2048
	s_mov_b64 s[0:1], 0
.LBB106_2:
	s_andn2_b64 vcc, exec, s[0:1]
	s_cbranch_vccnz .LBB106_28
; %bb.3:
	v_cmp_gt_i32_e64 s[0:1], s6, v0
	v_mov_b32_e32 v3, 0
	v_or_b32_e32 v1, s4, v0
	v_mov_b32_e32 v2, 0
	v_mov_b32_e32 v4, v0
	s_and_saveexec_b64 s[2:3], s[0:1]
	s_cbranch_execz .LBB106_5
; %bb.4:
	v_mov_b32_e32 v2, 0
	v_lshlrev_b64 v[4:5], 1, v[1:2]
	v_mov_b32_e32 v2, s11
	v_add_co_u32_e32 v4, vcc, s10, v4
	v_addc_co_u32_e32 v5, vcc, v2, v5, vcc
	global_load_ushort v2, v[4:5], off
	v_or_b32_e32 v4, 0x100, v0
.LBB106_5:
	s_or_b64 exec, exec, s[2:3]
	v_cmp_gt_i32_e32 vcc, s6, v4
	s_and_saveexec_b64 s[2:3], vcc
	s_cbranch_execz .LBB106_7
; %bb.6:
	v_add_u32_e32 v5, s4, v4
	v_mov_b32_e32 v6, 0
	v_lshlrev_b64 v[5:6], 1, v[5:6]
	v_mov_b32_e32 v3, s11
	v_add_co_u32_e32 v5, vcc, s10, v5
	v_addc_co_u32_e32 v6, vcc, v3, v6, vcc
	global_load_ushort v3, v[5:6], off
	v_add_u32_e32 v4, 0x100, v4
.LBB106_7:
	s_or_b64 exec, exec, s[2:3]
	v_cmp_gt_i32_e32 vcc, s6, v4
	v_mov_b32_e32 v5, 0
	v_mov_b32_e32 v6, 0
	s_and_saveexec_b64 s[2:3], vcc
	s_cbranch_execz .LBB106_9
; %bb.8:
	v_add_u32_e32 v6, s4, v4
	v_mov_b32_e32 v7, 0
	v_lshlrev_b64 v[6:7], 1, v[6:7]
	v_mov_b32_e32 v8, s11
	v_add_co_u32_e32 v6, vcc, s10, v6
	v_addc_co_u32_e32 v7, vcc, v8, v7, vcc
	global_load_ushort v6, v[6:7], off
	v_add_u32_e32 v4, 0x100, v4
.LBB106_9:
	s_or_b64 exec, exec, s[2:3]
	v_cmp_gt_i32_e32 vcc, s6, v4
	s_and_saveexec_b64 s[2:3], vcc
	s_cbranch_execz .LBB106_11
; %bb.10:
	v_add_u32_e32 v7, s4, v4
	v_mov_b32_e32 v8, 0
	v_lshlrev_b64 v[7:8], 1, v[7:8]
	v_mov_b32_e32 v5, s11
	v_add_co_u32_e32 v7, vcc, s10, v7
	v_addc_co_u32_e32 v8, vcc, v5, v8, vcc
	global_load_ushort v5, v[7:8], off
	v_add_u32_e32 v4, 0x100, v4
.LBB106_11:
	s_or_b64 exec, exec, s[2:3]
	v_cmp_gt_i32_e32 vcc, s6, v4
	v_mov_b32_e32 v7, 0
	v_mov_b32_e32 v8, 0
	s_and_saveexec_b64 s[2:3], vcc
	s_cbranch_execz .LBB106_13
; %bb.12:
	v_add_u32_e32 v8, s4, v4
	v_mov_b32_e32 v9, 0
	v_lshlrev_b64 v[8:9], 1, v[8:9]
	v_mov_b32_e32 v10, s11
	v_add_co_u32_e32 v8, vcc, s10, v8
	v_addc_co_u32_e32 v9, vcc, v10, v9, vcc
	global_load_ushort v8, v[8:9], off
	v_add_u32_e32 v4, 0x100, v4
.LBB106_13:
	;; [unrolled: 30-line block ×3, first 2 shown]
	s_or_b64 exec, exec, s[2:3]
	v_cmp_gt_i32_e32 vcc, s6, v4
	s_and_saveexec_b64 s[2:3], vcc
	s_cbranch_execz .LBB106_19
; %bb.18:
	v_add_u32_e32 v11, s4, v4
	v_mov_b32_e32 v12, 0
	v_lshlrev_b64 v[11:12], 1, v[11:12]
	v_mov_b32_e32 v4, s11
	v_add_co_u32_e32 v11, vcc, s10, v11
	v_addc_co_u32_e32 v12, vcc, v4, v12, vcc
	global_load_ushort v9, v[11:12], off
.LBB106_19:
	s_or_b64 exec, exec, s[2:3]
	s_lshr_b32 s2, s13, 16
	v_mov_b32_e32 v13, s2
	v_mov_b32_e32 v14, s7
	s_waitcnt vmcnt(0)
	v_cmp_lt_i16_e64 s[2:3], s13, v2
	s_mov_b64 vcc, s[0:1]
	v_cndmask_b32_e64 v4, v13, v14, s[2:3]
	v_mov_b32_e32 v2, 0
	v_cndmask_b32_sdwa v4, v2, v4, vcc dst_sel:DWORD dst_unused:UNUSED_PAD src0_sel:DWORD src1_sel:WORD_0
	v_cmp_lt_i16_e32 vcc, s13, v3
	v_or_b32_e32 v12, 0x100, v0
	v_cndmask_b32_e32 v3, v13, v14, vcc
	s_mov_b32 s5, 0x5040100
	v_perm_b32 v3, v3, v4, s5
	v_cmp_gt_i32_e32 vcc, s6, v12
	v_cndmask_b32_e32 v11, v4, v3, vcc
	v_cmp_lt_i16_e32 vcc, s13, v6
	v_or_b32_e32 v3, 0x200, v0
	v_cndmask_b32_e32 v4, v13, v14, vcc
	v_and_b32_e32 v4, 0xffff, v4
	v_cmp_gt_i32_e32 vcc, s6, v3
	v_cndmask_b32_e32 v3, 0, v4, vcc
	v_cmp_lt_i16_e32 vcc, s13, v5
	v_or_b32_e32 v4, 0x300, v0
	v_cndmask_b32_e32 v5, v13, v14, vcc
	v_perm_b32 v5, v5, v3, s5
	v_cmp_gt_i32_e32 vcc, s6, v4
	v_cndmask_b32_e32 v5, v3, v5, vcc
	v_cmp_lt_i16_e32 vcc, s13, v8
	v_or_b32_e32 v3, 0x400, v0
	v_cndmask_b32_e32 v4, v13, v14, vcc
	v_and_b32_e32 v4, 0xffff, v4
	v_cmp_gt_i32_e32 vcc, s6, v3
	v_cndmask_b32_e32 v3, 0, v4, vcc
	v_cmp_lt_i16_e32 vcc, s13, v7
	v_or_b32_e32 v4, 0x500, v0
	v_cndmask_b32_e32 v6, v13, v14, vcc
	v_perm_b32 v6, v6, v3, s5
	v_cmp_gt_i32_e32 vcc, s6, v4
	v_cndmask_b32_e32 v4, v3, v6, vcc
	v_or_b32_e32 v3, 0x600, v0
	v_cmp_lt_i16_e64 s[2:3], s13, v10
	v_cmp_gt_i32_e32 vcc, s6, v3
	v_cndmask_b32_e64 v3, v13, v14, s[2:3]
	v_cndmask_b32_sdwa v3, v2, v3, vcc dst_sel:DWORD dst_unused:UNUSED_PAD src0_sel:DWORD src1_sel:WORD_0
	v_cmp_lt_i16_e32 vcc, s13, v9
	v_or_b32_e32 v6, 0x700, v0
	v_cndmask_b32_e32 v7, v13, v14, vcc
	v_perm_b32 v7, v7, v3, s5
	v_cmp_gt_i32_e32 vcc, s6, v6
	v_cndmask_b32_e32 v3, v3, v7, vcc
	s_and_saveexec_b64 s[2:3], s[0:1]
	s_cbranch_execnz .LBB106_29
; %bb.20:
	s_or_b64 exec, exec, s[2:3]
	v_cmp_gt_i32_e32 vcc, s6, v0
	s_and_saveexec_b64 s[0:1], vcc
	s_cbranch_execnz .LBB106_30
.LBB106_21:
	s_or_b64 exec, exec, s[0:1]
	v_cmp_gt_i32_e32 vcc, s6, v0
	s_and_saveexec_b64 s[0:1], vcc
	s_cbranch_execnz .LBB106_31
.LBB106_22:
	s_or_b64 exec, exec, s[0:1]
	v_cmp_gt_i32_e32 vcc, s6, v0
	s_and_saveexec_b64 s[0:1], vcc
	s_cbranch_execnz .LBB106_32
.LBB106_23:
	s_or_b64 exec, exec, s[0:1]
	v_cmp_gt_i32_e32 vcc, s6, v0
	s_and_saveexec_b64 s[0:1], vcc
	s_cbranch_execnz .LBB106_33
.LBB106_24:
	s_or_b64 exec, exec, s[0:1]
	v_cmp_gt_i32_e32 vcc, s6, v0
	s_and_saveexec_b64 s[0:1], vcc
	s_cbranch_execnz .LBB106_34
.LBB106_25:
	s_or_b64 exec, exec, s[0:1]
	v_cmp_gt_i32_e32 vcc, s6, v0
	s_and_saveexec_b64 s[0:1], vcc
	s_cbranch_execnz .LBB106_35
.LBB106_26:
	s_or_b64 exec, exec, s[0:1]
	v_cmp_gt_i32_e32 vcc, s6, v0
	s_and_saveexec_b64 s[0:1], vcc
	s_cbranch_execz .LBB106_28
.LBB106_27:
	v_add_u32_e32 v0, s4, v0
	v_mov_b32_e32 v1, 0
	v_lshlrev_b64 v[0:1], 1, v[0:1]
	v_mov_b32_e32 v2, s9
	v_add_co_u32_e32 v0, vcc, s8, v0
	v_addc_co_u32_e32 v1, vcc, v2, v1, vcc
	global_store_short_d16_hi v[0:1], v3, off
.LBB106_28:
	s_endpgm
.LBB106_29:
	v_lshlrev_b64 v[0:1], 1, v[1:2]
	v_mov_b32_e32 v2, s9
	v_add_co_u32_e32 v0, vcc, s8, v0
	v_addc_co_u32_e32 v1, vcc, v2, v1, vcc
	global_store_short v[0:1], v11, off
	v_mov_b32_e32 v0, v12
	s_or_b64 exec, exec, s[2:3]
	v_cmp_gt_i32_e32 vcc, s6, v0
	s_and_saveexec_b64 s[0:1], vcc
	s_cbranch_execz .LBB106_21
.LBB106_30:
	v_add_u32_e32 v1, s4, v0
	v_mov_b32_e32 v2, 0
	v_lshlrev_b64 v[1:2], 1, v[1:2]
	v_mov_b32_e32 v6, s9
	v_add_co_u32_e32 v1, vcc, s8, v1
	v_addc_co_u32_e32 v2, vcc, v6, v2, vcc
	v_add_u32_e32 v0, 0x100, v0
	global_store_short_d16_hi v[1:2], v11, off
	s_or_b64 exec, exec, s[0:1]
	v_cmp_gt_i32_e32 vcc, s6, v0
	s_and_saveexec_b64 s[0:1], vcc
	s_cbranch_execz .LBB106_22
.LBB106_31:
	v_add_u32_e32 v1, s4, v0
	v_mov_b32_e32 v2, 0
	v_lshlrev_b64 v[1:2], 1, v[1:2]
	v_mov_b32_e32 v6, s9
	v_add_co_u32_e32 v1, vcc, s8, v1
	v_addc_co_u32_e32 v2, vcc, v6, v2, vcc
	v_add_u32_e32 v0, 0x100, v0
	global_store_short v[1:2], v5, off
	s_or_b64 exec, exec, s[0:1]
	v_cmp_gt_i32_e32 vcc, s6, v0
	s_and_saveexec_b64 s[0:1], vcc
	s_cbranch_execz .LBB106_23
.LBB106_32:
	v_add_u32_e32 v1, s4, v0
	v_mov_b32_e32 v2, 0
	v_lshlrev_b64 v[1:2], 1, v[1:2]
	v_mov_b32_e32 v6, s9
	v_add_co_u32_e32 v1, vcc, s8, v1
	v_addc_co_u32_e32 v2, vcc, v6, v2, vcc
	v_add_u32_e32 v0, 0x100, v0
	global_store_short_d16_hi v[1:2], v5, off
	s_or_b64 exec, exec, s[0:1]
	v_cmp_gt_i32_e32 vcc, s6, v0
	s_and_saveexec_b64 s[0:1], vcc
	s_cbranch_execz .LBB106_24
.LBB106_33:
	v_add_u32_e32 v1, s4, v0
	v_mov_b32_e32 v2, 0
	v_lshlrev_b64 v[1:2], 1, v[1:2]
	v_mov_b32_e32 v5, s9
	v_add_co_u32_e32 v1, vcc, s8, v1
	v_addc_co_u32_e32 v2, vcc, v5, v2, vcc
	v_add_u32_e32 v0, 0x100, v0
	global_store_short v[1:2], v4, off
	s_or_b64 exec, exec, s[0:1]
	v_cmp_gt_i32_e32 vcc, s6, v0
	s_and_saveexec_b64 s[0:1], vcc
	s_cbranch_execz .LBB106_25
.LBB106_34:
	v_add_u32_e32 v1, s4, v0
	v_mov_b32_e32 v2, 0
	v_lshlrev_b64 v[1:2], 1, v[1:2]
	v_mov_b32_e32 v5, s9
	v_add_co_u32_e32 v1, vcc, s8, v1
	v_addc_co_u32_e32 v2, vcc, v5, v2, vcc
	v_add_u32_e32 v0, 0x100, v0
	global_store_short_d16_hi v[1:2], v4, off
	s_or_b64 exec, exec, s[0:1]
	v_cmp_gt_i32_e32 vcc, s6, v0
	s_and_saveexec_b64 s[0:1], vcc
	s_cbranch_execz .LBB106_26
.LBB106_35:
	v_add_u32_e32 v1, s4, v0
	v_mov_b32_e32 v2, 0
	v_lshlrev_b64 v[1:2], 1, v[1:2]
	v_mov_b32_e32 v4, s9
	v_add_co_u32_e32 v1, vcc, s8, v1
	v_addc_co_u32_e32 v2, vcc, v4, v2, vcc
	v_add_u32_e32 v0, 0x100, v0
	global_store_short v[1:2], v3, off
	s_or_b64 exec, exec, s[0:1]
	v_cmp_gt_i32_e32 vcc, s6, v0
	s_and_saveexec_b64 s[0:1], vcc
	s_cbranch_execnz .LBB106_27
	s_branch .LBB106_28
	.section	.rodata,"a",@progbits
	.p2align	6, 0x0
	.amdhsa_kernel _ZN2at6native29vectorized_elementwise_kernelILi4ENS0_13BUnaryFunctorIsssZNS0_12_GLOBAL__N_121threshold_kernel_implIsEEvRNS_18TensorIteratorBaseET_S7_EUlssE_EESt5arrayIPcLm2EEEEviT0_T1_
		.amdhsa_group_segment_fixed_size 0
		.amdhsa_private_segment_fixed_size 0
		.amdhsa_kernarg_size 32
		.amdhsa_user_sgpr_count 6
		.amdhsa_user_sgpr_private_segment_buffer 1
		.amdhsa_user_sgpr_dispatch_ptr 0
		.amdhsa_user_sgpr_queue_ptr 0
		.amdhsa_user_sgpr_kernarg_segment_ptr 1
		.amdhsa_user_sgpr_dispatch_id 0
		.amdhsa_user_sgpr_flat_scratch_init 0
		.amdhsa_user_sgpr_private_segment_size 0
		.amdhsa_uses_dynamic_stack 0
		.amdhsa_system_sgpr_private_segment_wavefront_offset 0
		.amdhsa_system_sgpr_workgroup_id_x 1
		.amdhsa_system_sgpr_workgroup_id_y 0
		.amdhsa_system_sgpr_workgroup_id_z 0
		.amdhsa_system_sgpr_workgroup_info 0
		.amdhsa_system_vgpr_workitem_id 0
		.amdhsa_next_free_vgpr 15
		.amdhsa_next_free_sgpr 14
		.amdhsa_reserve_vcc 1
		.amdhsa_reserve_flat_scratch 0
		.amdhsa_float_round_mode_32 0
		.amdhsa_float_round_mode_16_64 0
		.amdhsa_float_denorm_mode_32 3
		.amdhsa_float_denorm_mode_16_64 3
		.amdhsa_dx10_clamp 1
		.amdhsa_ieee_mode 1
		.amdhsa_fp16_overflow 0
		.amdhsa_exception_fp_ieee_invalid_op 0
		.amdhsa_exception_fp_denorm_src 0
		.amdhsa_exception_fp_ieee_div_zero 0
		.amdhsa_exception_fp_ieee_overflow 0
		.amdhsa_exception_fp_ieee_underflow 0
		.amdhsa_exception_fp_ieee_inexact 0
		.amdhsa_exception_int_div_zero 0
	.end_amdhsa_kernel
	.section	.text._ZN2at6native29vectorized_elementwise_kernelILi4ENS0_13BUnaryFunctorIsssZNS0_12_GLOBAL__N_121threshold_kernel_implIsEEvRNS_18TensorIteratorBaseET_S7_EUlssE_EESt5arrayIPcLm2EEEEviT0_T1_,"axG",@progbits,_ZN2at6native29vectorized_elementwise_kernelILi4ENS0_13BUnaryFunctorIsssZNS0_12_GLOBAL__N_121threshold_kernel_implIsEEvRNS_18TensorIteratorBaseET_S7_EUlssE_EESt5arrayIPcLm2EEEEviT0_T1_,comdat
.Lfunc_end106:
	.size	_ZN2at6native29vectorized_elementwise_kernelILi4ENS0_13BUnaryFunctorIsssZNS0_12_GLOBAL__N_121threshold_kernel_implIsEEvRNS_18TensorIteratorBaseET_S7_EUlssE_EESt5arrayIPcLm2EEEEviT0_T1_, .Lfunc_end106-_ZN2at6native29vectorized_elementwise_kernelILi4ENS0_13BUnaryFunctorIsssZNS0_12_GLOBAL__N_121threshold_kernel_implIsEEvRNS_18TensorIteratorBaseET_S7_EUlssE_EESt5arrayIPcLm2EEEEviT0_T1_
                                        ; -- End function
	.set _ZN2at6native29vectorized_elementwise_kernelILi4ENS0_13BUnaryFunctorIsssZNS0_12_GLOBAL__N_121threshold_kernel_implIsEEvRNS_18TensorIteratorBaseET_S7_EUlssE_EESt5arrayIPcLm2EEEEviT0_T1_.num_vgpr, 15
	.set _ZN2at6native29vectorized_elementwise_kernelILi4ENS0_13BUnaryFunctorIsssZNS0_12_GLOBAL__N_121threshold_kernel_implIsEEvRNS_18TensorIteratorBaseET_S7_EUlssE_EESt5arrayIPcLm2EEEEviT0_T1_.num_agpr, 0
	.set _ZN2at6native29vectorized_elementwise_kernelILi4ENS0_13BUnaryFunctorIsssZNS0_12_GLOBAL__N_121threshold_kernel_implIsEEvRNS_18TensorIteratorBaseET_S7_EUlssE_EESt5arrayIPcLm2EEEEviT0_T1_.numbered_sgpr, 14
	.set _ZN2at6native29vectorized_elementwise_kernelILi4ENS0_13BUnaryFunctorIsssZNS0_12_GLOBAL__N_121threshold_kernel_implIsEEvRNS_18TensorIteratorBaseET_S7_EUlssE_EESt5arrayIPcLm2EEEEviT0_T1_.num_named_barrier, 0
	.set _ZN2at6native29vectorized_elementwise_kernelILi4ENS0_13BUnaryFunctorIsssZNS0_12_GLOBAL__N_121threshold_kernel_implIsEEvRNS_18TensorIteratorBaseET_S7_EUlssE_EESt5arrayIPcLm2EEEEviT0_T1_.private_seg_size, 0
	.set _ZN2at6native29vectorized_elementwise_kernelILi4ENS0_13BUnaryFunctorIsssZNS0_12_GLOBAL__N_121threshold_kernel_implIsEEvRNS_18TensorIteratorBaseET_S7_EUlssE_EESt5arrayIPcLm2EEEEviT0_T1_.uses_vcc, 1
	.set _ZN2at6native29vectorized_elementwise_kernelILi4ENS0_13BUnaryFunctorIsssZNS0_12_GLOBAL__N_121threshold_kernel_implIsEEvRNS_18TensorIteratorBaseET_S7_EUlssE_EESt5arrayIPcLm2EEEEviT0_T1_.uses_flat_scratch, 0
	.set _ZN2at6native29vectorized_elementwise_kernelILi4ENS0_13BUnaryFunctorIsssZNS0_12_GLOBAL__N_121threshold_kernel_implIsEEvRNS_18TensorIteratorBaseET_S7_EUlssE_EESt5arrayIPcLm2EEEEviT0_T1_.has_dyn_sized_stack, 0
	.set _ZN2at6native29vectorized_elementwise_kernelILi4ENS0_13BUnaryFunctorIsssZNS0_12_GLOBAL__N_121threshold_kernel_implIsEEvRNS_18TensorIteratorBaseET_S7_EUlssE_EESt5arrayIPcLm2EEEEviT0_T1_.has_recursion, 0
	.set _ZN2at6native29vectorized_elementwise_kernelILi4ENS0_13BUnaryFunctorIsssZNS0_12_GLOBAL__N_121threshold_kernel_implIsEEvRNS_18TensorIteratorBaseET_S7_EUlssE_EESt5arrayIPcLm2EEEEviT0_T1_.has_indirect_call, 0
	.section	.AMDGPU.csdata,"",@progbits
; Kernel info:
; codeLenInByte = 1628
; TotalNumSgprs: 18
; NumVgprs: 15
; ScratchSize: 0
; MemoryBound: 0
; FloatMode: 240
; IeeeMode: 1
; LDSByteSize: 0 bytes/workgroup (compile time only)
; SGPRBlocks: 2
; VGPRBlocks: 3
; NumSGPRsForWavesPerEU: 18
; NumVGPRsForWavesPerEU: 15
; Occupancy: 10
; WaveLimiterHint : 1
; COMPUTE_PGM_RSRC2:SCRATCH_EN: 0
; COMPUTE_PGM_RSRC2:USER_SGPR: 6
; COMPUTE_PGM_RSRC2:TRAP_HANDLER: 0
; COMPUTE_PGM_RSRC2:TGID_X_EN: 1
; COMPUTE_PGM_RSRC2:TGID_Y_EN: 0
; COMPUTE_PGM_RSRC2:TGID_Z_EN: 0
; COMPUTE_PGM_RSRC2:TIDIG_COMP_CNT: 0
	.section	.text._ZN2at6native29vectorized_elementwise_kernelILi2ENS0_13BUnaryFunctorIsssZNS0_12_GLOBAL__N_121threshold_kernel_implIsEEvRNS_18TensorIteratorBaseET_S7_EUlssE_EESt5arrayIPcLm2EEEEviT0_T1_,"axG",@progbits,_ZN2at6native29vectorized_elementwise_kernelILi2ENS0_13BUnaryFunctorIsssZNS0_12_GLOBAL__N_121threshold_kernel_implIsEEvRNS_18TensorIteratorBaseET_S7_EUlssE_EESt5arrayIPcLm2EEEEviT0_T1_,comdat
	.globl	_ZN2at6native29vectorized_elementwise_kernelILi2ENS0_13BUnaryFunctorIsssZNS0_12_GLOBAL__N_121threshold_kernel_implIsEEvRNS_18TensorIteratorBaseET_S7_EUlssE_EESt5arrayIPcLm2EEEEviT0_T1_ ; -- Begin function _ZN2at6native29vectorized_elementwise_kernelILi2ENS0_13BUnaryFunctorIsssZNS0_12_GLOBAL__N_121threshold_kernel_implIsEEvRNS_18TensorIteratorBaseET_S7_EUlssE_EESt5arrayIPcLm2EEEEviT0_T1_
	.p2align	8
	.type	_ZN2at6native29vectorized_elementwise_kernelILi2ENS0_13BUnaryFunctorIsssZNS0_12_GLOBAL__N_121threshold_kernel_implIsEEvRNS_18TensorIteratorBaseET_S7_EUlssE_EESt5arrayIPcLm2EEEEviT0_T1_,@function
_ZN2at6native29vectorized_elementwise_kernelILi2ENS0_13BUnaryFunctorIsssZNS0_12_GLOBAL__N_121threshold_kernel_implIsEEvRNS_18TensorIteratorBaseET_S7_EUlssE_EESt5arrayIPcLm2EEEEviT0_T1_: ; @_ZN2at6native29vectorized_elementwise_kernelILi2ENS0_13BUnaryFunctorIsssZNS0_12_GLOBAL__N_121threshold_kernel_implIsEEvRNS_18TensorIteratorBaseET_S7_EUlssE_EESt5arrayIPcLm2EEEEviT0_T1_
; %bb.0:
	s_load_dwordx2 s[12:13], s[4:5], 0x0
	s_load_dword s7, s[4:5], 0x8
	s_load_dwordx4 s[8:11], s[4:5], 0x10
	s_lshl_b32 s4, s6, 11
	s_mov_b64 s[0:1], -1
	s_waitcnt lgkmcnt(0)
	s_sub_i32 s6, s12, s4
	s_cmpk_gt_i32 s6, 0x7ff
	s_cbranch_scc0 .LBB107_2
; %bb.1:
	s_ashr_i32 s5, s4, 31
	s_lshr_b32 s12, s13, 16
	s_lshl_b64 s[0:1], s[4:5], 1
	s_add_u32 s2, s10, s0
	s_addc_u32 s3, s11, s1
	v_lshlrev_b32_e32 v1, 2, v0
	global_load_dword v2, v1, s[2:3]
	global_load_dword v3, v1, s[2:3] offset:1024
	global_load_dword v4, v1, s[2:3] offset:2048
	;; [unrolled: 1-line block ×3, first 2 shown]
	v_mov_b32_e32 v6, s7
	v_mov_b32_e32 v7, s12
	s_mov_b32 s2, 0x5040100
	s_add_u32 s0, s8, s0
	s_addc_u32 s1, s9, s1
	s_waitcnt vmcnt(3)
	v_cmp_lt_i16_e32 vcc, s13, v2
	v_cndmask_b32_e32 v8, v7, v6, vcc
	v_cmp_gt_i16_sdwa vcc, v2, s13 src0_sel:WORD_1 src1_sel:DWORD
	v_cndmask_b32_e32 v2, v7, v6, vcc
	s_waitcnt vmcnt(2)
	v_cmp_lt_i16_e32 vcc, s13, v3
	v_cndmask_b32_e32 v9, v7, v6, vcc
	v_cmp_gt_i16_sdwa vcc, v3, s13 src0_sel:WORD_1 src1_sel:DWORD
	v_cndmask_b32_e32 v3, v7, v6, vcc
	;; [unrolled: 5-line block ×4, first 2 shown]
	v_perm_b32 v2, v2, v8, s2
	v_perm_b32 v5, v5, v11, s2
	;; [unrolled: 1-line block ×4, first 2 shown]
	global_store_dword v1, v2, s[0:1]
	global_store_dword v1, v3, s[0:1] offset:1024
	global_store_dword v1, v4, s[0:1] offset:2048
	;; [unrolled: 1-line block ×3, first 2 shown]
	s_mov_b64 s[0:1], 0
.LBB107_2:
	s_andn2_b64 vcc, exec, s[0:1]
	s_cbranch_vccnz .LBB107_28
; %bb.3:
	v_cmp_gt_i32_e64 s[0:1], s6, v0
	v_mov_b32_e32 v3, 0
	v_or_b32_e32 v1, s4, v0
	v_mov_b32_e32 v2, 0
	v_mov_b32_e32 v4, v0
	s_and_saveexec_b64 s[2:3], s[0:1]
	s_cbranch_execz .LBB107_5
; %bb.4:
	v_mov_b32_e32 v2, 0
	v_lshlrev_b64 v[4:5], 1, v[1:2]
	v_mov_b32_e32 v2, s11
	v_add_co_u32_e32 v4, vcc, s10, v4
	v_addc_co_u32_e32 v5, vcc, v2, v5, vcc
	global_load_ushort v2, v[4:5], off
	v_or_b32_e32 v4, 0x100, v0
.LBB107_5:
	s_or_b64 exec, exec, s[2:3]
	v_cmp_gt_i32_e32 vcc, s6, v4
	s_and_saveexec_b64 s[2:3], vcc
	s_cbranch_execz .LBB107_7
; %bb.6:
	v_add_u32_e32 v5, s4, v4
	v_mov_b32_e32 v6, 0
	v_lshlrev_b64 v[5:6], 1, v[5:6]
	v_mov_b32_e32 v3, s11
	v_add_co_u32_e32 v5, vcc, s10, v5
	v_addc_co_u32_e32 v6, vcc, v3, v6, vcc
	global_load_ushort v3, v[5:6], off
	v_add_u32_e32 v4, 0x100, v4
.LBB107_7:
	s_or_b64 exec, exec, s[2:3]
	v_cmp_gt_i32_e32 vcc, s6, v4
	v_mov_b32_e32 v5, 0
	v_mov_b32_e32 v6, 0
	s_and_saveexec_b64 s[2:3], vcc
	s_cbranch_execz .LBB107_9
; %bb.8:
	v_add_u32_e32 v6, s4, v4
	v_mov_b32_e32 v7, 0
	v_lshlrev_b64 v[6:7], 1, v[6:7]
	v_mov_b32_e32 v8, s11
	v_add_co_u32_e32 v6, vcc, s10, v6
	v_addc_co_u32_e32 v7, vcc, v8, v7, vcc
	global_load_ushort v6, v[6:7], off
	v_add_u32_e32 v4, 0x100, v4
.LBB107_9:
	s_or_b64 exec, exec, s[2:3]
	v_cmp_gt_i32_e32 vcc, s6, v4
	s_and_saveexec_b64 s[2:3], vcc
	s_cbranch_execz .LBB107_11
; %bb.10:
	v_add_u32_e32 v7, s4, v4
	v_mov_b32_e32 v8, 0
	v_lshlrev_b64 v[7:8], 1, v[7:8]
	v_mov_b32_e32 v5, s11
	v_add_co_u32_e32 v7, vcc, s10, v7
	v_addc_co_u32_e32 v8, vcc, v5, v8, vcc
	global_load_ushort v5, v[7:8], off
	v_add_u32_e32 v4, 0x100, v4
.LBB107_11:
	s_or_b64 exec, exec, s[2:3]
	v_cmp_gt_i32_e32 vcc, s6, v4
	v_mov_b32_e32 v7, 0
	v_mov_b32_e32 v8, 0
	s_and_saveexec_b64 s[2:3], vcc
	s_cbranch_execz .LBB107_13
; %bb.12:
	v_add_u32_e32 v8, s4, v4
	v_mov_b32_e32 v9, 0
	v_lshlrev_b64 v[8:9], 1, v[8:9]
	v_mov_b32_e32 v10, s11
	v_add_co_u32_e32 v8, vcc, s10, v8
	v_addc_co_u32_e32 v9, vcc, v10, v9, vcc
	global_load_ushort v8, v[8:9], off
	v_add_u32_e32 v4, 0x100, v4
.LBB107_13:
	;; [unrolled: 30-line block ×3, first 2 shown]
	s_or_b64 exec, exec, s[2:3]
	v_cmp_gt_i32_e32 vcc, s6, v4
	s_and_saveexec_b64 s[2:3], vcc
	s_cbranch_execz .LBB107_19
; %bb.18:
	v_add_u32_e32 v11, s4, v4
	v_mov_b32_e32 v12, 0
	v_lshlrev_b64 v[11:12], 1, v[11:12]
	v_mov_b32_e32 v4, s11
	v_add_co_u32_e32 v11, vcc, s10, v11
	v_addc_co_u32_e32 v12, vcc, v4, v12, vcc
	global_load_ushort v9, v[11:12], off
.LBB107_19:
	s_or_b64 exec, exec, s[2:3]
	s_lshr_b32 s2, s13, 16
	v_mov_b32_e32 v13, s2
	v_mov_b32_e32 v14, s7
	s_waitcnt vmcnt(0)
	v_cmp_lt_i16_e64 s[2:3], s13, v2
	s_mov_b64 vcc, s[0:1]
	v_cndmask_b32_e64 v4, v13, v14, s[2:3]
	v_mov_b32_e32 v2, 0
	v_cndmask_b32_sdwa v4, v2, v4, vcc dst_sel:DWORD dst_unused:UNUSED_PAD src0_sel:DWORD src1_sel:WORD_0
	v_cmp_lt_i16_e32 vcc, s13, v3
	v_or_b32_e32 v12, 0x100, v0
	v_cndmask_b32_e32 v3, v13, v14, vcc
	s_mov_b32 s5, 0x5040100
	v_perm_b32 v3, v3, v4, s5
	v_cmp_gt_i32_e32 vcc, s6, v12
	v_cndmask_b32_e32 v11, v4, v3, vcc
	v_cmp_lt_i16_e32 vcc, s13, v6
	v_or_b32_e32 v3, 0x200, v0
	v_cndmask_b32_e32 v4, v13, v14, vcc
	v_and_b32_e32 v4, 0xffff, v4
	v_cmp_gt_i32_e32 vcc, s6, v3
	v_cndmask_b32_e32 v3, 0, v4, vcc
	v_cmp_lt_i16_e32 vcc, s13, v5
	v_or_b32_e32 v4, 0x300, v0
	v_cndmask_b32_e32 v5, v13, v14, vcc
	v_perm_b32 v5, v5, v3, s5
	v_cmp_gt_i32_e32 vcc, s6, v4
	v_cndmask_b32_e32 v5, v3, v5, vcc
	v_cmp_lt_i16_e32 vcc, s13, v8
	v_or_b32_e32 v3, 0x400, v0
	v_cndmask_b32_e32 v4, v13, v14, vcc
	v_and_b32_e32 v4, 0xffff, v4
	v_cmp_gt_i32_e32 vcc, s6, v3
	v_cndmask_b32_e32 v3, 0, v4, vcc
	v_cmp_lt_i16_e32 vcc, s13, v7
	v_or_b32_e32 v4, 0x500, v0
	v_cndmask_b32_e32 v6, v13, v14, vcc
	v_perm_b32 v6, v6, v3, s5
	v_cmp_gt_i32_e32 vcc, s6, v4
	v_cndmask_b32_e32 v4, v3, v6, vcc
	v_or_b32_e32 v3, 0x600, v0
	v_cmp_lt_i16_e64 s[2:3], s13, v10
	v_cmp_gt_i32_e32 vcc, s6, v3
	v_cndmask_b32_e64 v3, v13, v14, s[2:3]
	v_cndmask_b32_sdwa v3, v2, v3, vcc dst_sel:DWORD dst_unused:UNUSED_PAD src0_sel:DWORD src1_sel:WORD_0
	v_cmp_lt_i16_e32 vcc, s13, v9
	v_or_b32_e32 v6, 0x700, v0
	v_cndmask_b32_e32 v7, v13, v14, vcc
	v_perm_b32 v7, v7, v3, s5
	v_cmp_gt_i32_e32 vcc, s6, v6
	v_cndmask_b32_e32 v3, v3, v7, vcc
	s_and_saveexec_b64 s[2:3], s[0:1]
	s_cbranch_execnz .LBB107_29
; %bb.20:
	s_or_b64 exec, exec, s[2:3]
	v_cmp_gt_i32_e32 vcc, s6, v0
	s_and_saveexec_b64 s[0:1], vcc
	s_cbranch_execnz .LBB107_30
.LBB107_21:
	s_or_b64 exec, exec, s[0:1]
	v_cmp_gt_i32_e32 vcc, s6, v0
	s_and_saveexec_b64 s[0:1], vcc
	s_cbranch_execnz .LBB107_31
.LBB107_22:
	s_or_b64 exec, exec, s[0:1]
	v_cmp_gt_i32_e32 vcc, s6, v0
	s_and_saveexec_b64 s[0:1], vcc
	s_cbranch_execnz .LBB107_32
.LBB107_23:
	s_or_b64 exec, exec, s[0:1]
	v_cmp_gt_i32_e32 vcc, s6, v0
	s_and_saveexec_b64 s[0:1], vcc
	s_cbranch_execnz .LBB107_33
.LBB107_24:
	s_or_b64 exec, exec, s[0:1]
	v_cmp_gt_i32_e32 vcc, s6, v0
	s_and_saveexec_b64 s[0:1], vcc
	s_cbranch_execnz .LBB107_34
.LBB107_25:
	s_or_b64 exec, exec, s[0:1]
	v_cmp_gt_i32_e32 vcc, s6, v0
	s_and_saveexec_b64 s[0:1], vcc
	s_cbranch_execnz .LBB107_35
.LBB107_26:
	s_or_b64 exec, exec, s[0:1]
	v_cmp_gt_i32_e32 vcc, s6, v0
	s_and_saveexec_b64 s[0:1], vcc
	s_cbranch_execz .LBB107_28
.LBB107_27:
	v_add_u32_e32 v0, s4, v0
	v_mov_b32_e32 v1, 0
	v_lshlrev_b64 v[0:1], 1, v[0:1]
	v_mov_b32_e32 v2, s9
	v_add_co_u32_e32 v0, vcc, s8, v0
	v_addc_co_u32_e32 v1, vcc, v2, v1, vcc
	global_store_short_d16_hi v[0:1], v3, off
.LBB107_28:
	s_endpgm
.LBB107_29:
	v_lshlrev_b64 v[0:1], 1, v[1:2]
	v_mov_b32_e32 v2, s9
	v_add_co_u32_e32 v0, vcc, s8, v0
	v_addc_co_u32_e32 v1, vcc, v2, v1, vcc
	global_store_short v[0:1], v11, off
	v_mov_b32_e32 v0, v12
	s_or_b64 exec, exec, s[2:3]
	v_cmp_gt_i32_e32 vcc, s6, v0
	s_and_saveexec_b64 s[0:1], vcc
	s_cbranch_execz .LBB107_21
.LBB107_30:
	v_add_u32_e32 v1, s4, v0
	v_mov_b32_e32 v2, 0
	v_lshlrev_b64 v[1:2], 1, v[1:2]
	v_mov_b32_e32 v6, s9
	v_add_co_u32_e32 v1, vcc, s8, v1
	v_addc_co_u32_e32 v2, vcc, v6, v2, vcc
	v_add_u32_e32 v0, 0x100, v0
	global_store_short_d16_hi v[1:2], v11, off
	s_or_b64 exec, exec, s[0:1]
	v_cmp_gt_i32_e32 vcc, s6, v0
	s_and_saveexec_b64 s[0:1], vcc
	s_cbranch_execz .LBB107_22
.LBB107_31:
	v_add_u32_e32 v1, s4, v0
	v_mov_b32_e32 v2, 0
	v_lshlrev_b64 v[1:2], 1, v[1:2]
	v_mov_b32_e32 v6, s9
	v_add_co_u32_e32 v1, vcc, s8, v1
	v_addc_co_u32_e32 v2, vcc, v6, v2, vcc
	v_add_u32_e32 v0, 0x100, v0
	global_store_short v[1:2], v5, off
	s_or_b64 exec, exec, s[0:1]
	v_cmp_gt_i32_e32 vcc, s6, v0
	s_and_saveexec_b64 s[0:1], vcc
	s_cbranch_execz .LBB107_23
.LBB107_32:
	v_add_u32_e32 v1, s4, v0
	v_mov_b32_e32 v2, 0
	v_lshlrev_b64 v[1:2], 1, v[1:2]
	v_mov_b32_e32 v6, s9
	v_add_co_u32_e32 v1, vcc, s8, v1
	v_addc_co_u32_e32 v2, vcc, v6, v2, vcc
	v_add_u32_e32 v0, 0x100, v0
	global_store_short_d16_hi v[1:2], v5, off
	s_or_b64 exec, exec, s[0:1]
	v_cmp_gt_i32_e32 vcc, s6, v0
	s_and_saveexec_b64 s[0:1], vcc
	s_cbranch_execz .LBB107_24
.LBB107_33:
	v_add_u32_e32 v1, s4, v0
	v_mov_b32_e32 v2, 0
	v_lshlrev_b64 v[1:2], 1, v[1:2]
	v_mov_b32_e32 v5, s9
	v_add_co_u32_e32 v1, vcc, s8, v1
	v_addc_co_u32_e32 v2, vcc, v5, v2, vcc
	v_add_u32_e32 v0, 0x100, v0
	global_store_short v[1:2], v4, off
	s_or_b64 exec, exec, s[0:1]
	v_cmp_gt_i32_e32 vcc, s6, v0
	s_and_saveexec_b64 s[0:1], vcc
	s_cbranch_execz .LBB107_25
.LBB107_34:
	v_add_u32_e32 v1, s4, v0
	v_mov_b32_e32 v2, 0
	v_lshlrev_b64 v[1:2], 1, v[1:2]
	v_mov_b32_e32 v5, s9
	v_add_co_u32_e32 v1, vcc, s8, v1
	v_addc_co_u32_e32 v2, vcc, v5, v2, vcc
	v_add_u32_e32 v0, 0x100, v0
	global_store_short_d16_hi v[1:2], v4, off
	s_or_b64 exec, exec, s[0:1]
	v_cmp_gt_i32_e32 vcc, s6, v0
	s_and_saveexec_b64 s[0:1], vcc
	s_cbranch_execz .LBB107_26
.LBB107_35:
	v_add_u32_e32 v1, s4, v0
	v_mov_b32_e32 v2, 0
	v_lshlrev_b64 v[1:2], 1, v[1:2]
	v_mov_b32_e32 v4, s9
	v_add_co_u32_e32 v1, vcc, s8, v1
	v_addc_co_u32_e32 v2, vcc, v4, v2, vcc
	v_add_u32_e32 v0, 0x100, v0
	global_store_short v[1:2], v3, off
	s_or_b64 exec, exec, s[0:1]
	v_cmp_gt_i32_e32 vcc, s6, v0
	s_and_saveexec_b64 s[0:1], vcc
	s_cbranch_execnz .LBB107_27
	s_branch .LBB107_28
	.section	.rodata,"a",@progbits
	.p2align	6, 0x0
	.amdhsa_kernel _ZN2at6native29vectorized_elementwise_kernelILi2ENS0_13BUnaryFunctorIsssZNS0_12_GLOBAL__N_121threshold_kernel_implIsEEvRNS_18TensorIteratorBaseET_S7_EUlssE_EESt5arrayIPcLm2EEEEviT0_T1_
		.amdhsa_group_segment_fixed_size 0
		.amdhsa_private_segment_fixed_size 0
		.amdhsa_kernarg_size 32
		.amdhsa_user_sgpr_count 6
		.amdhsa_user_sgpr_private_segment_buffer 1
		.amdhsa_user_sgpr_dispatch_ptr 0
		.amdhsa_user_sgpr_queue_ptr 0
		.amdhsa_user_sgpr_kernarg_segment_ptr 1
		.amdhsa_user_sgpr_dispatch_id 0
		.amdhsa_user_sgpr_flat_scratch_init 0
		.amdhsa_user_sgpr_private_segment_size 0
		.amdhsa_uses_dynamic_stack 0
		.amdhsa_system_sgpr_private_segment_wavefront_offset 0
		.amdhsa_system_sgpr_workgroup_id_x 1
		.amdhsa_system_sgpr_workgroup_id_y 0
		.amdhsa_system_sgpr_workgroup_id_z 0
		.amdhsa_system_sgpr_workgroup_info 0
		.amdhsa_system_vgpr_workitem_id 0
		.amdhsa_next_free_vgpr 15
		.amdhsa_next_free_sgpr 14
		.amdhsa_reserve_vcc 1
		.amdhsa_reserve_flat_scratch 0
		.amdhsa_float_round_mode_32 0
		.amdhsa_float_round_mode_16_64 0
		.amdhsa_float_denorm_mode_32 3
		.amdhsa_float_denorm_mode_16_64 3
		.amdhsa_dx10_clamp 1
		.amdhsa_ieee_mode 1
		.amdhsa_fp16_overflow 0
		.amdhsa_exception_fp_ieee_invalid_op 0
		.amdhsa_exception_fp_denorm_src 0
		.amdhsa_exception_fp_ieee_div_zero 0
		.amdhsa_exception_fp_ieee_overflow 0
		.amdhsa_exception_fp_ieee_underflow 0
		.amdhsa_exception_fp_ieee_inexact 0
		.amdhsa_exception_int_div_zero 0
	.end_amdhsa_kernel
	.section	.text._ZN2at6native29vectorized_elementwise_kernelILi2ENS0_13BUnaryFunctorIsssZNS0_12_GLOBAL__N_121threshold_kernel_implIsEEvRNS_18TensorIteratorBaseET_S7_EUlssE_EESt5arrayIPcLm2EEEEviT0_T1_,"axG",@progbits,_ZN2at6native29vectorized_elementwise_kernelILi2ENS0_13BUnaryFunctorIsssZNS0_12_GLOBAL__N_121threshold_kernel_implIsEEvRNS_18TensorIteratorBaseET_S7_EUlssE_EESt5arrayIPcLm2EEEEviT0_T1_,comdat
.Lfunc_end107:
	.size	_ZN2at6native29vectorized_elementwise_kernelILi2ENS0_13BUnaryFunctorIsssZNS0_12_GLOBAL__N_121threshold_kernel_implIsEEvRNS_18TensorIteratorBaseET_S7_EUlssE_EESt5arrayIPcLm2EEEEviT0_T1_, .Lfunc_end107-_ZN2at6native29vectorized_elementwise_kernelILi2ENS0_13BUnaryFunctorIsssZNS0_12_GLOBAL__N_121threshold_kernel_implIsEEvRNS_18TensorIteratorBaseET_S7_EUlssE_EESt5arrayIPcLm2EEEEviT0_T1_
                                        ; -- End function
	.set _ZN2at6native29vectorized_elementwise_kernelILi2ENS0_13BUnaryFunctorIsssZNS0_12_GLOBAL__N_121threshold_kernel_implIsEEvRNS_18TensorIteratorBaseET_S7_EUlssE_EESt5arrayIPcLm2EEEEviT0_T1_.num_vgpr, 15
	.set _ZN2at6native29vectorized_elementwise_kernelILi2ENS0_13BUnaryFunctorIsssZNS0_12_GLOBAL__N_121threshold_kernel_implIsEEvRNS_18TensorIteratorBaseET_S7_EUlssE_EESt5arrayIPcLm2EEEEviT0_T1_.num_agpr, 0
	.set _ZN2at6native29vectorized_elementwise_kernelILi2ENS0_13BUnaryFunctorIsssZNS0_12_GLOBAL__N_121threshold_kernel_implIsEEvRNS_18TensorIteratorBaseET_S7_EUlssE_EESt5arrayIPcLm2EEEEviT0_T1_.numbered_sgpr, 14
	.set _ZN2at6native29vectorized_elementwise_kernelILi2ENS0_13BUnaryFunctorIsssZNS0_12_GLOBAL__N_121threshold_kernel_implIsEEvRNS_18TensorIteratorBaseET_S7_EUlssE_EESt5arrayIPcLm2EEEEviT0_T1_.num_named_barrier, 0
	.set _ZN2at6native29vectorized_elementwise_kernelILi2ENS0_13BUnaryFunctorIsssZNS0_12_GLOBAL__N_121threshold_kernel_implIsEEvRNS_18TensorIteratorBaseET_S7_EUlssE_EESt5arrayIPcLm2EEEEviT0_T1_.private_seg_size, 0
	.set _ZN2at6native29vectorized_elementwise_kernelILi2ENS0_13BUnaryFunctorIsssZNS0_12_GLOBAL__N_121threshold_kernel_implIsEEvRNS_18TensorIteratorBaseET_S7_EUlssE_EESt5arrayIPcLm2EEEEviT0_T1_.uses_vcc, 1
	.set _ZN2at6native29vectorized_elementwise_kernelILi2ENS0_13BUnaryFunctorIsssZNS0_12_GLOBAL__N_121threshold_kernel_implIsEEvRNS_18TensorIteratorBaseET_S7_EUlssE_EESt5arrayIPcLm2EEEEviT0_T1_.uses_flat_scratch, 0
	.set _ZN2at6native29vectorized_elementwise_kernelILi2ENS0_13BUnaryFunctorIsssZNS0_12_GLOBAL__N_121threshold_kernel_implIsEEvRNS_18TensorIteratorBaseET_S7_EUlssE_EESt5arrayIPcLm2EEEEviT0_T1_.has_dyn_sized_stack, 0
	.set _ZN2at6native29vectorized_elementwise_kernelILi2ENS0_13BUnaryFunctorIsssZNS0_12_GLOBAL__N_121threshold_kernel_implIsEEvRNS_18TensorIteratorBaseET_S7_EUlssE_EESt5arrayIPcLm2EEEEviT0_T1_.has_recursion, 0
	.set _ZN2at6native29vectorized_elementwise_kernelILi2ENS0_13BUnaryFunctorIsssZNS0_12_GLOBAL__N_121threshold_kernel_implIsEEvRNS_18TensorIteratorBaseET_S7_EUlssE_EESt5arrayIPcLm2EEEEviT0_T1_.has_indirect_call, 0
	.section	.AMDGPU.csdata,"",@progbits
; Kernel info:
; codeLenInByte = 1668
; TotalNumSgprs: 18
; NumVgprs: 15
; ScratchSize: 0
; MemoryBound: 0
; FloatMode: 240
; IeeeMode: 1
; LDSByteSize: 0 bytes/workgroup (compile time only)
; SGPRBlocks: 2
; VGPRBlocks: 3
; NumSGPRsForWavesPerEU: 18
; NumVGPRsForWavesPerEU: 15
; Occupancy: 10
; WaveLimiterHint : 1
; COMPUTE_PGM_RSRC2:SCRATCH_EN: 0
; COMPUTE_PGM_RSRC2:USER_SGPR: 6
; COMPUTE_PGM_RSRC2:TRAP_HANDLER: 0
; COMPUTE_PGM_RSRC2:TGID_X_EN: 1
; COMPUTE_PGM_RSRC2:TGID_Y_EN: 0
; COMPUTE_PGM_RSRC2:TGID_Z_EN: 0
; COMPUTE_PGM_RSRC2:TIDIG_COMP_CNT: 0
	.section	.text._ZN2at6native27unrolled_elementwise_kernelINS0_13BUnaryFunctorIsssZNS0_12_GLOBAL__N_121threshold_kernel_implIsEEvRNS_18TensorIteratorBaseET_S7_EUlssE_EESt5arrayIPcLm2EELi4E23TrivialOffsetCalculatorILi1EjESE_NS0_6memory15LoadWithoutCastENSF_16StoreWithoutCastEEEviS7_T0_T2_T3_T4_T5_,"axG",@progbits,_ZN2at6native27unrolled_elementwise_kernelINS0_13BUnaryFunctorIsssZNS0_12_GLOBAL__N_121threshold_kernel_implIsEEvRNS_18TensorIteratorBaseET_S7_EUlssE_EESt5arrayIPcLm2EELi4E23TrivialOffsetCalculatorILi1EjESE_NS0_6memory15LoadWithoutCastENSF_16StoreWithoutCastEEEviS7_T0_T2_T3_T4_T5_,comdat
	.globl	_ZN2at6native27unrolled_elementwise_kernelINS0_13BUnaryFunctorIsssZNS0_12_GLOBAL__N_121threshold_kernel_implIsEEvRNS_18TensorIteratorBaseET_S7_EUlssE_EESt5arrayIPcLm2EELi4E23TrivialOffsetCalculatorILi1EjESE_NS0_6memory15LoadWithoutCastENSF_16StoreWithoutCastEEEviS7_T0_T2_T3_T4_T5_ ; -- Begin function _ZN2at6native27unrolled_elementwise_kernelINS0_13BUnaryFunctorIsssZNS0_12_GLOBAL__N_121threshold_kernel_implIsEEvRNS_18TensorIteratorBaseET_S7_EUlssE_EESt5arrayIPcLm2EELi4E23TrivialOffsetCalculatorILi1EjESE_NS0_6memory15LoadWithoutCastENSF_16StoreWithoutCastEEEviS7_T0_T2_T3_T4_T5_
	.p2align	8
	.type	_ZN2at6native27unrolled_elementwise_kernelINS0_13BUnaryFunctorIsssZNS0_12_GLOBAL__N_121threshold_kernel_implIsEEvRNS_18TensorIteratorBaseET_S7_EUlssE_EESt5arrayIPcLm2EELi4E23TrivialOffsetCalculatorILi1EjESE_NS0_6memory15LoadWithoutCastENSF_16StoreWithoutCastEEEviS7_T0_T2_T3_T4_T5_,@function
_ZN2at6native27unrolled_elementwise_kernelINS0_13BUnaryFunctorIsssZNS0_12_GLOBAL__N_121threshold_kernel_implIsEEvRNS_18TensorIteratorBaseET_S7_EUlssE_EESt5arrayIPcLm2EELi4E23TrivialOffsetCalculatorILi1EjESE_NS0_6memory15LoadWithoutCastENSF_16StoreWithoutCastEEEviS7_T0_T2_T3_T4_T5_: ; @_ZN2at6native27unrolled_elementwise_kernelINS0_13BUnaryFunctorIsssZNS0_12_GLOBAL__N_121threshold_kernel_implIsEEvRNS_18TensorIteratorBaseET_S7_EUlssE_EESt5arrayIPcLm2EELi4E23TrivialOffsetCalculatorILi1EjESE_NS0_6memory15LoadWithoutCastENSF_16StoreWithoutCastEEEviS7_T0_T2_T3_T4_T5_
; %bb.0:
	s_load_dwordx2 s[12:13], s[4:5], 0x0
	s_load_dwordx4 s[8:11], s[4:5], 0x10
	s_lshl_b32 s6, s6, 10
	v_mov_b32_e32 v3, 0
	v_or_b32_e32 v1, s6, v0
	s_waitcnt lgkmcnt(0)
	s_sub_i32 s7, s12, s6
	v_cmp_gt_i32_e64 s[0:1], s7, v0
	v_mov_b32_e32 v2, 0
	v_mov_b32_e32 v4, v0
	s_and_saveexec_b64 s[2:3], s[0:1]
	s_cbranch_execz .LBB108_2
; %bb.1:
	v_mov_b32_e32 v2, 0
	v_lshlrev_b64 v[4:5], 1, v[1:2]
	v_mov_b32_e32 v2, s11
	v_add_co_u32_e32 v4, vcc, s10, v4
	v_addc_co_u32_e32 v5, vcc, v2, v5, vcc
	global_load_ushort v2, v[4:5], off
	v_or_b32_e32 v4, 0x100, v0
.LBB108_2:
	s_or_b64 exec, exec, s[2:3]
	v_cmp_gt_i32_e32 vcc, s7, v4
	s_and_saveexec_b64 s[2:3], vcc
	s_cbranch_execz .LBB108_4
; %bb.3:
	v_add_u32_e32 v5, s6, v4
	v_mov_b32_e32 v6, 0
	v_lshlrev_b64 v[5:6], 1, v[5:6]
	v_mov_b32_e32 v3, s11
	v_add_co_u32_e32 v5, vcc, s10, v5
	v_addc_co_u32_e32 v6, vcc, v3, v6, vcc
	global_load_ushort v3, v[5:6], off
	v_add_u32_e32 v4, 0x100, v4
.LBB108_4:
	s_or_b64 exec, exec, s[2:3]
	s_load_dword s4, s[4:5], 0x8
	v_cmp_gt_i32_e32 vcc, s7, v4
	v_mov_b32_e32 v5, 0
	v_mov_b32_e32 v6, 0
	s_and_saveexec_b64 s[2:3], vcc
	s_cbranch_execz .LBB108_6
; %bb.5:
	v_add_u32_e32 v6, s6, v4
	v_mov_b32_e32 v7, 0
	v_lshlrev_b64 v[6:7], 1, v[6:7]
	v_mov_b32_e32 v8, s11
	v_add_co_u32_e32 v6, vcc, s10, v6
	v_addc_co_u32_e32 v7, vcc, v8, v7, vcc
	global_load_ushort v6, v[6:7], off
	v_add_u32_e32 v4, 0x100, v4
.LBB108_6:
	s_or_b64 exec, exec, s[2:3]
	v_cmp_gt_i32_e32 vcc, s7, v4
	s_and_saveexec_b64 s[2:3], vcc
	s_cbranch_execz .LBB108_8
; %bb.7:
	v_add_u32_e32 v4, s6, v4
	v_mov_b32_e32 v5, 0
	v_lshlrev_b64 v[4:5], 1, v[4:5]
	v_mov_b32_e32 v7, s11
	v_add_co_u32_e32 v4, vcc, s10, v4
	v_addc_co_u32_e32 v5, vcc, v7, v5, vcc
	global_load_ushort v5, v[4:5], off
.LBB108_8:
	s_or_b64 exec, exec, s[2:3]
	s_lshr_b32 s2, s13, 16
	v_mov_b32_e32 v8, s2
	s_waitcnt lgkmcnt(0)
	v_mov_b32_e32 v9, s4
	s_waitcnt vmcnt(0)
	v_cmp_lt_i16_e64 s[2:3], s13, v2
	s_mov_b64 vcc, s[0:1]
	v_cndmask_b32_e64 v4, v8, v9, s[2:3]
	v_mov_b32_e32 v2, 0
	v_cndmask_b32_sdwa v4, v2, v4, vcc dst_sel:DWORD dst_unused:UNUSED_PAD src0_sel:DWORD src1_sel:WORD_0
	v_cmp_lt_i16_e32 vcc, s13, v3
	v_or_b32_e32 v7, 0x100, v0
	v_cndmask_b32_e32 v3, v8, v9, vcc
	s_mov_b32 s4, 0x5040100
	v_perm_b32 v3, v3, v4, s4
	v_cmp_gt_i32_e32 vcc, s7, v7
	v_cndmask_b32_e32 v4, v4, v3, vcc
	v_or_b32_e32 v3, 0x200, v0
	v_cmp_lt_i16_e64 s[2:3], s13, v6
	v_cmp_gt_i32_e32 vcc, s7, v3
	v_cndmask_b32_e64 v3, v8, v9, s[2:3]
	v_cndmask_b32_sdwa v3, v2, v3, vcc dst_sel:DWORD dst_unused:UNUSED_PAD src0_sel:DWORD src1_sel:WORD_0
	v_cmp_lt_i16_e32 vcc, s13, v5
	v_or_b32_e32 v6, 0x300, v0
	v_cndmask_b32_e32 v5, v8, v9, vcc
	v_perm_b32 v5, v5, v3, s4
	v_cmp_gt_i32_e32 vcc, s7, v6
	v_cndmask_b32_e32 v3, v3, v5, vcc
	s_and_saveexec_b64 s[2:3], s[0:1]
	s_cbranch_execnz .LBB108_13
; %bb.9:
	s_or_b64 exec, exec, s[2:3]
	v_cmp_gt_i32_e32 vcc, s7, v0
	s_and_saveexec_b64 s[0:1], vcc
	s_cbranch_execnz .LBB108_14
.LBB108_10:
	s_or_b64 exec, exec, s[0:1]
	v_cmp_gt_i32_e32 vcc, s7, v0
	s_and_saveexec_b64 s[0:1], vcc
	s_cbranch_execnz .LBB108_15
.LBB108_11:
	s_or_b64 exec, exec, s[0:1]
	v_cmp_gt_i32_e32 vcc, s7, v0
	s_and_saveexec_b64 s[0:1], vcc
	s_cbranch_execnz .LBB108_16
.LBB108_12:
	s_endpgm
.LBB108_13:
	v_lshlrev_b64 v[0:1], 1, v[1:2]
	v_mov_b32_e32 v2, s9
	v_add_co_u32_e32 v0, vcc, s8, v0
	v_addc_co_u32_e32 v1, vcc, v2, v1, vcc
	global_store_short v[0:1], v4, off
	v_mov_b32_e32 v0, v7
	s_or_b64 exec, exec, s[2:3]
	v_cmp_gt_i32_e32 vcc, s7, v0
	s_and_saveexec_b64 s[0:1], vcc
	s_cbranch_execz .LBB108_10
.LBB108_14:
	v_add_u32_e32 v2, 0x100, v0
	v_add_u32_e32 v0, s6, v0
	v_mov_b32_e32 v1, 0
	v_lshlrev_b64 v[0:1], 1, v[0:1]
	v_mov_b32_e32 v5, s9
	v_add_co_u32_e32 v0, vcc, s8, v0
	v_addc_co_u32_e32 v1, vcc, v5, v1, vcc
	global_store_short_d16_hi v[0:1], v4, off
	v_mov_b32_e32 v0, v2
	s_or_b64 exec, exec, s[0:1]
	v_cmp_gt_i32_e32 vcc, s7, v0
	s_and_saveexec_b64 s[0:1], vcc
	s_cbranch_execz .LBB108_11
.LBB108_15:
	v_add_u32_e32 v2, 0x100, v0
	v_add_u32_e32 v0, s6, v0
	v_mov_b32_e32 v1, 0
	v_lshlrev_b64 v[0:1], 1, v[0:1]
	v_mov_b32_e32 v4, s9
	v_add_co_u32_e32 v0, vcc, s8, v0
	v_addc_co_u32_e32 v1, vcc, v4, v1, vcc
	global_store_short v[0:1], v3, off
	v_mov_b32_e32 v0, v2
	s_or_b64 exec, exec, s[0:1]
	v_cmp_gt_i32_e32 vcc, s7, v0
	s_and_saveexec_b64 s[0:1], vcc
	s_cbranch_execz .LBB108_12
.LBB108_16:
	v_add_u32_e32 v0, s6, v0
	v_mov_b32_e32 v1, 0
	v_lshlrev_b64 v[0:1], 1, v[0:1]
	v_mov_b32_e32 v2, s9
	v_add_co_u32_e32 v0, vcc, s8, v0
	v_addc_co_u32_e32 v1, vcc, v2, v1, vcc
	global_store_short_d16_hi v[0:1], v3, off
	s_endpgm
	.section	.rodata,"a",@progbits
	.p2align	6, 0x0
	.amdhsa_kernel _ZN2at6native27unrolled_elementwise_kernelINS0_13BUnaryFunctorIsssZNS0_12_GLOBAL__N_121threshold_kernel_implIsEEvRNS_18TensorIteratorBaseET_S7_EUlssE_EESt5arrayIPcLm2EELi4E23TrivialOffsetCalculatorILi1EjESE_NS0_6memory15LoadWithoutCastENSF_16StoreWithoutCastEEEviS7_T0_T2_T3_T4_T5_
		.amdhsa_group_segment_fixed_size 0
		.amdhsa_private_segment_fixed_size 0
		.amdhsa_kernarg_size 36
		.amdhsa_user_sgpr_count 6
		.amdhsa_user_sgpr_private_segment_buffer 1
		.amdhsa_user_sgpr_dispatch_ptr 0
		.amdhsa_user_sgpr_queue_ptr 0
		.amdhsa_user_sgpr_kernarg_segment_ptr 1
		.amdhsa_user_sgpr_dispatch_id 0
		.amdhsa_user_sgpr_flat_scratch_init 0
		.amdhsa_user_sgpr_private_segment_size 0
		.amdhsa_uses_dynamic_stack 0
		.amdhsa_system_sgpr_private_segment_wavefront_offset 0
		.amdhsa_system_sgpr_workgroup_id_x 1
		.amdhsa_system_sgpr_workgroup_id_y 0
		.amdhsa_system_sgpr_workgroup_id_z 0
		.amdhsa_system_sgpr_workgroup_info 0
		.amdhsa_system_vgpr_workitem_id 0
		.amdhsa_next_free_vgpr 10
		.amdhsa_next_free_sgpr 14
		.amdhsa_reserve_vcc 1
		.amdhsa_reserve_flat_scratch 0
		.amdhsa_float_round_mode_32 0
		.amdhsa_float_round_mode_16_64 0
		.amdhsa_float_denorm_mode_32 3
		.amdhsa_float_denorm_mode_16_64 3
		.amdhsa_dx10_clamp 1
		.amdhsa_ieee_mode 1
		.amdhsa_fp16_overflow 0
		.amdhsa_exception_fp_ieee_invalid_op 0
		.amdhsa_exception_fp_denorm_src 0
		.amdhsa_exception_fp_ieee_div_zero 0
		.amdhsa_exception_fp_ieee_overflow 0
		.amdhsa_exception_fp_ieee_underflow 0
		.amdhsa_exception_fp_ieee_inexact 0
		.amdhsa_exception_int_div_zero 0
	.end_amdhsa_kernel
	.section	.text._ZN2at6native27unrolled_elementwise_kernelINS0_13BUnaryFunctorIsssZNS0_12_GLOBAL__N_121threshold_kernel_implIsEEvRNS_18TensorIteratorBaseET_S7_EUlssE_EESt5arrayIPcLm2EELi4E23TrivialOffsetCalculatorILi1EjESE_NS0_6memory15LoadWithoutCastENSF_16StoreWithoutCastEEEviS7_T0_T2_T3_T4_T5_,"axG",@progbits,_ZN2at6native27unrolled_elementwise_kernelINS0_13BUnaryFunctorIsssZNS0_12_GLOBAL__N_121threshold_kernel_implIsEEvRNS_18TensorIteratorBaseET_S7_EUlssE_EESt5arrayIPcLm2EELi4E23TrivialOffsetCalculatorILi1EjESE_NS0_6memory15LoadWithoutCastENSF_16StoreWithoutCastEEEviS7_T0_T2_T3_T4_T5_,comdat
.Lfunc_end108:
	.size	_ZN2at6native27unrolled_elementwise_kernelINS0_13BUnaryFunctorIsssZNS0_12_GLOBAL__N_121threshold_kernel_implIsEEvRNS_18TensorIteratorBaseET_S7_EUlssE_EESt5arrayIPcLm2EELi4E23TrivialOffsetCalculatorILi1EjESE_NS0_6memory15LoadWithoutCastENSF_16StoreWithoutCastEEEviS7_T0_T2_T3_T4_T5_, .Lfunc_end108-_ZN2at6native27unrolled_elementwise_kernelINS0_13BUnaryFunctorIsssZNS0_12_GLOBAL__N_121threshold_kernel_implIsEEvRNS_18TensorIteratorBaseET_S7_EUlssE_EESt5arrayIPcLm2EELi4E23TrivialOffsetCalculatorILi1EjESE_NS0_6memory15LoadWithoutCastENSF_16StoreWithoutCastEEEviS7_T0_T2_T3_T4_T5_
                                        ; -- End function
	.set _ZN2at6native27unrolled_elementwise_kernelINS0_13BUnaryFunctorIsssZNS0_12_GLOBAL__N_121threshold_kernel_implIsEEvRNS_18TensorIteratorBaseET_S7_EUlssE_EESt5arrayIPcLm2EELi4E23TrivialOffsetCalculatorILi1EjESE_NS0_6memory15LoadWithoutCastENSF_16StoreWithoutCastEEEviS7_T0_T2_T3_T4_T5_.num_vgpr, 10
	.set _ZN2at6native27unrolled_elementwise_kernelINS0_13BUnaryFunctorIsssZNS0_12_GLOBAL__N_121threshold_kernel_implIsEEvRNS_18TensorIteratorBaseET_S7_EUlssE_EESt5arrayIPcLm2EELi4E23TrivialOffsetCalculatorILi1EjESE_NS0_6memory15LoadWithoutCastENSF_16StoreWithoutCastEEEviS7_T0_T2_T3_T4_T5_.num_agpr, 0
	.set _ZN2at6native27unrolled_elementwise_kernelINS0_13BUnaryFunctorIsssZNS0_12_GLOBAL__N_121threshold_kernel_implIsEEvRNS_18TensorIteratorBaseET_S7_EUlssE_EESt5arrayIPcLm2EELi4E23TrivialOffsetCalculatorILi1EjESE_NS0_6memory15LoadWithoutCastENSF_16StoreWithoutCastEEEviS7_T0_T2_T3_T4_T5_.numbered_sgpr, 14
	.set _ZN2at6native27unrolled_elementwise_kernelINS0_13BUnaryFunctorIsssZNS0_12_GLOBAL__N_121threshold_kernel_implIsEEvRNS_18TensorIteratorBaseET_S7_EUlssE_EESt5arrayIPcLm2EELi4E23TrivialOffsetCalculatorILi1EjESE_NS0_6memory15LoadWithoutCastENSF_16StoreWithoutCastEEEviS7_T0_T2_T3_T4_T5_.num_named_barrier, 0
	.set _ZN2at6native27unrolled_elementwise_kernelINS0_13BUnaryFunctorIsssZNS0_12_GLOBAL__N_121threshold_kernel_implIsEEvRNS_18TensorIteratorBaseET_S7_EUlssE_EESt5arrayIPcLm2EELi4E23TrivialOffsetCalculatorILi1EjESE_NS0_6memory15LoadWithoutCastENSF_16StoreWithoutCastEEEviS7_T0_T2_T3_T4_T5_.private_seg_size, 0
	.set _ZN2at6native27unrolled_elementwise_kernelINS0_13BUnaryFunctorIsssZNS0_12_GLOBAL__N_121threshold_kernel_implIsEEvRNS_18TensorIteratorBaseET_S7_EUlssE_EESt5arrayIPcLm2EELi4E23TrivialOffsetCalculatorILi1EjESE_NS0_6memory15LoadWithoutCastENSF_16StoreWithoutCastEEEviS7_T0_T2_T3_T4_T5_.uses_vcc, 1
	.set _ZN2at6native27unrolled_elementwise_kernelINS0_13BUnaryFunctorIsssZNS0_12_GLOBAL__N_121threshold_kernel_implIsEEvRNS_18TensorIteratorBaseET_S7_EUlssE_EESt5arrayIPcLm2EELi4E23TrivialOffsetCalculatorILi1EjESE_NS0_6memory15LoadWithoutCastENSF_16StoreWithoutCastEEEviS7_T0_T2_T3_T4_T5_.uses_flat_scratch, 0
	.set _ZN2at6native27unrolled_elementwise_kernelINS0_13BUnaryFunctorIsssZNS0_12_GLOBAL__N_121threshold_kernel_implIsEEvRNS_18TensorIteratorBaseET_S7_EUlssE_EESt5arrayIPcLm2EELi4E23TrivialOffsetCalculatorILi1EjESE_NS0_6memory15LoadWithoutCastENSF_16StoreWithoutCastEEEviS7_T0_T2_T3_T4_T5_.has_dyn_sized_stack, 0
	.set _ZN2at6native27unrolled_elementwise_kernelINS0_13BUnaryFunctorIsssZNS0_12_GLOBAL__N_121threshold_kernel_implIsEEvRNS_18TensorIteratorBaseET_S7_EUlssE_EESt5arrayIPcLm2EELi4E23TrivialOffsetCalculatorILi1EjESE_NS0_6memory15LoadWithoutCastENSF_16StoreWithoutCastEEEviS7_T0_T2_T3_T4_T5_.has_recursion, 0
	.set _ZN2at6native27unrolled_elementwise_kernelINS0_13BUnaryFunctorIsssZNS0_12_GLOBAL__N_121threshold_kernel_implIsEEvRNS_18TensorIteratorBaseET_S7_EUlssE_EESt5arrayIPcLm2EELi4E23TrivialOffsetCalculatorILi1EjESE_NS0_6memory15LoadWithoutCastENSF_16StoreWithoutCastEEEviS7_T0_T2_T3_T4_T5_.has_indirect_call, 0
	.section	.AMDGPU.csdata,"",@progbits
; Kernel info:
; codeLenInByte = 728
; TotalNumSgprs: 18
; NumVgprs: 10
; ScratchSize: 0
; MemoryBound: 0
; FloatMode: 240
; IeeeMode: 1
; LDSByteSize: 0 bytes/workgroup (compile time only)
; SGPRBlocks: 2
; VGPRBlocks: 2
; NumSGPRsForWavesPerEU: 18
; NumVGPRsForWavesPerEU: 10
; Occupancy: 10
; WaveLimiterHint : 0
; COMPUTE_PGM_RSRC2:SCRATCH_EN: 0
; COMPUTE_PGM_RSRC2:USER_SGPR: 6
; COMPUTE_PGM_RSRC2:TRAP_HANDLER: 0
; COMPUTE_PGM_RSRC2:TGID_X_EN: 1
; COMPUTE_PGM_RSRC2:TGID_Y_EN: 0
; COMPUTE_PGM_RSRC2:TGID_Z_EN: 0
; COMPUTE_PGM_RSRC2:TIDIG_COMP_CNT: 0
	.section	.text._ZN2at6native32elementwise_kernel_manual_unrollILi128ELi8EZNS0_22gpu_kernel_impl_nocastINS0_13BUnaryFunctorIsssZNS0_12_GLOBAL__N_121threshold_kernel_implIsEEvRNS_18TensorIteratorBaseET_S8_EUlssE_EEEEvS7_RKS8_EUlibE_EEviT1_,"axG",@progbits,_ZN2at6native32elementwise_kernel_manual_unrollILi128ELi8EZNS0_22gpu_kernel_impl_nocastINS0_13BUnaryFunctorIsssZNS0_12_GLOBAL__N_121threshold_kernel_implIsEEvRNS_18TensorIteratorBaseET_S8_EUlssE_EEEEvS7_RKS8_EUlibE_EEviT1_,comdat
	.globl	_ZN2at6native32elementwise_kernel_manual_unrollILi128ELi8EZNS0_22gpu_kernel_impl_nocastINS0_13BUnaryFunctorIsssZNS0_12_GLOBAL__N_121threshold_kernel_implIsEEvRNS_18TensorIteratorBaseET_S8_EUlssE_EEEEvS7_RKS8_EUlibE_EEviT1_ ; -- Begin function _ZN2at6native32elementwise_kernel_manual_unrollILi128ELi8EZNS0_22gpu_kernel_impl_nocastINS0_13BUnaryFunctorIsssZNS0_12_GLOBAL__N_121threshold_kernel_implIsEEvRNS_18TensorIteratorBaseET_S8_EUlssE_EEEEvS7_RKS8_EUlibE_EEviT1_
	.p2align	8
	.type	_ZN2at6native32elementwise_kernel_manual_unrollILi128ELi8EZNS0_22gpu_kernel_impl_nocastINS0_13BUnaryFunctorIsssZNS0_12_GLOBAL__N_121threshold_kernel_implIsEEvRNS_18TensorIteratorBaseET_S8_EUlssE_EEEEvS7_RKS8_EUlibE_EEviT1_,@function
_ZN2at6native32elementwise_kernel_manual_unrollILi128ELi8EZNS0_22gpu_kernel_impl_nocastINS0_13BUnaryFunctorIsssZNS0_12_GLOBAL__N_121threshold_kernel_implIsEEvRNS_18TensorIteratorBaseET_S8_EUlssE_EEEEvS7_RKS8_EUlibE_EEviT1_: ; @_ZN2at6native32elementwise_kernel_manual_unrollILi128ELi8EZNS0_22gpu_kernel_impl_nocastINS0_13BUnaryFunctorIsssZNS0_12_GLOBAL__N_121threshold_kernel_implIsEEvRNS_18TensorIteratorBaseET_S8_EUlssE_EEEEvS7_RKS8_EUlibE_EEviT1_
; %bb.0:
	s_load_dword s58, s[4:5], 0x0
	s_load_dword s33, s[4:5], 0x8
	s_add_u32 s34, s4, 8
	s_addc_u32 s35, s5, 0
	v_lshl_or_b32 v19, s6, 10, v0
	v_or_b32_e32 v25, 0x380, v19
	s_waitcnt lgkmcnt(0)
	s_add_i32 s56, s33, -1
	s_cmp_gt_u32 s56, 1
	v_cmp_le_i32_e32 vcc, s58, v25
	s_cselect_b64 s[36:37], -1, 0
	s_and_saveexec_b64 s[0:1], vcc
	s_xor_b64 s[38:39], exec, s[0:1]
	s_cbranch_execz .LBB109_7
; %bb.1:
	s_cmp_lg_u32 s33, 0
	s_cselect_b64 s[48:49], -1, 0
	s_add_u32 s46, s34, 0xc4
	s_load_dwordx4 s[20:23], s[34:35], 0x4
	s_load_dwordx2 s[42:43], s[34:35], 0x14
	s_load_dwordx2 s[40:41], s[34:35], 0x158
	s_load_dwordx4 s[24:27], s[34:35], 0xc4
	s_load_dwordx4 s[16:19], s[34:35], 0x148
	s_addc_u32 s47, s35, 0
	s_min_u32 s59, s56, 15
	s_cmp_gt_u32 s33, 1
	s_cselect_b64 s[44:45], -1, 0
	s_waitcnt lgkmcnt(0)
	s_lshr_b32 s57, s40, 16
	v_cmp_gt_i32_e32 vcc, s58, v19
	s_and_saveexec_b64 s[50:51], vcc
	s_cbranch_execz .LBB109_14
; %bb.2:
	s_andn2_b64 vcc, exec, s[36:37]
	s_cbranch_vccnz .LBB109_21
; %bb.3:
	s_andn2_b64 vcc, exec, s[48:49]
	s_cbranch_vccnz .LBB109_129
; %bb.4:
	s_add_i32 s61, s59, 1
	s_cmp_eq_u32 s56, 2
	s_cbranch_scc1 .LBB109_131
; %bb.5:
	s_and_b32 s60, s61, 28
	v_mov_b32_e32 v2, 0
	s_mov_b32 s62, 0
	s_mov_b64 s[52:53], s[34:35]
	s_mov_b64 s[54:55], s[46:47]
	v_mov_b32_e32 v0, 0
	v_mov_b32_e32 v1, v19
.LBB109_6:                              ; =>This Inner Loop Header: Depth=1
	s_load_dwordx8 s[8:15], s[52:53], 0x4
	s_load_dwordx4 s[28:31], s[52:53], 0x24
	s_load_dwordx8 s[0:7], s[54:55], 0x0
	s_add_u32 s52, s52, 48
	s_addc_u32 s53, s53, 0
	s_waitcnt lgkmcnt(0)
	v_mul_hi_u32 v3, s9, v1
	s_add_i32 s62, s62, 4
	s_add_u32 s54, s54, 32
	s_addc_u32 s55, s55, 0
	v_add_u32_e32 v3, v1, v3
	v_lshrrev_b32_e32 v3, s10, v3
	v_mul_lo_u32 v4, v3, s8
	v_mul_hi_u32 v5, s12, v3
	s_cmp_lg_u32 s60, s62
	v_sub_u32_e32 v1, v1, v4
	v_add_u32_e32 v4, v3, v5
	v_mul_lo_u32 v5, v1, s0
	v_mul_lo_u32 v6, v1, s1
	v_lshrrev_b32_e32 v1, s13, v4
	v_mul_lo_u32 v4, v1, s11
	v_mul_hi_u32 v7, s15, v1
	v_sub_u32_e32 v3, v3, v4
	v_add_u32_e32 v4, v1, v7
	v_lshrrev_b32_e32 v4, s28, v4
	v_mul_hi_u32 v8, s30, v4
	v_mul_lo_u32 v9, v4, s14
	v_mul_lo_u32 v7, v3, s2
	v_mul_lo_u32 v3, v3, s3
	v_sub_u32_e32 v9, v1, v9
	v_add_u32_e32 v1, v4, v8
	v_lshrrev_b32_e32 v1, s31, v1
	v_mul_lo_u32 v8, v1, s29
	v_mul_lo_u32 v10, v9, s4
	;; [unrolled: 1-line block ×3, first 2 shown]
	v_add3_u32 v0, v5, v0, v7
	v_sub_u32_e32 v4, v4, v8
	v_mul_lo_u32 v8, v4, s6
	v_mul_lo_u32 v4, v4, s7
	v_add3_u32 v2, v6, v2, v3
	v_add3_u32 v0, v10, v0, v8
	v_add3_u32 v2, v9, v2, v4
	s_cbranch_scc1 .LBB109_6
	s_branch .LBB109_132
.LBB109_7:
	s_andn2_saveexec_b64 s[0:1], s[38:39]
	s_cbranch_execz .LBB109_221
.LBB109_8:
	v_cndmask_b32_e64 v0, 0, 1, s[36:37]
	v_cmp_ne_u32_e64 s[0:1], 1, v0
	s_andn2_b64 vcc, exec, s[36:37]
	s_cbranch_vccnz .LBB109_20
; %bb.9:
	s_cmp_lg_u32 s33, 0
	s_mov_b32 s26, 0
	s_cbranch_scc0 .LBB109_23
; %bb.10:
	s_min_u32 s27, s56, 15
	s_add_i32 s27, s27, 1
	s_cmp_eq_u32 s56, 2
	s_cbranch_scc1 .LBB109_24
; %bb.11:
	s_and_b32 s26, s27, 28
	s_add_u32 s2, s34, 0xc4
	s_addc_u32 s3, s35, 0
	v_mov_b32_e32 v2, 0
	s_mov_b32 s28, 0
	s_mov_b64 s[24:25], s[34:35]
	v_mov_b32_e32 v0, 0
	v_mov_b32_e32 v1, v19
.LBB109_12:                             ; =>This Inner Loop Header: Depth=1
	s_load_dwordx8 s[12:19], s[24:25], 0x4
	s_load_dwordx4 s[20:23], s[24:25], 0x24
	s_load_dwordx8 s[4:11], s[2:3], 0x0
	s_add_u32 s24, s24, 48
	s_addc_u32 s25, s25, 0
	s_waitcnt lgkmcnt(0)
	v_mul_hi_u32 v3, s13, v1
	s_add_i32 s28, s28, 4
	s_add_u32 s2, s2, 32
	s_addc_u32 s3, s3, 0
	v_add_u32_e32 v3, v1, v3
	v_lshrrev_b32_e32 v3, s14, v3
	v_mul_lo_u32 v4, v3, s12
	v_mul_hi_u32 v5, s16, v3
	s_cmp_lg_u32 s26, s28
	v_sub_u32_e32 v1, v1, v4
	v_add_u32_e32 v4, v3, v5
	v_mul_lo_u32 v5, v1, s4
	v_mul_lo_u32 v6, v1, s5
	v_lshrrev_b32_e32 v1, s17, v4
	v_mul_lo_u32 v4, v1, s15
	v_mul_hi_u32 v7, s19, v1
	v_sub_u32_e32 v3, v3, v4
	v_add_u32_e32 v4, v1, v7
	v_lshrrev_b32_e32 v4, s20, v4
	v_mul_hi_u32 v8, s22, v4
	v_mul_lo_u32 v9, v4, s18
	v_mul_lo_u32 v7, v3, s6
	;; [unrolled: 1-line block ×3, first 2 shown]
	v_sub_u32_e32 v9, v1, v9
	v_add_u32_e32 v1, v4, v8
	v_lshrrev_b32_e32 v1, s23, v1
	v_mul_lo_u32 v8, v1, s21
	v_mul_lo_u32 v10, v9, s8
	;; [unrolled: 1-line block ×3, first 2 shown]
	v_add3_u32 v0, v5, v0, v7
	v_sub_u32_e32 v4, v4, v8
	v_mul_lo_u32 v8, v4, s10
	v_mul_lo_u32 v4, v4, s11
	v_add3_u32 v2, v6, v2, v3
	v_add3_u32 v0, v10, v0, v8
	;; [unrolled: 1-line block ×3, first 2 shown]
	s_cbranch_scc1 .LBB109_12
; %bb.13:
	s_and_b32 s6, s27, 3
	s_cmp_eq_u32 s6, 0
	s_cbranch_scc0 .LBB109_25
	s_branch .LBB109_27
.LBB109_14:
	s_or_b64 exec, exec, s[50:51]
	v_cmp_gt_i32_e32 vcc, s58, v19
	s_and_saveexec_b64 s[50:51], vcc
	s_cbranch_execz .LBB109_139
.LBB109_15:
	s_andn2_b64 vcc, exec, s[36:37]
	s_cbranch_vccnz .LBB109_22
; %bb.16:
	s_andn2_b64 vcc, exec, s[48:49]
	s_cbranch_vccnz .LBB109_130
; %bb.17:
	s_add_i32 s61, s59, 1
	s_cmp_eq_u32 s56, 2
	s_cbranch_scc1 .LBB109_147
; %bb.18:
	s_and_b32 s60, s61, 28
	v_mov_b32_e32 v2, 0
	s_mov_b32 s62, 0
	s_mov_b64 s[52:53], s[34:35]
	s_mov_b64 s[54:55], s[46:47]
	v_mov_b32_e32 v0, 0
	v_mov_b32_e32 v1, v19
.LBB109_19:                             ; =>This Inner Loop Header: Depth=1
	s_load_dwordx8 s[8:15], s[52:53], 0x4
	s_load_dwordx4 s[28:31], s[52:53], 0x24
	s_load_dwordx8 s[0:7], s[54:55], 0x0
	s_add_u32 s52, s52, 48
	s_addc_u32 s53, s53, 0
	s_waitcnt lgkmcnt(0)
	v_mul_hi_u32 v3, s9, v1
	s_add_i32 s62, s62, 4
	s_add_u32 s54, s54, 32
	s_addc_u32 s55, s55, 0
	v_add_u32_e32 v3, v1, v3
	v_lshrrev_b32_e32 v3, s10, v3
	v_mul_lo_u32 v4, v3, s8
	v_mul_hi_u32 v5, s12, v3
	s_cmp_eq_u32 s60, s62
	v_sub_u32_e32 v1, v1, v4
	v_add_u32_e32 v4, v3, v5
	v_mul_lo_u32 v5, v1, s0
	v_mul_lo_u32 v6, v1, s1
	v_lshrrev_b32_e32 v1, s13, v4
	v_mul_lo_u32 v4, v1, s11
	v_mul_hi_u32 v7, s15, v1
	v_sub_u32_e32 v3, v3, v4
	v_add_u32_e32 v4, v1, v7
	v_lshrrev_b32_e32 v4, s28, v4
	v_mul_hi_u32 v8, s30, v4
	v_mul_lo_u32 v9, v4, s14
	v_mul_lo_u32 v7, v3, s2
	;; [unrolled: 1-line block ×3, first 2 shown]
	v_sub_u32_e32 v9, v1, v9
	v_add_u32_e32 v1, v4, v8
	v_lshrrev_b32_e32 v1, s31, v1
	v_mul_lo_u32 v8, v1, s29
	v_mul_lo_u32 v10, v9, s4
	;; [unrolled: 1-line block ×3, first 2 shown]
	v_add3_u32 v0, v5, v0, v7
	v_sub_u32_e32 v4, v4, v8
	v_mul_lo_u32 v8, v4, s6
	v_mul_lo_u32 v4, v4, s7
	v_add3_u32 v2, v6, v2, v3
	v_add3_u32 v0, v10, v0, v8
	;; [unrolled: 1-line block ×3, first 2 shown]
	s_cbranch_scc0 .LBB109_19
	s_branch .LBB109_148
.LBB109_20:
                                        ; implicit-def: $vgpr0
                                        ; implicit-def: $vgpr2
	s_branch .LBB109_28
.LBB109_21:
                                        ; implicit-def: $vgpr0
                                        ; implicit-def: $vgpr2
	s_branch .LBB109_136
.LBB109_22:
                                        ; implicit-def: $vgpr0
                                        ; implicit-def: $vgpr2
	s_branch .LBB109_152
.LBB109_23:
	v_mov_b32_e32 v0, 0
	v_mov_b32_e32 v2, 0
	s_branch .LBB109_27
.LBB109_24:
	v_mov_b32_e32 v0, 0
	v_mov_b32_e32 v2, 0
	;; [unrolled: 1-line block ×3, first 2 shown]
	s_and_b32 s6, s27, 3
	s_cmp_eq_u32 s6, 0
	s_cbranch_scc1 .LBB109_27
.LBB109_25:
	s_lshl_b32 s2, s26, 3
	s_add_u32 s2, s34, s2
	s_addc_u32 s3, s35, 0
	s_add_u32 s2, s2, 0xc4
	s_addc_u32 s3, s3, 0
	s_mul_i32 s4, s26, 12
	s_add_u32 s4, s34, s4
	s_addc_u32 s5, s35, 0
.LBB109_26:                             ; =>This Inner Loop Header: Depth=1
	s_load_dwordx2 s[8:9], s[4:5], 0x4
	s_load_dword s7, s[4:5], 0xc
	s_load_dwordx2 s[10:11], s[2:3], 0x0
	s_add_u32 s4, s4, 12
	s_addc_u32 s5, s5, 0
	s_waitcnt lgkmcnt(0)
	v_mul_hi_u32 v4, s9, v1
	s_add_u32 s2, s2, 8
	s_addc_u32 s3, s3, 0
	s_add_i32 s6, s6, -1
	v_add_u32_e32 v4, v1, v4
	v_lshrrev_b32_e32 v4, s7, v4
	v_mul_lo_u32 v5, v4, s8
	s_cmp_lg_u32 s6, 0
	v_sub_u32_e32 v5, v1, v5
	v_mad_u64_u32 v[0:1], s[8:9], v5, s10, v[0:1]
	v_mad_u64_u32 v[2:3], s[8:9], v5, s11, v[2:3]
	v_mov_b32_e32 v1, v4
	s_cbranch_scc1 .LBB109_26
.LBB109_27:
	s_cbranch_execnz .LBB109_30
.LBB109_28:
	s_load_dwordx4 s[4:7], s[34:35], 0x4
	s_load_dwordx2 s[2:3], s[34:35], 0xc4
	s_cmp_lt_u32 s33, 2
	s_waitcnt lgkmcnt(0)
	v_mul_hi_u32 v0, s5, v19
	v_add_u32_e32 v0, v19, v0
	v_lshrrev_b32_e32 v1, s6, v0
	v_mul_lo_u32 v0, v1, s4
	v_sub_u32_e32 v2, v19, v0
	v_mul_lo_u32 v0, v2, s2
	v_mul_lo_u32 v2, v2, s3
	s_cbranch_scc1 .LBB109_30
; %bb.29:
	s_load_dwordx4 s[4:7], s[34:35], 0x10
	s_load_dwordx2 s[2:3], s[34:35], 0xcc
	s_waitcnt lgkmcnt(0)
	v_mul_hi_u32 v3, s5, v1
	v_add_u32_e32 v3, v1, v3
	v_lshrrev_b32_e32 v3, s6, v3
	v_mul_lo_u32 v3, v3, s4
	v_sub_u32_e32 v3, v1, v3
	v_mad_u64_u32 v[0:1], s[4:5], v3, s2, v[0:1]
	v_mad_u64_u32 v[2:3], s[2:3], v3, s3, v[2:3]
.LBB109_30:
	s_and_b64 vcc, exec, s[0:1]
	v_add_u32_e32 v1, 0x80, v19
	s_cbranch_vccnz .LBB109_36
; %bb.31:
	s_cmp_lg_u32 s33, 0
	s_mov_b32 s26, 0
	s_cbranch_scc0 .LBB109_37
; %bb.32:
	s_min_u32 s27, s56, 15
	s_add_i32 s27, s27, 1
	s_cmp_eq_u32 s56, 2
	s_cbranch_scc1 .LBB109_38
; %bb.33:
	s_and_b32 s26, s27, 28
	s_add_u32 s2, s34, 0xc4
	s_addc_u32 s3, s35, 0
	v_mov_b32_e32 v5, 0
	s_mov_b32 s28, 0
	s_mov_b64 s[24:25], s[34:35]
	v_mov_b32_e32 v3, 0
	v_mov_b32_e32 v4, v1
.LBB109_34:                             ; =>This Inner Loop Header: Depth=1
	s_load_dwordx8 s[12:19], s[24:25], 0x4
	s_load_dwordx4 s[20:23], s[24:25], 0x24
	s_load_dwordx8 s[4:11], s[2:3], 0x0
	s_add_u32 s24, s24, 48
	s_addc_u32 s25, s25, 0
	s_waitcnt lgkmcnt(0)
	v_mul_hi_u32 v6, s13, v4
	s_add_i32 s28, s28, 4
	s_add_u32 s2, s2, 32
	s_addc_u32 s3, s3, 0
	v_add_u32_e32 v6, v4, v6
	v_lshrrev_b32_e32 v6, s14, v6
	v_mul_lo_u32 v7, v6, s12
	v_mul_hi_u32 v8, s16, v6
	s_cmp_lg_u32 s26, s28
	v_sub_u32_e32 v4, v4, v7
	v_add_u32_e32 v7, v6, v8
	v_mul_lo_u32 v8, v4, s4
	v_mul_lo_u32 v9, v4, s5
	v_lshrrev_b32_e32 v4, s17, v7
	v_mul_lo_u32 v7, v4, s15
	v_mul_hi_u32 v10, s19, v4
	v_sub_u32_e32 v6, v6, v7
	v_add_u32_e32 v7, v4, v10
	v_lshrrev_b32_e32 v7, s20, v7
	v_mul_hi_u32 v11, s22, v7
	v_mul_lo_u32 v12, v7, s18
	v_mul_lo_u32 v10, v6, s6
	;; [unrolled: 1-line block ×3, first 2 shown]
	v_sub_u32_e32 v12, v4, v12
	v_add_u32_e32 v4, v7, v11
	v_lshrrev_b32_e32 v4, s23, v4
	v_mul_lo_u32 v11, v4, s21
	v_mul_lo_u32 v13, v12, s8
	;; [unrolled: 1-line block ×3, first 2 shown]
	v_add3_u32 v3, v8, v3, v10
	v_sub_u32_e32 v7, v7, v11
	v_mul_lo_u32 v11, v7, s10
	v_mul_lo_u32 v7, v7, s11
	v_add3_u32 v5, v9, v5, v6
	v_add3_u32 v3, v13, v3, v11
	;; [unrolled: 1-line block ×3, first 2 shown]
	s_cbranch_scc1 .LBB109_34
; %bb.35:
	s_and_b32 s6, s27, 3
	s_cmp_eq_u32 s6, 0
	s_cbranch_scc0 .LBB109_39
	s_branch .LBB109_41
.LBB109_36:
                                        ; implicit-def: $vgpr3
                                        ; implicit-def: $vgpr5
	s_branch .LBB109_42
.LBB109_37:
	v_mov_b32_e32 v3, 0
	v_mov_b32_e32 v5, 0
	s_branch .LBB109_41
.LBB109_38:
	v_mov_b32_e32 v3, 0
	v_mov_b32_e32 v5, 0
	;; [unrolled: 1-line block ×3, first 2 shown]
	s_and_b32 s6, s27, 3
	s_cmp_eq_u32 s6, 0
	s_cbranch_scc1 .LBB109_41
.LBB109_39:
	s_lshl_b32 s2, s26, 3
	s_add_u32 s2, s34, s2
	s_addc_u32 s3, s35, 0
	s_add_u32 s2, s2, 0xc4
	s_addc_u32 s3, s3, 0
	s_mul_i32 s4, s26, 12
	s_add_u32 s4, s34, s4
	s_addc_u32 s5, s35, 0
.LBB109_40:                             ; =>This Inner Loop Header: Depth=1
	s_load_dwordx2 s[8:9], s[4:5], 0x4
	s_load_dword s7, s[4:5], 0xc
	s_load_dwordx2 s[10:11], s[2:3], 0x0
	s_add_u32 s4, s4, 12
	s_addc_u32 s5, s5, 0
	s_waitcnt lgkmcnt(0)
	v_mul_hi_u32 v7, s9, v4
	s_add_u32 s2, s2, 8
	s_addc_u32 s3, s3, 0
	s_add_i32 s6, s6, -1
	v_add_u32_e32 v7, v4, v7
	v_lshrrev_b32_e32 v7, s7, v7
	v_mul_lo_u32 v8, v7, s8
	s_cmp_lg_u32 s6, 0
	v_sub_u32_e32 v8, v4, v8
	v_mad_u64_u32 v[3:4], s[8:9], v8, s10, v[3:4]
	v_mad_u64_u32 v[5:6], s[8:9], v8, s11, v[5:6]
	v_mov_b32_e32 v4, v7
	s_cbranch_scc1 .LBB109_40
.LBB109_41:
	s_cbranch_execnz .LBB109_44
.LBB109_42:
	s_load_dwordx4 s[4:7], s[34:35], 0x4
	s_load_dwordx2 s[2:3], s[34:35], 0xc4
	s_cmp_lt_u32 s33, 2
	s_waitcnt lgkmcnt(0)
	v_mul_hi_u32 v3, s5, v1
	v_add_u32_e32 v3, v1, v3
	v_lshrrev_b32_e32 v4, s6, v3
	v_mul_lo_u32 v3, v4, s4
	v_sub_u32_e32 v1, v1, v3
	v_mul_lo_u32 v3, v1, s2
	v_mul_lo_u32 v5, v1, s3
	s_cbranch_scc1 .LBB109_44
; %bb.43:
	s_load_dwordx4 s[4:7], s[34:35], 0x10
	s_load_dwordx2 s[2:3], s[34:35], 0xcc
	s_waitcnt lgkmcnt(0)
	v_mul_hi_u32 v1, s5, v4
	v_add_u32_e32 v1, v4, v1
	v_lshrrev_b32_e32 v1, s6, v1
	v_mul_lo_u32 v1, v1, s4
	v_sub_u32_e32 v1, v4, v1
	v_mad_u64_u32 v[3:4], s[4:5], v1, s2, v[3:4]
	v_mad_u64_u32 v[5:6], s[2:3], v1, s3, v[5:6]
.LBB109_44:
	s_and_b64 vcc, exec, s[0:1]
	v_add_u32_e32 v1, 0x100, v19
	s_cbranch_vccnz .LBB109_50
; %bb.45:
	s_cmp_lg_u32 s33, 0
	s_mov_b32 s26, 0
	s_cbranch_scc0 .LBB109_51
; %bb.46:
	s_min_u32 s27, s56, 15
	s_add_i32 s27, s27, 1
	s_cmp_eq_u32 s56, 2
	s_cbranch_scc1 .LBB109_52
; %bb.47:
	s_and_b32 s26, s27, 28
	s_add_u32 s2, s34, 0xc4
	s_addc_u32 s3, s35, 0
	v_mov_b32_e32 v8, 0
	s_mov_b32 s28, 0
	s_mov_b64 s[24:25], s[34:35]
	v_mov_b32_e32 v6, 0
	v_mov_b32_e32 v4, v1
.LBB109_48:                             ; =>This Inner Loop Header: Depth=1
	s_load_dwordx8 s[12:19], s[24:25], 0x4
	s_load_dwordx4 s[20:23], s[24:25], 0x24
	s_load_dwordx8 s[4:11], s[2:3], 0x0
	s_add_u32 s24, s24, 48
	s_addc_u32 s25, s25, 0
	s_waitcnt lgkmcnt(0)
	v_mul_hi_u32 v7, s13, v4
	s_add_i32 s28, s28, 4
	s_add_u32 s2, s2, 32
	s_addc_u32 s3, s3, 0
	v_add_u32_e32 v7, v4, v7
	v_lshrrev_b32_e32 v7, s14, v7
	v_mul_lo_u32 v9, v7, s12
	v_mul_hi_u32 v10, s16, v7
	s_cmp_lg_u32 s26, s28
	v_sub_u32_e32 v4, v4, v9
	v_add_u32_e32 v9, v7, v10
	v_mul_lo_u32 v10, v4, s4
	v_mul_lo_u32 v11, v4, s5
	v_lshrrev_b32_e32 v4, s17, v9
	v_mul_lo_u32 v9, v4, s15
	v_mul_hi_u32 v12, s19, v4
	v_sub_u32_e32 v7, v7, v9
	v_add_u32_e32 v9, v4, v12
	v_lshrrev_b32_e32 v9, s20, v9
	v_mul_hi_u32 v13, s22, v9
	v_mul_lo_u32 v14, v9, s18
	v_mul_lo_u32 v12, v7, s6
	;; [unrolled: 1-line block ×3, first 2 shown]
	v_sub_u32_e32 v14, v4, v14
	v_add_u32_e32 v4, v9, v13
	v_lshrrev_b32_e32 v4, s23, v4
	v_mul_lo_u32 v13, v4, s21
	v_mul_lo_u32 v15, v14, s8
	;; [unrolled: 1-line block ×3, first 2 shown]
	v_add3_u32 v6, v10, v6, v12
	v_sub_u32_e32 v9, v9, v13
	v_mul_lo_u32 v13, v9, s10
	v_mul_lo_u32 v9, v9, s11
	v_add3_u32 v7, v11, v8, v7
	v_add3_u32 v6, v15, v6, v13
	;; [unrolled: 1-line block ×3, first 2 shown]
	s_cbranch_scc1 .LBB109_48
; %bb.49:
	s_and_b32 s6, s27, 3
	s_cmp_eq_u32 s6, 0
	s_cbranch_scc0 .LBB109_53
	s_branch .LBB109_55
.LBB109_50:
                                        ; implicit-def: $vgpr6
                                        ; implicit-def: $vgpr8
	s_branch .LBB109_56
.LBB109_51:
	v_mov_b32_e32 v6, 0
	v_mov_b32_e32 v8, 0
	s_branch .LBB109_55
.LBB109_52:
	v_mov_b32_e32 v6, 0
	v_mov_b32_e32 v8, 0
	v_mov_b32_e32 v4, v1
	s_and_b32 s6, s27, 3
	s_cmp_eq_u32 s6, 0
	s_cbranch_scc1 .LBB109_55
.LBB109_53:
	s_lshl_b32 s2, s26, 3
	s_add_u32 s2, s34, s2
	s_addc_u32 s3, s35, 0
	s_add_u32 s2, s2, 0xc4
	s_addc_u32 s3, s3, 0
	s_mul_i32 s4, s26, 12
	s_add_u32 s4, s34, s4
	s_addc_u32 s5, s35, 0
.LBB109_54:                             ; =>This Inner Loop Header: Depth=1
	s_load_dwordx2 s[8:9], s[4:5], 0x4
	s_load_dword s7, s[4:5], 0xc
	s_load_dwordx2 s[10:11], s[2:3], 0x0
	s_add_u32 s4, s4, 12
	s_addc_u32 s5, s5, 0
	s_waitcnt lgkmcnt(0)
	v_mul_hi_u32 v7, s9, v4
	s_add_u32 s2, s2, 8
	s_addc_u32 s3, s3, 0
	s_add_i32 s6, s6, -1
	v_add_u32_e32 v7, v4, v7
	v_lshrrev_b32_e32 v10, s7, v7
	v_mul_lo_u32 v7, v10, s8
	s_cmp_lg_u32 s6, 0
	v_sub_u32_e32 v4, v4, v7
	v_mad_u64_u32 v[6:7], s[8:9], v4, s10, v[6:7]
	v_mad_u64_u32 v[8:9], s[8:9], v4, s11, v[8:9]
	v_mov_b32_e32 v4, v10
	s_cbranch_scc1 .LBB109_54
.LBB109_55:
	s_cbranch_execnz .LBB109_58
.LBB109_56:
	s_load_dwordx4 s[4:7], s[34:35], 0x4
	s_load_dwordx2 s[2:3], s[34:35], 0xc4
	s_cmp_lt_u32 s33, 2
	s_waitcnt lgkmcnt(0)
	v_mul_hi_u32 v4, s5, v1
	v_add_u32_e32 v4, v1, v4
	v_lshrrev_b32_e32 v4, s6, v4
	v_mul_lo_u32 v6, v4, s4
	v_sub_u32_e32 v1, v1, v6
	v_mul_lo_u32 v6, v1, s2
	v_mul_lo_u32 v8, v1, s3
	s_cbranch_scc1 .LBB109_58
; %bb.57:
	s_load_dwordx4 s[4:7], s[34:35], 0x10
	s_load_dwordx2 s[2:3], s[34:35], 0xcc
	s_waitcnt lgkmcnt(0)
	v_mul_hi_u32 v1, s5, v4
	v_add_u32_e32 v1, v4, v1
	v_lshrrev_b32_e32 v1, s6, v1
	v_mul_lo_u32 v1, v1, s4
	v_sub_u32_e32 v1, v4, v1
	v_mad_u64_u32 v[6:7], s[4:5], v1, s2, v[6:7]
	v_mad_u64_u32 v[8:9], s[2:3], v1, s3, v[8:9]
.LBB109_58:
	s_and_b64 vcc, exec, s[0:1]
	v_add_u32_e32 v1, 0x180, v19
	s_cbranch_vccnz .LBB109_64
; %bb.59:
	s_cmp_lg_u32 s33, 0
	s_mov_b32 s26, 0
	s_cbranch_scc0 .LBB109_65
; %bb.60:
	s_min_u32 s27, s56, 15
	s_add_i32 s27, s27, 1
	s_cmp_eq_u32 s56, 2
	s_cbranch_scc1 .LBB109_66
; %bb.61:
	s_and_b32 s26, s27, 28
	s_add_u32 s2, s34, 0xc4
	s_addc_u32 s3, s35, 0
	v_mov_b32_e32 v11, 0
	s_mov_b32 s28, 0
	s_mov_b64 s[24:25], s[34:35]
	v_mov_b32_e32 v9, 0
	v_mov_b32_e32 v4, v1
.LBB109_62:                             ; =>This Inner Loop Header: Depth=1
	s_load_dwordx8 s[12:19], s[24:25], 0x4
	s_load_dwordx4 s[20:23], s[24:25], 0x24
	s_load_dwordx8 s[4:11], s[2:3], 0x0
	s_add_u32 s24, s24, 48
	s_addc_u32 s25, s25, 0
	s_waitcnt lgkmcnt(0)
	v_mul_hi_u32 v7, s13, v4
	s_add_i32 s28, s28, 4
	s_add_u32 s2, s2, 32
	s_addc_u32 s3, s3, 0
	v_add_u32_e32 v7, v4, v7
	v_lshrrev_b32_e32 v7, s14, v7
	v_mul_lo_u32 v10, v7, s12
	v_mul_hi_u32 v12, s16, v7
	s_cmp_lg_u32 s26, s28
	v_sub_u32_e32 v4, v4, v10
	v_add_u32_e32 v10, v7, v12
	v_mul_lo_u32 v12, v4, s4
	v_mul_lo_u32 v13, v4, s5
	v_lshrrev_b32_e32 v4, s17, v10
	v_mul_lo_u32 v10, v4, s15
	v_mul_hi_u32 v14, s19, v4
	v_sub_u32_e32 v7, v7, v10
	v_add_u32_e32 v10, v4, v14
	v_lshrrev_b32_e32 v10, s20, v10
	v_mul_hi_u32 v15, s22, v10
	v_mul_lo_u32 v16, v10, s18
	v_mul_lo_u32 v14, v7, s6
	;; [unrolled: 1-line block ×3, first 2 shown]
	v_sub_u32_e32 v16, v4, v16
	v_add_u32_e32 v4, v10, v15
	v_lshrrev_b32_e32 v4, s23, v4
	v_mul_lo_u32 v15, v4, s21
	v_mul_lo_u32 v17, v16, s8
	;; [unrolled: 1-line block ×3, first 2 shown]
	v_add3_u32 v9, v12, v9, v14
	v_sub_u32_e32 v10, v10, v15
	v_mul_lo_u32 v15, v10, s10
	v_mul_lo_u32 v10, v10, s11
	v_add3_u32 v7, v13, v11, v7
	v_add3_u32 v9, v17, v9, v15
	;; [unrolled: 1-line block ×3, first 2 shown]
	s_cbranch_scc1 .LBB109_62
; %bb.63:
	s_and_b32 s6, s27, 3
	s_cmp_eq_u32 s6, 0
	s_cbranch_scc0 .LBB109_67
	s_branch .LBB109_69
.LBB109_64:
                                        ; implicit-def: $vgpr9
                                        ; implicit-def: $vgpr11
	s_branch .LBB109_70
.LBB109_65:
	v_mov_b32_e32 v9, 0
	v_mov_b32_e32 v11, 0
	s_branch .LBB109_69
.LBB109_66:
	v_mov_b32_e32 v9, 0
	v_mov_b32_e32 v11, 0
	;; [unrolled: 1-line block ×3, first 2 shown]
	s_and_b32 s6, s27, 3
	s_cmp_eq_u32 s6, 0
	s_cbranch_scc1 .LBB109_69
.LBB109_67:
	s_lshl_b32 s2, s26, 3
	s_add_u32 s2, s34, s2
	s_addc_u32 s3, s35, 0
	s_add_u32 s2, s2, 0xc4
	s_addc_u32 s3, s3, 0
	s_mul_i32 s4, s26, 12
	s_add_u32 s4, s34, s4
	s_addc_u32 s5, s35, 0
.LBB109_68:                             ; =>This Inner Loop Header: Depth=1
	s_load_dwordx2 s[8:9], s[4:5], 0x4
	s_load_dword s7, s[4:5], 0xc
	s_load_dwordx2 s[10:11], s[2:3], 0x0
	s_add_u32 s4, s4, 12
	s_addc_u32 s5, s5, 0
	s_waitcnt lgkmcnt(0)
	v_mul_hi_u32 v7, s9, v4
	s_add_u32 s2, s2, 8
	s_addc_u32 s3, s3, 0
	s_add_i32 s6, s6, -1
	v_add_u32_e32 v7, v4, v7
	v_lshrrev_b32_e32 v7, s7, v7
	v_mul_lo_u32 v10, v7, s8
	s_cmp_lg_u32 s6, 0
	v_sub_u32_e32 v4, v4, v10
	v_mad_u64_u32 v[9:10], s[8:9], v4, s10, v[9:10]
	v_mad_u64_u32 v[11:12], s[8:9], v4, s11, v[11:12]
	v_mov_b32_e32 v4, v7
	s_cbranch_scc1 .LBB109_68
.LBB109_69:
	s_cbranch_execnz .LBB109_72
.LBB109_70:
	s_load_dwordx4 s[4:7], s[34:35], 0x4
	s_load_dwordx2 s[2:3], s[34:35], 0xc4
	s_cmp_lt_u32 s33, 2
	s_waitcnt lgkmcnt(0)
	v_mul_hi_u32 v4, s5, v1
	v_add_u32_e32 v4, v1, v4
	v_lshrrev_b32_e32 v4, s6, v4
	v_mul_lo_u32 v7, v4, s4
	v_sub_u32_e32 v1, v1, v7
	v_mul_lo_u32 v9, v1, s2
	v_mul_lo_u32 v11, v1, s3
	s_cbranch_scc1 .LBB109_72
; %bb.71:
	s_load_dwordx4 s[4:7], s[34:35], 0x10
	s_load_dwordx2 s[2:3], s[34:35], 0xcc
	s_waitcnt lgkmcnt(0)
	v_mul_hi_u32 v1, s5, v4
	v_add_u32_e32 v1, v4, v1
	v_lshrrev_b32_e32 v1, s6, v1
	v_mul_lo_u32 v1, v1, s4
	v_sub_u32_e32 v1, v4, v1
	v_mad_u64_u32 v[9:10], s[4:5], v1, s2, v[9:10]
	v_mad_u64_u32 v[11:12], s[2:3], v1, s3, v[11:12]
.LBB109_72:
	s_and_b64 vcc, exec, s[0:1]
	v_add_u32_e32 v1, 0x200, v19
	s_cbranch_vccnz .LBB109_78
; %bb.73:
	s_cmp_lg_u32 s33, 0
	s_mov_b32 s26, 0
	s_cbranch_scc0 .LBB109_79
; %bb.74:
	s_min_u32 s27, s56, 15
	s_add_i32 s27, s27, 1
	s_cmp_eq_u32 s56, 2
	s_cbranch_scc1 .LBB109_80
; %bb.75:
	s_and_b32 s26, s27, 28
	s_add_u32 s2, s34, 0xc4
	s_addc_u32 s3, s35, 0
	v_mov_b32_e32 v14, 0
	s_mov_b32 s28, 0
	s_mov_b64 s[24:25], s[34:35]
	v_mov_b32_e32 v12, 0
	v_mov_b32_e32 v4, v1
.LBB109_76:                             ; =>This Inner Loop Header: Depth=1
	s_load_dwordx8 s[12:19], s[24:25], 0x4
	s_load_dwordx4 s[20:23], s[24:25], 0x24
	s_load_dwordx8 s[4:11], s[2:3], 0x0
	s_add_u32 s24, s24, 48
	s_addc_u32 s25, s25, 0
	s_waitcnt lgkmcnt(0)
	v_mul_hi_u32 v7, s13, v4
	s_add_i32 s28, s28, 4
	s_add_u32 s2, s2, 32
	s_addc_u32 s3, s3, 0
	v_add_u32_e32 v7, v4, v7
	v_lshrrev_b32_e32 v7, s14, v7
	v_mul_lo_u32 v10, v7, s12
	v_mul_hi_u32 v13, s16, v7
	s_cmp_lg_u32 s26, s28
	v_sub_u32_e32 v4, v4, v10
	v_add_u32_e32 v10, v7, v13
	v_mul_lo_u32 v13, v4, s4
	v_mul_lo_u32 v15, v4, s5
	v_lshrrev_b32_e32 v4, s17, v10
	v_mul_lo_u32 v10, v4, s15
	v_mul_hi_u32 v16, s19, v4
	v_sub_u32_e32 v7, v7, v10
	v_add_u32_e32 v10, v4, v16
	v_lshrrev_b32_e32 v10, s20, v10
	v_mul_hi_u32 v17, s22, v10
	v_mul_lo_u32 v18, v10, s18
	v_mul_lo_u32 v16, v7, s6
	;; [unrolled: 1-line block ×3, first 2 shown]
	v_sub_u32_e32 v18, v4, v18
	v_add_u32_e32 v4, v10, v17
	v_lshrrev_b32_e32 v4, s23, v4
	v_mul_lo_u32 v17, v4, s21
	v_mul_lo_u32 v20, v18, s8
	;; [unrolled: 1-line block ×3, first 2 shown]
	v_add3_u32 v12, v13, v12, v16
	v_sub_u32_e32 v10, v10, v17
	v_mul_lo_u32 v17, v10, s10
	v_mul_lo_u32 v10, v10, s11
	v_add3_u32 v7, v15, v14, v7
	v_add3_u32 v12, v20, v12, v17
	;; [unrolled: 1-line block ×3, first 2 shown]
	s_cbranch_scc1 .LBB109_76
; %bb.77:
	s_and_b32 s6, s27, 3
	s_cmp_eq_u32 s6, 0
	s_cbranch_scc0 .LBB109_81
	s_branch .LBB109_83
.LBB109_78:
                                        ; implicit-def: $vgpr12
                                        ; implicit-def: $vgpr14
	s_branch .LBB109_84
.LBB109_79:
	v_mov_b32_e32 v12, 0
	v_mov_b32_e32 v14, 0
	s_branch .LBB109_83
.LBB109_80:
	v_mov_b32_e32 v12, 0
	v_mov_b32_e32 v14, 0
	;; [unrolled: 1-line block ×3, first 2 shown]
	s_and_b32 s6, s27, 3
	s_cmp_eq_u32 s6, 0
	s_cbranch_scc1 .LBB109_83
.LBB109_81:
	s_lshl_b32 s2, s26, 3
	s_add_u32 s2, s34, s2
	s_addc_u32 s3, s35, 0
	s_add_u32 s2, s2, 0xc4
	s_addc_u32 s3, s3, 0
	s_mul_i32 s4, s26, 12
	s_add_u32 s4, s34, s4
	s_addc_u32 s5, s35, 0
.LBB109_82:                             ; =>This Inner Loop Header: Depth=1
	s_load_dwordx2 s[8:9], s[4:5], 0x4
	s_load_dword s7, s[4:5], 0xc
	s_load_dwordx2 s[10:11], s[2:3], 0x0
	s_add_u32 s4, s4, 12
	s_addc_u32 s5, s5, 0
	s_waitcnt lgkmcnt(0)
	v_mul_hi_u32 v7, s9, v4
	s_add_u32 s2, s2, 8
	s_addc_u32 s3, s3, 0
	s_add_i32 s6, s6, -1
	v_add_u32_e32 v7, v4, v7
	v_lshrrev_b32_e32 v7, s7, v7
	v_mul_lo_u32 v10, v7, s8
	s_cmp_lg_u32 s6, 0
	v_sub_u32_e32 v4, v4, v10
	v_mad_u64_u32 v[12:13], s[8:9], v4, s10, v[12:13]
	v_mad_u64_u32 v[14:15], s[8:9], v4, s11, v[14:15]
	v_mov_b32_e32 v4, v7
	s_cbranch_scc1 .LBB109_82
.LBB109_83:
	s_cbranch_execnz .LBB109_86
.LBB109_84:
	s_load_dwordx4 s[4:7], s[34:35], 0x4
	s_load_dwordx2 s[2:3], s[34:35], 0xc4
	s_cmp_lt_u32 s33, 2
	s_waitcnt lgkmcnt(0)
	v_mul_hi_u32 v4, s5, v1
	v_add_u32_e32 v4, v1, v4
	v_lshrrev_b32_e32 v4, s6, v4
	v_mul_lo_u32 v7, v4, s4
	v_sub_u32_e32 v1, v1, v7
	v_mul_lo_u32 v12, v1, s2
	v_mul_lo_u32 v14, v1, s3
	s_cbranch_scc1 .LBB109_86
; %bb.85:
	s_load_dwordx4 s[4:7], s[34:35], 0x10
	s_load_dwordx2 s[2:3], s[34:35], 0xcc
	s_waitcnt lgkmcnt(0)
	v_mul_hi_u32 v1, s5, v4
	v_add_u32_e32 v1, v4, v1
	v_lshrrev_b32_e32 v1, s6, v1
	v_mul_lo_u32 v1, v1, s4
	v_sub_u32_e32 v1, v4, v1
	v_mad_u64_u32 v[12:13], s[4:5], v1, s2, v[12:13]
	v_mad_u64_u32 v[14:15], s[2:3], v1, s3, v[14:15]
.LBB109_86:
	s_and_b64 vcc, exec, s[0:1]
	v_add_u32_e32 v1, 0x280, v19
	s_cbranch_vccnz .LBB109_92
; %bb.87:
	s_cmp_lg_u32 s33, 0
	s_mov_b32 s26, 0
	s_cbranch_scc0 .LBB109_93
; %bb.88:
	s_min_u32 s27, s56, 15
	s_add_i32 s27, s27, 1
	s_cmp_eq_u32 s56, 2
	s_cbranch_scc1 .LBB109_94
; %bb.89:
	s_and_b32 s26, s27, 28
	s_add_u32 s2, s34, 0xc4
	s_addc_u32 s3, s35, 0
	v_mov_b32_e32 v17, 0
	s_mov_b32 s28, 0
	s_mov_b64 s[24:25], s[34:35]
	v_mov_b32_e32 v15, 0
	v_mov_b32_e32 v4, v1
.LBB109_90:                             ; =>This Inner Loop Header: Depth=1
	s_load_dwordx8 s[12:19], s[24:25], 0x4
	s_load_dwordx4 s[20:23], s[24:25], 0x24
	s_load_dwordx8 s[4:11], s[2:3], 0x0
	s_add_u32 s24, s24, 48
	s_addc_u32 s25, s25, 0
	s_waitcnt lgkmcnt(0)
	v_mul_hi_u32 v7, s13, v4
	s_add_i32 s28, s28, 4
	s_add_u32 s2, s2, 32
	s_addc_u32 s3, s3, 0
	v_add_u32_e32 v7, v4, v7
	v_lshrrev_b32_e32 v7, s14, v7
	v_mul_lo_u32 v10, v7, s12
	v_mul_hi_u32 v13, s16, v7
	s_cmp_lg_u32 s26, s28
	v_sub_u32_e32 v4, v4, v10
	v_add_u32_e32 v10, v7, v13
	v_mul_lo_u32 v13, v4, s4
	v_mul_lo_u32 v16, v4, s5
	v_lshrrev_b32_e32 v4, s17, v10
	v_mul_lo_u32 v10, v4, s15
	v_mul_hi_u32 v18, s19, v4
	v_sub_u32_e32 v7, v7, v10
	v_add_u32_e32 v10, v4, v18
	v_lshrrev_b32_e32 v10, s20, v10
	v_mul_hi_u32 v20, s22, v10
	v_mul_lo_u32 v21, v10, s18
	v_mul_lo_u32 v18, v7, s6
	;; [unrolled: 1-line block ×3, first 2 shown]
	v_sub_u32_e32 v21, v4, v21
	v_add_u32_e32 v4, v10, v20
	v_lshrrev_b32_e32 v4, s23, v4
	v_mul_lo_u32 v20, v4, s21
	v_mul_lo_u32 v22, v21, s8
	;; [unrolled: 1-line block ×3, first 2 shown]
	v_add3_u32 v13, v13, v15, v18
	v_sub_u32_e32 v10, v10, v20
	v_mul_lo_u32 v20, v10, s10
	v_mul_lo_u32 v10, v10, s11
	v_add3_u32 v7, v16, v17, v7
	v_add3_u32 v15, v22, v13, v20
	;; [unrolled: 1-line block ×3, first 2 shown]
	s_cbranch_scc1 .LBB109_90
; %bb.91:
	s_and_b32 s6, s27, 3
	s_cmp_eq_u32 s6, 0
	s_cbranch_scc0 .LBB109_95
	s_branch .LBB109_97
.LBB109_92:
                                        ; implicit-def: $vgpr15
                                        ; implicit-def: $vgpr17
	s_branch .LBB109_98
.LBB109_93:
	v_mov_b32_e32 v15, 0
	v_mov_b32_e32 v17, 0
	s_branch .LBB109_97
.LBB109_94:
	v_mov_b32_e32 v15, 0
	v_mov_b32_e32 v17, 0
	;; [unrolled: 1-line block ×3, first 2 shown]
	s_and_b32 s6, s27, 3
	s_cmp_eq_u32 s6, 0
	s_cbranch_scc1 .LBB109_97
.LBB109_95:
	s_lshl_b32 s2, s26, 3
	s_add_u32 s2, s34, s2
	s_addc_u32 s3, s35, 0
	s_add_u32 s2, s2, 0xc4
	s_addc_u32 s3, s3, 0
	s_mul_i32 s4, s26, 12
	s_add_u32 s4, s34, s4
	s_addc_u32 s5, s35, 0
.LBB109_96:                             ; =>This Inner Loop Header: Depth=1
	s_load_dwordx2 s[8:9], s[4:5], 0x4
	s_load_dword s7, s[4:5], 0xc
	s_load_dwordx2 s[10:11], s[2:3], 0x0
	s_add_u32 s4, s4, 12
	s_addc_u32 s5, s5, 0
	s_waitcnt lgkmcnt(0)
	v_mul_hi_u32 v7, s9, v4
	s_add_u32 s2, s2, 8
	s_addc_u32 s3, s3, 0
	s_add_i32 s6, s6, -1
	v_add_u32_e32 v7, v4, v7
	v_lshrrev_b32_e32 v7, s7, v7
	v_mul_lo_u32 v10, v7, s8
	s_cmp_lg_u32 s6, 0
	v_sub_u32_e32 v4, v4, v10
	v_mad_u64_u32 v[15:16], s[8:9], v4, s10, v[15:16]
	v_mad_u64_u32 v[17:18], s[8:9], v4, s11, v[17:18]
	v_mov_b32_e32 v4, v7
	s_cbranch_scc1 .LBB109_96
.LBB109_97:
	s_cbranch_execnz .LBB109_100
.LBB109_98:
	s_load_dwordx4 s[4:7], s[34:35], 0x4
	s_load_dwordx2 s[2:3], s[34:35], 0xc4
	s_cmp_lt_u32 s33, 2
	s_waitcnt lgkmcnt(0)
	v_mul_hi_u32 v4, s5, v1
	v_add_u32_e32 v4, v1, v4
	v_lshrrev_b32_e32 v4, s6, v4
	v_mul_lo_u32 v7, v4, s4
	v_sub_u32_e32 v1, v1, v7
	v_mul_lo_u32 v15, v1, s2
	v_mul_lo_u32 v17, v1, s3
	s_cbranch_scc1 .LBB109_100
; %bb.99:
	s_load_dwordx4 s[4:7], s[34:35], 0x10
	s_load_dwordx2 s[2:3], s[34:35], 0xcc
	s_waitcnt lgkmcnt(0)
	v_mul_hi_u32 v1, s5, v4
	v_add_u32_e32 v1, v4, v1
	v_lshrrev_b32_e32 v1, s6, v1
	v_mul_lo_u32 v1, v1, s4
	v_sub_u32_e32 v1, v4, v1
	v_mad_u64_u32 v[15:16], s[4:5], v1, s2, v[15:16]
	v_mad_u64_u32 v[17:18], s[2:3], v1, s3, v[17:18]
.LBB109_100:
	s_and_b64 vcc, exec, s[0:1]
	v_add_u32_e32 v1, 0x300, v19
	s_cbranch_vccnz .LBB109_106
; %bb.101:
	s_cmp_lg_u32 s33, 0
	s_mov_b32 s26, 0
	s_cbranch_scc0 .LBB109_107
; %bb.102:
	s_min_u32 s27, s56, 15
	s_add_i32 s27, s27, 1
	s_cmp_eq_u32 s56, 2
	s_cbranch_scc1 .LBB109_108
; %bb.103:
	s_and_b32 s26, s27, 28
	s_add_u32 s2, s34, 0xc4
	s_addc_u32 s3, s35, 0
	v_mov_b32_e32 v20, 0
	s_mov_b32 s28, 0
	s_mov_b64 s[24:25], s[34:35]
	v_mov_b32_e32 v18, 0
	v_mov_b32_e32 v4, v1
.LBB109_104:                            ; =>This Inner Loop Header: Depth=1
	s_load_dwordx8 s[12:19], s[24:25], 0x4
	s_load_dwordx4 s[20:23], s[24:25], 0x24
	s_load_dwordx8 s[4:11], s[2:3], 0x0
	s_add_u32 s24, s24, 48
	s_addc_u32 s25, s25, 0
	s_waitcnt lgkmcnt(0)
	v_mul_hi_u32 v7, s13, v4
	s_add_i32 s28, s28, 4
	s_add_u32 s2, s2, 32
	s_addc_u32 s3, s3, 0
	v_add_u32_e32 v7, v4, v7
	v_lshrrev_b32_e32 v7, s14, v7
	v_mul_lo_u32 v10, v7, s12
	v_mul_hi_u32 v13, s16, v7
	s_cmp_lg_u32 s26, s28
	v_sub_u32_e32 v4, v4, v10
	v_add_u32_e32 v10, v7, v13
	v_mul_lo_u32 v13, v4, s4
	v_mul_lo_u32 v16, v4, s5
	v_lshrrev_b32_e32 v4, s17, v10
	v_mul_lo_u32 v10, v4, s15
	v_mul_hi_u32 v19, s19, v4
	v_sub_u32_e32 v7, v7, v10
	v_add_u32_e32 v10, v4, v19
	v_lshrrev_b32_e32 v10, s20, v10
	v_mul_hi_u32 v21, s22, v10
	v_mul_lo_u32 v22, v10, s18
	v_mul_lo_u32 v19, v7, s6
	v_mul_lo_u32 v7, v7, s7
	v_sub_u32_e32 v22, v4, v22
	v_add_u32_e32 v4, v10, v21
	v_lshrrev_b32_e32 v4, s23, v4
	v_mul_lo_u32 v21, v4, s21
	v_mul_lo_u32 v23, v22, s8
	;; [unrolled: 1-line block ×3, first 2 shown]
	v_add3_u32 v13, v13, v18, v19
	v_sub_u32_e32 v10, v10, v21
	v_mul_lo_u32 v21, v10, s10
	v_mul_lo_u32 v10, v10, s11
	v_add3_u32 v7, v16, v20, v7
	v_add3_u32 v18, v23, v13, v21
	;; [unrolled: 1-line block ×3, first 2 shown]
	s_cbranch_scc1 .LBB109_104
; %bb.105:
	s_and_b32 s6, s27, 3
	s_cmp_eq_u32 s6, 0
	s_cbranch_scc0 .LBB109_109
	s_branch .LBB109_111
.LBB109_106:
                                        ; implicit-def: $vgpr18
                                        ; implicit-def: $vgpr20
	s_branch .LBB109_112
.LBB109_107:
	v_mov_b32_e32 v18, 0
	v_mov_b32_e32 v20, 0
	s_branch .LBB109_111
.LBB109_108:
	v_mov_b32_e32 v18, 0
	v_mov_b32_e32 v20, 0
	v_mov_b32_e32 v4, v1
	s_and_b32 s6, s27, 3
	s_cmp_eq_u32 s6, 0
	s_cbranch_scc1 .LBB109_111
.LBB109_109:
	s_lshl_b32 s2, s26, 3
	s_add_u32 s2, s34, s2
	s_addc_u32 s3, s35, 0
	s_add_u32 s2, s2, 0xc4
	s_addc_u32 s3, s3, 0
	s_mul_i32 s4, s26, 12
	s_add_u32 s4, s34, s4
	s_addc_u32 s5, s35, 0
.LBB109_110:                            ; =>This Inner Loop Header: Depth=1
	s_load_dwordx2 s[8:9], s[4:5], 0x4
	s_load_dword s7, s[4:5], 0xc
	s_load_dwordx2 s[10:11], s[2:3], 0x0
	s_add_u32 s4, s4, 12
	s_addc_u32 s5, s5, 0
	s_waitcnt lgkmcnt(0)
	v_mul_hi_u32 v7, s9, v4
	s_add_u32 s2, s2, 8
	s_addc_u32 s3, s3, 0
	s_add_i32 s6, s6, -1
	v_add_u32_e32 v7, v4, v7
	v_lshrrev_b32_e32 v7, s7, v7
	v_mul_lo_u32 v10, v7, s8
	s_cmp_lg_u32 s6, 0
	v_sub_u32_e32 v4, v4, v10
	v_mad_u64_u32 v[18:19], s[8:9], v4, s10, v[18:19]
	v_mad_u64_u32 v[20:21], s[8:9], v4, s11, v[20:21]
	v_mov_b32_e32 v4, v7
	s_cbranch_scc1 .LBB109_110
.LBB109_111:
	s_cbranch_execnz .LBB109_114
.LBB109_112:
	s_load_dwordx4 s[4:7], s[34:35], 0x4
	s_load_dwordx2 s[2:3], s[34:35], 0xc4
	s_cmp_lt_u32 s33, 2
	s_waitcnt lgkmcnt(0)
	v_mul_hi_u32 v4, s5, v1
	v_add_u32_e32 v4, v1, v4
	v_lshrrev_b32_e32 v4, s6, v4
	v_mul_lo_u32 v7, v4, s4
	v_sub_u32_e32 v1, v1, v7
	v_mul_lo_u32 v18, v1, s2
	v_mul_lo_u32 v20, v1, s3
	s_cbranch_scc1 .LBB109_114
; %bb.113:
	s_load_dwordx4 s[4:7], s[34:35], 0x10
	s_load_dwordx2 s[2:3], s[34:35], 0xcc
	s_waitcnt lgkmcnt(0)
	v_mul_hi_u32 v1, s5, v4
	v_add_u32_e32 v1, v4, v1
	v_lshrrev_b32_e32 v1, s6, v1
	v_mul_lo_u32 v1, v1, s4
	v_sub_u32_e32 v1, v4, v1
	v_mad_u64_u32 v[18:19], s[4:5], v1, s2, v[18:19]
	v_mad_u64_u32 v[20:21], s[2:3], v1, s3, v[20:21]
.LBB109_114:
	s_and_b64 vcc, exec, s[0:1]
	s_cbranch_vccnz .LBB109_120
; %bb.115:
	s_cmp_lg_u32 s33, 0
	s_mov_b32 s24, 0
	s_cbranch_scc0 .LBB109_121
; %bb.116:
	s_min_u32 s25, s56, 15
	s_add_i32 s25, s25, 1
	s_cmp_eq_u32 s56, 2
	s_cbranch_scc1 .LBB109_122
; %bb.117:
	s_and_b32 s24, s25, 28
	s_add_u32 s20, s34, 0xc4
	s_addc_u32 s21, s35, 0
	v_mov_b32_e32 v23, 0
	s_mov_b32 s26, 0
	s_mov_b64 s[22:23], s[34:35]
	v_mov_b32_e32 v21, 0
	v_mov_b32_e32 v1, v25
.LBB109_118:                            ; =>This Inner Loop Header: Depth=1
	s_load_dwordx8 s[8:15], s[22:23], 0x4
	s_load_dwordx4 s[16:19], s[22:23], 0x24
	s_load_dwordx8 s[0:7], s[20:21], 0x0
	s_add_u32 s22, s22, 48
	s_addc_u32 s23, s23, 0
	s_waitcnt lgkmcnt(0)
	v_mul_hi_u32 v4, s9, v1
	s_add_i32 s26, s26, 4
	s_add_u32 s20, s20, 32
	s_addc_u32 s21, s21, 0
	v_add_u32_e32 v4, v1, v4
	v_lshrrev_b32_e32 v4, s10, v4
	v_mul_lo_u32 v7, v4, s8
	v_mul_hi_u32 v10, s12, v4
	s_cmp_lg_u32 s24, s26
	v_sub_u32_e32 v1, v1, v7
	v_add_u32_e32 v7, v4, v10
	v_mul_lo_u32 v10, v1, s0
	v_mul_lo_u32 v13, v1, s1
	v_lshrrev_b32_e32 v1, s13, v7
	v_mul_lo_u32 v7, v1, s11
	v_mul_hi_u32 v16, s15, v1
	v_sub_u32_e32 v4, v4, v7
	v_add_u32_e32 v7, v1, v16
	v_lshrrev_b32_e32 v7, s16, v7
	v_mul_hi_u32 v19, s18, v7
	v_mul_lo_u32 v22, v7, s14
	v_mul_lo_u32 v16, v4, s2
	;; [unrolled: 1-line block ×3, first 2 shown]
	v_sub_u32_e32 v22, v1, v22
	v_add_u32_e32 v1, v7, v19
	v_lshrrev_b32_e32 v1, s19, v1
	v_mul_lo_u32 v19, v1, s17
	v_mul_lo_u32 v24, v22, s4
	;; [unrolled: 1-line block ×3, first 2 shown]
	v_add3_u32 v10, v10, v21, v16
	v_sub_u32_e32 v7, v7, v19
	v_mul_lo_u32 v19, v7, s6
	v_mul_lo_u32 v7, v7, s7
	v_add3_u32 v4, v13, v23, v4
	v_add3_u32 v21, v24, v10, v19
	v_add3_u32 v23, v22, v4, v7
	s_cbranch_scc1 .LBB109_118
; %bb.119:
	s_and_b32 s4, s25, 3
	s_cmp_eq_u32 s4, 0
	s_cbranch_scc0 .LBB109_123
	s_branch .LBB109_125
.LBB109_120:
                                        ; implicit-def: $vgpr21
                                        ; implicit-def: $vgpr23
	s_branch .LBB109_126
.LBB109_121:
	v_mov_b32_e32 v21, 0
	v_mov_b32_e32 v23, 0
	s_branch .LBB109_125
.LBB109_122:
	v_mov_b32_e32 v21, 0
	v_mov_b32_e32 v23, 0
	;; [unrolled: 1-line block ×3, first 2 shown]
	s_and_b32 s4, s25, 3
	s_cmp_eq_u32 s4, 0
	s_cbranch_scc1 .LBB109_125
.LBB109_123:
	s_lshl_b32 s0, s24, 3
	s_add_u32 s0, s34, s0
	s_addc_u32 s1, s35, 0
	s_add_u32 s0, s0, 0xc4
	s_addc_u32 s1, s1, 0
	s_mul_i32 s2, s24, 12
	s_add_u32 s2, s34, s2
	s_addc_u32 s3, s35, 0
.LBB109_124:                            ; =>This Inner Loop Header: Depth=1
	s_load_dwordx2 s[6:7], s[2:3], 0x4
	s_load_dword s5, s[2:3], 0xc
	s_load_dwordx2 s[8:9], s[0:1], 0x0
	s_add_u32 s2, s2, 12
	s_addc_u32 s3, s3, 0
	s_waitcnt lgkmcnt(0)
	v_mul_hi_u32 v4, s7, v1
	s_add_u32 s0, s0, 8
	s_addc_u32 s1, s1, 0
	s_add_i32 s4, s4, -1
	v_add_u32_e32 v4, v1, v4
	v_lshrrev_b32_e32 v4, s5, v4
	v_mul_lo_u32 v7, v4, s6
	s_cmp_lg_u32 s4, 0
	v_sub_u32_e32 v1, v1, v7
	v_mad_u64_u32 v[21:22], s[6:7], v1, s8, v[21:22]
	v_mad_u64_u32 v[23:24], s[6:7], v1, s9, v[23:24]
	v_mov_b32_e32 v1, v4
	s_cbranch_scc1 .LBB109_124
.LBB109_125:
	s_cbranch_execnz .LBB109_128
.LBB109_126:
	s_load_dwordx4 s[0:3], s[34:35], 0x4
	s_load_dwordx2 s[4:5], s[34:35], 0xc4
	s_cmp_lt_u32 s33, 2
	s_waitcnt lgkmcnt(0)
	v_mul_hi_u32 v1, s1, v25
	v_add_u32_e32 v1, v25, v1
	v_lshrrev_b32_e32 v1, s2, v1
	v_mul_lo_u32 v4, v1, s0
	v_sub_u32_e32 v4, v25, v4
	v_mul_lo_u32 v21, v4, s4
	v_mul_lo_u32 v23, v4, s5
	s_cbranch_scc1 .LBB109_128
; %bb.127:
	s_load_dwordx4 s[0:3], s[34:35], 0x10
	s_load_dwordx2 s[4:5], s[34:35], 0xcc
	s_waitcnt lgkmcnt(0)
	v_mul_hi_u32 v4, s1, v1
	v_add_u32_e32 v4, v1, v4
	v_lshrrev_b32_e32 v4, s2, v4
	v_mul_lo_u32 v4, v4, s0
	v_sub_u32_e32 v1, v1, v4
	v_mad_u64_u32 v[21:22], s[0:1], v1, s4, v[21:22]
	v_mad_u64_u32 v[23:24], s[0:1], v1, s5, v[23:24]
.LBB109_128:
	s_load_dwordx4 s[4:7], s[34:35], 0x148
	s_load_dwordx2 s[8:9], s[34:35], 0x158
	s_waitcnt lgkmcnt(0)
	global_load_ushort v1, v20, s[6:7]
	global_load_ushort v4, v17, s[6:7]
	;; [unrolled: 1-line block ×8, first 2 shown]
	s_lshr_b32 s0, s8, 16
	v_mov_b32_e32 v2, s9
	v_mov_b32_e32 v5, s0
	s_waitcnt vmcnt(7)
	v_cmp_lt_i16_e32 vcc, s8, v1
	s_waitcnt vmcnt(5)
	v_cmp_lt_i16_e64 s[0:1], s8, v7
	s_waitcnt vmcnt(4)
	v_cmp_lt_i16_e64 s[2:3], s8, v10
	v_cndmask_b32_e64 v1, v5, v2, s[2:3]
	s_waitcnt vmcnt(3)
	v_cmp_lt_i16_e64 s[2:3], s8, v13
	v_cndmask_b32_e64 v7, v5, v2, s[2:3]
	;; [unrolled: 3-line block ×5, first 2 shown]
	v_cmp_lt_i16_e64 s[2:3], s8, v4
	v_cndmask_b32_e64 v4, v5, v2, s[2:3]
	v_cndmask_b32_e32 v13, v5, v2, vcc
	v_cndmask_b32_e64 v2, v5, v2, s[0:1]
	global_store_short v0, v1, s[4:5]
	global_store_short v3, v7, s[4:5]
	;; [unrolled: 1-line block ×8, first 2 shown]
	s_endpgm
.LBB109_129:
	v_mov_b32_e32 v0, 0
	v_mov_b32_e32 v2, 0
	s_branch .LBB109_135
.LBB109_130:
	v_mov_b32_e32 v0, 0
	v_mov_b32_e32 v2, 0
	s_branch .LBB109_151
.LBB109_131:
	s_mov_b32 s60, 0
	v_mov_b32_e32 v0, 0
	v_mov_b32_e32 v2, 0
	;; [unrolled: 1-line block ×3, first 2 shown]
.LBB109_132:
	s_and_b32 s4, s61, 3
	s_cmp_eq_u32 s4, 0
	s_cbranch_scc1 .LBB109_135
; %bb.133:
	s_lshl_b32 s0, s60, 3
	s_add_u32 s0, s34, s0
	s_addc_u32 s1, s35, 0
	s_add_u32 s0, s0, 0xc4
	s_addc_u32 s1, s1, 0
	s_mul_i32 s2, s60, 12
	s_add_u32 s2, s34, s2
	s_addc_u32 s3, s35, 0
.LBB109_134:                            ; =>This Inner Loop Header: Depth=1
	s_load_dwordx2 s[6:7], s[2:3], 0x4
	s_load_dword s5, s[2:3], 0xc
	s_load_dwordx2 s[8:9], s[0:1], 0x0
	s_add_u32 s2, s2, 12
	s_addc_u32 s3, s3, 0
	s_waitcnt lgkmcnt(0)
	v_mul_hi_u32 v3, s7, v1
	s_add_u32 s0, s0, 8
	s_addc_u32 s1, s1, 0
	s_add_i32 s4, s4, -1
	v_add_u32_e32 v3, v1, v3
	v_lshrrev_b32_e32 v4, s5, v3
	v_mul_lo_u32 v3, v4, s6
	s_cmp_lg_u32 s4, 0
	v_sub_u32_e32 v3, v1, v3
	v_mad_u64_u32 v[0:1], s[6:7], v3, s8, v[0:1]
	v_mad_u64_u32 v[2:3], s[6:7], v3, s9, v[2:3]
	v_mov_b32_e32 v1, v4
	s_cbranch_scc1 .LBB109_134
.LBB109_135:
	s_cbranch_execnz .LBB109_138
.LBB109_136:
	v_mul_hi_u32 v0, s21, v19
	s_andn2_b64 vcc, exec, s[44:45]
	v_add_u32_e32 v0, v19, v0
	v_lshrrev_b32_e32 v1, s22, v0
	v_mul_lo_u32 v0, v1, s20
	v_sub_u32_e32 v2, v19, v0
	v_mul_lo_u32 v0, v2, s24
	v_mul_lo_u32 v2, v2, s25
	s_cbranch_vccnz .LBB109_138
; %bb.137:
	v_mul_hi_u32 v3, s42, v1
	v_add_u32_e32 v3, v1, v3
	v_lshrrev_b32_e32 v3, s43, v3
	v_mul_lo_u32 v3, v3, s23
	v_sub_u32_e32 v3, v1, v3
	v_mad_u64_u32 v[0:1], s[0:1], v3, s26, v[0:1]
	v_mad_u64_u32 v[2:3], s[0:1], v3, s27, v[2:3]
.LBB109_138:
	global_load_ushort v1, v2, s[18:19]
	v_mov_b32_e32 v2, s57
	v_mov_b32_e32 v3, s41
	v_add_u32_e32 v19, 0x80, v19
	s_waitcnt vmcnt(0)
	v_cmp_lt_i16_e32 vcc, s40, v1
	v_cndmask_b32_e32 v1, v2, v3, vcc
	global_store_short v0, v1, s[16:17]
	s_or_b64 exec, exec, s[50:51]
	v_cmp_gt_i32_e32 vcc, s58, v19
	s_and_saveexec_b64 s[50:51], vcc
	s_cbranch_execnz .LBB109_15
.LBB109_139:
	s_or_b64 exec, exec, s[50:51]
	v_cmp_gt_i32_e32 vcc, s58, v19
	s_and_saveexec_b64 s[50:51], vcc
	s_cbranch_execz .LBB109_155
.LBB109_140:
	s_andn2_b64 vcc, exec, s[36:37]
	s_cbranch_vccnz .LBB109_145
; %bb.141:
	s_andn2_b64 vcc, exec, s[48:49]
	s_cbranch_vccnz .LBB109_146
; %bb.142:
	s_add_i32 s61, s59, 1
	s_cmp_eq_u32 s56, 2
	s_cbranch_scc1 .LBB109_163
; %bb.143:
	s_and_b32 s60, s61, 28
	v_mov_b32_e32 v2, 0
	s_mov_b32 s62, 0
	s_mov_b64 s[52:53], s[34:35]
	s_mov_b64 s[54:55], s[46:47]
	v_mov_b32_e32 v0, 0
	v_mov_b32_e32 v1, v19
.LBB109_144:                            ; =>This Inner Loop Header: Depth=1
	s_load_dwordx8 s[8:15], s[52:53], 0x4
	s_load_dwordx4 s[28:31], s[52:53], 0x24
	s_load_dwordx8 s[0:7], s[54:55], 0x0
	s_add_u32 s52, s52, 48
	s_addc_u32 s53, s53, 0
	s_waitcnt lgkmcnt(0)
	v_mul_hi_u32 v3, s9, v1
	s_add_i32 s62, s62, 4
	s_add_u32 s54, s54, 32
	s_addc_u32 s55, s55, 0
	v_add_u32_e32 v3, v1, v3
	v_lshrrev_b32_e32 v3, s10, v3
	v_mul_lo_u32 v4, v3, s8
	v_mul_hi_u32 v5, s12, v3
	s_cmp_eq_u32 s60, s62
	v_sub_u32_e32 v1, v1, v4
	v_add_u32_e32 v4, v3, v5
	v_mul_lo_u32 v5, v1, s0
	v_mul_lo_u32 v6, v1, s1
	v_lshrrev_b32_e32 v1, s13, v4
	v_mul_lo_u32 v4, v1, s11
	v_mul_hi_u32 v7, s15, v1
	v_sub_u32_e32 v3, v3, v4
	v_add_u32_e32 v4, v1, v7
	v_lshrrev_b32_e32 v4, s28, v4
	v_mul_hi_u32 v8, s30, v4
	v_mul_lo_u32 v9, v4, s14
	v_mul_lo_u32 v7, v3, s2
	v_mul_lo_u32 v3, v3, s3
	v_sub_u32_e32 v9, v1, v9
	v_add_u32_e32 v1, v4, v8
	v_lshrrev_b32_e32 v1, s31, v1
	v_mul_lo_u32 v8, v1, s29
	v_mul_lo_u32 v10, v9, s4
	;; [unrolled: 1-line block ×3, first 2 shown]
	v_add3_u32 v0, v5, v0, v7
	v_sub_u32_e32 v4, v4, v8
	v_mul_lo_u32 v8, v4, s6
	v_mul_lo_u32 v4, v4, s7
	v_add3_u32 v2, v6, v2, v3
	v_add3_u32 v0, v10, v0, v8
	;; [unrolled: 1-line block ×3, first 2 shown]
	s_cbranch_scc0 .LBB109_144
	s_branch .LBB109_164
.LBB109_145:
                                        ; implicit-def: $vgpr0
                                        ; implicit-def: $vgpr2
	s_branch .LBB109_168
.LBB109_146:
	v_mov_b32_e32 v0, 0
	v_mov_b32_e32 v2, 0
	s_branch .LBB109_167
.LBB109_147:
	s_mov_b32 s60, 0
	v_mov_b32_e32 v0, 0
	v_mov_b32_e32 v2, 0
	;; [unrolled: 1-line block ×3, first 2 shown]
.LBB109_148:
	s_and_b32 s4, s61, 3
	s_cmp_eq_u32 s4, 0
	s_cbranch_scc1 .LBB109_151
; %bb.149:
	s_lshl_b32 s0, s60, 3
	s_add_u32 s0, s34, s0
	s_addc_u32 s1, s35, 0
	s_add_u32 s0, s0, 0xc4
	s_addc_u32 s1, s1, 0
	s_mul_i32 s2, s60, 12
	s_add_u32 s2, s34, s2
	s_addc_u32 s3, s35, 0
.LBB109_150:                            ; =>This Inner Loop Header: Depth=1
	s_load_dwordx2 s[6:7], s[2:3], 0x4
	s_load_dword s5, s[2:3], 0xc
	s_load_dwordx2 s[8:9], s[0:1], 0x0
	s_add_u32 s2, s2, 12
	s_addc_u32 s3, s3, 0
	s_waitcnt lgkmcnt(0)
	v_mul_hi_u32 v3, s7, v1
	s_add_u32 s0, s0, 8
	s_addc_u32 s1, s1, 0
	s_add_i32 s4, s4, -1
	v_add_u32_e32 v3, v1, v3
	v_lshrrev_b32_e32 v4, s5, v3
	v_mul_lo_u32 v3, v4, s6
	s_cmp_lg_u32 s4, 0
	v_sub_u32_e32 v3, v1, v3
	v_mad_u64_u32 v[0:1], s[6:7], v3, s8, v[0:1]
	v_mad_u64_u32 v[2:3], s[6:7], v3, s9, v[2:3]
	v_mov_b32_e32 v1, v4
	s_cbranch_scc1 .LBB109_150
.LBB109_151:
	s_cbranch_execnz .LBB109_154
.LBB109_152:
	v_mul_hi_u32 v0, s21, v19
	s_andn2_b64 vcc, exec, s[44:45]
	v_add_u32_e32 v0, v19, v0
	v_lshrrev_b32_e32 v1, s22, v0
	v_mul_lo_u32 v0, v1, s20
	v_sub_u32_e32 v2, v19, v0
	v_mul_lo_u32 v0, v2, s24
	v_mul_lo_u32 v2, v2, s25
	s_cbranch_vccnz .LBB109_154
; %bb.153:
	v_mul_hi_u32 v3, s42, v1
	v_add_u32_e32 v3, v1, v3
	v_lshrrev_b32_e32 v3, s43, v3
	v_mul_lo_u32 v3, v3, s23
	v_sub_u32_e32 v3, v1, v3
	v_mad_u64_u32 v[0:1], s[0:1], v3, s26, v[0:1]
	v_mad_u64_u32 v[2:3], s[0:1], v3, s27, v[2:3]
.LBB109_154:
	global_load_ushort v1, v2, s[18:19]
	v_mov_b32_e32 v2, s57
	v_mov_b32_e32 v3, s41
	v_add_u32_e32 v19, 0x80, v19
	s_waitcnt vmcnt(0)
	v_cmp_lt_i16_e32 vcc, s40, v1
	v_cndmask_b32_e32 v1, v2, v3, vcc
	global_store_short v0, v1, s[16:17]
	s_or_b64 exec, exec, s[50:51]
	v_cmp_gt_i32_e32 vcc, s58, v19
	s_and_saveexec_b64 s[50:51], vcc
	s_cbranch_execnz .LBB109_140
.LBB109_155:
	s_or_b64 exec, exec, s[50:51]
	v_cmp_gt_i32_e32 vcc, s58, v19
	s_and_saveexec_b64 s[50:51], vcc
	s_cbranch_execz .LBB109_171
.LBB109_156:
	s_andn2_b64 vcc, exec, s[36:37]
	s_cbranch_vccnz .LBB109_161
; %bb.157:
	s_andn2_b64 vcc, exec, s[48:49]
	s_cbranch_vccnz .LBB109_162
; %bb.158:
	s_add_i32 s61, s59, 1
	s_cmp_eq_u32 s56, 2
	s_cbranch_scc1 .LBB109_179
; %bb.159:
	s_and_b32 s60, s61, 28
	v_mov_b32_e32 v2, 0
	s_mov_b32 s62, 0
	s_mov_b64 s[52:53], s[34:35]
	s_mov_b64 s[54:55], s[46:47]
	v_mov_b32_e32 v0, 0
	v_mov_b32_e32 v1, v19
.LBB109_160:                            ; =>This Inner Loop Header: Depth=1
	s_load_dwordx8 s[8:15], s[52:53], 0x4
	s_load_dwordx4 s[28:31], s[52:53], 0x24
	s_load_dwordx8 s[0:7], s[54:55], 0x0
	s_add_u32 s52, s52, 48
	s_addc_u32 s53, s53, 0
	s_waitcnt lgkmcnt(0)
	v_mul_hi_u32 v3, s9, v1
	s_add_i32 s62, s62, 4
	s_add_u32 s54, s54, 32
	s_addc_u32 s55, s55, 0
	v_add_u32_e32 v3, v1, v3
	v_lshrrev_b32_e32 v3, s10, v3
	v_mul_lo_u32 v4, v3, s8
	v_mul_hi_u32 v5, s12, v3
	s_cmp_eq_u32 s60, s62
	v_sub_u32_e32 v1, v1, v4
	v_add_u32_e32 v4, v3, v5
	v_mul_lo_u32 v5, v1, s0
	v_mul_lo_u32 v6, v1, s1
	v_lshrrev_b32_e32 v1, s13, v4
	v_mul_lo_u32 v4, v1, s11
	v_mul_hi_u32 v7, s15, v1
	v_sub_u32_e32 v3, v3, v4
	v_add_u32_e32 v4, v1, v7
	v_lshrrev_b32_e32 v4, s28, v4
	v_mul_hi_u32 v8, s30, v4
	v_mul_lo_u32 v9, v4, s14
	v_mul_lo_u32 v7, v3, s2
	;; [unrolled: 1-line block ×3, first 2 shown]
	v_sub_u32_e32 v9, v1, v9
	v_add_u32_e32 v1, v4, v8
	v_lshrrev_b32_e32 v1, s31, v1
	v_mul_lo_u32 v8, v1, s29
	v_mul_lo_u32 v10, v9, s4
	;; [unrolled: 1-line block ×3, first 2 shown]
	v_add3_u32 v0, v5, v0, v7
	v_sub_u32_e32 v4, v4, v8
	v_mul_lo_u32 v8, v4, s6
	v_mul_lo_u32 v4, v4, s7
	v_add3_u32 v2, v6, v2, v3
	v_add3_u32 v0, v10, v0, v8
	;; [unrolled: 1-line block ×3, first 2 shown]
	s_cbranch_scc0 .LBB109_160
	s_branch .LBB109_180
.LBB109_161:
                                        ; implicit-def: $vgpr0
                                        ; implicit-def: $vgpr2
	s_branch .LBB109_184
.LBB109_162:
	v_mov_b32_e32 v0, 0
	v_mov_b32_e32 v2, 0
	s_branch .LBB109_183
.LBB109_163:
	s_mov_b32 s60, 0
	v_mov_b32_e32 v0, 0
	v_mov_b32_e32 v2, 0
	;; [unrolled: 1-line block ×3, first 2 shown]
.LBB109_164:
	s_and_b32 s4, s61, 3
	s_cmp_eq_u32 s4, 0
	s_cbranch_scc1 .LBB109_167
; %bb.165:
	s_lshl_b32 s0, s60, 3
	s_add_u32 s0, s34, s0
	s_addc_u32 s1, s35, 0
	s_add_u32 s0, s0, 0xc4
	s_addc_u32 s1, s1, 0
	s_mul_i32 s2, s60, 12
	s_add_u32 s2, s34, s2
	s_addc_u32 s3, s35, 0
.LBB109_166:                            ; =>This Inner Loop Header: Depth=1
	s_load_dwordx2 s[6:7], s[2:3], 0x4
	s_load_dword s5, s[2:3], 0xc
	s_load_dwordx2 s[8:9], s[0:1], 0x0
	s_add_u32 s2, s2, 12
	s_addc_u32 s3, s3, 0
	s_waitcnt lgkmcnt(0)
	v_mul_hi_u32 v3, s7, v1
	s_add_u32 s0, s0, 8
	s_addc_u32 s1, s1, 0
	s_add_i32 s4, s4, -1
	v_add_u32_e32 v3, v1, v3
	v_lshrrev_b32_e32 v4, s5, v3
	v_mul_lo_u32 v3, v4, s6
	s_cmp_lg_u32 s4, 0
	v_sub_u32_e32 v3, v1, v3
	v_mad_u64_u32 v[0:1], s[6:7], v3, s8, v[0:1]
	v_mad_u64_u32 v[2:3], s[6:7], v3, s9, v[2:3]
	v_mov_b32_e32 v1, v4
	s_cbranch_scc1 .LBB109_166
.LBB109_167:
	s_cbranch_execnz .LBB109_170
.LBB109_168:
	v_mul_hi_u32 v0, s21, v19
	s_andn2_b64 vcc, exec, s[44:45]
	v_add_u32_e32 v0, v19, v0
	v_lshrrev_b32_e32 v1, s22, v0
	v_mul_lo_u32 v0, v1, s20
	v_sub_u32_e32 v2, v19, v0
	v_mul_lo_u32 v0, v2, s24
	v_mul_lo_u32 v2, v2, s25
	s_cbranch_vccnz .LBB109_170
; %bb.169:
	v_mul_hi_u32 v3, s42, v1
	v_add_u32_e32 v3, v1, v3
	v_lshrrev_b32_e32 v3, s43, v3
	v_mul_lo_u32 v3, v3, s23
	v_sub_u32_e32 v3, v1, v3
	v_mad_u64_u32 v[0:1], s[0:1], v3, s26, v[0:1]
	v_mad_u64_u32 v[2:3], s[0:1], v3, s27, v[2:3]
.LBB109_170:
	global_load_ushort v1, v2, s[18:19]
	v_mov_b32_e32 v2, s57
	v_mov_b32_e32 v3, s41
	v_add_u32_e32 v19, 0x80, v19
	s_waitcnt vmcnt(0)
	v_cmp_lt_i16_e32 vcc, s40, v1
	v_cndmask_b32_e32 v1, v2, v3, vcc
	global_store_short v0, v1, s[16:17]
	s_or_b64 exec, exec, s[50:51]
	v_cmp_gt_i32_e32 vcc, s58, v19
	s_and_saveexec_b64 s[50:51], vcc
	s_cbranch_execnz .LBB109_156
.LBB109_171:
	s_or_b64 exec, exec, s[50:51]
	v_cmp_gt_i32_e32 vcc, s58, v19
	s_and_saveexec_b64 s[50:51], vcc
	s_cbranch_execz .LBB109_187
.LBB109_172:
	s_andn2_b64 vcc, exec, s[36:37]
	s_cbranch_vccnz .LBB109_177
; %bb.173:
	s_andn2_b64 vcc, exec, s[48:49]
	s_cbranch_vccnz .LBB109_178
; %bb.174:
	s_add_i32 s61, s59, 1
	s_cmp_eq_u32 s56, 2
	s_cbranch_scc1 .LBB109_195
; %bb.175:
	s_and_b32 s60, s61, 28
	v_mov_b32_e32 v2, 0
	s_mov_b32 s62, 0
	s_mov_b64 s[52:53], s[34:35]
	s_mov_b64 s[54:55], s[46:47]
	v_mov_b32_e32 v0, 0
	v_mov_b32_e32 v1, v19
.LBB109_176:                            ; =>This Inner Loop Header: Depth=1
	s_load_dwordx8 s[8:15], s[52:53], 0x4
	s_load_dwordx4 s[28:31], s[52:53], 0x24
	s_load_dwordx8 s[0:7], s[54:55], 0x0
	s_add_u32 s52, s52, 48
	s_addc_u32 s53, s53, 0
	s_waitcnt lgkmcnt(0)
	v_mul_hi_u32 v3, s9, v1
	s_add_i32 s62, s62, 4
	s_add_u32 s54, s54, 32
	s_addc_u32 s55, s55, 0
	v_add_u32_e32 v3, v1, v3
	v_lshrrev_b32_e32 v3, s10, v3
	v_mul_lo_u32 v4, v3, s8
	v_mul_hi_u32 v5, s12, v3
	s_cmp_eq_u32 s60, s62
	v_sub_u32_e32 v1, v1, v4
	v_add_u32_e32 v4, v3, v5
	v_mul_lo_u32 v5, v1, s0
	v_mul_lo_u32 v6, v1, s1
	v_lshrrev_b32_e32 v1, s13, v4
	v_mul_lo_u32 v4, v1, s11
	v_mul_hi_u32 v7, s15, v1
	v_sub_u32_e32 v3, v3, v4
	v_add_u32_e32 v4, v1, v7
	v_lshrrev_b32_e32 v4, s28, v4
	v_mul_hi_u32 v8, s30, v4
	v_mul_lo_u32 v9, v4, s14
	v_mul_lo_u32 v7, v3, s2
	;; [unrolled: 1-line block ×3, first 2 shown]
	v_sub_u32_e32 v9, v1, v9
	v_add_u32_e32 v1, v4, v8
	v_lshrrev_b32_e32 v1, s31, v1
	v_mul_lo_u32 v8, v1, s29
	v_mul_lo_u32 v10, v9, s4
	;; [unrolled: 1-line block ×3, first 2 shown]
	v_add3_u32 v0, v5, v0, v7
	v_sub_u32_e32 v4, v4, v8
	v_mul_lo_u32 v8, v4, s6
	v_mul_lo_u32 v4, v4, s7
	v_add3_u32 v2, v6, v2, v3
	v_add3_u32 v0, v10, v0, v8
	;; [unrolled: 1-line block ×3, first 2 shown]
	s_cbranch_scc0 .LBB109_176
	s_branch .LBB109_196
.LBB109_177:
                                        ; implicit-def: $vgpr0
                                        ; implicit-def: $vgpr2
	s_branch .LBB109_200
.LBB109_178:
	v_mov_b32_e32 v0, 0
	v_mov_b32_e32 v2, 0
	s_branch .LBB109_199
.LBB109_179:
	s_mov_b32 s60, 0
	v_mov_b32_e32 v0, 0
	v_mov_b32_e32 v2, 0
	;; [unrolled: 1-line block ×3, first 2 shown]
.LBB109_180:
	s_and_b32 s4, s61, 3
	s_cmp_eq_u32 s4, 0
	s_cbranch_scc1 .LBB109_183
; %bb.181:
	s_lshl_b32 s0, s60, 3
	s_add_u32 s0, s34, s0
	s_addc_u32 s1, s35, 0
	s_add_u32 s0, s0, 0xc4
	s_addc_u32 s1, s1, 0
	s_mul_i32 s2, s60, 12
	s_add_u32 s2, s34, s2
	s_addc_u32 s3, s35, 0
.LBB109_182:                            ; =>This Inner Loop Header: Depth=1
	s_load_dwordx2 s[6:7], s[2:3], 0x4
	s_load_dword s5, s[2:3], 0xc
	s_load_dwordx2 s[8:9], s[0:1], 0x0
	s_add_u32 s2, s2, 12
	s_addc_u32 s3, s3, 0
	s_waitcnt lgkmcnt(0)
	v_mul_hi_u32 v3, s7, v1
	s_add_u32 s0, s0, 8
	s_addc_u32 s1, s1, 0
	s_add_i32 s4, s4, -1
	v_add_u32_e32 v3, v1, v3
	v_lshrrev_b32_e32 v4, s5, v3
	v_mul_lo_u32 v3, v4, s6
	s_cmp_lg_u32 s4, 0
	v_sub_u32_e32 v3, v1, v3
	v_mad_u64_u32 v[0:1], s[6:7], v3, s8, v[0:1]
	v_mad_u64_u32 v[2:3], s[6:7], v3, s9, v[2:3]
	v_mov_b32_e32 v1, v4
	s_cbranch_scc1 .LBB109_182
.LBB109_183:
	s_cbranch_execnz .LBB109_186
.LBB109_184:
	v_mul_hi_u32 v0, s21, v19
	s_andn2_b64 vcc, exec, s[44:45]
	v_add_u32_e32 v0, v19, v0
	v_lshrrev_b32_e32 v1, s22, v0
	v_mul_lo_u32 v0, v1, s20
	v_sub_u32_e32 v2, v19, v0
	v_mul_lo_u32 v0, v2, s24
	v_mul_lo_u32 v2, v2, s25
	s_cbranch_vccnz .LBB109_186
; %bb.185:
	v_mul_hi_u32 v3, s42, v1
	v_add_u32_e32 v3, v1, v3
	v_lshrrev_b32_e32 v3, s43, v3
	v_mul_lo_u32 v3, v3, s23
	v_sub_u32_e32 v3, v1, v3
	v_mad_u64_u32 v[0:1], s[0:1], v3, s26, v[0:1]
	v_mad_u64_u32 v[2:3], s[0:1], v3, s27, v[2:3]
.LBB109_186:
	global_load_ushort v1, v2, s[18:19]
	v_mov_b32_e32 v2, s57
	v_mov_b32_e32 v3, s41
	v_add_u32_e32 v19, 0x80, v19
	s_waitcnt vmcnt(0)
	v_cmp_lt_i16_e32 vcc, s40, v1
	v_cndmask_b32_e32 v1, v2, v3, vcc
	global_store_short v0, v1, s[16:17]
	s_or_b64 exec, exec, s[50:51]
	v_cmp_gt_i32_e32 vcc, s58, v19
	s_and_saveexec_b64 s[50:51], vcc
	s_cbranch_execnz .LBB109_172
.LBB109_187:
	s_or_b64 exec, exec, s[50:51]
	v_cmp_gt_i32_e32 vcc, s58, v19
	s_and_saveexec_b64 s[50:51], vcc
	s_cbranch_execz .LBB109_203
.LBB109_188:
	s_andn2_b64 vcc, exec, s[36:37]
	s_cbranch_vccnz .LBB109_193
; %bb.189:
	s_andn2_b64 vcc, exec, s[48:49]
	s_cbranch_vccnz .LBB109_194
; %bb.190:
	s_add_i32 s61, s59, 1
	s_cmp_eq_u32 s56, 2
	s_cbranch_scc1 .LBB109_211
; %bb.191:
	s_and_b32 s60, s61, 28
	v_mov_b32_e32 v2, 0
	s_mov_b32 s62, 0
	s_mov_b64 s[52:53], s[34:35]
	s_mov_b64 s[54:55], s[46:47]
	v_mov_b32_e32 v0, 0
	v_mov_b32_e32 v1, v19
.LBB109_192:                            ; =>This Inner Loop Header: Depth=1
	s_load_dwordx8 s[8:15], s[52:53], 0x4
	s_load_dwordx4 s[28:31], s[52:53], 0x24
	s_load_dwordx8 s[0:7], s[54:55], 0x0
	s_add_u32 s52, s52, 48
	s_addc_u32 s53, s53, 0
	s_waitcnt lgkmcnt(0)
	v_mul_hi_u32 v3, s9, v1
	s_add_i32 s62, s62, 4
	s_add_u32 s54, s54, 32
	s_addc_u32 s55, s55, 0
	v_add_u32_e32 v3, v1, v3
	v_lshrrev_b32_e32 v3, s10, v3
	v_mul_lo_u32 v4, v3, s8
	v_mul_hi_u32 v5, s12, v3
	s_cmp_eq_u32 s60, s62
	v_sub_u32_e32 v1, v1, v4
	v_add_u32_e32 v4, v3, v5
	v_mul_lo_u32 v5, v1, s0
	v_mul_lo_u32 v6, v1, s1
	v_lshrrev_b32_e32 v1, s13, v4
	v_mul_lo_u32 v4, v1, s11
	v_mul_hi_u32 v7, s15, v1
	v_sub_u32_e32 v3, v3, v4
	v_add_u32_e32 v4, v1, v7
	v_lshrrev_b32_e32 v4, s28, v4
	v_mul_hi_u32 v8, s30, v4
	v_mul_lo_u32 v9, v4, s14
	v_mul_lo_u32 v7, v3, s2
	;; [unrolled: 1-line block ×3, first 2 shown]
	v_sub_u32_e32 v9, v1, v9
	v_add_u32_e32 v1, v4, v8
	v_lshrrev_b32_e32 v1, s31, v1
	v_mul_lo_u32 v8, v1, s29
	v_mul_lo_u32 v10, v9, s4
	;; [unrolled: 1-line block ×3, first 2 shown]
	v_add3_u32 v0, v5, v0, v7
	v_sub_u32_e32 v4, v4, v8
	v_mul_lo_u32 v8, v4, s6
	v_mul_lo_u32 v4, v4, s7
	v_add3_u32 v2, v6, v2, v3
	v_add3_u32 v0, v10, v0, v8
	v_add3_u32 v2, v9, v2, v4
	s_cbranch_scc0 .LBB109_192
	s_branch .LBB109_212
.LBB109_193:
                                        ; implicit-def: $vgpr0
                                        ; implicit-def: $vgpr2
	s_branch .LBB109_216
.LBB109_194:
	v_mov_b32_e32 v0, 0
	v_mov_b32_e32 v2, 0
	s_branch .LBB109_215
.LBB109_195:
	s_mov_b32 s60, 0
	v_mov_b32_e32 v0, 0
	v_mov_b32_e32 v2, 0
	v_mov_b32_e32 v1, v19
.LBB109_196:
	s_and_b32 s4, s61, 3
	s_cmp_eq_u32 s4, 0
	s_cbranch_scc1 .LBB109_199
; %bb.197:
	s_lshl_b32 s0, s60, 3
	s_add_u32 s0, s34, s0
	s_addc_u32 s1, s35, 0
	s_add_u32 s0, s0, 0xc4
	s_addc_u32 s1, s1, 0
	s_mul_i32 s2, s60, 12
	s_add_u32 s2, s34, s2
	s_addc_u32 s3, s35, 0
.LBB109_198:                            ; =>This Inner Loop Header: Depth=1
	s_load_dwordx2 s[6:7], s[2:3], 0x4
	s_load_dword s5, s[2:3], 0xc
	s_load_dwordx2 s[8:9], s[0:1], 0x0
	s_add_u32 s2, s2, 12
	s_addc_u32 s3, s3, 0
	s_waitcnt lgkmcnt(0)
	v_mul_hi_u32 v3, s7, v1
	s_add_u32 s0, s0, 8
	s_addc_u32 s1, s1, 0
	s_add_i32 s4, s4, -1
	v_add_u32_e32 v3, v1, v3
	v_lshrrev_b32_e32 v4, s5, v3
	v_mul_lo_u32 v3, v4, s6
	s_cmp_lg_u32 s4, 0
	v_sub_u32_e32 v3, v1, v3
	v_mad_u64_u32 v[0:1], s[6:7], v3, s8, v[0:1]
	v_mad_u64_u32 v[2:3], s[6:7], v3, s9, v[2:3]
	v_mov_b32_e32 v1, v4
	s_cbranch_scc1 .LBB109_198
.LBB109_199:
	s_cbranch_execnz .LBB109_202
.LBB109_200:
	v_mul_hi_u32 v0, s21, v19
	s_andn2_b64 vcc, exec, s[44:45]
	v_add_u32_e32 v0, v19, v0
	v_lshrrev_b32_e32 v1, s22, v0
	v_mul_lo_u32 v0, v1, s20
	v_sub_u32_e32 v2, v19, v0
	v_mul_lo_u32 v0, v2, s24
	v_mul_lo_u32 v2, v2, s25
	s_cbranch_vccnz .LBB109_202
; %bb.201:
	v_mul_hi_u32 v3, s42, v1
	v_add_u32_e32 v3, v1, v3
	v_lshrrev_b32_e32 v3, s43, v3
	v_mul_lo_u32 v3, v3, s23
	v_sub_u32_e32 v3, v1, v3
	v_mad_u64_u32 v[0:1], s[0:1], v3, s26, v[0:1]
	v_mad_u64_u32 v[2:3], s[0:1], v3, s27, v[2:3]
.LBB109_202:
	global_load_ushort v1, v2, s[18:19]
	v_mov_b32_e32 v2, s57
	v_mov_b32_e32 v3, s41
	v_add_u32_e32 v19, 0x80, v19
	s_waitcnt vmcnt(0)
	v_cmp_lt_i16_e32 vcc, s40, v1
	v_cndmask_b32_e32 v1, v2, v3, vcc
	global_store_short v0, v1, s[16:17]
	s_or_b64 exec, exec, s[50:51]
	v_cmp_gt_i32_e32 vcc, s58, v19
	s_and_saveexec_b64 s[50:51], vcc
	s_cbranch_execnz .LBB109_188
.LBB109_203:
	s_or_b64 exec, exec, s[50:51]
	v_cmp_gt_i32_e32 vcc, s58, v19
	s_and_saveexec_b64 s[50:51], vcc
	s_cbranch_execz .LBB109_219
.LBB109_204:
	s_andn2_b64 vcc, exec, s[36:37]
	s_cbranch_vccnz .LBB109_209
; %bb.205:
	s_andn2_b64 vcc, exec, s[48:49]
	s_cbranch_vccnz .LBB109_210
; %bb.206:
	s_add_i32 s61, s59, 1
	s_cmp_eq_u32 s56, 2
	s_cbranch_scc1 .LBB109_222
; %bb.207:
	s_and_b32 s60, s61, 28
	v_mov_b32_e32 v2, 0
	s_mov_b32 s62, 0
	s_mov_b64 s[52:53], s[34:35]
	s_mov_b64 s[54:55], s[46:47]
	v_mov_b32_e32 v0, 0
	v_mov_b32_e32 v1, v19
.LBB109_208:                            ; =>This Inner Loop Header: Depth=1
	s_load_dwordx8 s[8:15], s[52:53], 0x4
	s_load_dwordx4 s[28:31], s[52:53], 0x24
	s_load_dwordx8 s[0:7], s[54:55], 0x0
	s_add_u32 s52, s52, 48
	s_addc_u32 s53, s53, 0
	s_waitcnt lgkmcnt(0)
	v_mul_hi_u32 v3, s9, v1
	s_add_i32 s62, s62, 4
	s_add_u32 s54, s54, 32
	s_addc_u32 s55, s55, 0
	v_add_u32_e32 v3, v1, v3
	v_lshrrev_b32_e32 v3, s10, v3
	v_mul_lo_u32 v4, v3, s8
	v_mul_hi_u32 v5, s12, v3
	s_cmp_eq_u32 s60, s62
	v_sub_u32_e32 v1, v1, v4
	v_add_u32_e32 v4, v3, v5
	v_mul_lo_u32 v5, v1, s0
	v_mul_lo_u32 v6, v1, s1
	v_lshrrev_b32_e32 v1, s13, v4
	v_mul_lo_u32 v4, v1, s11
	v_mul_hi_u32 v7, s15, v1
	v_sub_u32_e32 v3, v3, v4
	v_add_u32_e32 v4, v1, v7
	v_lshrrev_b32_e32 v4, s28, v4
	v_mul_hi_u32 v8, s30, v4
	v_mul_lo_u32 v9, v4, s14
	v_mul_lo_u32 v7, v3, s2
	;; [unrolled: 1-line block ×3, first 2 shown]
	v_sub_u32_e32 v9, v1, v9
	v_add_u32_e32 v1, v4, v8
	v_lshrrev_b32_e32 v1, s31, v1
	v_mul_lo_u32 v8, v1, s29
	v_mul_lo_u32 v10, v9, s4
	;; [unrolled: 1-line block ×3, first 2 shown]
	v_add3_u32 v0, v5, v0, v7
	v_sub_u32_e32 v4, v4, v8
	v_mul_lo_u32 v8, v4, s6
	v_mul_lo_u32 v4, v4, s7
	v_add3_u32 v2, v6, v2, v3
	v_add3_u32 v0, v10, v0, v8
	;; [unrolled: 1-line block ×3, first 2 shown]
	s_cbranch_scc0 .LBB109_208
	s_branch .LBB109_223
.LBB109_209:
                                        ; implicit-def: $vgpr0
                                        ; implicit-def: $vgpr2
	s_branch .LBB109_227
.LBB109_210:
	v_mov_b32_e32 v0, 0
	v_mov_b32_e32 v2, 0
	s_branch .LBB109_226
.LBB109_211:
	s_mov_b32 s60, 0
	v_mov_b32_e32 v0, 0
	v_mov_b32_e32 v2, 0
	;; [unrolled: 1-line block ×3, first 2 shown]
.LBB109_212:
	s_and_b32 s4, s61, 3
	s_cmp_eq_u32 s4, 0
	s_cbranch_scc1 .LBB109_215
; %bb.213:
	s_lshl_b32 s0, s60, 3
	s_add_u32 s0, s34, s0
	s_addc_u32 s1, s35, 0
	s_add_u32 s0, s0, 0xc4
	s_addc_u32 s1, s1, 0
	s_mul_i32 s2, s60, 12
	s_add_u32 s2, s34, s2
	s_addc_u32 s3, s35, 0
.LBB109_214:                            ; =>This Inner Loop Header: Depth=1
	s_load_dwordx2 s[6:7], s[2:3], 0x4
	s_load_dword s5, s[2:3], 0xc
	s_load_dwordx2 s[8:9], s[0:1], 0x0
	s_add_u32 s2, s2, 12
	s_addc_u32 s3, s3, 0
	s_waitcnt lgkmcnt(0)
	v_mul_hi_u32 v3, s7, v1
	s_add_u32 s0, s0, 8
	s_addc_u32 s1, s1, 0
	s_add_i32 s4, s4, -1
	v_add_u32_e32 v3, v1, v3
	v_lshrrev_b32_e32 v4, s5, v3
	v_mul_lo_u32 v3, v4, s6
	s_cmp_lg_u32 s4, 0
	v_sub_u32_e32 v3, v1, v3
	v_mad_u64_u32 v[0:1], s[6:7], v3, s8, v[0:1]
	v_mad_u64_u32 v[2:3], s[6:7], v3, s9, v[2:3]
	v_mov_b32_e32 v1, v4
	s_cbranch_scc1 .LBB109_214
.LBB109_215:
	s_cbranch_execnz .LBB109_218
.LBB109_216:
	v_mul_hi_u32 v0, s21, v19
	s_andn2_b64 vcc, exec, s[44:45]
	v_add_u32_e32 v0, v19, v0
	v_lshrrev_b32_e32 v1, s22, v0
	v_mul_lo_u32 v0, v1, s20
	v_sub_u32_e32 v2, v19, v0
	v_mul_lo_u32 v0, v2, s24
	v_mul_lo_u32 v2, v2, s25
	s_cbranch_vccnz .LBB109_218
; %bb.217:
	v_mul_hi_u32 v3, s42, v1
	v_add_u32_e32 v3, v1, v3
	v_lshrrev_b32_e32 v3, s43, v3
	v_mul_lo_u32 v3, v3, s23
	v_sub_u32_e32 v3, v1, v3
	v_mad_u64_u32 v[0:1], s[0:1], v3, s26, v[0:1]
	v_mad_u64_u32 v[2:3], s[0:1], v3, s27, v[2:3]
.LBB109_218:
	global_load_ushort v1, v2, s[18:19]
	v_mov_b32_e32 v2, s57
	v_mov_b32_e32 v3, s41
	v_add_u32_e32 v19, 0x80, v19
	s_waitcnt vmcnt(0)
	v_cmp_lt_i16_e32 vcc, s40, v1
	v_cndmask_b32_e32 v1, v2, v3, vcc
	global_store_short v0, v1, s[16:17]
	s_or_b64 exec, exec, s[50:51]
	v_cmp_gt_i32_e32 vcc, s58, v19
	s_and_saveexec_b64 s[50:51], vcc
	s_cbranch_execnz .LBB109_204
.LBB109_219:
	s_or_b64 exec, exec, s[50:51]
	v_cmp_gt_i32_e32 vcc, s58, v19
	s_and_saveexec_b64 s[50:51], vcc
	s_cbranch_execnz .LBB109_230
.LBB109_220:
	s_or_b64 exec, exec, s[50:51]
                                        ; implicit-def: $vgpr25
                                        ; implicit-def: $vgpr19
	s_andn2_saveexec_b64 s[0:1], s[38:39]
	s_cbranch_execnz .LBB109_8
.LBB109_221:
	s_endpgm
.LBB109_222:
	s_mov_b32 s60, 0
	v_mov_b32_e32 v0, 0
	v_mov_b32_e32 v2, 0
	;; [unrolled: 1-line block ×3, first 2 shown]
.LBB109_223:
	s_and_b32 s4, s61, 3
	s_cmp_eq_u32 s4, 0
	s_cbranch_scc1 .LBB109_226
; %bb.224:
	s_lshl_b32 s0, s60, 3
	s_add_u32 s0, s34, s0
	s_addc_u32 s1, s35, 0
	s_add_u32 s0, s0, 0xc4
	s_addc_u32 s1, s1, 0
	s_mul_i32 s2, s60, 12
	s_add_u32 s2, s34, s2
	s_addc_u32 s3, s35, 0
.LBB109_225:                            ; =>This Inner Loop Header: Depth=1
	s_load_dwordx2 s[6:7], s[2:3], 0x4
	s_load_dword s5, s[2:3], 0xc
	s_load_dwordx2 s[8:9], s[0:1], 0x0
	s_add_u32 s2, s2, 12
	s_addc_u32 s3, s3, 0
	s_waitcnt lgkmcnt(0)
	v_mul_hi_u32 v3, s7, v1
	s_add_u32 s0, s0, 8
	s_addc_u32 s1, s1, 0
	s_add_i32 s4, s4, -1
	v_add_u32_e32 v3, v1, v3
	v_lshrrev_b32_e32 v4, s5, v3
	v_mul_lo_u32 v3, v4, s6
	s_cmp_lg_u32 s4, 0
	v_sub_u32_e32 v3, v1, v3
	v_mad_u64_u32 v[0:1], s[6:7], v3, s8, v[0:1]
	v_mad_u64_u32 v[2:3], s[6:7], v3, s9, v[2:3]
	v_mov_b32_e32 v1, v4
	s_cbranch_scc1 .LBB109_225
.LBB109_226:
	s_cbranch_execnz .LBB109_229
.LBB109_227:
	v_mul_hi_u32 v0, s21, v19
	s_andn2_b64 vcc, exec, s[44:45]
	v_add_u32_e32 v0, v19, v0
	v_lshrrev_b32_e32 v1, s22, v0
	v_mul_lo_u32 v0, v1, s20
	v_sub_u32_e32 v2, v19, v0
	v_mul_lo_u32 v0, v2, s24
	v_mul_lo_u32 v2, v2, s25
	s_cbranch_vccnz .LBB109_229
; %bb.228:
	v_mul_hi_u32 v3, s42, v1
	v_add_u32_e32 v3, v1, v3
	v_lshrrev_b32_e32 v3, s43, v3
	v_mul_lo_u32 v3, v3, s23
	v_sub_u32_e32 v3, v1, v3
	v_mad_u64_u32 v[0:1], s[0:1], v3, s26, v[0:1]
	v_mad_u64_u32 v[2:3], s[0:1], v3, s27, v[2:3]
.LBB109_229:
	global_load_ushort v1, v2, s[18:19]
	v_mov_b32_e32 v2, s57
	v_mov_b32_e32 v3, s41
	v_add_u32_e32 v19, 0x80, v19
	s_waitcnt vmcnt(0)
	v_cmp_lt_i16_e32 vcc, s40, v1
	v_cndmask_b32_e32 v1, v2, v3, vcc
	global_store_short v0, v1, s[16:17]
	s_or_b64 exec, exec, s[50:51]
	v_cmp_gt_i32_e32 vcc, s58, v19
	s_and_saveexec_b64 s[50:51], vcc
	s_cbranch_execz .LBB109_220
.LBB109_230:
	s_andn2_b64 vcc, exec, s[36:37]
	s_cbranch_vccnz .LBB109_235
; %bb.231:
	s_andn2_b64 vcc, exec, s[48:49]
	s_cbranch_vccnz .LBB109_236
; %bb.232:
	s_add_i32 s59, s59, 1
	s_cmp_eq_u32 s56, 2
	s_cbranch_scc1 .LBB109_237
; %bb.233:
	s_and_b32 s52, s59, 28
	v_mov_b32_e32 v2, 0
	s_mov_b32 s53, 0
	s_mov_b64 s[48:49], s[34:35]
	v_mov_b32_e32 v0, 0
	v_mov_b32_e32 v1, v19
.LBB109_234:                            ; =>This Inner Loop Header: Depth=1
	s_load_dwordx8 s[8:15], s[48:49], 0x4
	s_load_dwordx4 s[28:31], s[48:49], 0x24
	s_load_dwordx8 s[0:7], s[46:47], 0x0
	s_add_u32 s48, s48, 48
	s_addc_u32 s49, s49, 0
	s_waitcnt lgkmcnt(0)
	v_mul_hi_u32 v3, s9, v1
	s_add_i32 s53, s53, 4
	s_add_u32 s46, s46, 32
	s_addc_u32 s47, s47, 0
	v_add_u32_e32 v3, v1, v3
	v_lshrrev_b32_e32 v3, s10, v3
	v_mul_lo_u32 v4, v3, s8
	v_mul_hi_u32 v5, s12, v3
	s_cmp_eq_u32 s52, s53
	v_sub_u32_e32 v1, v1, v4
	v_add_u32_e32 v4, v3, v5
	v_mul_lo_u32 v5, v1, s0
	v_mul_lo_u32 v6, v1, s1
	v_lshrrev_b32_e32 v1, s13, v4
	v_mul_lo_u32 v4, v1, s11
	v_mul_hi_u32 v7, s15, v1
	v_sub_u32_e32 v3, v3, v4
	v_add_u32_e32 v4, v1, v7
	v_lshrrev_b32_e32 v4, s28, v4
	v_mul_hi_u32 v8, s30, v4
	v_mul_lo_u32 v9, v4, s14
	v_mul_lo_u32 v7, v3, s2
	;; [unrolled: 1-line block ×3, first 2 shown]
	v_sub_u32_e32 v9, v1, v9
	v_add_u32_e32 v1, v4, v8
	v_lshrrev_b32_e32 v1, s31, v1
	v_mul_lo_u32 v8, v1, s29
	v_mul_lo_u32 v10, v9, s4
	;; [unrolled: 1-line block ×3, first 2 shown]
	v_add3_u32 v0, v5, v0, v7
	v_sub_u32_e32 v4, v4, v8
	v_mul_lo_u32 v8, v4, s6
	v_mul_lo_u32 v4, v4, s7
	v_add3_u32 v2, v6, v2, v3
	v_add3_u32 v0, v10, v0, v8
	;; [unrolled: 1-line block ×3, first 2 shown]
	s_cbranch_scc0 .LBB109_234
	s_branch .LBB109_238
.LBB109_235:
                                        ; implicit-def: $vgpr0
                                        ; implicit-def: $vgpr2
	s_branch .LBB109_242
.LBB109_236:
	v_mov_b32_e32 v0, 0
	v_mov_b32_e32 v2, 0
	s_branch .LBB109_241
.LBB109_237:
	s_mov_b32 s52, 0
	v_mov_b32_e32 v0, 0
	v_mov_b32_e32 v2, 0
	;; [unrolled: 1-line block ×3, first 2 shown]
.LBB109_238:
	s_and_b32 s4, s59, 3
	s_cmp_eq_u32 s4, 0
	s_cbranch_scc1 .LBB109_241
; %bb.239:
	s_lshl_b32 s0, s52, 3
	s_add_u32 s0, s34, s0
	s_addc_u32 s1, s35, 0
	s_add_u32 s0, s0, 0xc4
	s_addc_u32 s1, s1, 0
	s_mul_i32 s2, s52, 12
	s_add_u32 s2, s34, s2
	s_addc_u32 s3, s35, 0
.LBB109_240:                            ; =>This Inner Loop Header: Depth=1
	s_load_dwordx2 s[6:7], s[2:3], 0x4
	s_load_dword s5, s[2:3], 0xc
	s_load_dwordx2 s[8:9], s[0:1], 0x0
	s_add_u32 s2, s2, 12
	s_addc_u32 s3, s3, 0
	s_waitcnt lgkmcnt(0)
	v_mul_hi_u32 v3, s7, v1
	s_add_u32 s0, s0, 8
	s_addc_u32 s1, s1, 0
	s_add_i32 s4, s4, -1
	v_add_u32_e32 v3, v1, v3
	v_lshrrev_b32_e32 v4, s5, v3
	v_mul_lo_u32 v3, v4, s6
	s_cmp_lg_u32 s4, 0
	v_sub_u32_e32 v3, v1, v3
	v_mad_u64_u32 v[0:1], s[6:7], v3, s8, v[0:1]
	v_mad_u64_u32 v[2:3], s[6:7], v3, s9, v[2:3]
	v_mov_b32_e32 v1, v4
	s_cbranch_scc1 .LBB109_240
.LBB109_241:
	s_cbranch_execnz .LBB109_244
.LBB109_242:
	v_mul_hi_u32 v0, s21, v19
	s_andn2_b64 vcc, exec, s[44:45]
	v_add_u32_e32 v0, v19, v0
	v_lshrrev_b32_e32 v1, s22, v0
	v_mul_lo_u32 v0, v1, s20
	v_sub_u32_e32 v2, v19, v0
	v_mul_lo_u32 v0, v2, s24
	v_mul_lo_u32 v2, v2, s25
	s_cbranch_vccnz .LBB109_244
; %bb.243:
	v_mul_hi_u32 v3, s42, v1
	v_add_u32_e32 v3, v1, v3
	v_lshrrev_b32_e32 v3, s43, v3
	v_mul_lo_u32 v3, v3, s23
	v_sub_u32_e32 v3, v1, v3
	v_mad_u64_u32 v[0:1], s[0:1], v3, s26, v[0:1]
	v_mad_u64_u32 v[2:3], s[0:1], v3, s27, v[2:3]
.LBB109_244:
	global_load_ushort v1, v2, s[18:19]
	v_mov_b32_e32 v2, s57
	v_mov_b32_e32 v3, s41
	s_waitcnt vmcnt(0)
	v_cmp_lt_i16_e32 vcc, s40, v1
	v_cndmask_b32_e32 v1, v2, v3, vcc
	global_store_short v0, v1, s[16:17]
	s_or_b64 exec, exec, s[50:51]
                                        ; implicit-def: $vgpr25
                                        ; implicit-def: $vgpr19
	s_andn2_saveexec_b64 s[0:1], s[38:39]
	s_cbranch_execz .LBB109_221
	s_branch .LBB109_8
	.section	.rodata,"a",@progbits
	.p2align	6, 0x0
	.amdhsa_kernel _ZN2at6native32elementwise_kernel_manual_unrollILi128ELi8EZNS0_22gpu_kernel_impl_nocastINS0_13BUnaryFunctorIsssZNS0_12_GLOBAL__N_121threshold_kernel_implIsEEvRNS_18TensorIteratorBaseET_S8_EUlssE_EEEEvS7_RKS8_EUlibE_EEviT1_
		.amdhsa_group_segment_fixed_size 0
		.amdhsa_private_segment_fixed_size 0
		.amdhsa_kernarg_size 360
		.amdhsa_user_sgpr_count 6
		.amdhsa_user_sgpr_private_segment_buffer 1
		.amdhsa_user_sgpr_dispatch_ptr 0
		.amdhsa_user_sgpr_queue_ptr 0
		.amdhsa_user_sgpr_kernarg_segment_ptr 1
		.amdhsa_user_sgpr_dispatch_id 0
		.amdhsa_user_sgpr_flat_scratch_init 0
		.amdhsa_user_sgpr_private_segment_size 0
		.amdhsa_uses_dynamic_stack 0
		.amdhsa_system_sgpr_private_segment_wavefront_offset 0
		.amdhsa_system_sgpr_workgroup_id_x 1
		.amdhsa_system_sgpr_workgroup_id_y 0
		.amdhsa_system_sgpr_workgroup_id_z 0
		.amdhsa_system_sgpr_workgroup_info 0
		.amdhsa_system_vgpr_workitem_id 0
		.amdhsa_next_free_vgpr 26
		.amdhsa_next_free_sgpr 63
		.amdhsa_reserve_vcc 1
		.amdhsa_reserve_flat_scratch 0
		.amdhsa_float_round_mode_32 0
		.amdhsa_float_round_mode_16_64 0
		.amdhsa_float_denorm_mode_32 3
		.amdhsa_float_denorm_mode_16_64 3
		.amdhsa_dx10_clamp 1
		.amdhsa_ieee_mode 1
		.amdhsa_fp16_overflow 0
		.amdhsa_exception_fp_ieee_invalid_op 0
		.amdhsa_exception_fp_denorm_src 0
		.amdhsa_exception_fp_ieee_div_zero 0
		.amdhsa_exception_fp_ieee_overflow 0
		.amdhsa_exception_fp_ieee_underflow 0
		.amdhsa_exception_fp_ieee_inexact 0
		.amdhsa_exception_int_div_zero 0
	.end_amdhsa_kernel
	.section	.text._ZN2at6native32elementwise_kernel_manual_unrollILi128ELi8EZNS0_22gpu_kernel_impl_nocastINS0_13BUnaryFunctorIsssZNS0_12_GLOBAL__N_121threshold_kernel_implIsEEvRNS_18TensorIteratorBaseET_S8_EUlssE_EEEEvS7_RKS8_EUlibE_EEviT1_,"axG",@progbits,_ZN2at6native32elementwise_kernel_manual_unrollILi128ELi8EZNS0_22gpu_kernel_impl_nocastINS0_13BUnaryFunctorIsssZNS0_12_GLOBAL__N_121threshold_kernel_implIsEEvRNS_18TensorIteratorBaseET_S8_EUlssE_EEEEvS7_RKS8_EUlibE_EEviT1_,comdat
.Lfunc_end109:
	.size	_ZN2at6native32elementwise_kernel_manual_unrollILi128ELi8EZNS0_22gpu_kernel_impl_nocastINS0_13BUnaryFunctorIsssZNS0_12_GLOBAL__N_121threshold_kernel_implIsEEvRNS_18TensorIteratorBaseET_S8_EUlssE_EEEEvS7_RKS8_EUlibE_EEviT1_, .Lfunc_end109-_ZN2at6native32elementwise_kernel_manual_unrollILi128ELi8EZNS0_22gpu_kernel_impl_nocastINS0_13BUnaryFunctorIsssZNS0_12_GLOBAL__N_121threshold_kernel_implIsEEvRNS_18TensorIteratorBaseET_S8_EUlssE_EEEEvS7_RKS8_EUlibE_EEviT1_
                                        ; -- End function
	.set _ZN2at6native32elementwise_kernel_manual_unrollILi128ELi8EZNS0_22gpu_kernel_impl_nocastINS0_13BUnaryFunctorIsssZNS0_12_GLOBAL__N_121threshold_kernel_implIsEEvRNS_18TensorIteratorBaseET_S8_EUlssE_EEEEvS7_RKS8_EUlibE_EEviT1_.num_vgpr, 26
	.set _ZN2at6native32elementwise_kernel_manual_unrollILi128ELi8EZNS0_22gpu_kernel_impl_nocastINS0_13BUnaryFunctorIsssZNS0_12_GLOBAL__N_121threshold_kernel_implIsEEvRNS_18TensorIteratorBaseET_S8_EUlssE_EEEEvS7_RKS8_EUlibE_EEviT1_.num_agpr, 0
	.set _ZN2at6native32elementwise_kernel_manual_unrollILi128ELi8EZNS0_22gpu_kernel_impl_nocastINS0_13BUnaryFunctorIsssZNS0_12_GLOBAL__N_121threshold_kernel_implIsEEvRNS_18TensorIteratorBaseET_S8_EUlssE_EEEEvS7_RKS8_EUlibE_EEviT1_.numbered_sgpr, 63
	.set _ZN2at6native32elementwise_kernel_manual_unrollILi128ELi8EZNS0_22gpu_kernel_impl_nocastINS0_13BUnaryFunctorIsssZNS0_12_GLOBAL__N_121threshold_kernel_implIsEEvRNS_18TensorIteratorBaseET_S8_EUlssE_EEEEvS7_RKS8_EUlibE_EEviT1_.num_named_barrier, 0
	.set _ZN2at6native32elementwise_kernel_manual_unrollILi128ELi8EZNS0_22gpu_kernel_impl_nocastINS0_13BUnaryFunctorIsssZNS0_12_GLOBAL__N_121threshold_kernel_implIsEEvRNS_18TensorIteratorBaseET_S8_EUlssE_EEEEvS7_RKS8_EUlibE_EEviT1_.private_seg_size, 0
	.set _ZN2at6native32elementwise_kernel_manual_unrollILi128ELi8EZNS0_22gpu_kernel_impl_nocastINS0_13BUnaryFunctorIsssZNS0_12_GLOBAL__N_121threshold_kernel_implIsEEvRNS_18TensorIteratorBaseET_S8_EUlssE_EEEEvS7_RKS8_EUlibE_EEviT1_.uses_vcc, 1
	.set _ZN2at6native32elementwise_kernel_manual_unrollILi128ELi8EZNS0_22gpu_kernel_impl_nocastINS0_13BUnaryFunctorIsssZNS0_12_GLOBAL__N_121threshold_kernel_implIsEEvRNS_18TensorIteratorBaseET_S8_EUlssE_EEEEvS7_RKS8_EUlibE_EEviT1_.uses_flat_scratch, 0
	.set _ZN2at6native32elementwise_kernel_manual_unrollILi128ELi8EZNS0_22gpu_kernel_impl_nocastINS0_13BUnaryFunctorIsssZNS0_12_GLOBAL__N_121threshold_kernel_implIsEEvRNS_18TensorIteratorBaseET_S8_EUlssE_EEEEvS7_RKS8_EUlibE_EEviT1_.has_dyn_sized_stack, 0
	.set _ZN2at6native32elementwise_kernel_manual_unrollILi128ELi8EZNS0_22gpu_kernel_impl_nocastINS0_13BUnaryFunctorIsssZNS0_12_GLOBAL__N_121threshold_kernel_implIsEEvRNS_18TensorIteratorBaseET_S8_EUlssE_EEEEvS7_RKS8_EUlibE_EEviT1_.has_recursion, 0
	.set _ZN2at6native32elementwise_kernel_manual_unrollILi128ELi8EZNS0_22gpu_kernel_impl_nocastINS0_13BUnaryFunctorIsssZNS0_12_GLOBAL__N_121threshold_kernel_implIsEEvRNS_18TensorIteratorBaseET_S8_EUlssE_EEEEvS7_RKS8_EUlibE_EEviT1_.has_indirect_call, 0
	.section	.AMDGPU.csdata,"",@progbits
; Kernel info:
; codeLenInByte = 11384
; TotalNumSgprs: 67
; NumVgprs: 26
; ScratchSize: 0
; MemoryBound: 0
; FloatMode: 240
; IeeeMode: 1
; LDSByteSize: 0 bytes/workgroup (compile time only)
; SGPRBlocks: 8
; VGPRBlocks: 6
; NumSGPRsForWavesPerEU: 67
; NumVGPRsForWavesPerEU: 26
; Occupancy: 9
; WaveLimiterHint : 1
; COMPUTE_PGM_RSRC2:SCRATCH_EN: 0
; COMPUTE_PGM_RSRC2:USER_SGPR: 6
; COMPUTE_PGM_RSRC2:TRAP_HANDLER: 0
; COMPUTE_PGM_RSRC2:TGID_X_EN: 1
; COMPUTE_PGM_RSRC2:TGID_Y_EN: 0
; COMPUTE_PGM_RSRC2:TGID_Z_EN: 0
; COMPUTE_PGM_RSRC2:TIDIG_COMP_CNT: 0
	.section	.text._ZN2at6native32elementwise_kernel_manual_unrollILi128ELi4EZNS0_15gpu_kernel_implINS0_13BUnaryFunctorIsssZNS0_12_GLOBAL__N_121threshold_kernel_implIsEEvRNS_18TensorIteratorBaseET_S8_EUlssE_EEEEvS7_RKS8_EUlibE_EEviT1_,"axG",@progbits,_ZN2at6native32elementwise_kernel_manual_unrollILi128ELi4EZNS0_15gpu_kernel_implINS0_13BUnaryFunctorIsssZNS0_12_GLOBAL__N_121threshold_kernel_implIsEEvRNS_18TensorIteratorBaseET_S8_EUlssE_EEEEvS7_RKS8_EUlibE_EEviT1_,comdat
	.globl	_ZN2at6native32elementwise_kernel_manual_unrollILi128ELi4EZNS0_15gpu_kernel_implINS0_13BUnaryFunctorIsssZNS0_12_GLOBAL__N_121threshold_kernel_implIsEEvRNS_18TensorIteratorBaseET_S8_EUlssE_EEEEvS7_RKS8_EUlibE_EEviT1_ ; -- Begin function _ZN2at6native32elementwise_kernel_manual_unrollILi128ELi4EZNS0_15gpu_kernel_implINS0_13BUnaryFunctorIsssZNS0_12_GLOBAL__N_121threshold_kernel_implIsEEvRNS_18TensorIteratorBaseET_S8_EUlssE_EEEEvS7_RKS8_EUlibE_EEviT1_
	.p2align	8
	.type	_ZN2at6native32elementwise_kernel_manual_unrollILi128ELi4EZNS0_15gpu_kernel_implINS0_13BUnaryFunctorIsssZNS0_12_GLOBAL__N_121threshold_kernel_implIsEEvRNS_18TensorIteratorBaseET_S8_EUlssE_EEEEvS7_RKS8_EUlibE_EEviT1_,@function
_ZN2at6native32elementwise_kernel_manual_unrollILi128ELi4EZNS0_15gpu_kernel_implINS0_13BUnaryFunctorIsssZNS0_12_GLOBAL__N_121threshold_kernel_implIsEEvRNS_18TensorIteratorBaseET_S8_EUlssE_EEEEvS7_RKS8_EUlibE_EEviT1_: ; @_ZN2at6native32elementwise_kernel_manual_unrollILi128ELi4EZNS0_15gpu_kernel_implINS0_13BUnaryFunctorIsssZNS0_12_GLOBAL__N_121threshold_kernel_implIsEEvRNS_18TensorIteratorBaseET_S8_EUlssE_EEEEvS7_RKS8_EUlibE_EEviT1_
; %bb.0:
	s_load_dwordx8 s[8:15], s[4:5], 0x8
	s_load_dword s0, s[4:5], 0x24
	s_load_dword s40, s[4:5], 0x0
	v_lshl_or_b32 v9, s6, 9, v0
	v_or_b32_e32 v0, 0x180, v9
	s_waitcnt lgkmcnt(0)
	s_lshr_b32 s33, s14, 16
	s_lshr_b32 s44, s0, 16
	;; [unrolled: 1-line block ×3, first 2 shown]
	v_cmp_le_i32_e32 vcc, s40, v0
	s_mov_b64 s[2:3], 0
	s_mov_b64 s[6:7], 0
	s_and_saveexec_b64 s[0:1], vcc
	s_xor_b64 s[4:5], exec, s[0:1]
	s_cbranch_execz .LBB110_1011
; %bb.1:
	v_cmp_gt_i32_e32 vcc, s40, v9
	s_mov_b64 s[20:21], -1
	s_mov_b64 s[22:23], 0
	s_mov_b64 s[16:17], 0
	s_and_saveexec_b64 s[18:19], vcc
	s_cbranch_execz .LBB110_248
; %bb.2:
	v_mul_lo_u32 v0, v9, s13
	v_mov_b32_e32 v1, s11
	s_and_b32 s20, 0xffff, s45
	s_cmp_lt_i32 s20, 11
	v_ashrrev_i32_e32 v2, 31, v0
	v_add_co_u32_e32 v0, vcc, s10, v0
	v_addc_co_u32_e32 v1, vcc, v1, v2, vcc
	s_cbranch_scc1 .LBB110_9
; %bb.3:
	s_cmp_gt_i32 s20, 25
	s_cbranch_scc0 .LBB110_18
; %bb.4:
	s_cmp_gt_i32 s20, 28
	s_cbranch_scc0 .LBB110_22
	;; [unrolled: 3-line block ×4, first 2 shown]
; %bb.7:
	s_cmp_eq_u32 s20, 46
	s_cbranch_scc0 .LBB110_28
; %bb.8:
	global_load_dword v2, v[0:1], off
	s_mov_b64 s[0:1], -1
	s_waitcnt vmcnt(0)
	v_lshlrev_b32_e32 v2, 16, v2
	v_cvt_i32_f32_e32 v2, v2
	s_branch .LBB110_30
.LBB110_9:
                                        ; implicit-def: $vgpr2
	s_mov_b64 s[0:1], 0
	s_cbranch_execnz .LBB110_199
.LBB110_10:
	s_andn2_b64 vcc, exec, s[0:1]
	s_cbranch_vccnz .LBB110_246
.LBB110_11:
	v_mul_lo_u32 v1, v9, s12
	v_mov_b32_e32 v0, s33
	s_waitcnt vmcnt(0)
	v_mov_b32_e32 v3, s15
	v_cmp_lt_i16_e32 vcc, s14, v2
	v_cndmask_b32_e32 v4, v0, v3, vcc
	v_ashrrev_i32_e32 v2, 31, v1
	v_mov_b32_e32 v3, s9
	s_and_b32 s26, s44, 0xff
	v_add_co_u32_e32 v0, vcc, s8, v1
	s_cmp_lt_i32 s26, 11
	v_addc_co_u32_e32 v1, vcc, v3, v2, vcc
	s_cbranch_scc1 .LBB110_19
; %bb.12:
	s_and_b32 s27, 0xffff, s26
	s_cmp_gt_i32 s27, 25
	s_cbranch_scc0 .LBB110_23
; %bb.13:
	s_cmp_gt_i32 s27, 28
	s_cbranch_scc0 .LBB110_25
; %bb.14:
	s_cmp_gt_i32 s27, 43
	s_cbranch_scc0 .LBB110_27
; %bb.15:
	s_cmp_gt_i32 s27, 45
	s_cbranch_scc0 .LBB110_33
; %bb.16:
	s_mov_b64 s[20:21], 0
	s_mov_b64 s[0:1], -1
	s_cmp_eq_u32 s27, 46
	s_mov_b64 s[6:7], 0
	s_cbranch_scc0 .LBB110_34
; %bb.17:
	v_cvt_f32_i32_sdwa v2, sext(v4) dst_sel:DWORD dst_unused:UNUSED_PAD src0_sel:WORD_0
	s_movk_i32 s0, 0x7fff
	s_mov_b64 s[6:7], -1
	v_bfe_u32 v3, v2, 16, 1
	v_add3_u32 v2, v2, v3, s0
	v_lshrrev_b32_e32 v2, 16, v2
	global_store_dword v[0:1], v2, off
	s_mov_b64 s[0:1], 0
	s_branch .LBB110_34
.LBB110_18:
	s_mov_b64 s[0:1], 0
                                        ; implicit-def: $vgpr2
	s_cbranch_execnz .LBB110_166
	s_branch .LBB110_198
.LBB110_19:
	s_mov_b64 s[0:1], 0
	s_mov_b64 s[6:7], 0
	s_cbranch_execnz .LBB110_103
.LBB110_20:
	s_andn2_b64 vcc, exec, s[6:7]
	s_cbranch_vccnz .LBB110_141
.LBB110_21:
	v_add_u32_e32 v9, 0x80, v9
	s_mov_b64 s[20:21], -1
	s_branch .LBB110_247
.LBB110_22:
	s_mov_b64 s[6:7], -1
	s_mov_b64 s[0:1], 0
                                        ; implicit-def: $vgpr2
	s_branch .LBB110_149
.LBB110_23:
	s_mov_b64 s[20:21], -1
	s_mov_b64 s[0:1], 0
	s_mov_b64 s[6:7], 0
	s_branch .LBB110_61
.LBB110_24:
	s_mov_b64 s[6:7], -1
	s_mov_b64 s[0:1], 0
                                        ; implicit-def: $vgpr2
	s_branch .LBB110_144
.LBB110_25:
	s_mov_b64 s[20:21], -1
	s_mov_b64 s[0:1], 0
	s_mov_b64 s[6:7], 0
	s_branch .LBB110_44
.LBB110_26:
	s_mov_b64 s[6:7], -1
	s_branch .LBB110_29
.LBB110_27:
	s_mov_b64 s[20:21], -1
	s_mov_b64 s[0:1], 0
	s_mov_b64 s[6:7], 0
	s_branch .LBB110_40
.LBB110_28:
	s_mov_b64 s[16:17], -1
.LBB110_29:
	s_mov_b64 s[0:1], 0
                                        ; implicit-def: $vgpr2
.LBB110_30:
	s_and_b64 vcc, exec, s[6:7]
	s_cbranch_vccz .LBB110_143
; %bb.31:
	s_cmp_eq_u32 s20, 44
	s_cbranch_scc0 .LBB110_142
; %bb.32:
	global_load_ubyte v2, v[0:1], off
	s_mov_b64 s[0:1], -1
	s_mov_b64 s[16:17], 0
	s_waitcnt vmcnt(0)
	v_lshlrev_b32_e32 v3, 23, v2
	v_cvt_i32_f32_e32 v3, v3
	v_cmp_ne_u32_e32 vcc, 0, v2
	v_cndmask_b32_e32 v2, 0, v3, vcc
	s_branch .LBB110_143
.LBB110_33:
	s_mov_b64 s[20:21], -1
	s_mov_b64 s[0:1], 0
	s_mov_b64 s[6:7], 0
.LBB110_34:
	s_and_b64 vcc, exec, s[20:21]
	s_cbranch_vccz .LBB110_39
; %bb.35:
	s_cmp_eq_u32 s27, 44
	s_mov_b64 s[0:1], -1
	s_cbranch_scc0 .LBB110_39
; %bb.36:
	v_cvt_f32_i32_sdwa v2, sext(v4) dst_sel:DWORD dst_unused:UNUSED_PAD src0_sel:WORD_0
	s_movk_i32 s0, 0xff
	v_mov_b32_e32 v5, 0xff
	v_bfe_u32 v3, v2, 23, 8
	v_cmp_ne_u32_e32 vcc, s0, v3
	s_and_saveexec_b64 s[6:7], vcc
; %bb.37:
	s_mov_b32 s0, 0x3fffff
	v_lshrrev_b32_e32 v5, 23, v2
	v_and_b32_e32 v6, 0x400000, v2
	v_and_or_b32 v2, v2, s0, v3
	v_cmp_ne_u32_e32 vcc, 0, v6
	v_cmp_ne_u32_e64 s[0:1], 0, v2
	s_and_b64 s[0:1], vcc, s[0:1]
	v_cndmask_b32_e64 v2, 0, 1, s[0:1]
	v_add_u32_e32 v5, v5, v2
; %bb.38:
	s_or_b64 exec, exec, s[6:7]
	s_mov_b64 s[6:7], -1
	s_mov_b64 s[0:1], 0
	global_store_byte v[0:1], v5, off
.LBB110_39:
	s_mov_b64 s[20:21], 0
.LBB110_40:
	s_and_b64 vcc, exec, s[20:21]
	s_cbranch_vccz .LBB110_43
; %bb.41:
	s_cmp_eq_u32 s27, 29
	s_mov_b64 s[0:1], -1
	s_cbranch_scc0 .LBB110_43
; %bb.42:
	v_bfe_i32 v2, v4, 0, 16
	v_ashrrev_i32_e32 v3, 31, v2
	global_store_dwordx2 v[0:1], v[2:3], off
	s_mov_b64 s[6:7], -1
	s_mov_b64 s[0:1], 0
.LBB110_43:
	s_mov_b64 s[20:21], 0
.LBB110_44:
	s_and_b64 vcc, exec, s[20:21]
	s_cbranch_vccz .LBB110_60
; %bb.45:
	s_cmp_lt_i32 s27, 27
	s_mov_b64 s[6:7], -1
	s_cbranch_scc1 .LBB110_51
; %bb.46:
	s_cmp_gt_i32 s27, 27
	s_cbranch_scc0 .LBB110_48
; %bb.47:
	v_bfe_i32 v2, v4, 0, 16
	s_mov_b64 s[6:7], 0
	global_store_dword v[0:1], v2, off
.LBB110_48:
	s_andn2_b64 vcc, exec, s[6:7]
	s_cbranch_vccnz .LBB110_50
; %bb.49:
	global_store_short v[0:1], v4, off
.LBB110_50:
	s_mov_b64 s[6:7], 0
.LBB110_51:
	s_andn2_b64 vcc, exec, s[6:7]
	s_cbranch_vccnz .LBB110_59
; %bb.52:
	v_cvt_f32_i32_sdwa v2, sext(v4) dst_sel:DWORD dst_unused:UNUSED_PAD src0_sel:WORD_0
	s_mov_b32 s6, 0x43800000
	v_mov_b32_e32 v5, 0x80
	v_and_b32_e32 v3, 0x7fffffff, v2
	v_cmp_gt_u32_e32 vcc, s6, v3
	s_and_saveexec_b64 s[6:7], vcc
	s_cbranch_execz .LBB110_58
; %bb.53:
	s_mov_b32 s20, 0x3bffffff
	v_cmp_lt_u32_e32 vcc, s20, v3
	s_mov_b64 s[20:21], 0
                                        ; implicit-def: $vgpr3
	s_and_saveexec_b64 s[24:25], vcc
	s_xor_b64 s[24:25], exec, s[24:25]
	s_cbranch_execz .LBB110_275
; %bb.54:
	v_bfe_u32 v3, v2, 20, 1
	s_mov_b32 s28, 0x487ffff
	v_add3_u32 v3, v2, v3, s28
	s_mov_b64 s[20:21], exec
	v_lshrrev_b32_e32 v3, 20, v3
	s_andn2_saveexec_b64 s[24:25], s[24:25]
	s_cbranch_execnz .LBB110_276
.LBB110_55:
	s_or_b64 exec, exec, s[24:25]
	v_mov_b32_e32 v5, 0
	s_and_saveexec_b64 s[24:25], s[20:21]
.LBB110_56:
	v_lshrrev_b32_e32 v2, 24, v2
	s_movk_i32 s20, 0x80
	v_and_or_b32 v5, v2, s20, v3
.LBB110_57:
	s_or_b64 exec, exec, s[24:25]
.LBB110_58:
	s_or_b64 exec, exec, s[6:7]
	global_store_byte v[0:1], v5, off
.LBB110_59:
	s_mov_b64 s[6:7], -1
.LBB110_60:
	s_mov_b64 s[20:21], 0
.LBB110_61:
	s_and_b64 vcc, exec, s[20:21]
	s_cbranch_vccz .LBB110_102
; %bb.62:
	s_cmp_gt_i32 s27, 22
	s_mov_b64 s[20:21], -1
	s_cbranch_scc0 .LBB110_94
; %bb.63:
	s_cmp_lt_i32 s27, 24
	s_mov_b64 s[6:7], -1
	s_cbranch_scc1 .LBB110_83
; %bb.64:
	s_cmp_gt_i32 s27, 24
	s_cbranch_scc0 .LBB110_72
; %bb.65:
	v_cvt_f32_i32_sdwa v2, sext(v4) dst_sel:DWORD dst_unused:UNUSED_PAD src0_sel:WORD_0
	s_mov_b32 s6, 0x47800000
	v_mov_b32_e32 v5, 0x80
	v_and_b32_e32 v3, 0x7fffffff, v2
	v_cmp_gt_u32_e32 vcc, s6, v3
	s_and_saveexec_b64 s[6:7], vcc
	s_cbranch_execz .LBB110_71
; %bb.66:
	s_mov_b32 s20, 0x37ffffff
	v_cmp_lt_u32_e32 vcc, s20, v3
	s_mov_b64 s[20:21], 0
                                        ; implicit-def: $vgpr3
	s_and_saveexec_b64 s[24:25], vcc
	s_xor_b64 s[24:25], exec, s[24:25]
	s_cbranch_execz .LBB110_279
; %bb.67:
	v_bfe_u32 v3, v2, 21, 1
	s_mov_b32 s28, 0x88fffff
	v_add3_u32 v3, v2, v3, s28
	s_mov_b64 s[20:21], exec
	v_lshrrev_b32_e32 v3, 21, v3
	s_andn2_saveexec_b64 s[24:25], s[24:25]
	s_cbranch_execnz .LBB110_280
.LBB110_68:
	s_or_b64 exec, exec, s[24:25]
	v_mov_b32_e32 v5, 0
	s_and_saveexec_b64 s[24:25], s[20:21]
.LBB110_69:
	v_lshrrev_b32_e32 v2, 24, v2
	s_movk_i32 s20, 0x80
	v_and_or_b32 v5, v2, s20, v3
.LBB110_70:
	s_or_b64 exec, exec, s[24:25]
.LBB110_71:
	s_or_b64 exec, exec, s[6:7]
	s_mov_b64 s[6:7], 0
	global_store_byte v[0:1], v5, off
.LBB110_72:
	s_and_b64 vcc, exec, s[6:7]
	s_cbranch_vccz .LBB110_82
; %bb.73:
	v_cvt_f32_i32_sdwa v2, sext(v4) dst_sel:DWORD dst_unused:UNUSED_PAD src0_sel:WORD_0
	s_mov_b32 s6, 0x43f00000
                                        ; implicit-def: $vgpr3
	v_and_b32_e32 v5, 0x7fffffff, v2
	v_cmp_gt_u32_e32 vcc, s6, v5
	s_and_saveexec_b64 s[6:7], vcc
	s_xor_b64 s[6:7], exec, s[6:7]
	s_cbranch_execz .LBB110_79
; %bb.74:
	s_mov_b32 s20, 0x3c7fffff
	v_cmp_lt_u32_e32 vcc, s20, v5
                                        ; implicit-def: $vgpr3
	s_and_saveexec_b64 s[20:21], vcc
	s_xor_b64 s[20:21], exec, s[20:21]
; %bb.75:
	v_bfe_u32 v3, v2, 20, 1
	s_mov_b32 s24, 0x407ffff
	v_add3_u32 v3, v2, v3, s24
	v_lshrrev_b32_e32 v5, 20, v3
	v_and_b32_e32 v3, 0xff00000, v3
	s_mov_b32 s24, 0x7f00000
	v_mov_b32_e32 v6, 0x7e
	v_cmp_ne_u32_e32 vcc, s24, v3
	v_cndmask_b32_e32 v3, v6, v5, vcc
; %bb.76:
	s_andn2_saveexec_b64 s[20:21], s[20:21]
; %bb.77:
	s_mov_b32 s24, 0x46800000
	v_add_f32_e64 v3, |v2|, s24
; %bb.78:
	s_or_b64 exec, exec, s[20:21]
                                        ; implicit-def: $vgpr5
.LBB110_79:
	s_andn2_saveexec_b64 s[6:7], s[6:7]
; %bb.80:
	s_mov_b32 s20, 0x7f800000
	v_mov_b32_e32 v3, 0x7e
	v_mov_b32_e32 v6, 0x7f
	v_cmp_lt_u32_e32 vcc, s20, v5
	v_cndmask_b32_e32 v3, v3, v6, vcc
; %bb.81:
	s_or_b64 exec, exec, s[6:7]
	v_lshrrev_b32_e32 v2, 24, v2
	s_movk_i32 s6, 0x80
	v_and_or_b32 v2, v2, s6, v3
	global_store_byte v[0:1], v2, off
.LBB110_82:
	s_mov_b64 s[6:7], 0
.LBB110_83:
	s_andn2_b64 vcc, exec, s[6:7]
	s_cbranch_vccnz .LBB110_93
; %bb.84:
	v_cvt_f32_i32_sdwa v2, sext(v4) dst_sel:DWORD dst_unused:UNUSED_PAD src0_sel:WORD_0
	s_mov_b32 s6, 0x47800000
                                        ; implicit-def: $vgpr3
	v_and_b32_e32 v5, 0x7fffffff, v2
	v_cmp_gt_u32_e32 vcc, s6, v5
	s_and_saveexec_b64 s[6:7], vcc
	s_xor_b64 s[6:7], exec, s[6:7]
	s_cbranch_execz .LBB110_90
; %bb.85:
	s_mov_b32 s20, 0x387fffff
	v_cmp_lt_u32_e32 vcc, s20, v5
                                        ; implicit-def: $vgpr3
	s_and_saveexec_b64 s[20:21], vcc
	s_xor_b64 s[20:21], exec, s[20:21]
; %bb.86:
	v_bfe_u32 v3, v2, 21, 1
	s_mov_b32 s24, 0x80fffff
	v_add3_u32 v3, v2, v3, s24
	v_lshrrev_b32_e32 v3, 21, v3
; %bb.87:
	s_andn2_saveexec_b64 s[20:21], s[20:21]
; %bb.88:
	s_mov_b32 s24, 0x43000000
	v_add_f32_e64 v3, |v2|, s24
; %bb.89:
	s_or_b64 exec, exec, s[20:21]
                                        ; implicit-def: $vgpr5
.LBB110_90:
	s_andn2_saveexec_b64 s[6:7], s[6:7]
; %bb.91:
	s_mov_b32 s20, 0x7f800000
	v_mov_b32_e32 v3, 0x7c
	v_mov_b32_e32 v6, 0x7f
	v_cmp_lt_u32_e32 vcc, s20, v5
	v_cndmask_b32_e32 v3, v3, v6, vcc
; %bb.92:
	s_or_b64 exec, exec, s[6:7]
	v_lshrrev_b32_e32 v2, 24, v2
	s_movk_i32 s6, 0x80
	v_and_or_b32 v2, v2, s6, v3
	global_store_byte v[0:1], v2, off
.LBB110_93:
	s_mov_b64 s[20:21], 0
	s_mov_b64 s[6:7], -1
.LBB110_94:
	s_andn2_b64 vcc, exec, s[20:21]
	s_cbranch_vccnz .LBB110_102
; %bb.95:
	s_cmp_gt_i32 s27, 14
	s_mov_b64 s[20:21], -1
	s_cbranch_scc0 .LBB110_99
; %bb.96:
	s_cmp_eq_u32 s27, 15
	s_mov_b64 s[0:1], -1
	s_cbranch_scc0 .LBB110_98
; %bb.97:
	v_cvt_f32_i32_sdwa v2, sext(v4) dst_sel:DWORD dst_unused:UNUSED_PAD src0_sel:WORD_0
	s_movk_i32 s0, 0x7fff
	s_mov_b64 s[6:7], -1
	v_bfe_u32 v3, v2, 16, 1
	v_add3_u32 v2, v2, v3, s0
	global_store_short_d16_hi v[0:1], v2, off
	s_mov_b64 s[0:1], 0
.LBB110_98:
	s_mov_b64 s[20:21], 0
.LBB110_99:
	s_and_b64 vcc, exec, s[20:21]
	s_cbranch_vccz .LBB110_102
; %bb.100:
	s_cmp_eq_u32 s27, 11
	s_mov_b64 s[0:1], -1
	s_cbranch_scc0 .LBB110_102
; %bb.101:
	v_cmp_ne_u16_e32 vcc, 0, v4
	v_cndmask_b32_e64 v2, 0, 1, vcc
	s_mov_b64 s[6:7], -1
	s_mov_b64 s[0:1], 0
	global_store_byte v[0:1], v2, off
.LBB110_102:
	s_branch .LBB110_20
.LBB110_103:
	s_and_b32 s20, 0xffff, s26
	s_cmp_lt_i32 s20, 5
	s_mov_b64 s[6:7], -1
	s_cbranch_scc1 .LBB110_124
; %bb.104:
	s_cmp_lt_i32 s20, 8
	s_cbranch_scc1 .LBB110_114
; %bb.105:
	s_cmp_lt_i32 s20, 9
	s_cbranch_scc1 .LBB110_111
; %bb.106:
	s_cmp_gt_i32 s20, 9
	s_cbranch_scc0 .LBB110_108
; %bb.107:
	v_bfe_i32 v2, v4, 0, 16
	v_cvt_f64_i32_e32 v[5:6], v2
	v_mov_b32_e32 v7, 0
	v_mov_b32_e32 v8, v7
	s_mov_b64 s[6:7], 0
	global_store_dwordx4 v[0:1], v[5:8], off
.LBB110_108:
	s_andn2_b64 vcc, exec, s[6:7]
	s_cbranch_vccnz .LBB110_110
; %bb.109:
	v_cvt_f32_i32_sdwa v2, sext(v4) dst_sel:DWORD dst_unused:UNUSED_PAD src0_sel:WORD_0
	v_mov_b32_e32 v3, 0
	global_store_dwordx2 v[0:1], v[2:3], off
.LBB110_110:
	s_mov_b64 s[6:7], 0
.LBB110_111:
	s_andn2_b64 vcc, exec, s[6:7]
	s_cbranch_vccnz .LBB110_113
; %bb.112:
	v_cvt_f16_i16_e32 v2, v4
	global_store_dword v[0:1], v2, off
.LBB110_113:
	s_mov_b64 s[6:7], 0
.LBB110_114:
	s_andn2_b64 vcc, exec, s[6:7]
	s_cbranch_vccnz .LBB110_123
; %bb.115:
	s_cmp_lt_i32 s20, 6
	s_mov_b64 s[6:7], -1
	s_cbranch_scc1 .LBB110_121
; %bb.116:
	s_cmp_gt_i32 s20, 6
	s_cbranch_scc0 .LBB110_118
; %bb.117:
	v_bfe_i32 v2, v4, 0, 16
	v_cvt_f64_i32_e32 v[2:3], v2
	s_mov_b64 s[6:7], 0
	global_store_dwordx2 v[0:1], v[2:3], off
.LBB110_118:
	s_andn2_b64 vcc, exec, s[6:7]
	s_cbranch_vccnz .LBB110_120
; %bb.119:
	v_cvt_f32_i32_sdwa v2, sext(v4) dst_sel:DWORD dst_unused:UNUSED_PAD src0_sel:WORD_0
	global_store_dword v[0:1], v2, off
.LBB110_120:
	s_mov_b64 s[6:7], 0
.LBB110_121:
	s_andn2_b64 vcc, exec, s[6:7]
	s_cbranch_vccnz .LBB110_123
; %bb.122:
	v_cvt_f16_i16_e32 v2, v4
	global_store_short v[0:1], v2, off
.LBB110_123:
	s_mov_b64 s[6:7], 0
.LBB110_124:
	s_andn2_b64 vcc, exec, s[6:7]
	s_cbranch_vccnz .LBB110_140
; %bb.125:
	s_cmp_lt_i32 s20, 2
	s_mov_b64 s[6:7], -1
	s_cbranch_scc1 .LBB110_135
; %bb.126:
	s_cmp_lt_i32 s20, 3
	s_cbranch_scc1 .LBB110_132
; %bb.127:
	s_cmp_gt_i32 s20, 3
	v_bfe_i32 v2, v4, 0, 16
	s_cbranch_scc0 .LBB110_129
; %bb.128:
	v_ashrrev_i32_e32 v3, 31, v2
	global_store_dwordx2 v[0:1], v[2:3], off
	s_mov_b64 s[6:7], 0
.LBB110_129:
	s_andn2_b64 vcc, exec, s[6:7]
	s_cbranch_vccnz .LBB110_131
; %bb.130:
	global_store_dword v[0:1], v2, off
.LBB110_131:
	s_mov_b64 s[6:7], 0
.LBB110_132:
	s_andn2_b64 vcc, exec, s[6:7]
	s_cbranch_vccnz .LBB110_134
; %bb.133:
	global_store_short v[0:1], v4, off
.LBB110_134:
	s_mov_b64 s[6:7], 0
.LBB110_135:
	s_andn2_b64 vcc, exec, s[6:7]
	s_cbranch_vccnz .LBB110_140
; %bb.136:
	s_cmp_gt_i32 s20, 0
	s_mov_b64 s[6:7], -1
	s_cbranch_scc0 .LBB110_138
; %bb.137:
	global_store_byte v[0:1], v4, off
	s_mov_b64 s[6:7], 0
.LBB110_138:
	s_andn2_b64 vcc, exec, s[6:7]
	s_cbranch_vccnz .LBB110_140
; %bb.139:
	global_store_byte v[0:1], v4, off
.LBB110_140:
	s_branch .LBB110_21
.LBB110_141:
	s_mov_b64 s[20:21], 0
                                        ; implicit-def: $vgpr9
	s_branch .LBB110_247
.LBB110_142:
	s_mov_b64 s[16:17], -1
                                        ; implicit-def: $vgpr2
.LBB110_143:
	s_mov_b64 s[6:7], 0
.LBB110_144:
	s_and_b64 vcc, exec, s[6:7]
	s_cbranch_vccz .LBB110_148
; %bb.145:
	s_cmp_eq_u32 s20, 29
	s_cbranch_scc0 .LBB110_147
; %bb.146:
	global_load_dwordx2 v[2:3], v[0:1], off
	s_mov_b64 s[0:1], -1
	s_mov_b64 s[16:17], 0
	s_branch .LBB110_148
.LBB110_147:
	s_mov_b64 s[16:17], -1
                                        ; implicit-def: $vgpr2
.LBB110_148:
	s_mov_b64 s[6:7], 0
.LBB110_149:
	s_and_b64 vcc, exec, s[6:7]
	s_cbranch_vccz .LBB110_165
; %bb.150:
	s_cmp_lt_i32 s20, 27
	s_cbranch_scc1 .LBB110_153
; %bb.151:
	s_cmp_gt_i32 s20, 27
	s_cbranch_scc0 .LBB110_154
; %bb.152:
	global_load_dword v2, v[0:1], off
	s_mov_b64 s[0:1], 0
	s_branch .LBB110_155
.LBB110_153:
	s_mov_b64 s[0:1], -1
                                        ; implicit-def: $vgpr2
	s_branch .LBB110_158
.LBB110_154:
	s_mov_b64 s[0:1], -1
                                        ; implicit-def: $vgpr2
.LBB110_155:
	s_andn2_b64 vcc, exec, s[0:1]
	s_cbranch_vccnz .LBB110_157
; %bb.156:
	global_load_ushort v2, v[0:1], off
.LBB110_157:
	s_mov_b64 s[0:1], 0
.LBB110_158:
	s_andn2_b64 vcc, exec, s[0:1]
	s_cbranch_vccnz .LBB110_164
; %bb.159:
	global_load_ubyte v3, v[0:1], off
	s_movk_i32 s0, 0x7f
	s_mov_b64 s[6:7], 0
	s_waitcnt vmcnt(0)
	v_cmp_lt_i16_e32 vcc, s0, v3
	s_and_saveexec_b64 s[0:1], vcc
	s_xor_b64 s[0:1], exec, s[0:1]
	s_cbranch_execz .LBB110_175
; %bb.160:
	s_movk_i32 s6, 0x80
	v_cmp_ne_u16_e32 vcc, s6, v3
	s_and_b64 s[6:7], vcc, exec
	s_andn2_saveexec_b64 s[0:1], s[0:1]
	s_cbranch_execnz .LBB110_176
.LBB110_161:
	s_or_b64 exec, exec, s[0:1]
	v_mov_b32_e32 v2, 0
	s_and_saveexec_b64 s[0:1], s[6:7]
	s_cbranch_execz .LBB110_163
.LBB110_162:
	v_lshlrev_b32_e32 v2, 24, v3
	v_and_b32_e32 v3, 0xffff, v3
	v_and_b32_e32 v4, 7, v3
	v_ffbh_u32_e32 v6, v4
	v_min_u32_e32 v6, 32, v6
	v_subrev_u32_e32 v7, 28, v6
	v_bfe_u32 v5, v3, 3, 4
	v_lshlrev_b32_e32 v3, v7, v3
	v_sub_u32_e32 v6, 29, v6
	v_and_b32_e32 v3, 7, v3
	v_cmp_eq_u32_e32 vcc, 0, v5
	v_cndmask_b32_e32 v5, v5, v6, vcc
	v_cndmask_b32_e32 v3, v4, v3, vcc
	v_mov_b32_e32 v4, 0x3b800000
	v_lshlrev_b32_e32 v3, 20, v3
	v_and_b32_e32 v2, 0x80000000, v2
	v_lshl_add_u32 v4, v5, 23, v4
	v_or3_b32 v2, v2, v4, v3
	v_cvt_i32_f32_e32 v2, v2
.LBB110_163:
	s_or_b64 exec, exec, s[0:1]
.LBB110_164:
	s_mov_b64 s[0:1], -1
.LBB110_165:
	s_branch .LBB110_198
.LBB110_166:
	s_cmp_gt_i32 s20, 22
	s_cbranch_scc0 .LBB110_174
; %bb.167:
	s_cmp_lt_i32 s20, 24
	s_cbranch_scc1 .LBB110_177
; %bb.168:
	s_cmp_gt_i32 s20, 24
	s_cbranch_scc0 .LBB110_178
; %bb.169:
	global_load_ubyte v3, v[0:1], off
	s_movk_i32 s0, 0x7f
	s_mov_b64 s[6:7], 0
	s_waitcnt vmcnt(0)
	v_cmp_lt_i16_e32 vcc, s0, v3
	s_and_saveexec_b64 s[0:1], vcc
	s_xor_b64 s[0:1], exec, s[0:1]
	s_cbranch_execz .LBB110_190
; %bb.170:
	s_movk_i32 s6, 0x80
	v_cmp_ne_u16_e32 vcc, s6, v3
	s_and_b64 s[6:7], vcc, exec
	s_andn2_saveexec_b64 s[0:1], s[0:1]
	s_cbranch_execnz .LBB110_191
.LBB110_171:
	s_or_b64 exec, exec, s[0:1]
	v_mov_b32_e32 v2, 0
	s_and_saveexec_b64 s[0:1], s[6:7]
	s_cbranch_execz .LBB110_173
.LBB110_172:
	v_lshlrev_b32_e32 v2, 24, v3
	v_and_b32_e32 v3, 0xffff, v3
	v_and_b32_e32 v4, 3, v3
	v_ffbh_u32_e32 v6, v4
	v_min_u32_e32 v6, 32, v6
	v_subrev_u32_e32 v7, 29, v6
	v_bfe_u32 v5, v3, 2, 5
	v_lshlrev_b32_e32 v3, v7, v3
	v_sub_u32_e32 v6, 30, v6
	v_and_b32_e32 v3, 3, v3
	v_cmp_eq_u32_e32 vcc, 0, v5
	v_cndmask_b32_e32 v5, v5, v6, vcc
	v_cndmask_b32_e32 v3, v4, v3, vcc
	v_mov_b32_e32 v4, 0x37800000
	v_lshlrev_b32_e32 v3, 21, v3
	v_and_b32_e32 v2, 0x80000000, v2
	v_lshl_add_u32 v4, v5, 23, v4
	v_or3_b32 v2, v2, v4, v3
	v_cvt_i32_f32_e32 v2, v2
.LBB110_173:
	s_or_b64 exec, exec, s[0:1]
	s_mov_b64 s[0:1], 0
	s_branch .LBB110_179
.LBB110_174:
	s_mov_b64 s[6:7], -1
                                        ; implicit-def: $vgpr2
	s_branch .LBB110_185
.LBB110_175:
	s_andn2_saveexec_b64 s[0:1], s[0:1]
	s_cbranch_execz .LBB110_161
.LBB110_176:
	v_cmp_ne_u16_e32 vcc, 0, v3
	s_andn2_b64 s[6:7], s[6:7], exec
	s_and_b64 s[24:25], vcc, exec
	s_or_b64 s[6:7], s[6:7], s[24:25]
	s_or_b64 exec, exec, s[0:1]
	v_mov_b32_e32 v2, 0
	s_and_saveexec_b64 s[0:1], s[6:7]
	s_cbranch_execnz .LBB110_162
	s_branch .LBB110_163
.LBB110_177:
	s_mov_b64 s[0:1], -1
                                        ; implicit-def: $vgpr2
	s_branch .LBB110_182
.LBB110_178:
	s_mov_b64 s[0:1], -1
                                        ; implicit-def: $vgpr2
.LBB110_179:
	s_and_b64 vcc, exec, s[0:1]
	s_cbranch_vccz .LBB110_181
; %bb.180:
	global_load_ubyte v2, v[0:1], off
	s_mov_b32 s0, 0x7f800000
	s_waitcnt vmcnt(0)
	v_lshlrev_b32_e32 v2, 24, v2
	v_and_b32_e32 v3, 0x7f000000, v2
	v_ffbh_u32_e32 v4, v3
	v_min_u32_e32 v4, 32, v4
	v_sub_u32_e64 v4, v4, 4 clamp
	v_lshlrev_b32_e32 v6, v4, v3
	v_lshlrev_b32_e32 v4, 23, v4
	v_lshrrev_b32_e32 v6, 4, v6
	v_add_u32_e32 v5, 0x1000000, v3
	v_sub_u32_e32 v4, v6, v4
	v_ashrrev_i32_e32 v5, 8, v5
	v_add_u32_e32 v4, 0x3c000000, v4
	v_and_or_b32 v4, v5, s0, v4
	v_cmp_ne_u32_e32 vcc, 0, v3
	v_cndmask_b32_e32 v3, 0, v4, vcc
	s_brev_b32 s0, 1
	v_and_or_b32 v2, v2, s0, v3
	v_cvt_i32_f32_e32 v2, v2
.LBB110_181:
	s_mov_b64 s[0:1], 0
.LBB110_182:
	s_andn2_b64 vcc, exec, s[0:1]
	s_cbranch_vccnz .LBB110_184
; %bb.183:
	global_load_ubyte v2, v[0:1], off
	s_movk_i32 s0, 0x7f00
	s_brev_b32 s1, 16
	s_waitcnt vmcnt(0)
	v_lshlrev_b16_e32 v3, 8, v2
	v_lshlrev_b32_e32 v2, 25, v2
	v_lshrrev_b32_e32 v4, 4, v2
	v_and_or_b32 v5, v3, s0, 0.5
	v_or_b32_e32 v4, 0x70000000, v4
	v_add_f32_e32 v5, -0.5, v5
	v_mul_f32_e32 v4, 0x7800000, v4
	v_cmp_gt_u32_e32 vcc, s1, v2
	v_bfe_i32 v3, v3, 0, 16
	v_cndmask_b32_e32 v2, v4, v5, vcc
	s_brev_b32 s0, 1
	v_and_or_b32 v2, v3, s0, v2
	v_cvt_i32_f32_e32 v2, v2
.LBB110_184:
	s_mov_b64 s[6:7], 0
	s_mov_b64 s[0:1], -1
.LBB110_185:
	s_andn2_b64 vcc, exec, s[6:7]
	s_cbranch_vccnz .LBB110_198
; %bb.186:
	s_cmp_gt_i32 s20, 14
	s_cbranch_scc0 .LBB110_189
; %bb.187:
	s_cmp_eq_u32 s20, 15
	s_cbranch_scc0 .LBB110_192
; %bb.188:
	global_load_ushort v2, v[0:1], off
	s_mov_b64 s[0:1], -1
	s_mov_b64 s[16:17], 0
	s_waitcnt vmcnt(0)
	v_lshlrev_b32_e32 v2, 16, v2
	v_cvt_i32_f32_e32 v2, v2
	s_branch .LBB110_193
.LBB110_189:
	s_mov_b64 s[6:7], -1
                                        ; implicit-def: $vgpr2
	s_branch .LBB110_194
.LBB110_190:
	s_andn2_saveexec_b64 s[0:1], s[0:1]
	s_cbranch_execz .LBB110_171
.LBB110_191:
	v_cmp_ne_u16_e32 vcc, 0, v3
	s_andn2_b64 s[6:7], s[6:7], exec
	s_and_b64 s[24:25], vcc, exec
	s_or_b64 s[6:7], s[6:7], s[24:25]
	s_or_b64 exec, exec, s[0:1]
	v_mov_b32_e32 v2, 0
	s_and_saveexec_b64 s[0:1], s[6:7]
	s_cbranch_execnz .LBB110_172
	s_branch .LBB110_173
.LBB110_192:
	s_mov_b64 s[16:17], -1
                                        ; implicit-def: $vgpr2
.LBB110_193:
	s_mov_b64 s[6:7], 0
.LBB110_194:
	s_and_b64 vcc, exec, s[6:7]
	s_cbranch_vccz .LBB110_198
; %bb.195:
	s_cmp_eq_u32 s20, 11
	s_cbranch_scc0 .LBB110_197
; %bb.196:
	global_load_ubyte v2, v[0:1], off
	s_mov_b64 s[0:1], -1
	s_mov_b64 s[16:17], 0
	s_waitcnt vmcnt(0)
	v_cmp_ne_u16_e32 vcc, 0, v2
	v_cndmask_b32_e64 v2, 0, 1, vcc
	s_branch .LBB110_198
.LBB110_197:
	s_mov_b64 s[16:17], -1
                                        ; implicit-def: $vgpr2
.LBB110_198:
	s_branch .LBB110_10
.LBB110_199:
	s_cmp_lt_i32 s20, 5
	s_cbranch_scc1 .LBB110_204
; %bb.200:
	s_cmp_lt_i32 s20, 8
	s_cbranch_scc1 .LBB110_205
; %bb.201:
	;; [unrolled: 3-line block ×3, first 2 shown]
	s_cmp_gt_i32 s20, 9
	s_cbranch_scc0 .LBB110_207
; %bb.203:
	global_load_dwordx2 v[2:3], v[0:1], off
	s_mov_b64 s[0:1], 0
	s_waitcnt vmcnt(0)
	v_cvt_i32_f64_e32 v2, v[2:3]
	s_branch .LBB110_208
.LBB110_204:
                                        ; implicit-def: $vgpr2
	s_branch .LBB110_226
.LBB110_205:
	s_mov_b64 s[0:1], -1
                                        ; implicit-def: $vgpr2
	s_branch .LBB110_214
.LBB110_206:
	s_mov_b64 s[0:1], -1
                                        ; implicit-def: $vgpr2
	s_branch .LBB110_211
.LBB110_207:
	s_mov_b64 s[0:1], -1
                                        ; implicit-def: $vgpr2
.LBB110_208:
	s_andn2_b64 vcc, exec, s[0:1]
	s_cbranch_vccnz .LBB110_210
; %bb.209:
	global_load_dword v2, v[0:1], off
	s_waitcnt vmcnt(0)
	v_cvt_i32_f32_e32 v2, v2
.LBB110_210:
	s_mov_b64 s[0:1], 0
.LBB110_211:
	s_andn2_b64 vcc, exec, s[0:1]
	s_cbranch_vccnz .LBB110_213
; %bb.212:
	global_load_dword v2, v[0:1], off
	s_waitcnt vmcnt(0)
	v_cvt_i16_f16_e32 v2, v2
.LBB110_213:
	s_mov_b64 s[0:1], 0
.LBB110_214:
	s_andn2_b64 vcc, exec, s[0:1]
	s_cbranch_vccnz .LBB110_225
; %bb.215:
	s_cmp_lt_i32 s20, 6
	s_cbranch_scc1 .LBB110_218
; %bb.216:
	s_cmp_gt_i32 s20, 6
	s_cbranch_scc0 .LBB110_219
; %bb.217:
	global_load_dwordx2 v[2:3], v[0:1], off
	s_mov_b64 s[0:1], 0
	s_waitcnt vmcnt(0)
	v_cvt_i32_f64_e32 v2, v[2:3]
	s_branch .LBB110_220
.LBB110_218:
	s_mov_b64 s[0:1], -1
                                        ; implicit-def: $vgpr2
	s_branch .LBB110_223
.LBB110_219:
	s_mov_b64 s[0:1], -1
                                        ; implicit-def: $vgpr2
.LBB110_220:
	s_andn2_b64 vcc, exec, s[0:1]
	s_cbranch_vccnz .LBB110_222
; %bb.221:
	global_load_dword v2, v[0:1], off
	s_waitcnt vmcnt(0)
	v_cvt_i32_f32_e32 v2, v2
.LBB110_222:
	s_mov_b64 s[0:1], 0
.LBB110_223:
	s_andn2_b64 vcc, exec, s[0:1]
	s_cbranch_vccnz .LBB110_225
; %bb.224:
	global_load_ushort v2, v[0:1], off
	s_waitcnt vmcnt(0)
	v_cvt_i16_f16_e32 v2, v2
.LBB110_225:
	s_cbranch_execnz .LBB110_245
.LBB110_226:
	s_cmp_lt_i32 s20, 2
	s_cbranch_scc1 .LBB110_230
; %bb.227:
	s_cmp_lt_i32 s20, 3
	s_cbranch_scc1 .LBB110_231
; %bb.228:
	s_cmp_gt_i32 s20, 3
	s_cbranch_scc0 .LBB110_232
; %bb.229:
	global_load_dwordx2 v[2:3], v[0:1], off
	s_mov_b64 s[0:1], 0
	s_branch .LBB110_233
.LBB110_230:
	s_mov_b64 s[0:1], -1
                                        ; implicit-def: $vgpr2
	s_branch .LBB110_239
.LBB110_231:
	s_mov_b64 s[0:1], -1
                                        ; implicit-def: $vgpr2
	s_branch .LBB110_236
.LBB110_232:
	s_mov_b64 s[0:1], -1
                                        ; implicit-def: $vgpr2
.LBB110_233:
	s_andn2_b64 vcc, exec, s[0:1]
	s_cbranch_vccnz .LBB110_235
; %bb.234:
	global_load_dword v2, v[0:1], off
.LBB110_235:
	s_mov_b64 s[0:1], 0
.LBB110_236:
	s_andn2_b64 vcc, exec, s[0:1]
	s_cbranch_vccnz .LBB110_238
; %bb.237:
	global_load_ushort v2, v[0:1], off
.LBB110_238:
	s_mov_b64 s[0:1], 0
.LBB110_239:
	s_andn2_b64 vcc, exec, s[0:1]
	s_cbranch_vccnz .LBB110_245
; %bb.240:
	s_cmp_gt_i32 s20, 0
	s_cbranch_scc0 .LBB110_242
; %bb.241:
	global_load_sbyte v2, v[0:1], off
	s_mov_b64 s[0:1], 0
	s_branch .LBB110_243
.LBB110_242:
	s_mov_b64 s[0:1], -1
                                        ; implicit-def: $vgpr2
.LBB110_243:
	s_andn2_b64 vcc, exec, s[0:1]
	s_cbranch_vccnz .LBB110_245
; %bb.244:
	global_load_ubyte v2, v[0:1], off
.LBB110_245:
	s_branch .LBB110_11
.LBB110_246:
	s_mov_b64 s[0:1], 0
                                        ; implicit-def: $vgpr9
	s_mov_b64 s[20:21], 0
.LBB110_247:
	s_and_b64 s[6:7], s[0:1], exec
	s_and_b64 s[16:17], s[16:17], exec
	s_orn2_b64 s[20:21], s[20:21], exec
.LBB110_248:
	s_or_b64 exec, exec, s[18:19]
	s_mov_b64 s[24:25], 0
	s_mov_b64 s[0:1], 0
                                        ; implicit-def: $vgpr0_vgpr1
                                        ; implicit-def: $vgpr2
	s_and_saveexec_b64 s[18:19], s[20:21]
	s_cbranch_execz .LBB110_257
; %bb.249:
	v_cmp_gt_i32_e32 vcc, s40, v9
	s_mov_b64 s[0:1], -1
	s_mov_b64 s[20:21], s[16:17]
	s_mov_b64 s[22:23], s[6:7]
	s_and_saveexec_b64 s[24:25], vcc
	s_cbranch_execz .LBB110_505
; %bb.250:
	v_mul_lo_u32 v0, v9, s13
	v_mov_b32_e32 v1, s11
	s_and_b32 s26, 0xffff, s45
	s_cmp_lt_i32 s26, 11
	s_waitcnt vmcnt(0)
	v_ashrrev_i32_e32 v2, 31, v0
	v_add_co_u32_e32 v0, vcc, s10, v0
	v_addc_co_u32_e32 v1, vcc, v1, v2, vcc
	s_cbranch_scc1 .LBB110_260
; %bb.251:
	s_cmp_gt_i32 s26, 25
	s_cbranch_scc0 .LBB110_269
; %bb.252:
	s_cmp_gt_i32 s26, 28
	s_cbranch_scc0 .LBB110_271
	;; [unrolled: 3-line block ×4, first 2 shown]
; %bb.255:
	s_cmp_eq_u32 s26, 46
	s_mov_b64 s[22:23], 0
	s_cbranch_scc0 .LBB110_281
; %bb.256:
	global_load_dword v2, v[0:1], off
	s_mov_b64 s[20:21], 0
	s_waitcnt vmcnt(0)
	v_lshlrev_b32_e32 v2, 16, v2
	v_cvt_i32_f32_e32 v2, v2
	s_branch .LBB110_282
.LBB110_257:
	s_or_b64 exec, exec, s[18:19]
	s_mov_b64 s[18:19], 0
	s_and_saveexec_b64 s[20:21], s[16:17]
	s_cbranch_execnz .LBB110_843
.LBB110_258:
	s_or_b64 exec, exec, s[20:21]
	s_and_saveexec_b64 s[16:17], s[22:23]
	s_xor_b64 s[16:17], exec, s[16:17]
	s_cbranch_execz .LBB110_844
.LBB110_259:
	global_load_ubyte v2, v[0:1], off
	s_or_b64 s[0:1], s[0:1], exec
	s_waitcnt vmcnt(0)
	v_cmp_ne_u16_e32 vcc, 0, v2
	v_cndmask_b32_e64 v2, 0, 1, vcc
	s_or_b64 exec, exec, s[16:17]
	s_and_saveexec_b64 s[16:17], s[24:25]
	s_cbranch_execz .LBB110_890
	s_branch .LBB110_845
.LBB110_260:
	s_mov_b64 s[0:1], 0
                                        ; implicit-def: $vgpr2
	s_mov_b64 s[20:21], s[16:17]
	s_cbranch_execnz .LBB110_455
.LBB110_261:
	s_andn2_b64 vcc, exec, s[0:1]
	s_cbranch_vccnz .LBB110_503
.LBB110_262:
	v_mul_lo_u32 v1, v9, s12
	v_mov_b32_e32 v0, s33
	s_waitcnt vmcnt(0)
	v_mov_b32_e32 v3, s15
	v_cmp_lt_i16_e32 vcc, s14, v2
	v_cndmask_b32_e32 v4, v0, v3, vcc
	v_ashrrev_i32_e32 v2, 31, v1
	v_mov_b32_e32 v3, s9
	s_and_b32 s30, s44, 0xff
	v_add_co_u32_e32 v0, vcc, s8, v1
	s_cmp_lt_i32 s30, 11
	v_addc_co_u32_e32 v1, vcc, v3, v2, vcc
	s_cbranch_scc1 .LBB110_270
; %bb.263:
	s_and_b32 s31, 0xffff, s30
	s_cmp_gt_i32 s31, 25
	s_cbranch_scc0 .LBB110_272
; %bb.264:
	s_cmp_gt_i32 s31, 28
	s_cbranch_scc0 .LBB110_274
; %bb.265:
	;; [unrolled: 3-line block ×4, first 2 shown]
	s_mov_b64 s[26:27], 0
	s_mov_b64 s[0:1], -1
	s_cmp_eq_u32 s31, 46
	s_mov_b64 s[22:23], 0
	s_cbranch_scc0 .LBB110_286
; %bb.268:
	v_cvt_f32_i32_sdwa v2, sext(v4) dst_sel:DWORD dst_unused:UNUSED_PAD src0_sel:WORD_0
	s_movk_i32 s0, 0x7fff
	s_mov_b64 s[22:23], -1
	v_bfe_u32 v3, v2, 16, 1
	v_add3_u32 v2, v2, v3, s0
	v_lshrrev_b32_e32 v2, 16, v2
	global_store_dword v[0:1], v2, off
	s_mov_b64 s[0:1], 0
	s_branch .LBB110_286
.LBB110_269:
	s_mov_b64 s[22:23], -1
	s_mov_b64 s[0:1], 0
	s_mov_b64 s[20:21], s[16:17]
                                        ; implicit-def: $vgpr2
	s_branch .LBB110_421
.LBB110_270:
	s_mov_b64 s[26:27], -1
	s_mov_b64 s[22:23], 0
	s_mov_b64 s[0:1], s[6:7]
	s_branch .LBB110_355
.LBB110_271:
	s_mov_b64 s[22:23], -1
	s_mov_b64 s[0:1], 0
	s_mov_b64 s[20:21], s[16:17]
                                        ; implicit-def: $vgpr2
	s_branch .LBB110_404
.LBB110_272:
	s_mov_b64 s[26:27], -1
	s_mov_b64 s[22:23], 0
	s_mov_b64 s[0:1], s[6:7]
	s_branch .LBB110_313
.LBB110_273:
	s_mov_b64 s[22:23], -1
	s_mov_b64 s[0:1], 0
	s_mov_b64 s[20:21], s[16:17]
                                        ; implicit-def: $vgpr2
	s_branch .LBB110_399
.LBB110_274:
	s_mov_b64 s[26:27], -1
	s_mov_b64 s[22:23], 0
	s_mov_b64 s[0:1], s[6:7]
	s_branch .LBB110_296
.LBB110_275:
	s_andn2_saveexec_b64 s[24:25], s[24:25]
	s_cbranch_execz .LBB110_55
.LBB110_276:
	s_mov_b32 s28, 0x46000000
	v_add_f32_e64 v3, |v2|, s28
	v_and_b32_e32 v3, 0xff, v3
	v_cmp_ne_u32_e32 vcc, 0, v3
	s_andn2_b64 s[20:21], s[20:21], exec
	s_and_b64 s[28:29], vcc, exec
	s_or_b64 s[20:21], s[20:21], s[28:29]
	s_or_b64 exec, exec, s[24:25]
	v_mov_b32_e32 v5, 0
	s_and_saveexec_b64 s[24:25], s[20:21]
	s_cbranch_execnz .LBB110_56
	s_branch .LBB110_57
.LBB110_277:
	s_mov_b64 s[22:23], -1
	s_mov_b64 s[0:1], 0
	s_mov_b64 s[20:21], s[16:17]
                                        ; implicit-def: $vgpr2
	s_branch .LBB110_282
.LBB110_278:
	s_mov_b64 s[26:27], -1
	s_mov_b64 s[22:23], 0
	s_mov_b64 s[0:1], s[6:7]
	s_branch .LBB110_292
.LBB110_279:
	s_andn2_saveexec_b64 s[24:25], s[24:25]
	s_cbranch_execz .LBB110_68
.LBB110_280:
	s_mov_b32 s28, 0x42800000
	v_add_f32_e64 v3, |v2|, s28
	v_and_b32_e32 v3, 0xff, v3
	v_cmp_ne_u32_e32 vcc, 0, v3
	s_andn2_b64 s[20:21], s[20:21], exec
	s_and_b64 s[28:29], vcc, exec
	s_or_b64 s[20:21], s[20:21], s[28:29]
	s_or_b64 exec, exec, s[24:25]
	v_mov_b32_e32 v5, 0
	s_and_saveexec_b64 s[24:25], s[20:21]
	s_cbranch_execnz .LBB110_69
	s_branch .LBB110_70
.LBB110_281:
	s_mov_b64 s[20:21], -1
                                        ; implicit-def: $vgpr2
	s_mov_b64 s[0:1], 0
.LBB110_282:
	s_and_b64 vcc, exec, s[22:23]
	s_cbranch_vccz .LBB110_398
; %bb.283:
	s_cmp_eq_u32 s26, 44
	s_cbranch_scc0 .LBB110_397
; %bb.284:
	global_load_ubyte v2, v[0:1], off
	s_mov_b64 s[0:1], -1
	s_mov_b64 s[20:21], 0
	s_waitcnt vmcnt(0)
	v_lshlrev_b32_e32 v3, 23, v2
	v_cvt_i32_f32_e32 v3, v3
	v_cmp_ne_u32_e32 vcc, 0, v2
	v_cndmask_b32_e32 v2, 0, v3, vcc
	s_branch .LBB110_398
.LBB110_285:
	s_mov_b64 s[26:27], -1
	s_mov_b64 s[22:23], 0
	s_mov_b64 s[0:1], s[6:7]
.LBB110_286:
	s_and_b64 vcc, exec, s[26:27]
	s_cbranch_vccz .LBB110_291
; %bb.287:
	s_cmp_eq_u32 s31, 44
	s_mov_b64 s[0:1], -1
	s_cbranch_scc0 .LBB110_291
; %bb.288:
	v_cvt_f32_i32_sdwa v2, sext(v4) dst_sel:DWORD dst_unused:UNUSED_PAD src0_sel:WORD_0
	s_movk_i32 s0, 0xff
	v_mov_b32_e32 v5, 0xff
	v_bfe_u32 v3, v2, 23, 8
	v_cmp_ne_u32_e32 vcc, s0, v3
	s_and_saveexec_b64 s[22:23], vcc
; %bb.289:
	s_mov_b32 s0, 0x3fffff
	v_lshrrev_b32_e32 v5, 23, v2
	v_and_b32_e32 v6, 0x400000, v2
	v_and_or_b32 v2, v2, s0, v3
	v_cmp_ne_u32_e32 vcc, 0, v6
	v_cmp_ne_u32_e64 s[0:1], 0, v2
	s_and_b64 s[0:1], vcc, s[0:1]
	v_cndmask_b32_e64 v2, 0, 1, s[0:1]
	v_add_u32_e32 v5, v5, v2
; %bb.290:
	s_or_b64 exec, exec, s[22:23]
	s_mov_b64 s[22:23], -1
	s_mov_b64 s[0:1], 0
	global_store_byte v[0:1], v5, off
.LBB110_291:
	s_mov_b64 s[26:27], 0
.LBB110_292:
	s_and_b64 vcc, exec, s[26:27]
	s_cbranch_vccz .LBB110_295
; %bb.293:
	s_cmp_eq_u32 s31, 29
	s_mov_b64 s[0:1], -1
	s_cbranch_scc0 .LBB110_295
; %bb.294:
	v_bfe_i32 v2, v4, 0, 16
	v_ashrrev_i32_e32 v3, 31, v2
	global_store_dwordx2 v[0:1], v[2:3], off
	s_mov_b64 s[22:23], -1
	s_mov_b64 s[0:1], 0
.LBB110_295:
	s_mov_b64 s[26:27], 0
.LBB110_296:
	s_and_b64 vcc, exec, s[26:27]
	s_cbranch_vccz .LBB110_312
; %bb.297:
	s_cmp_lt_i32 s31, 27
	s_mov_b64 s[22:23], -1
	s_cbranch_scc1 .LBB110_303
; %bb.298:
	s_cmp_gt_i32 s31, 27
	s_cbranch_scc0 .LBB110_300
; %bb.299:
	v_bfe_i32 v2, v4, 0, 16
	s_mov_b64 s[22:23], 0
	global_store_dword v[0:1], v2, off
.LBB110_300:
	s_andn2_b64 vcc, exec, s[22:23]
	s_cbranch_vccnz .LBB110_302
; %bb.301:
	global_store_short v[0:1], v4, off
.LBB110_302:
	s_mov_b64 s[22:23], 0
.LBB110_303:
	s_andn2_b64 vcc, exec, s[22:23]
	s_cbranch_vccnz .LBB110_311
; %bb.304:
	v_cvt_f32_i32_sdwa v2, sext(v4) dst_sel:DWORD dst_unused:UNUSED_PAD src0_sel:WORD_0
	s_mov_b32 s22, 0x43800000
	v_mov_b32_e32 v5, 0x80
	v_and_b32_e32 v3, 0x7fffffff, v2
	v_cmp_gt_u32_e32 vcc, s22, v3
	s_and_saveexec_b64 s[22:23], vcc
	s_cbranch_execz .LBB110_310
; %bb.305:
	s_mov_b32 s26, 0x3bffffff
	v_cmp_lt_u32_e32 vcc, s26, v3
	s_mov_b64 s[26:27], 0
                                        ; implicit-def: $vgpr3
	s_and_saveexec_b64 s[28:29], vcc
	s_xor_b64 s[28:29], exec, s[28:29]
	s_cbranch_execz .LBB110_518
; %bb.306:
	v_bfe_u32 v3, v2, 20, 1
	s_mov_b32 s34, 0x487ffff
	v_add3_u32 v3, v2, v3, s34
	s_mov_b64 s[26:27], exec
	v_lshrrev_b32_e32 v3, 20, v3
	s_andn2_saveexec_b64 s[28:29], s[28:29]
	s_cbranch_execnz .LBB110_519
.LBB110_307:
	s_or_b64 exec, exec, s[28:29]
	v_mov_b32_e32 v5, 0
	s_and_saveexec_b64 s[28:29], s[26:27]
.LBB110_308:
	v_lshrrev_b32_e32 v2, 24, v2
	s_movk_i32 s26, 0x80
	v_and_or_b32 v5, v2, s26, v3
.LBB110_309:
	s_or_b64 exec, exec, s[28:29]
.LBB110_310:
	s_or_b64 exec, exec, s[22:23]
	global_store_byte v[0:1], v5, off
.LBB110_311:
	s_mov_b64 s[22:23], -1
.LBB110_312:
	s_mov_b64 s[26:27], 0
.LBB110_313:
	s_and_b64 vcc, exec, s[26:27]
	s_cbranch_vccz .LBB110_354
; %bb.314:
	s_cmp_gt_i32 s31, 22
	s_mov_b64 s[26:27], -1
	s_cbranch_scc0 .LBB110_346
; %bb.315:
	s_cmp_lt_i32 s31, 24
	s_mov_b64 s[22:23], -1
	s_cbranch_scc1 .LBB110_335
; %bb.316:
	s_cmp_gt_i32 s31, 24
	s_cbranch_scc0 .LBB110_324
; %bb.317:
	v_cvt_f32_i32_sdwa v2, sext(v4) dst_sel:DWORD dst_unused:UNUSED_PAD src0_sel:WORD_0
	s_mov_b32 s22, 0x47800000
	v_mov_b32_e32 v5, 0x80
	v_and_b32_e32 v3, 0x7fffffff, v2
	v_cmp_gt_u32_e32 vcc, s22, v3
	s_and_saveexec_b64 s[22:23], vcc
	s_cbranch_execz .LBB110_323
; %bb.318:
	s_mov_b32 s26, 0x37ffffff
	v_cmp_lt_u32_e32 vcc, s26, v3
	s_mov_b64 s[26:27], 0
                                        ; implicit-def: $vgpr3
	s_and_saveexec_b64 s[28:29], vcc
	s_xor_b64 s[28:29], exec, s[28:29]
	s_cbranch_execz .LBB110_521
; %bb.319:
	v_bfe_u32 v3, v2, 21, 1
	s_mov_b32 s34, 0x88fffff
	v_add3_u32 v3, v2, v3, s34
	s_mov_b64 s[26:27], exec
	v_lshrrev_b32_e32 v3, 21, v3
	s_andn2_saveexec_b64 s[28:29], s[28:29]
	s_cbranch_execnz .LBB110_522
.LBB110_320:
	s_or_b64 exec, exec, s[28:29]
	v_mov_b32_e32 v5, 0
	s_and_saveexec_b64 s[28:29], s[26:27]
.LBB110_321:
	v_lshrrev_b32_e32 v2, 24, v2
	s_movk_i32 s26, 0x80
	v_and_or_b32 v5, v2, s26, v3
.LBB110_322:
	s_or_b64 exec, exec, s[28:29]
.LBB110_323:
	s_or_b64 exec, exec, s[22:23]
	s_mov_b64 s[22:23], 0
	global_store_byte v[0:1], v5, off
.LBB110_324:
	s_and_b64 vcc, exec, s[22:23]
	s_cbranch_vccz .LBB110_334
; %bb.325:
	v_cvt_f32_i32_sdwa v2, sext(v4) dst_sel:DWORD dst_unused:UNUSED_PAD src0_sel:WORD_0
	s_mov_b32 s22, 0x43f00000
                                        ; implicit-def: $vgpr3
	v_and_b32_e32 v5, 0x7fffffff, v2
	v_cmp_gt_u32_e32 vcc, s22, v5
	s_and_saveexec_b64 s[22:23], vcc
	s_xor_b64 s[22:23], exec, s[22:23]
	s_cbranch_execz .LBB110_331
; %bb.326:
	s_mov_b32 s26, 0x3c7fffff
	v_cmp_lt_u32_e32 vcc, s26, v5
                                        ; implicit-def: $vgpr3
	s_and_saveexec_b64 s[26:27], vcc
	s_xor_b64 s[26:27], exec, s[26:27]
; %bb.327:
	v_bfe_u32 v3, v2, 20, 1
	s_mov_b32 s28, 0x407ffff
	v_add3_u32 v3, v2, v3, s28
	v_lshrrev_b32_e32 v5, 20, v3
	v_and_b32_e32 v3, 0xff00000, v3
	s_mov_b32 s28, 0x7f00000
	v_mov_b32_e32 v6, 0x7e
	v_cmp_ne_u32_e32 vcc, s28, v3
	v_cndmask_b32_e32 v3, v6, v5, vcc
; %bb.328:
	s_andn2_saveexec_b64 s[26:27], s[26:27]
; %bb.329:
	s_mov_b32 s28, 0x46800000
	v_add_f32_e64 v3, |v2|, s28
; %bb.330:
	s_or_b64 exec, exec, s[26:27]
                                        ; implicit-def: $vgpr5
.LBB110_331:
	s_andn2_saveexec_b64 s[22:23], s[22:23]
; %bb.332:
	s_mov_b32 s26, 0x7f800000
	v_mov_b32_e32 v3, 0x7e
	v_mov_b32_e32 v6, 0x7f
	v_cmp_lt_u32_e32 vcc, s26, v5
	v_cndmask_b32_e32 v3, v3, v6, vcc
; %bb.333:
	s_or_b64 exec, exec, s[22:23]
	v_lshrrev_b32_e32 v2, 24, v2
	s_movk_i32 s22, 0x80
	v_and_or_b32 v2, v2, s22, v3
	global_store_byte v[0:1], v2, off
.LBB110_334:
	s_mov_b64 s[22:23], 0
.LBB110_335:
	s_andn2_b64 vcc, exec, s[22:23]
	s_cbranch_vccnz .LBB110_345
; %bb.336:
	v_cvt_f32_i32_sdwa v2, sext(v4) dst_sel:DWORD dst_unused:UNUSED_PAD src0_sel:WORD_0
	s_mov_b32 s22, 0x47800000
                                        ; implicit-def: $vgpr3
	v_and_b32_e32 v5, 0x7fffffff, v2
	v_cmp_gt_u32_e32 vcc, s22, v5
	s_and_saveexec_b64 s[22:23], vcc
	s_xor_b64 s[22:23], exec, s[22:23]
	s_cbranch_execz .LBB110_342
; %bb.337:
	s_mov_b32 s26, 0x387fffff
	v_cmp_lt_u32_e32 vcc, s26, v5
                                        ; implicit-def: $vgpr3
	s_and_saveexec_b64 s[26:27], vcc
	s_xor_b64 s[26:27], exec, s[26:27]
; %bb.338:
	v_bfe_u32 v3, v2, 21, 1
	s_mov_b32 s28, 0x80fffff
	v_add3_u32 v3, v2, v3, s28
	v_lshrrev_b32_e32 v3, 21, v3
; %bb.339:
	s_andn2_saveexec_b64 s[26:27], s[26:27]
; %bb.340:
	s_mov_b32 s28, 0x43000000
	v_add_f32_e64 v3, |v2|, s28
; %bb.341:
	s_or_b64 exec, exec, s[26:27]
                                        ; implicit-def: $vgpr5
.LBB110_342:
	s_andn2_saveexec_b64 s[22:23], s[22:23]
; %bb.343:
	s_mov_b32 s26, 0x7f800000
	v_mov_b32_e32 v3, 0x7c
	v_mov_b32_e32 v6, 0x7f
	v_cmp_lt_u32_e32 vcc, s26, v5
	v_cndmask_b32_e32 v3, v3, v6, vcc
; %bb.344:
	s_or_b64 exec, exec, s[22:23]
	v_lshrrev_b32_e32 v2, 24, v2
	s_movk_i32 s22, 0x80
	v_and_or_b32 v2, v2, s22, v3
	global_store_byte v[0:1], v2, off
.LBB110_345:
	s_mov_b64 s[26:27], 0
	s_mov_b64 s[22:23], -1
.LBB110_346:
	s_andn2_b64 vcc, exec, s[26:27]
	s_cbranch_vccnz .LBB110_354
; %bb.347:
	s_cmp_gt_i32 s31, 14
	s_mov_b64 s[26:27], -1
	s_cbranch_scc0 .LBB110_351
; %bb.348:
	s_cmp_eq_u32 s31, 15
	s_mov_b64 s[0:1], -1
	s_cbranch_scc0 .LBB110_350
; %bb.349:
	v_cvt_f32_i32_sdwa v2, sext(v4) dst_sel:DWORD dst_unused:UNUSED_PAD src0_sel:WORD_0
	s_movk_i32 s0, 0x7fff
	s_mov_b64 s[22:23], -1
	v_bfe_u32 v3, v2, 16, 1
	v_add3_u32 v2, v2, v3, s0
	global_store_short_d16_hi v[0:1], v2, off
	s_mov_b64 s[0:1], 0
.LBB110_350:
	s_mov_b64 s[26:27], 0
.LBB110_351:
	s_and_b64 vcc, exec, s[26:27]
	s_cbranch_vccz .LBB110_354
; %bb.352:
	s_cmp_eq_u32 s31, 11
	s_mov_b64 s[0:1], -1
	s_cbranch_scc0 .LBB110_354
; %bb.353:
	v_cmp_ne_u16_e32 vcc, 0, v4
	v_cndmask_b32_e64 v2, 0, 1, vcc
	s_mov_b64 s[22:23], -1
	s_mov_b64 s[0:1], 0
	global_store_byte v[0:1], v2, off
.LBB110_354:
	s_mov_b64 s[26:27], 0
.LBB110_355:
	s_and_b64 vcc, exec, s[26:27]
	s_cbranch_vccz .LBB110_394
; %bb.356:
	s_and_b32 s26, 0xffff, s30
	s_cmp_lt_i32 s26, 5
	s_mov_b64 s[22:23], -1
	s_cbranch_scc1 .LBB110_377
; %bb.357:
	s_cmp_lt_i32 s26, 8
	s_cbranch_scc1 .LBB110_367
; %bb.358:
	s_cmp_lt_i32 s26, 9
	s_cbranch_scc1 .LBB110_364
; %bb.359:
	s_cmp_gt_i32 s26, 9
	s_cbranch_scc0 .LBB110_361
; %bb.360:
	v_bfe_i32 v2, v4, 0, 16
	v_cvt_f64_i32_e32 v[5:6], v2
	v_mov_b32_e32 v7, 0
	v_mov_b32_e32 v8, v7
	s_mov_b64 s[22:23], 0
	global_store_dwordx4 v[0:1], v[5:8], off
.LBB110_361:
	s_andn2_b64 vcc, exec, s[22:23]
	s_cbranch_vccnz .LBB110_363
; %bb.362:
	v_cvt_f32_i32_sdwa v2, sext(v4) dst_sel:DWORD dst_unused:UNUSED_PAD src0_sel:WORD_0
	v_mov_b32_e32 v3, 0
	global_store_dwordx2 v[0:1], v[2:3], off
.LBB110_363:
	s_mov_b64 s[22:23], 0
.LBB110_364:
	s_andn2_b64 vcc, exec, s[22:23]
	s_cbranch_vccnz .LBB110_366
; %bb.365:
	v_cvt_f16_i16_e32 v2, v4
	global_store_dword v[0:1], v2, off
.LBB110_366:
	s_mov_b64 s[22:23], 0
.LBB110_367:
	s_andn2_b64 vcc, exec, s[22:23]
	s_cbranch_vccnz .LBB110_376
; %bb.368:
	s_cmp_lt_i32 s26, 6
	s_mov_b64 s[22:23], -1
	s_cbranch_scc1 .LBB110_374
; %bb.369:
	s_cmp_gt_i32 s26, 6
	s_cbranch_scc0 .LBB110_371
; %bb.370:
	v_bfe_i32 v2, v4, 0, 16
	v_cvt_f64_i32_e32 v[2:3], v2
	s_mov_b64 s[22:23], 0
	global_store_dwordx2 v[0:1], v[2:3], off
.LBB110_371:
	s_andn2_b64 vcc, exec, s[22:23]
	s_cbranch_vccnz .LBB110_373
; %bb.372:
	v_cvt_f32_i32_sdwa v2, sext(v4) dst_sel:DWORD dst_unused:UNUSED_PAD src0_sel:WORD_0
	global_store_dword v[0:1], v2, off
.LBB110_373:
	s_mov_b64 s[22:23], 0
.LBB110_374:
	s_andn2_b64 vcc, exec, s[22:23]
	s_cbranch_vccnz .LBB110_376
; %bb.375:
	v_cvt_f16_i16_e32 v2, v4
	global_store_short v[0:1], v2, off
.LBB110_376:
	s_mov_b64 s[22:23], 0
.LBB110_377:
	s_andn2_b64 vcc, exec, s[22:23]
	s_cbranch_vccnz .LBB110_393
; %bb.378:
	s_cmp_lt_i32 s26, 2
	s_mov_b64 s[22:23], -1
	s_cbranch_scc1 .LBB110_388
; %bb.379:
	s_cmp_lt_i32 s26, 3
	s_cbranch_scc1 .LBB110_385
; %bb.380:
	s_cmp_gt_i32 s26, 3
	v_bfe_i32 v2, v4, 0, 16
	s_cbranch_scc0 .LBB110_382
; %bb.381:
	v_ashrrev_i32_e32 v3, 31, v2
	s_mov_b64 s[22:23], 0
	global_store_dwordx2 v[0:1], v[2:3], off
.LBB110_382:
	s_andn2_b64 vcc, exec, s[22:23]
	s_cbranch_vccnz .LBB110_384
; %bb.383:
	global_store_dword v[0:1], v2, off
.LBB110_384:
	s_mov_b64 s[22:23], 0
.LBB110_385:
	s_andn2_b64 vcc, exec, s[22:23]
	s_cbranch_vccnz .LBB110_387
; %bb.386:
	global_store_short v[0:1], v4, off
.LBB110_387:
	s_mov_b64 s[22:23], 0
.LBB110_388:
	s_andn2_b64 vcc, exec, s[22:23]
	s_cbranch_vccnz .LBB110_393
; %bb.389:
	s_cmp_gt_i32 s26, 0
	s_mov_b64 s[22:23], -1
	s_cbranch_scc0 .LBB110_391
; %bb.390:
	s_mov_b64 s[22:23], 0
	global_store_byte v[0:1], v4, off
.LBB110_391:
	s_andn2_b64 vcc, exec, s[22:23]
	s_cbranch_vccnz .LBB110_393
; %bb.392:
	global_store_byte v[0:1], v4, off
.LBB110_393:
	s_mov_b64 s[22:23], -1
.LBB110_394:
	s_andn2_b64 vcc, exec, s[22:23]
	s_cbranch_vccnz .LBB110_396
; %bb.395:
	v_add_u32_e32 v9, 0x80, v9
	s_mov_b64 s[26:27], -1
	s_branch .LBB110_504
.LBB110_396:
	s_mov_b64 s[26:27], 0
                                        ; implicit-def: $vgpr9
	s_branch .LBB110_504
.LBB110_397:
	s_mov_b64 s[20:21], -1
                                        ; implicit-def: $vgpr2
.LBB110_398:
	s_mov_b64 s[22:23], 0
.LBB110_399:
	s_and_b64 vcc, exec, s[22:23]
	s_cbranch_vccz .LBB110_403
; %bb.400:
	s_cmp_eq_u32 s26, 29
	s_cbranch_scc0 .LBB110_402
; %bb.401:
	global_load_dwordx2 v[2:3], v[0:1], off
	s_mov_b64 s[0:1], -1
	s_mov_b64 s[20:21], 0
	s_branch .LBB110_403
.LBB110_402:
	s_mov_b64 s[20:21], -1
                                        ; implicit-def: $vgpr2
.LBB110_403:
	s_mov_b64 s[22:23], 0
.LBB110_404:
	s_and_b64 vcc, exec, s[22:23]
	s_cbranch_vccz .LBB110_420
; %bb.405:
	s_cmp_lt_i32 s26, 27
	s_cbranch_scc1 .LBB110_408
; %bb.406:
	s_cmp_gt_i32 s26, 27
	s_cbranch_scc0 .LBB110_409
; %bb.407:
	global_load_dword v2, v[0:1], off
	s_mov_b64 s[0:1], 0
	s_branch .LBB110_410
.LBB110_408:
	s_mov_b64 s[0:1], -1
                                        ; implicit-def: $vgpr2
	s_branch .LBB110_413
.LBB110_409:
	s_mov_b64 s[0:1], -1
                                        ; implicit-def: $vgpr2
.LBB110_410:
	s_andn2_b64 vcc, exec, s[0:1]
	s_cbranch_vccnz .LBB110_412
; %bb.411:
	global_load_ushort v2, v[0:1], off
.LBB110_412:
	s_mov_b64 s[0:1], 0
.LBB110_413:
	s_andn2_b64 vcc, exec, s[0:1]
	s_cbranch_vccnz .LBB110_419
; %bb.414:
	global_load_ubyte v3, v[0:1], off
	s_movk_i32 s0, 0x7f
	s_mov_b64 s[22:23], 0
	s_waitcnt vmcnt(0)
	v_cmp_lt_i16_e32 vcc, s0, v3
	s_and_saveexec_b64 s[0:1], vcc
	s_xor_b64 s[0:1], exec, s[0:1]
	s_cbranch_execz .LBB110_431
; %bb.415:
	s_movk_i32 s22, 0x80
	v_cmp_ne_u16_e32 vcc, s22, v3
	s_and_b64 s[22:23], vcc, exec
	s_andn2_saveexec_b64 s[0:1], s[0:1]
	s_cbranch_execnz .LBB110_432
.LBB110_416:
	s_or_b64 exec, exec, s[0:1]
	v_mov_b32_e32 v2, 0
	s_and_saveexec_b64 s[0:1], s[22:23]
	s_cbranch_execz .LBB110_418
.LBB110_417:
	v_lshlrev_b32_e32 v2, 24, v3
	v_and_b32_e32 v3, 0xffff, v3
	v_and_b32_e32 v4, 7, v3
	v_ffbh_u32_e32 v6, v4
	v_min_u32_e32 v6, 32, v6
	v_subrev_u32_e32 v7, 28, v6
	v_bfe_u32 v5, v3, 3, 4
	v_lshlrev_b32_e32 v3, v7, v3
	v_sub_u32_e32 v6, 29, v6
	v_and_b32_e32 v3, 7, v3
	v_cmp_eq_u32_e32 vcc, 0, v5
	v_cndmask_b32_e32 v5, v5, v6, vcc
	v_cndmask_b32_e32 v3, v4, v3, vcc
	v_mov_b32_e32 v4, 0x3b800000
	v_lshlrev_b32_e32 v3, 20, v3
	v_and_b32_e32 v2, 0x80000000, v2
	v_lshl_add_u32 v4, v5, 23, v4
	v_or3_b32 v2, v2, v4, v3
	v_cvt_i32_f32_e32 v2, v2
.LBB110_418:
	s_or_b64 exec, exec, s[0:1]
.LBB110_419:
	s_mov_b64 s[0:1], -1
.LBB110_420:
	s_mov_b64 s[22:23], 0
.LBB110_421:
	s_and_b64 vcc, exec, s[22:23]
	s_cbranch_vccz .LBB110_454
; %bb.422:
	s_cmp_gt_i32 s26, 22
	s_cbranch_scc0 .LBB110_430
; %bb.423:
	s_cmp_lt_i32 s26, 24
	s_cbranch_scc1 .LBB110_433
; %bb.424:
	s_cmp_gt_i32 s26, 24
	s_cbranch_scc0 .LBB110_434
; %bb.425:
	global_load_ubyte v3, v[0:1], off
	s_movk_i32 s0, 0x7f
	s_mov_b64 s[22:23], 0
	s_waitcnt vmcnt(0)
	v_cmp_lt_i16_e32 vcc, s0, v3
	s_and_saveexec_b64 s[0:1], vcc
	s_xor_b64 s[0:1], exec, s[0:1]
	s_cbranch_execz .LBB110_446
; %bb.426:
	s_movk_i32 s22, 0x80
	v_cmp_ne_u16_e32 vcc, s22, v3
	s_and_b64 s[22:23], vcc, exec
	s_andn2_saveexec_b64 s[0:1], s[0:1]
	s_cbranch_execnz .LBB110_447
.LBB110_427:
	s_or_b64 exec, exec, s[0:1]
	v_mov_b32_e32 v2, 0
	s_and_saveexec_b64 s[0:1], s[22:23]
	s_cbranch_execz .LBB110_429
.LBB110_428:
	v_lshlrev_b32_e32 v2, 24, v3
	v_and_b32_e32 v3, 0xffff, v3
	v_and_b32_e32 v4, 3, v3
	v_ffbh_u32_e32 v6, v4
	v_min_u32_e32 v6, 32, v6
	v_subrev_u32_e32 v7, 29, v6
	v_bfe_u32 v5, v3, 2, 5
	v_lshlrev_b32_e32 v3, v7, v3
	v_sub_u32_e32 v6, 30, v6
	v_and_b32_e32 v3, 3, v3
	v_cmp_eq_u32_e32 vcc, 0, v5
	v_cndmask_b32_e32 v5, v5, v6, vcc
	v_cndmask_b32_e32 v3, v4, v3, vcc
	v_mov_b32_e32 v4, 0x37800000
	v_lshlrev_b32_e32 v3, 21, v3
	v_and_b32_e32 v2, 0x80000000, v2
	v_lshl_add_u32 v4, v5, 23, v4
	v_or3_b32 v2, v2, v4, v3
	v_cvt_i32_f32_e32 v2, v2
.LBB110_429:
	s_or_b64 exec, exec, s[0:1]
	s_mov_b64 s[0:1], 0
	s_branch .LBB110_435
.LBB110_430:
	s_mov_b64 s[22:23], -1
                                        ; implicit-def: $vgpr2
	s_branch .LBB110_441
.LBB110_431:
	s_andn2_saveexec_b64 s[0:1], s[0:1]
	s_cbranch_execz .LBB110_416
.LBB110_432:
	v_cmp_ne_u16_e32 vcc, 0, v3
	s_andn2_b64 s[22:23], s[22:23], exec
	s_and_b64 s[28:29], vcc, exec
	s_or_b64 s[22:23], s[22:23], s[28:29]
	s_or_b64 exec, exec, s[0:1]
	v_mov_b32_e32 v2, 0
	s_and_saveexec_b64 s[0:1], s[22:23]
	s_cbranch_execnz .LBB110_417
	s_branch .LBB110_418
.LBB110_433:
	s_mov_b64 s[0:1], -1
                                        ; implicit-def: $vgpr2
	s_branch .LBB110_438
.LBB110_434:
	s_mov_b64 s[0:1], -1
                                        ; implicit-def: $vgpr2
.LBB110_435:
	s_and_b64 vcc, exec, s[0:1]
	s_cbranch_vccz .LBB110_437
; %bb.436:
	global_load_ubyte v2, v[0:1], off
	s_mov_b32 s0, 0x7f800000
	s_waitcnt vmcnt(0)
	v_lshlrev_b32_e32 v2, 24, v2
	v_and_b32_e32 v3, 0x7f000000, v2
	v_ffbh_u32_e32 v4, v3
	v_min_u32_e32 v4, 32, v4
	v_sub_u32_e64 v4, v4, 4 clamp
	v_lshlrev_b32_e32 v6, v4, v3
	v_lshlrev_b32_e32 v4, 23, v4
	v_lshrrev_b32_e32 v6, 4, v6
	v_add_u32_e32 v5, 0x1000000, v3
	v_sub_u32_e32 v4, v6, v4
	v_ashrrev_i32_e32 v5, 8, v5
	v_add_u32_e32 v4, 0x3c000000, v4
	v_and_or_b32 v4, v5, s0, v4
	v_cmp_ne_u32_e32 vcc, 0, v3
	v_cndmask_b32_e32 v3, 0, v4, vcc
	s_brev_b32 s0, 1
	v_and_or_b32 v2, v2, s0, v3
	v_cvt_i32_f32_e32 v2, v2
.LBB110_437:
	s_mov_b64 s[0:1], 0
.LBB110_438:
	s_andn2_b64 vcc, exec, s[0:1]
	s_cbranch_vccnz .LBB110_440
; %bb.439:
	global_load_ubyte v2, v[0:1], off
	s_movk_i32 s0, 0x7f00
	s_brev_b32 s1, 16
	s_waitcnt vmcnt(0)
	v_lshlrev_b16_e32 v3, 8, v2
	v_lshlrev_b32_e32 v2, 25, v2
	v_lshrrev_b32_e32 v4, 4, v2
	v_and_or_b32 v5, v3, s0, 0.5
	v_or_b32_e32 v4, 0x70000000, v4
	v_add_f32_e32 v5, -0.5, v5
	v_mul_f32_e32 v4, 0x7800000, v4
	v_cmp_gt_u32_e32 vcc, s1, v2
	v_bfe_i32 v3, v3, 0, 16
	v_cndmask_b32_e32 v2, v4, v5, vcc
	s_brev_b32 s0, 1
	v_and_or_b32 v2, v3, s0, v2
	v_cvt_i32_f32_e32 v2, v2
.LBB110_440:
	s_mov_b64 s[22:23], 0
	s_mov_b64 s[0:1], -1
.LBB110_441:
	s_andn2_b64 vcc, exec, s[22:23]
	s_cbranch_vccnz .LBB110_454
; %bb.442:
	s_cmp_gt_i32 s26, 14
	s_cbranch_scc0 .LBB110_445
; %bb.443:
	s_cmp_eq_u32 s26, 15
	s_cbranch_scc0 .LBB110_448
; %bb.444:
	global_load_ushort v2, v[0:1], off
	s_mov_b64 s[0:1], -1
	s_mov_b64 s[20:21], 0
	s_waitcnt vmcnt(0)
	v_lshlrev_b32_e32 v2, 16, v2
	v_cvt_i32_f32_e32 v2, v2
	s_branch .LBB110_449
.LBB110_445:
	s_mov_b64 s[22:23], -1
                                        ; implicit-def: $vgpr2
	s_branch .LBB110_450
.LBB110_446:
	s_andn2_saveexec_b64 s[0:1], s[0:1]
	s_cbranch_execz .LBB110_427
.LBB110_447:
	v_cmp_ne_u16_e32 vcc, 0, v3
	s_andn2_b64 s[22:23], s[22:23], exec
	s_and_b64 s[28:29], vcc, exec
	s_or_b64 s[22:23], s[22:23], s[28:29]
	s_or_b64 exec, exec, s[0:1]
	v_mov_b32_e32 v2, 0
	s_and_saveexec_b64 s[0:1], s[22:23]
	s_cbranch_execnz .LBB110_428
	s_branch .LBB110_429
.LBB110_448:
	s_mov_b64 s[20:21], -1
                                        ; implicit-def: $vgpr2
.LBB110_449:
	s_mov_b64 s[22:23], 0
.LBB110_450:
	s_and_b64 vcc, exec, s[22:23]
	s_cbranch_vccz .LBB110_454
; %bb.451:
	s_cmp_eq_u32 s26, 11
	s_cbranch_scc0 .LBB110_453
; %bb.452:
	global_load_ubyte v2, v[0:1], off
	s_mov_b64 s[0:1], -1
	s_mov_b64 s[20:21], 0
	s_waitcnt vmcnt(0)
	v_cmp_ne_u16_e32 vcc, 0, v2
	v_cndmask_b32_e64 v2, 0, 1, vcc
	s_branch .LBB110_454
.LBB110_453:
	s_mov_b64 s[20:21], -1
                                        ; implicit-def: $vgpr2
.LBB110_454:
	s_branch .LBB110_261
.LBB110_455:
	s_cmp_lt_i32 s26, 5
	s_cbranch_scc1 .LBB110_460
; %bb.456:
	s_cmp_lt_i32 s26, 8
	s_cbranch_scc1 .LBB110_461
; %bb.457:
	;; [unrolled: 3-line block ×3, first 2 shown]
	s_cmp_gt_i32 s26, 9
	s_cbranch_scc0 .LBB110_463
; %bb.459:
	global_load_dwordx2 v[2:3], v[0:1], off
	s_mov_b64 s[0:1], 0
	s_waitcnt vmcnt(0)
	v_cvt_i32_f64_e32 v2, v[2:3]
	s_branch .LBB110_464
.LBB110_460:
	s_mov_b64 s[0:1], -1
                                        ; implicit-def: $vgpr2
	s_branch .LBB110_482
.LBB110_461:
	s_mov_b64 s[0:1], -1
                                        ; implicit-def: $vgpr2
	s_branch .LBB110_470
.LBB110_462:
	s_mov_b64 s[0:1], -1
                                        ; implicit-def: $vgpr2
	s_branch .LBB110_467
.LBB110_463:
	s_mov_b64 s[0:1], -1
                                        ; implicit-def: $vgpr2
.LBB110_464:
	s_andn2_b64 vcc, exec, s[0:1]
	s_cbranch_vccnz .LBB110_466
; %bb.465:
	global_load_dword v2, v[0:1], off
	s_waitcnt vmcnt(0)
	v_cvt_i32_f32_e32 v2, v2
.LBB110_466:
	s_mov_b64 s[0:1], 0
.LBB110_467:
	s_andn2_b64 vcc, exec, s[0:1]
	s_cbranch_vccnz .LBB110_469
; %bb.468:
	global_load_dword v2, v[0:1], off
	s_waitcnt vmcnt(0)
	v_cvt_i16_f16_e32 v2, v2
.LBB110_469:
	s_mov_b64 s[0:1], 0
.LBB110_470:
	s_andn2_b64 vcc, exec, s[0:1]
	s_cbranch_vccnz .LBB110_481
; %bb.471:
	s_cmp_lt_i32 s26, 6
	s_cbranch_scc1 .LBB110_474
; %bb.472:
	s_cmp_gt_i32 s26, 6
	s_cbranch_scc0 .LBB110_475
; %bb.473:
	global_load_dwordx2 v[2:3], v[0:1], off
	s_mov_b64 s[0:1], 0
	s_waitcnt vmcnt(0)
	v_cvt_i32_f64_e32 v2, v[2:3]
	s_branch .LBB110_476
.LBB110_474:
	s_mov_b64 s[0:1], -1
                                        ; implicit-def: $vgpr2
	s_branch .LBB110_479
.LBB110_475:
	s_mov_b64 s[0:1], -1
                                        ; implicit-def: $vgpr2
.LBB110_476:
	s_andn2_b64 vcc, exec, s[0:1]
	s_cbranch_vccnz .LBB110_478
; %bb.477:
	global_load_dword v2, v[0:1], off
	s_waitcnt vmcnt(0)
	v_cvt_i32_f32_e32 v2, v2
.LBB110_478:
	s_mov_b64 s[0:1], 0
.LBB110_479:
	s_andn2_b64 vcc, exec, s[0:1]
	s_cbranch_vccnz .LBB110_481
; %bb.480:
	global_load_ushort v2, v[0:1], off
	s_waitcnt vmcnt(0)
	v_cvt_i16_f16_e32 v2, v2
.LBB110_481:
	s_mov_b64 s[0:1], 0
.LBB110_482:
	s_andn2_b64 vcc, exec, s[0:1]
	s_cbranch_vccnz .LBB110_502
; %bb.483:
	s_cmp_lt_i32 s26, 2
	s_cbranch_scc1 .LBB110_487
; %bb.484:
	s_cmp_lt_i32 s26, 3
	s_cbranch_scc1 .LBB110_488
; %bb.485:
	s_cmp_gt_i32 s26, 3
	s_cbranch_scc0 .LBB110_489
; %bb.486:
	global_load_dwordx2 v[2:3], v[0:1], off
	s_mov_b64 s[0:1], 0
	s_branch .LBB110_490
.LBB110_487:
	s_mov_b64 s[0:1], -1
                                        ; implicit-def: $vgpr2
	s_branch .LBB110_496
.LBB110_488:
	s_mov_b64 s[0:1], -1
                                        ; implicit-def: $vgpr2
	s_branch .LBB110_493
.LBB110_489:
	s_mov_b64 s[0:1], -1
                                        ; implicit-def: $vgpr2
.LBB110_490:
	s_andn2_b64 vcc, exec, s[0:1]
	s_cbranch_vccnz .LBB110_492
; %bb.491:
	global_load_dword v2, v[0:1], off
.LBB110_492:
	s_mov_b64 s[0:1], 0
.LBB110_493:
	s_andn2_b64 vcc, exec, s[0:1]
	s_cbranch_vccnz .LBB110_495
; %bb.494:
	global_load_ushort v2, v[0:1], off
.LBB110_495:
	s_mov_b64 s[0:1], 0
.LBB110_496:
	s_andn2_b64 vcc, exec, s[0:1]
	s_cbranch_vccnz .LBB110_502
; %bb.497:
	s_cmp_gt_i32 s26, 0
	s_cbranch_scc0 .LBB110_499
; %bb.498:
	global_load_sbyte v2, v[0:1], off
	s_mov_b64 s[0:1], 0
	s_branch .LBB110_500
.LBB110_499:
	s_mov_b64 s[0:1], -1
                                        ; implicit-def: $vgpr2
.LBB110_500:
	s_andn2_b64 vcc, exec, s[0:1]
	s_cbranch_vccnz .LBB110_502
; %bb.501:
	global_load_ubyte v2, v[0:1], off
.LBB110_502:
	s_branch .LBB110_262
.LBB110_503:
	s_mov_b64 s[26:27], 0
                                        ; implicit-def: $vgpr9
	s_mov_b64 s[0:1], s[6:7]
.LBB110_504:
	s_andn2_b64 s[22:23], s[6:7], exec
	s_and_b64 s[0:1], s[0:1], exec
	s_or_b64 s[22:23], s[22:23], s[0:1]
	s_andn2_b64 s[0:1], s[16:17], exec
	s_and_b64 s[20:21], s[20:21], exec
	s_or_b64 s[20:21], s[0:1], s[20:21]
	s_orn2_b64 s[0:1], s[26:27], exec
.LBB110_505:
	s_or_b64 exec, exec, s[24:25]
	s_mov_b64 s[26:27], 0
	s_mov_b64 s[28:29], 0
	;; [unrolled: 1-line block ×3, first 2 shown]
                                        ; implicit-def: $vgpr0_vgpr1
                                        ; implicit-def: $vgpr2
	s_and_saveexec_b64 s[24:25], s[0:1]
	s_cbranch_execz .LBB110_842
; %bb.506:
	v_cmp_gt_i32_e32 vcc, s40, v9
	s_mov_b64 s[36:37], -1
	s_mov_b64 s[0:1], s[20:21]
	s_mov_b64 s[30:31], s[22:23]
	s_and_saveexec_b64 s[26:27], vcc
	s_cbranch_execz .LBB110_760
; %bb.507:
	v_mul_lo_u32 v0, v9, s13
	v_mov_b32_e32 v1, s11
	s_and_b32 s34, 0xffff, s45
	s_cmp_lt_i32 s34, 11
	s_waitcnt vmcnt(0)
	v_ashrrev_i32_e32 v2, 31, v0
	v_add_co_u32_e32 v0, vcc, s10, v0
	v_addc_co_u32_e32 v1, vcc, v1, v2, vcc
	s_cbranch_scc1 .LBB110_514
; %bb.508:
	s_cmp_gt_i32 s34, 25
	s_cbranch_scc0 .LBB110_515
; %bb.509:
	s_cmp_gt_i32 s34, 28
	s_cbranch_scc0 .LBB110_516
	;; [unrolled: 3-line block ×4, first 2 shown]
; %bb.512:
	s_cmp_eq_u32 s34, 46
	s_mov_b64 s[30:31], 0
	s_cbranch_scc0 .LBB110_523
; %bb.513:
	global_load_dword v2, v[0:1], off
	s_mov_b64 s[0:1], -1
	s_waitcnt vmcnt(0)
	v_lshlrev_b32_e32 v2, 16, v2
	v_cvt_i32_f32_e32 v2, v2
	s_branch .LBB110_524
.LBB110_514:
	s_mov_b64 s[30:31], -1
	s_mov_b64 s[0:1], 0
                                        ; implicit-def: $vgpr2
	s_mov_b64 s[28:29], s[20:21]
	s_branch .LBB110_585
.LBB110_515:
	s_mov_b64 s[30:31], -1
	s_mov_b64 s[0:1], 0
	s_mov_b64 s[28:29], s[20:21]
                                        ; implicit-def: $vgpr2
	s_branch .LBB110_551
.LBB110_516:
	s_mov_b64 s[30:31], -1
	s_mov_b64 s[0:1], 0
	s_mov_b64 s[28:29], s[20:21]
                                        ; implicit-def: $vgpr2
	s_branch .LBB110_534
.LBB110_517:
	s_mov_b64 s[30:31], -1
	s_mov_b64 s[0:1], 0
	s_mov_b64 s[28:29], s[20:21]
                                        ; implicit-def: $vgpr2
	s_branch .LBB110_529
.LBB110_518:
	s_andn2_saveexec_b64 s[28:29], s[28:29]
	s_cbranch_execz .LBB110_307
.LBB110_519:
	s_mov_b32 s34, 0x46000000
	v_add_f32_e64 v3, |v2|, s34
	v_and_b32_e32 v3, 0xff, v3
	v_cmp_ne_u32_e32 vcc, 0, v3
	s_andn2_b64 s[26:27], s[26:27], exec
	s_and_b64 s[34:35], vcc, exec
	s_or_b64 s[26:27], s[26:27], s[34:35]
	s_or_b64 exec, exec, s[28:29]
	v_mov_b32_e32 v5, 0
	s_and_saveexec_b64 s[28:29], s[26:27]
	s_cbranch_execnz .LBB110_308
	s_branch .LBB110_309
.LBB110_520:
	s_mov_b64 s[30:31], -1
	s_mov_b64 s[0:1], 0
	s_mov_b64 s[28:29], s[20:21]
                                        ; implicit-def: $vgpr2
	s_branch .LBB110_524
.LBB110_521:
	s_andn2_saveexec_b64 s[28:29], s[28:29]
	s_cbranch_execz .LBB110_320
.LBB110_522:
	s_mov_b32 s34, 0x42800000
	v_add_f32_e64 v3, |v2|, s34
	v_and_b32_e32 v3, 0xff, v3
	v_cmp_ne_u32_e32 vcc, 0, v3
	s_andn2_b64 s[26:27], s[26:27], exec
	s_and_b64 s[34:35], vcc, exec
	s_or_b64 s[26:27], s[26:27], s[34:35]
	s_or_b64 exec, exec, s[28:29]
	v_mov_b32_e32 v5, 0
	s_and_saveexec_b64 s[28:29], s[26:27]
	s_cbranch_execnz .LBB110_321
	s_branch .LBB110_322
.LBB110_523:
	s_mov_b64 s[28:29], -1
                                        ; implicit-def: $vgpr2
	s_mov_b64 s[0:1], 0
.LBB110_524:
	s_and_b64 vcc, exec, s[30:31]
	s_cbranch_vccz .LBB110_528
; %bb.525:
	s_cmp_eq_u32 s34, 44
	s_cbranch_scc0 .LBB110_527
; %bb.526:
	global_load_ubyte v2, v[0:1], off
	s_mov_b64 s[0:1], -1
	s_mov_b64 s[28:29], 0
	s_waitcnt vmcnt(0)
	v_lshlrev_b32_e32 v3, 23, v2
	v_cvt_i32_f32_e32 v3, v3
	v_cmp_ne_u32_e32 vcc, 0, v2
	v_cndmask_b32_e32 v2, 0, v3, vcc
	s_branch .LBB110_528
.LBB110_527:
	s_mov_b64 s[28:29], -1
                                        ; implicit-def: $vgpr2
.LBB110_528:
	s_mov_b64 s[30:31], 0
.LBB110_529:
	s_and_b64 vcc, exec, s[30:31]
	s_cbranch_vccz .LBB110_533
; %bb.530:
	s_cmp_eq_u32 s34, 29
	s_cbranch_scc0 .LBB110_532
; %bb.531:
	global_load_dwordx2 v[2:3], v[0:1], off
	s_mov_b64 s[0:1], -1
	s_mov_b64 s[28:29], 0
	s_branch .LBB110_533
.LBB110_532:
	s_mov_b64 s[28:29], -1
                                        ; implicit-def: $vgpr2
.LBB110_533:
	s_mov_b64 s[30:31], 0
.LBB110_534:
	s_and_b64 vcc, exec, s[30:31]
	s_cbranch_vccz .LBB110_550
; %bb.535:
	s_cmp_lt_i32 s34, 27
	s_cbranch_scc1 .LBB110_538
; %bb.536:
	s_cmp_gt_i32 s34, 27
	s_cbranch_scc0 .LBB110_539
; %bb.537:
	global_load_dword v2, v[0:1], off
	s_mov_b64 s[0:1], 0
	s_branch .LBB110_540
.LBB110_538:
	s_mov_b64 s[0:1], -1
                                        ; implicit-def: $vgpr2
	s_branch .LBB110_543
.LBB110_539:
	s_mov_b64 s[0:1], -1
                                        ; implicit-def: $vgpr2
.LBB110_540:
	s_andn2_b64 vcc, exec, s[0:1]
	s_cbranch_vccnz .LBB110_542
; %bb.541:
	global_load_ushort v2, v[0:1], off
.LBB110_542:
	s_mov_b64 s[0:1], 0
.LBB110_543:
	s_andn2_b64 vcc, exec, s[0:1]
	s_cbranch_vccnz .LBB110_549
; %bb.544:
	global_load_ubyte v3, v[0:1], off
	s_movk_i32 s0, 0x7f
	s_mov_b64 s[30:31], 0
	s_waitcnt vmcnt(0)
	v_cmp_lt_i16_e32 vcc, s0, v3
	s_and_saveexec_b64 s[0:1], vcc
	s_xor_b64 s[0:1], exec, s[0:1]
	s_cbranch_execz .LBB110_561
; %bb.545:
	s_movk_i32 s30, 0x80
	v_cmp_ne_u16_e32 vcc, s30, v3
	s_and_b64 s[30:31], vcc, exec
	s_andn2_saveexec_b64 s[0:1], s[0:1]
	s_cbranch_execnz .LBB110_562
.LBB110_546:
	s_or_b64 exec, exec, s[0:1]
	v_mov_b32_e32 v2, 0
	s_and_saveexec_b64 s[0:1], s[30:31]
	s_cbranch_execz .LBB110_548
.LBB110_547:
	v_lshlrev_b32_e32 v2, 24, v3
	v_and_b32_e32 v3, 0xffff, v3
	v_and_b32_e32 v4, 7, v3
	v_ffbh_u32_e32 v6, v4
	v_min_u32_e32 v6, 32, v6
	v_subrev_u32_e32 v7, 28, v6
	v_bfe_u32 v5, v3, 3, 4
	v_lshlrev_b32_e32 v3, v7, v3
	v_sub_u32_e32 v6, 29, v6
	v_and_b32_e32 v3, 7, v3
	v_cmp_eq_u32_e32 vcc, 0, v5
	v_cndmask_b32_e32 v5, v5, v6, vcc
	v_cndmask_b32_e32 v3, v4, v3, vcc
	v_mov_b32_e32 v4, 0x3b800000
	v_lshlrev_b32_e32 v3, 20, v3
	v_and_b32_e32 v2, 0x80000000, v2
	v_lshl_add_u32 v4, v5, 23, v4
	v_or3_b32 v2, v2, v4, v3
	v_cvt_i32_f32_e32 v2, v2
.LBB110_548:
	s_or_b64 exec, exec, s[0:1]
.LBB110_549:
	s_mov_b64 s[0:1], -1
.LBB110_550:
	s_mov_b64 s[30:31], 0
.LBB110_551:
	s_and_b64 vcc, exec, s[30:31]
	s_cbranch_vccz .LBB110_584
; %bb.552:
	s_cmp_gt_i32 s34, 22
	s_cbranch_scc0 .LBB110_560
; %bb.553:
	s_cmp_lt_i32 s34, 24
	s_cbranch_scc1 .LBB110_563
; %bb.554:
	s_cmp_gt_i32 s34, 24
	s_cbranch_scc0 .LBB110_564
; %bb.555:
	global_load_ubyte v3, v[0:1], off
	s_movk_i32 s0, 0x7f
	s_mov_b64 s[30:31], 0
	s_waitcnt vmcnt(0)
	v_cmp_lt_i16_e32 vcc, s0, v3
	s_and_saveexec_b64 s[0:1], vcc
	s_xor_b64 s[0:1], exec, s[0:1]
	s_cbranch_execz .LBB110_576
; %bb.556:
	s_movk_i32 s30, 0x80
	v_cmp_ne_u16_e32 vcc, s30, v3
	s_and_b64 s[30:31], vcc, exec
	s_andn2_saveexec_b64 s[0:1], s[0:1]
	s_cbranch_execnz .LBB110_577
.LBB110_557:
	s_or_b64 exec, exec, s[0:1]
	v_mov_b32_e32 v2, 0
	s_and_saveexec_b64 s[0:1], s[30:31]
	s_cbranch_execz .LBB110_559
.LBB110_558:
	v_lshlrev_b32_e32 v2, 24, v3
	v_and_b32_e32 v3, 0xffff, v3
	v_and_b32_e32 v4, 3, v3
	v_ffbh_u32_e32 v6, v4
	v_min_u32_e32 v6, 32, v6
	v_subrev_u32_e32 v7, 29, v6
	v_bfe_u32 v5, v3, 2, 5
	v_lshlrev_b32_e32 v3, v7, v3
	v_sub_u32_e32 v6, 30, v6
	v_and_b32_e32 v3, 3, v3
	v_cmp_eq_u32_e32 vcc, 0, v5
	v_cndmask_b32_e32 v5, v5, v6, vcc
	v_cndmask_b32_e32 v3, v4, v3, vcc
	v_mov_b32_e32 v4, 0x37800000
	v_lshlrev_b32_e32 v3, 21, v3
	v_and_b32_e32 v2, 0x80000000, v2
	v_lshl_add_u32 v4, v5, 23, v4
	v_or3_b32 v2, v2, v4, v3
	v_cvt_i32_f32_e32 v2, v2
.LBB110_559:
	s_or_b64 exec, exec, s[0:1]
	s_mov_b64 s[0:1], 0
	s_branch .LBB110_565
.LBB110_560:
	s_mov_b64 s[30:31], -1
                                        ; implicit-def: $vgpr2
	s_branch .LBB110_571
.LBB110_561:
	s_andn2_saveexec_b64 s[0:1], s[0:1]
	s_cbranch_execz .LBB110_546
.LBB110_562:
	v_cmp_ne_u16_e32 vcc, 0, v3
	s_andn2_b64 s[30:31], s[30:31], exec
	s_and_b64 s[36:37], vcc, exec
	s_or_b64 s[30:31], s[30:31], s[36:37]
	s_or_b64 exec, exec, s[0:1]
	v_mov_b32_e32 v2, 0
	s_and_saveexec_b64 s[0:1], s[30:31]
	s_cbranch_execnz .LBB110_547
	s_branch .LBB110_548
.LBB110_563:
	s_mov_b64 s[0:1], -1
                                        ; implicit-def: $vgpr2
	s_branch .LBB110_568
.LBB110_564:
	s_mov_b64 s[0:1], -1
                                        ; implicit-def: $vgpr2
.LBB110_565:
	s_and_b64 vcc, exec, s[0:1]
	s_cbranch_vccz .LBB110_567
; %bb.566:
	global_load_ubyte v2, v[0:1], off
	s_mov_b32 s0, 0x7f800000
	s_waitcnt vmcnt(0)
	v_lshlrev_b32_e32 v2, 24, v2
	v_and_b32_e32 v3, 0x7f000000, v2
	v_ffbh_u32_e32 v4, v3
	v_min_u32_e32 v4, 32, v4
	v_sub_u32_e64 v4, v4, 4 clamp
	v_lshlrev_b32_e32 v6, v4, v3
	v_lshlrev_b32_e32 v4, 23, v4
	v_lshrrev_b32_e32 v6, 4, v6
	v_add_u32_e32 v5, 0x1000000, v3
	v_sub_u32_e32 v4, v6, v4
	v_ashrrev_i32_e32 v5, 8, v5
	v_add_u32_e32 v4, 0x3c000000, v4
	v_and_or_b32 v4, v5, s0, v4
	v_cmp_ne_u32_e32 vcc, 0, v3
	v_cndmask_b32_e32 v3, 0, v4, vcc
	s_brev_b32 s0, 1
	v_and_or_b32 v2, v2, s0, v3
	v_cvt_i32_f32_e32 v2, v2
.LBB110_567:
	s_mov_b64 s[0:1], 0
.LBB110_568:
	s_andn2_b64 vcc, exec, s[0:1]
	s_cbranch_vccnz .LBB110_570
; %bb.569:
	global_load_ubyte v2, v[0:1], off
	s_movk_i32 s0, 0x7f00
	s_brev_b32 s1, 16
	s_waitcnt vmcnt(0)
	v_lshlrev_b16_e32 v3, 8, v2
	v_lshlrev_b32_e32 v2, 25, v2
	v_lshrrev_b32_e32 v4, 4, v2
	v_and_or_b32 v5, v3, s0, 0.5
	v_or_b32_e32 v4, 0x70000000, v4
	v_add_f32_e32 v5, -0.5, v5
	v_mul_f32_e32 v4, 0x7800000, v4
	v_cmp_gt_u32_e32 vcc, s1, v2
	v_bfe_i32 v3, v3, 0, 16
	v_cndmask_b32_e32 v2, v4, v5, vcc
	s_brev_b32 s0, 1
	v_and_or_b32 v2, v3, s0, v2
	v_cvt_i32_f32_e32 v2, v2
.LBB110_570:
	s_mov_b64 s[30:31], 0
	s_mov_b64 s[0:1], -1
.LBB110_571:
	s_andn2_b64 vcc, exec, s[30:31]
	s_cbranch_vccnz .LBB110_584
; %bb.572:
	s_cmp_gt_i32 s34, 14
	s_cbranch_scc0 .LBB110_575
; %bb.573:
	s_cmp_eq_u32 s34, 15
	s_cbranch_scc0 .LBB110_578
; %bb.574:
	global_load_ushort v2, v[0:1], off
	s_mov_b64 s[0:1], -1
	s_mov_b64 s[28:29], 0
	s_waitcnt vmcnt(0)
	v_lshlrev_b32_e32 v2, 16, v2
	v_cvt_i32_f32_e32 v2, v2
	s_branch .LBB110_579
.LBB110_575:
	s_mov_b64 s[30:31], -1
                                        ; implicit-def: $vgpr2
	s_branch .LBB110_580
.LBB110_576:
	s_andn2_saveexec_b64 s[0:1], s[0:1]
	s_cbranch_execz .LBB110_557
.LBB110_577:
	v_cmp_ne_u16_e32 vcc, 0, v3
	s_andn2_b64 s[30:31], s[30:31], exec
	s_and_b64 s[36:37], vcc, exec
	s_or_b64 s[30:31], s[30:31], s[36:37]
	s_or_b64 exec, exec, s[0:1]
	v_mov_b32_e32 v2, 0
	s_and_saveexec_b64 s[0:1], s[30:31]
	s_cbranch_execnz .LBB110_558
	s_branch .LBB110_559
.LBB110_578:
	s_mov_b64 s[28:29], -1
                                        ; implicit-def: $vgpr2
.LBB110_579:
	s_mov_b64 s[30:31], 0
.LBB110_580:
	s_and_b64 vcc, exec, s[30:31]
	s_cbranch_vccz .LBB110_584
; %bb.581:
	s_cmp_eq_u32 s34, 11
	s_cbranch_scc0 .LBB110_583
; %bb.582:
	global_load_ubyte v2, v[0:1], off
	s_mov_b64 s[0:1], -1
	s_mov_b64 s[28:29], 0
	s_waitcnt vmcnt(0)
	v_cmp_ne_u16_e32 vcc, 0, v2
	v_cndmask_b32_e64 v2, 0, 1, vcc
	s_branch .LBB110_584
.LBB110_583:
	s_mov_b64 s[28:29], -1
                                        ; implicit-def: $vgpr2
.LBB110_584:
	s_mov_b64 s[30:31], 0
.LBB110_585:
	s_and_b64 vcc, exec, s[30:31]
	s_cbranch_vccz .LBB110_634
; %bb.586:
	s_cmp_lt_i32 s34, 5
	s_cbranch_scc1 .LBB110_591
; %bb.587:
	s_cmp_lt_i32 s34, 8
	s_cbranch_scc1 .LBB110_592
	;; [unrolled: 3-line block ×3, first 2 shown]
; %bb.589:
	s_cmp_gt_i32 s34, 9
	s_cbranch_scc0 .LBB110_594
; %bb.590:
	global_load_dwordx2 v[2:3], v[0:1], off
	s_mov_b64 s[0:1], 0
	s_waitcnt vmcnt(0)
	v_cvt_i32_f64_e32 v2, v[2:3]
	s_branch .LBB110_595
.LBB110_591:
	s_mov_b64 s[0:1], -1
                                        ; implicit-def: $vgpr2
	s_branch .LBB110_613
.LBB110_592:
	s_mov_b64 s[0:1], -1
                                        ; implicit-def: $vgpr2
	s_branch .LBB110_601
.LBB110_593:
	s_mov_b64 s[0:1], -1
                                        ; implicit-def: $vgpr2
	s_branch .LBB110_598
.LBB110_594:
	s_mov_b64 s[0:1], -1
                                        ; implicit-def: $vgpr2
.LBB110_595:
	s_andn2_b64 vcc, exec, s[0:1]
	s_cbranch_vccnz .LBB110_597
; %bb.596:
	global_load_dword v2, v[0:1], off
	s_waitcnt vmcnt(0)
	v_cvt_i32_f32_e32 v2, v2
.LBB110_597:
	s_mov_b64 s[0:1], 0
.LBB110_598:
	s_andn2_b64 vcc, exec, s[0:1]
	s_cbranch_vccnz .LBB110_600
; %bb.599:
	global_load_dword v2, v[0:1], off
	s_waitcnt vmcnt(0)
	v_cvt_i16_f16_e32 v2, v2
.LBB110_600:
	s_mov_b64 s[0:1], 0
.LBB110_601:
	s_andn2_b64 vcc, exec, s[0:1]
	s_cbranch_vccnz .LBB110_612
; %bb.602:
	s_cmp_lt_i32 s34, 6
	s_cbranch_scc1 .LBB110_605
; %bb.603:
	s_cmp_gt_i32 s34, 6
	s_cbranch_scc0 .LBB110_606
; %bb.604:
	global_load_dwordx2 v[2:3], v[0:1], off
	s_mov_b64 s[0:1], 0
	s_waitcnt vmcnt(0)
	v_cvt_i32_f64_e32 v2, v[2:3]
	s_branch .LBB110_607
.LBB110_605:
	s_mov_b64 s[0:1], -1
                                        ; implicit-def: $vgpr2
	s_branch .LBB110_610
.LBB110_606:
	s_mov_b64 s[0:1], -1
                                        ; implicit-def: $vgpr2
.LBB110_607:
	s_andn2_b64 vcc, exec, s[0:1]
	s_cbranch_vccnz .LBB110_609
; %bb.608:
	global_load_dword v2, v[0:1], off
	s_waitcnt vmcnt(0)
	v_cvt_i32_f32_e32 v2, v2
.LBB110_609:
	s_mov_b64 s[0:1], 0
.LBB110_610:
	s_andn2_b64 vcc, exec, s[0:1]
	s_cbranch_vccnz .LBB110_612
; %bb.611:
	global_load_ushort v2, v[0:1], off
	s_waitcnt vmcnt(0)
	v_cvt_i16_f16_e32 v2, v2
.LBB110_612:
	s_mov_b64 s[0:1], 0
.LBB110_613:
	s_andn2_b64 vcc, exec, s[0:1]
	s_cbranch_vccnz .LBB110_633
; %bb.614:
	s_cmp_lt_i32 s34, 2
	s_cbranch_scc1 .LBB110_618
; %bb.615:
	s_cmp_lt_i32 s34, 3
	s_cbranch_scc1 .LBB110_619
; %bb.616:
	s_cmp_gt_i32 s34, 3
	s_cbranch_scc0 .LBB110_620
; %bb.617:
	global_load_dwordx2 v[2:3], v[0:1], off
	s_mov_b64 s[0:1], 0
	s_branch .LBB110_621
.LBB110_618:
	s_mov_b64 s[0:1], -1
                                        ; implicit-def: $vgpr2
	s_branch .LBB110_627
.LBB110_619:
	s_mov_b64 s[0:1], -1
                                        ; implicit-def: $vgpr2
	s_branch .LBB110_624
.LBB110_620:
	s_mov_b64 s[0:1], -1
                                        ; implicit-def: $vgpr2
.LBB110_621:
	s_andn2_b64 vcc, exec, s[0:1]
	s_cbranch_vccnz .LBB110_623
; %bb.622:
	global_load_dword v2, v[0:1], off
.LBB110_623:
	s_mov_b64 s[0:1], 0
.LBB110_624:
	s_andn2_b64 vcc, exec, s[0:1]
	s_cbranch_vccnz .LBB110_626
; %bb.625:
	global_load_ushort v2, v[0:1], off
.LBB110_626:
	s_mov_b64 s[0:1], 0
.LBB110_627:
	s_andn2_b64 vcc, exec, s[0:1]
	s_cbranch_vccnz .LBB110_633
; %bb.628:
	s_cmp_gt_i32 s34, 0
	s_cbranch_scc0 .LBB110_630
; %bb.629:
	global_load_sbyte v2, v[0:1], off
	s_mov_b64 s[0:1], 0
	s_branch .LBB110_631
.LBB110_630:
	s_mov_b64 s[0:1], -1
                                        ; implicit-def: $vgpr2
.LBB110_631:
	s_andn2_b64 vcc, exec, s[0:1]
	s_cbranch_vccnz .LBB110_633
; %bb.632:
	global_load_ubyte v2, v[0:1], off
.LBB110_633:
	s_mov_b64 s[0:1], -1
.LBB110_634:
	s_andn2_b64 vcc, exec, s[0:1]
	s_cbranch_vccnz .LBB110_642
; %bb.635:
	v_mul_lo_u32 v1, v9, s12
	v_mov_b32_e32 v0, s33
	s_waitcnt vmcnt(0)
	v_mov_b32_e32 v3, s15
	v_cmp_lt_i16_e32 vcc, s14, v2
	v_cndmask_b32_e32 v4, v0, v3, vcc
	v_ashrrev_i32_e32 v2, 31, v1
	v_mov_b32_e32 v3, s9
	s_and_b32 s38, s44, 0xff
	v_add_co_u32_e32 v0, vcc, s8, v1
	s_cmp_lt_i32 s38, 11
	v_addc_co_u32_e32 v1, vcc, v3, v2, vcc
	s_cbranch_scc1 .LBB110_643
; %bb.636:
	s_and_b32 s39, 0xffff, s38
	s_cmp_gt_i32 s39, 25
	s_cbranch_scc0 .LBB110_644
; %bb.637:
	s_cmp_gt_i32 s39, 28
	s_cbranch_scc0 .LBB110_645
; %bb.638:
	;; [unrolled: 3-line block ×4, first 2 shown]
	s_mov_b64 s[34:35], 0
	s_mov_b64 s[0:1], -1
	s_cmp_eq_u32 s39, 46
	s_mov_b64 s[30:31], 0
	s_cbranch_scc0 .LBB110_648
; %bb.641:
	v_cvt_f32_i32_sdwa v2, sext(v4) dst_sel:DWORD dst_unused:UNUSED_PAD src0_sel:WORD_0
	s_movk_i32 s0, 0x7fff
	s_mov_b64 s[30:31], -1
	v_bfe_u32 v3, v2, 16, 1
	v_add3_u32 v2, v2, v3, s0
	v_lshrrev_b32_e32 v2, 16, v2
	global_store_dword v[0:1], v2, off
	s_mov_b64 s[0:1], 0
	s_branch .LBB110_648
.LBB110_642:
	s_mov_b64 s[34:35], 0
                                        ; implicit-def: $vgpr9
	s_mov_b64 s[0:1], s[22:23]
	s_branch .LBB110_759
.LBB110_643:
	s_mov_b64 s[34:35], -1
	s_mov_b64 s[30:31], 0
	s_mov_b64 s[0:1], s[22:23]
	s_branch .LBB110_717
.LBB110_644:
	s_mov_b64 s[34:35], -1
	s_mov_b64 s[30:31], 0
	s_mov_b64 s[0:1], s[22:23]
	s_branch .LBB110_675
.LBB110_645:
	s_mov_b64 s[34:35], -1
	s_mov_b64 s[30:31], 0
	s_mov_b64 s[0:1], s[22:23]
	s_branch .LBB110_658
.LBB110_646:
	s_mov_b64 s[34:35], -1
	s_mov_b64 s[30:31], 0
	s_mov_b64 s[0:1], s[22:23]
	s_branch .LBB110_654
.LBB110_647:
	s_mov_b64 s[34:35], -1
	s_mov_b64 s[30:31], 0
	s_mov_b64 s[0:1], s[22:23]
.LBB110_648:
	s_and_b64 vcc, exec, s[34:35]
	s_cbranch_vccz .LBB110_653
; %bb.649:
	s_cmp_eq_u32 s39, 44
	s_mov_b64 s[0:1], -1
	s_cbranch_scc0 .LBB110_653
; %bb.650:
	v_cvt_f32_i32_sdwa v2, sext(v4) dst_sel:DWORD dst_unused:UNUSED_PAD src0_sel:WORD_0
	s_movk_i32 s0, 0xff
	v_mov_b32_e32 v5, 0xff
	v_bfe_u32 v3, v2, 23, 8
	v_cmp_ne_u32_e32 vcc, s0, v3
	s_and_saveexec_b64 s[30:31], vcc
; %bb.651:
	s_mov_b32 s0, 0x3fffff
	v_lshrrev_b32_e32 v5, 23, v2
	v_and_b32_e32 v6, 0x400000, v2
	v_and_or_b32 v2, v2, s0, v3
	v_cmp_ne_u32_e32 vcc, 0, v6
	v_cmp_ne_u32_e64 s[0:1], 0, v2
	s_and_b64 s[0:1], vcc, s[0:1]
	v_cndmask_b32_e64 v2, 0, 1, s[0:1]
	v_add_u32_e32 v5, v5, v2
; %bb.652:
	s_or_b64 exec, exec, s[30:31]
	s_mov_b64 s[30:31], -1
	s_mov_b64 s[0:1], 0
	global_store_byte v[0:1], v5, off
.LBB110_653:
	s_mov_b64 s[34:35], 0
.LBB110_654:
	s_and_b64 vcc, exec, s[34:35]
	s_cbranch_vccz .LBB110_657
; %bb.655:
	s_cmp_eq_u32 s39, 29
	s_mov_b64 s[0:1], -1
	s_cbranch_scc0 .LBB110_657
; %bb.656:
	v_bfe_i32 v2, v4, 0, 16
	v_ashrrev_i32_e32 v3, 31, v2
	global_store_dwordx2 v[0:1], v[2:3], off
	s_mov_b64 s[30:31], -1
	s_mov_b64 s[0:1], 0
.LBB110_657:
	s_mov_b64 s[34:35], 0
.LBB110_658:
	s_and_b64 vcc, exec, s[34:35]
	s_cbranch_vccz .LBB110_674
; %bb.659:
	s_cmp_lt_i32 s39, 27
	s_mov_b64 s[30:31], -1
	s_cbranch_scc1 .LBB110_665
; %bb.660:
	s_cmp_gt_i32 s39, 27
	s_cbranch_scc0 .LBB110_662
; %bb.661:
	v_bfe_i32 v2, v4, 0, 16
	s_mov_b64 s[30:31], 0
	global_store_dword v[0:1], v2, off
.LBB110_662:
	s_andn2_b64 vcc, exec, s[30:31]
	s_cbranch_vccnz .LBB110_664
; %bb.663:
	global_store_short v[0:1], v4, off
.LBB110_664:
	s_mov_b64 s[30:31], 0
.LBB110_665:
	s_andn2_b64 vcc, exec, s[30:31]
	s_cbranch_vccnz .LBB110_673
; %bb.666:
	v_cvt_f32_i32_sdwa v2, sext(v4) dst_sel:DWORD dst_unused:UNUSED_PAD src0_sel:WORD_0
	s_mov_b32 s30, 0x43800000
	v_mov_b32_e32 v5, 0x80
	v_and_b32_e32 v3, 0x7fffffff, v2
	v_cmp_gt_u32_e32 vcc, s30, v3
	s_and_saveexec_b64 s[30:31], vcc
	s_cbranch_execz .LBB110_672
; %bb.667:
	s_mov_b32 s34, 0x3bffffff
	v_cmp_lt_u32_e32 vcc, s34, v3
	s_mov_b64 s[34:35], 0
                                        ; implicit-def: $vgpr3
	s_and_saveexec_b64 s[36:37], vcc
	s_xor_b64 s[36:37], exec, s[36:37]
	s_cbranch_execz .LBB110_773
; %bb.668:
	v_bfe_u32 v3, v2, 20, 1
	s_mov_b32 s41, 0x487ffff
	v_add3_u32 v3, v2, v3, s41
	s_mov_b64 s[34:35], exec
	v_lshrrev_b32_e32 v3, 20, v3
	s_andn2_saveexec_b64 s[36:37], s[36:37]
	s_cbranch_execnz .LBB110_774
.LBB110_669:
	s_or_b64 exec, exec, s[36:37]
	v_mov_b32_e32 v5, 0
	s_and_saveexec_b64 s[36:37], s[34:35]
.LBB110_670:
	v_lshrrev_b32_e32 v2, 24, v2
	s_movk_i32 s34, 0x80
	v_and_or_b32 v5, v2, s34, v3
.LBB110_671:
	s_or_b64 exec, exec, s[36:37]
.LBB110_672:
	s_or_b64 exec, exec, s[30:31]
	global_store_byte v[0:1], v5, off
.LBB110_673:
	s_mov_b64 s[30:31], -1
.LBB110_674:
	s_mov_b64 s[34:35], 0
.LBB110_675:
	s_and_b64 vcc, exec, s[34:35]
	s_cbranch_vccz .LBB110_716
; %bb.676:
	s_cmp_gt_i32 s39, 22
	s_mov_b64 s[34:35], -1
	s_cbranch_scc0 .LBB110_708
; %bb.677:
	s_cmp_lt_i32 s39, 24
	s_mov_b64 s[30:31], -1
	s_cbranch_scc1 .LBB110_697
; %bb.678:
	s_cmp_gt_i32 s39, 24
	s_cbranch_scc0 .LBB110_686
; %bb.679:
	v_cvt_f32_i32_sdwa v2, sext(v4) dst_sel:DWORD dst_unused:UNUSED_PAD src0_sel:WORD_0
	s_mov_b32 s30, 0x47800000
	v_mov_b32_e32 v5, 0x80
	v_and_b32_e32 v3, 0x7fffffff, v2
	v_cmp_gt_u32_e32 vcc, s30, v3
	s_and_saveexec_b64 s[30:31], vcc
	s_cbranch_execz .LBB110_685
; %bb.680:
	s_mov_b32 s34, 0x37ffffff
	v_cmp_lt_u32_e32 vcc, s34, v3
	s_mov_b64 s[34:35], 0
                                        ; implicit-def: $vgpr3
	s_and_saveexec_b64 s[36:37], vcc
	s_xor_b64 s[36:37], exec, s[36:37]
	s_cbranch_execz .LBB110_776
; %bb.681:
	v_bfe_u32 v3, v2, 21, 1
	s_mov_b32 s41, 0x88fffff
	v_add3_u32 v3, v2, v3, s41
	s_mov_b64 s[34:35], exec
	v_lshrrev_b32_e32 v3, 21, v3
	s_andn2_saveexec_b64 s[36:37], s[36:37]
	s_cbranch_execnz .LBB110_777
.LBB110_682:
	s_or_b64 exec, exec, s[36:37]
	v_mov_b32_e32 v5, 0
	s_and_saveexec_b64 s[36:37], s[34:35]
.LBB110_683:
	v_lshrrev_b32_e32 v2, 24, v2
	s_movk_i32 s34, 0x80
	v_and_or_b32 v5, v2, s34, v3
.LBB110_684:
	s_or_b64 exec, exec, s[36:37]
.LBB110_685:
	s_or_b64 exec, exec, s[30:31]
	s_mov_b64 s[30:31], 0
	global_store_byte v[0:1], v5, off
.LBB110_686:
	s_and_b64 vcc, exec, s[30:31]
	s_cbranch_vccz .LBB110_696
; %bb.687:
	v_cvt_f32_i32_sdwa v2, sext(v4) dst_sel:DWORD dst_unused:UNUSED_PAD src0_sel:WORD_0
	s_mov_b32 s30, 0x43f00000
                                        ; implicit-def: $vgpr3
	v_and_b32_e32 v5, 0x7fffffff, v2
	v_cmp_gt_u32_e32 vcc, s30, v5
	s_and_saveexec_b64 s[30:31], vcc
	s_xor_b64 s[30:31], exec, s[30:31]
	s_cbranch_execz .LBB110_693
; %bb.688:
	s_mov_b32 s34, 0x3c7fffff
	v_cmp_lt_u32_e32 vcc, s34, v5
                                        ; implicit-def: $vgpr3
	s_and_saveexec_b64 s[34:35], vcc
	s_xor_b64 s[34:35], exec, s[34:35]
; %bb.689:
	v_bfe_u32 v3, v2, 20, 1
	s_mov_b32 s36, 0x407ffff
	v_add3_u32 v3, v2, v3, s36
	v_lshrrev_b32_e32 v5, 20, v3
	v_and_b32_e32 v3, 0xff00000, v3
	s_mov_b32 s36, 0x7f00000
	v_mov_b32_e32 v6, 0x7e
	v_cmp_ne_u32_e32 vcc, s36, v3
	v_cndmask_b32_e32 v3, v6, v5, vcc
; %bb.690:
	s_andn2_saveexec_b64 s[34:35], s[34:35]
; %bb.691:
	s_mov_b32 s36, 0x46800000
	v_add_f32_e64 v3, |v2|, s36
; %bb.692:
	s_or_b64 exec, exec, s[34:35]
                                        ; implicit-def: $vgpr5
.LBB110_693:
	s_andn2_saveexec_b64 s[30:31], s[30:31]
; %bb.694:
	s_mov_b32 s34, 0x7f800000
	v_mov_b32_e32 v3, 0x7e
	v_mov_b32_e32 v6, 0x7f
	v_cmp_lt_u32_e32 vcc, s34, v5
	v_cndmask_b32_e32 v3, v3, v6, vcc
; %bb.695:
	s_or_b64 exec, exec, s[30:31]
	v_lshrrev_b32_e32 v2, 24, v2
	s_movk_i32 s30, 0x80
	v_and_or_b32 v2, v2, s30, v3
	global_store_byte v[0:1], v2, off
.LBB110_696:
	s_mov_b64 s[30:31], 0
.LBB110_697:
	s_andn2_b64 vcc, exec, s[30:31]
	s_cbranch_vccnz .LBB110_707
; %bb.698:
	v_cvt_f32_i32_sdwa v2, sext(v4) dst_sel:DWORD dst_unused:UNUSED_PAD src0_sel:WORD_0
	s_mov_b32 s30, 0x47800000
                                        ; implicit-def: $vgpr3
	v_and_b32_e32 v5, 0x7fffffff, v2
	v_cmp_gt_u32_e32 vcc, s30, v5
	s_and_saveexec_b64 s[30:31], vcc
	s_xor_b64 s[30:31], exec, s[30:31]
	s_cbranch_execz .LBB110_704
; %bb.699:
	s_mov_b32 s34, 0x387fffff
	v_cmp_lt_u32_e32 vcc, s34, v5
                                        ; implicit-def: $vgpr3
	s_and_saveexec_b64 s[34:35], vcc
	s_xor_b64 s[34:35], exec, s[34:35]
; %bb.700:
	v_bfe_u32 v3, v2, 21, 1
	s_mov_b32 s36, 0x80fffff
	v_add3_u32 v3, v2, v3, s36
	v_lshrrev_b32_e32 v3, 21, v3
; %bb.701:
	s_andn2_saveexec_b64 s[34:35], s[34:35]
; %bb.702:
	s_mov_b32 s36, 0x43000000
	v_add_f32_e64 v3, |v2|, s36
; %bb.703:
	s_or_b64 exec, exec, s[34:35]
                                        ; implicit-def: $vgpr5
.LBB110_704:
	s_andn2_saveexec_b64 s[30:31], s[30:31]
; %bb.705:
	s_mov_b32 s34, 0x7f800000
	v_mov_b32_e32 v3, 0x7c
	v_mov_b32_e32 v6, 0x7f
	v_cmp_lt_u32_e32 vcc, s34, v5
	v_cndmask_b32_e32 v3, v3, v6, vcc
; %bb.706:
	s_or_b64 exec, exec, s[30:31]
	v_lshrrev_b32_e32 v2, 24, v2
	s_movk_i32 s30, 0x80
	v_and_or_b32 v2, v2, s30, v3
	global_store_byte v[0:1], v2, off
.LBB110_707:
	s_mov_b64 s[34:35], 0
	s_mov_b64 s[30:31], -1
.LBB110_708:
	s_andn2_b64 vcc, exec, s[34:35]
	s_cbranch_vccnz .LBB110_716
; %bb.709:
	s_cmp_gt_i32 s39, 14
	s_mov_b64 s[34:35], -1
	s_cbranch_scc0 .LBB110_713
; %bb.710:
	s_cmp_eq_u32 s39, 15
	s_mov_b64 s[0:1], -1
	s_cbranch_scc0 .LBB110_712
; %bb.711:
	v_cvt_f32_i32_sdwa v2, sext(v4) dst_sel:DWORD dst_unused:UNUSED_PAD src0_sel:WORD_0
	s_movk_i32 s0, 0x7fff
	s_mov_b64 s[30:31], -1
	v_bfe_u32 v3, v2, 16, 1
	v_add3_u32 v2, v2, v3, s0
	global_store_short_d16_hi v[0:1], v2, off
	s_mov_b64 s[0:1], 0
.LBB110_712:
	s_mov_b64 s[34:35], 0
.LBB110_713:
	s_and_b64 vcc, exec, s[34:35]
	s_cbranch_vccz .LBB110_716
; %bb.714:
	s_cmp_eq_u32 s39, 11
	s_mov_b64 s[0:1], -1
	s_cbranch_scc0 .LBB110_716
; %bb.715:
	v_cmp_ne_u16_e32 vcc, 0, v4
	v_cndmask_b32_e64 v2, 0, 1, vcc
	s_mov_b64 s[30:31], -1
	s_mov_b64 s[0:1], 0
	global_store_byte v[0:1], v2, off
.LBB110_716:
	s_mov_b64 s[34:35], 0
.LBB110_717:
	s_and_b64 vcc, exec, s[34:35]
	s_cbranch_vccz .LBB110_756
; %bb.718:
	s_and_b32 s34, 0xffff, s38
	s_cmp_lt_i32 s34, 5
	s_mov_b64 s[30:31], -1
	s_cbranch_scc1 .LBB110_739
; %bb.719:
	s_cmp_lt_i32 s34, 8
	s_cbranch_scc1 .LBB110_729
; %bb.720:
	s_cmp_lt_i32 s34, 9
	s_cbranch_scc1 .LBB110_726
; %bb.721:
	s_cmp_gt_i32 s34, 9
	s_cbranch_scc0 .LBB110_723
; %bb.722:
	v_bfe_i32 v2, v4, 0, 16
	v_cvt_f64_i32_e32 v[5:6], v2
	v_mov_b32_e32 v7, 0
	v_mov_b32_e32 v8, v7
	s_mov_b64 s[30:31], 0
	global_store_dwordx4 v[0:1], v[5:8], off
.LBB110_723:
	s_andn2_b64 vcc, exec, s[30:31]
	s_cbranch_vccnz .LBB110_725
; %bb.724:
	v_cvt_f32_i32_sdwa v2, sext(v4) dst_sel:DWORD dst_unused:UNUSED_PAD src0_sel:WORD_0
	v_mov_b32_e32 v3, 0
	global_store_dwordx2 v[0:1], v[2:3], off
.LBB110_725:
	s_mov_b64 s[30:31], 0
.LBB110_726:
	s_andn2_b64 vcc, exec, s[30:31]
	s_cbranch_vccnz .LBB110_728
; %bb.727:
	v_cvt_f16_i16_e32 v2, v4
	global_store_dword v[0:1], v2, off
.LBB110_728:
	s_mov_b64 s[30:31], 0
.LBB110_729:
	s_andn2_b64 vcc, exec, s[30:31]
	s_cbranch_vccnz .LBB110_738
; %bb.730:
	s_cmp_lt_i32 s34, 6
	s_mov_b64 s[30:31], -1
	s_cbranch_scc1 .LBB110_736
; %bb.731:
	s_cmp_gt_i32 s34, 6
	s_cbranch_scc0 .LBB110_733
; %bb.732:
	v_bfe_i32 v2, v4, 0, 16
	v_cvt_f64_i32_e32 v[2:3], v2
	s_mov_b64 s[30:31], 0
	global_store_dwordx2 v[0:1], v[2:3], off
.LBB110_733:
	s_andn2_b64 vcc, exec, s[30:31]
	s_cbranch_vccnz .LBB110_735
; %bb.734:
	v_cvt_f32_i32_sdwa v2, sext(v4) dst_sel:DWORD dst_unused:UNUSED_PAD src0_sel:WORD_0
	global_store_dword v[0:1], v2, off
.LBB110_735:
	s_mov_b64 s[30:31], 0
.LBB110_736:
	s_andn2_b64 vcc, exec, s[30:31]
	s_cbranch_vccnz .LBB110_738
; %bb.737:
	v_cvt_f16_i16_e32 v2, v4
	global_store_short v[0:1], v2, off
.LBB110_738:
	s_mov_b64 s[30:31], 0
.LBB110_739:
	s_andn2_b64 vcc, exec, s[30:31]
	s_cbranch_vccnz .LBB110_755
; %bb.740:
	s_cmp_lt_i32 s34, 2
	s_mov_b64 s[30:31], -1
	s_cbranch_scc1 .LBB110_750
; %bb.741:
	s_cmp_lt_i32 s34, 3
	s_cbranch_scc1 .LBB110_747
; %bb.742:
	s_cmp_gt_i32 s34, 3
	v_bfe_i32 v2, v4, 0, 16
	s_cbranch_scc0 .LBB110_744
; %bb.743:
	v_ashrrev_i32_e32 v3, 31, v2
	s_mov_b64 s[30:31], 0
	global_store_dwordx2 v[0:1], v[2:3], off
.LBB110_744:
	s_andn2_b64 vcc, exec, s[30:31]
	s_cbranch_vccnz .LBB110_746
; %bb.745:
	global_store_dword v[0:1], v2, off
.LBB110_746:
	s_mov_b64 s[30:31], 0
.LBB110_747:
	s_andn2_b64 vcc, exec, s[30:31]
	s_cbranch_vccnz .LBB110_749
; %bb.748:
	global_store_short v[0:1], v4, off
.LBB110_749:
	s_mov_b64 s[30:31], 0
.LBB110_750:
	s_andn2_b64 vcc, exec, s[30:31]
	s_cbranch_vccnz .LBB110_755
; %bb.751:
	s_cmp_gt_i32 s34, 0
	s_mov_b64 s[30:31], -1
	s_cbranch_scc0 .LBB110_753
; %bb.752:
	s_mov_b64 s[30:31], 0
	global_store_byte v[0:1], v4, off
.LBB110_753:
	s_andn2_b64 vcc, exec, s[30:31]
	s_cbranch_vccnz .LBB110_755
; %bb.754:
	global_store_byte v[0:1], v4, off
.LBB110_755:
	s_mov_b64 s[30:31], -1
.LBB110_756:
	s_andn2_b64 vcc, exec, s[30:31]
	s_cbranch_vccnz .LBB110_758
; %bb.757:
	v_add_u32_e32 v9, 0x80, v9
	s_mov_b64 s[34:35], -1
	s_branch .LBB110_759
.LBB110_758:
	s_mov_b64 s[34:35], 0
                                        ; implicit-def: $vgpr9
.LBB110_759:
	s_andn2_b64 s[30:31], s[22:23], exec
	s_and_b64 s[0:1], s[0:1], exec
	s_or_b64 s[30:31], s[30:31], s[0:1]
	s_andn2_b64 s[0:1], s[20:21], exec
	s_and_b64 s[28:29], s[28:29], exec
	s_or_b64 s[0:1], s[0:1], s[28:29]
	s_orn2_b64 s[36:37], s[34:35], exec
.LBB110_760:
	s_or_b64 exec, exec, s[26:27]
	s_mov_b64 s[34:35], 0
	s_mov_b64 s[28:29], 0
	;; [unrolled: 1-line block ×3, first 2 shown]
                                        ; implicit-def: $vgpr0_vgpr1
                                        ; implicit-def: $vgpr2
	s_and_saveexec_b64 s[26:27], s[36:37]
	s_cbranch_execz .LBB110_841
; %bb.761:
	v_cmp_gt_i32_e32 vcc, s40, v9
	s_mov_b64 s[36:37], 0
	s_mov_b64 s[40:41], s[0:1]
	;; [unrolled: 1-line block ×3, first 2 shown]
                                        ; implicit-def: $vgpr0_vgpr1
                                        ; implicit-def: $vgpr2
	s_and_saveexec_b64 s[28:29], vcc
	s_cbranch_execz .LBB110_840
; %bb.762:
	v_mul_lo_u32 v0, v9, s13
	v_mov_b32_e32 v1, s11
	s_and_b32 s42, 0xffff, s45
	s_cmp_lt_i32 s42, 11
	s_waitcnt vmcnt(0)
	v_ashrrev_i32_e32 v2, 31, v0
	v_add_co_u32_e32 v0, vcc, s10, v0
	v_addc_co_u32_e32 v1, vcc, v1, v2, vcc
	s_cbranch_scc1 .LBB110_769
; %bb.763:
	s_cmp_gt_i32 s42, 25
	s_cbranch_scc0 .LBB110_770
; %bb.764:
	s_cmp_gt_i32 s42, 28
	s_cbranch_scc0 .LBB110_771
	;; [unrolled: 3-line block ×4, first 2 shown]
; %bb.767:
	s_cmp_eq_u32 s42, 46
	s_mov_b64 s[40:41], 0
	s_cbranch_scc0 .LBB110_778
; %bb.768:
	global_load_dword v2, v[0:1], off
	s_mov_b64 s[38:39], -1
	s_waitcnt vmcnt(0)
	v_lshlrev_b32_e32 v2, 16, v2
	v_cvt_i32_f32_e32 v2, v2
	s_branch .LBB110_780
.LBB110_769:
	s_mov_b64 s[40:41], -1
                                        ; implicit-def: $vgpr2
	s_mov_b64 s[34:35], s[0:1]
	s_branch .LBB110_839
.LBB110_770:
	s_mov_b64 s[40:41], -1
	s_mov_b64 s[34:35], s[0:1]
                                        ; implicit-def: $vgpr2
	s_branch .LBB110_807
.LBB110_771:
	s_mov_b64 s[40:41], -1
	s_mov_b64 s[34:35], s[0:1]
                                        ; implicit-def: $vgpr2
	s_branch .LBB110_790
.LBB110_772:
	s_mov_b64 s[40:41], -1
	s_mov_b64 s[34:35], s[0:1]
                                        ; implicit-def: $vgpr2
	s_branch .LBB110_785
.LBB110_773:
	s_andn2_saveexec_b64 s[36:37], s[36:37]
	s_cbranch_execz .LBB110_669
.LBB110_774:
	s_mov_b32 s41, 0x46000000
	v_add_f32_e64 v3, |v2|, s41
	v_and_b32_e32 v3, 0xff, v3
	v_cmp_ne_u32_e32 vcc, 0, v3
	s_andn2_b64 s[34:35], s[34:35], exec
	s_and_b64 s[42:43], vcc, exec
	s_or_b64 s[34:35], s[34:35], s[42:43]
	s_or_b64 exec, exec, s[36:37]
	v_mov_b32_e32 v5, 0
	s_and_saveexec_b64 s[36:37], s[34:35]
	s_cbranch_execnz .LBB110_670
	s_branch .LBB110_671
.LBB110_775:
	s_mov_b64 s[40:41], -1
	s_mov_b64 s[34:35], s[0:1]
	s_branch .LBB110_779
.LBB110_776:
	s_andn2_saveexec_b64 s[36:37], s[36:37]
	s_cbranch_execz .LBB110_682
.LBB110_777:
	s_mov_b32 s41, 0x42800000
	v_add_f32_e64 v3, |v2|, s41
	v_and_b32_e32 v3, 0xff, v3
	v_cmp_ne_u32_e32 vcc, 0, v3
	s_andn2_b64 s[34:35], s[34:35], exec
	s_and_b64 s[42:43], vcc, exec
	s_or_b64 s[34:35], s[34:35], s[42:43]
	s_or_b64 exec, exec, s[36:37]
	v_mov_b32_e32 v5, 0
	s_and_saveexec_b64 s[36:37], s[34:35]
	s_cbranch_execnz .LBB110_683
	s_branch .LBB110_684
.LBB110_778:
	s_mov_b64 s[34:35], -1
.LBB110_779:
                                        ; implicit-def: $vgpr2
.LBB110_780:
	s_and_b64 vcc, exec, s[40:41]
	s_cbranch_vccz .LBB110_784
; %bb.781:
	s_cmp_eq_u32 s42, 44
	s_cbranch_scc0 .LBB110_783
; %bb.782:
	global_load_ubyte v2, v[0:1], off
	s_mov_b64 s[34:35], 0
	s_mov_b64 s[38:39], -1
	s_waitcnt vmcnt(0)
	v_lshlrev_b32_e32 v3, 23, v2
	v_cvt_i32_f32_e32 v3, v3
	v_cmp_ne_u32_e32 vcc, 0, v2
	v_cndmask_b32_e32 v2, 0, v3, vcc
	s_branch .LBB110_784
.LBB110_783:
	s_mov_b64 s[34:35], -1
                                        ; implicit-def: $vgpr2
.LBB110_784:
	s_mov_b64 s[40:41], 0
.LBB110_785:
	s_and_b64 vcc, exec, s[40:41]
	s_cbranch_vccz .LBB110_789
; %bb.786:
	s_cmp_eq_u32 s42, 29
	s_cbranch_scc0 .LBB110_788
; %bb.787:
	global_load_dwordx2 v[2:3], v[0:1], off
	s_mov_b64 s[34:35], 0
	s_mov_b64 s[38:39], -1
	s_branch .LBB110_789
.LBB110_788:
	s_mov_b64 s[34:35], -1
                                        ; implicit-def: $vgpr2
.LBB110_789:
	s_mov_b64 s[40:41], 0
.LBB110_790:
	s_and_b64 vcc, exec, s[40:41]
	s_cbranch_vccz .LBB110_806
; %bb.791:
	s_cmp_lt_i32 s42, 27
	s_cbranch_scc1 .LBB110_794
; %bb.792:
	s_cmp_gt_i32 s42, 27
	s_cbranch_scc0 .LBB110_795
; %bb.793:
	global_load_dword v2, v[0:1], off
	s_mov_b64 s[38:39], 0
	s_branch .LBB110_796
.LBB110_794:
	s_mov_b64 s[38:39], -1
                                        ; implicit-def: $vgpr2
	s_branch .LBB110_799
.LBB110_795:
	s_mov_b64 s[38:39], -1
                                        ; implicit-def: $vgpr2
.LBB110_796:
	s_andn2_b64 vcc, exec, s[38:39]
	s_cbranch_vccnz .LBB110_798
; %bb.797:
	global_load_ushort v2, v[0:1], off
.LBB110_798:
	s_mov_b64 s[38:39], 0
.LBB110_799:
	s_andn2_b64 vcc, exec, s[38:39]
	s_cbranch_vccnz .LBB110_805
; %bb.800:
	global_load_ubyte v3, v[0:1], off
	s_movk_i32 s38, 0x7f
	s_mov_b64 s[40:41], 0
	s_waitcnt vmcnt(0)
	v_cmp_lt_i16_e32 vcc, s38, v3
	s_and_saveexec_b64 s[38:39], vcc
	s_xor_b64 s[38:39], exec, s[38:39]
	s_cbranch_execz .LBB110_817
; %bb.801:
	s_movk_i32 s40, 0x80
	v_cmp_ne_u16_e32 vcc, s40, v3
	s_and_b64 s[40:41], vcc, exec
	s_andn2_saveexec_b64 s[38:39], s[38:39]
	s_cbranch_execnz .LBB110_818
.LBB110_802:
	s_or_b64 exec, exec, s[38:39]
	v_mov_b32_e32 v2, 0
	s_and_saveexec_b64 s[38:39], s[40:41]
	s_cbranch_execz .LBB110_804
.LBB110_803:
	v_lshlrev_b32_e32 v2, 24, v3
	v_and_b32_e32 v3, 0xffff, v3
	v_and_b32_e32 v4, 7, v3
	v_ffbh_u32_e32 v6, v4
	v_min_u32_e32 v6, 32, v6
	v_subrev_u32_e32 v7, 28, v6
	v_bfe_u32 v5, v3, 3, 4
	v_lshlrev_b32_e32 v3, v7, v3
	v_sub_u32_e32 v6, 29, v6
	v_and_b32_e32 v3, 7, v3
	v_cmp_eq_u32_e32 vcc, 0, v5
	v_cndmask_b32_e32 v5, v5, v6, vcc
	v_cndmask_b32_e32 v3, v4, v3, vcc
	v_mov_b32_e32 v4, 0x3b800000
	v_lshlrev_b32_e32 v3, 20, v3
	v_and_b32_e32 v2, 0x80000000, v2
	v_lshl_add_u32 v4, v5, 23, v4
	v_or3_b32 v2, v2, v4, v3
	v_cvt_i32_f32_e32 v2, v2
.LBB110_804:
	s_or_b64 exec, exec, s[38:39]
.LBB110_805:
	s_mov_b64 s[38:39], -1
.LBB110_806:
	s_mov_b64 s[40:41], 0
.LBB110_807:
	s_and_b64 vcc, exec, s[40:41]
	s_cbranch_vccz .LBB110_838
; %bb.808:
	s_cmp_gt_i32 s42, 22
	s_cbranch_scc0 .LBB110_816
; %bb.809:
	s_cmp_lt_i32 s42, 24
	s_cbranch_scc1 .LBB110_819
; %bb.810:
	s_cmp_gt_i32 s42, 24
	s_cbranch_scc0 .LBB110_820
; %bb.811:
	global_load_ubyte v3, v[0:1], off
	s_movk_i32 s36, 0x7f
	s_mov_b64 s[38:39], 0
	s_waitcnt vmcnt(0)
	v_cmp_lt_i16_e32 vcc, s36, v3
	s_and_saveexec_b64 s[36:37], vcc
	s_xor_b64 s[36:37], exec, s[36:37]
	s_cbranch_execz .LBB110_832
; %bb.812:
	s_movk_i32 s38, 0x80
	v_cmp_ne_u16_e32 vcc, s38, v3
	s_and_b64 s[38:39], vcc, exec
	s_andn2_saveexec_b64 s[36:37], s[36:37]
	s_cbranch_execnz .LBB110_833
.LBB110_813:
	s_or_b64 exec, exec, s[36:37]
	v_mov_b32_e32 v2, 0
	s_and_saveexec_b64 s[36:37], s[38:39]
	s_cbranch_execz .LBB110_815
.LBB110_814:
	v_lshlrev_b32_e32 v2, 24, v3
	v_and_b32_e32 v3, 0xffff, v3
	v_and_b32_e32 v4, 3, v3
	v_ffbh_u32_e32 v6, v4
	v_min_u32_e32 v6, 32, v6
	v_subrev_u32_e32 v7, 29, v6
	v_bfe_u32 v5, v3, 2, 5
	v_lshlrev_b32_e32 v3, v7, v3
	v_sub_u32_e32 v6, 30, v6
	v_and_b32_e32 v3, 3, v3
	v_cmp_eq_u32_e32 vcc, 0, v5
	v_cndmask_b32_e32 v5, v5, v6, vcc
	v_cndmask_b32_e32 v3, v4, v3, vcc
	v_mov_b32_e32 v4, 0x37800000
	v_lshlrev_b32_e32 v3, 21, v3
	v_and_b32_e32 v2, 0x80000000, v2
	v_lshl_add_u32 v4, v5, 23, v4
	v_or3_b32 v2, v2, v4, v3
	v_cvt_i32_f32_e32 v2, v2
.LBB110_815:
	s_or_b64 exec, exec, s[36:37]
	s_mov_b64 s[36:37], 0
	s_branch .LBB110_821
.LBB110_816:
	s_mov_b64 s[36:37], -1
                                        ; implicit-def: $vgpr2
	s_branch .LBB110_827
.LBB110_817:
	s_andn2_saveexec_b64 s[38:39], s[38:39]
	s_cbranch_execz .LBB110_802
.LBB110_818:
	v_cmp_ne_u16_e32 vcc, 0, v3
	s_andn2_b64 s[40:41], s[40:41], exec
	s_and_b64 s[46:47], vcc, exec
	s_or_b64 s[40:41], s[40:41], s[46:47]
	s_or_b64 exec, exec, s[38:39]
	v_mov_b32_e32 v2, 0
	s_and_saveexec_b64 s[38:39], s[40:41]
	s_cbranch_execnz .LBB110_803
	s_branch .LBB110_804
.LBB110_819:
	s_mov_b64 s[36:37], -1
                                        ; implicit-def: $vgpr2
	s_branch .LBB110_824
.LBB110_820:
	s_mov_b64 s[36:37], -1
                                        ; implicit-def: $vgpr2
.LBB110_821:
	s_and_b64 vcc, exec, s[36:37]
	s_cbranch_vccz .LBB110_823
; %bb.822:
	global_load_ubyte v2, v[0:1], off
	s_mov_b32 s36, 0x7f800000
	s_waitcnt vmcnt(0)
	v_lshlrev_b32_e32 v2, 24, v2
	v_and_b32_e32 v3, 0x7f000000, v2
	v_ffbh_u32_e32 v4, v3
	v_min_u32_e32 v4, 32, v4
	v_sub_u32_e64 v4, v4, 4 clamp
	v_lshlrev_b32_e32 v6, v4, v3
	v_lshlrev_b32_e32 v4, 23, v4
	v_lshrrev_b32_e32 v6, 4, v6
	v_add_u32_e32 v5, 0x1000000, v3
	v_sub_u32_e32 v4, v6, v4
	v_ashrrev_i32_e32 v5, 8, v5
	v_add_u32_e32 v4, 0x3c000000, v4
	v_and_or_b32 v4, v5, s36, v4
	v_cmp_ne_u32_e32 vcc, 0, v3
	v_cndmask_b32_e32 v3, 0, v4, vcc
	s_brev_b32 s36, 1
	v_and_or_b32 v2, v2, s36, v3
	v_cvt_i32_f32_e32 v2, v2
.LBB110_823:
	s_mov_b64 s[36:37], 0
.LBB110_824:
	s_andn2_b64 vcc, exec, s[36:37]
	s_cbranch_vccnz .LBB110_826
; %bb.825:
	global_load_ubyte v2, v[0:1], off
	s_movk_i32 s36, 0x7f00
	s_brev_b32 s37, 16
	s_waitcnt vmcnt(0)
	v_lshlrev_b16_e32 v3, 8, v2
	v_lshlrev_b32_e32 v2, 25, v2
	v_lshrrev_b32_e32 v4, 4, v2
	v_and_or_b32 v5, v3, s36, 0.5
	v_or_b32_e32 v4, 0x70000000, v4
	v_add_f32_e32 v5, -0.5, v5
	v_mul_f32_e32 v4, 0x7800000, v4
	v_cmp_gt_u32_e32 vcc, s37, v2
	v_bfe_i32 v3, v3, 0, 16
	v_cndmask_b32_e32 v2, v4, v5, vcc
	s_brev_b32 s36, 1
	v_and_or_b32 v2, v3, s36, v2
	v_cvt_i32_f32_e32 v2, v2
.LBB110_826:
	s_mov_b64 s[36:37], 0
	s_mov_b64 s[38:39], -1
.LBB110_827:
	s_andn2_b64 vcc, exec, s[36:37]
	s_mov_b64 s[36:37], 0
	s_cbranch_vccnz .LBB110_838
; %bb.828:
	s_cmp_gt_i32 s42, 14
	s_cbranch_scc0 .LBB110_831
; %bb.829:
	s_cmp_eq_u32 s42, 15
	s_cbranch_scc0 .LBB110_834
; %bb.830:
	global_load_ushort v2, v[0:1], off
	s_mov_b64 s[34:35], 0
	s_mov_b64 s[38:39], -1
	s_waitcnt vmcnt(0)
	v_lshlrev_b32_e32 v2, 16, v2
	v_cvt_i32_f32_e32 v2, v2
	s_branch .LBB110_835
.LBB110_831:
	s_mov_b64 s[40:41], -1
                                        ; implicit-def: $vgpr2
	s_branch .LBB110_836
.LBB110_832:
	s_andn2_saveexec_b64 s[36:37], s[36:37]
	s_cbranch_execz .LBB110_813
.LBB110_833:
	v_cmp_ne_u16_e32 vcc, 0, v3
	s_andn2_b64 s[38:39], s[38:39], exec
	s_and_b64 s[40:41], vcc, exec
	s_or_b64 s[38:39], s[38:39], s[40:41]
	s_or_b64 exec, exec, s[36:37]
	v_mov_b32_e32 v2, 0
	s_and_saveexec_b64 s[36:37], s[38:39]
	s_cbranch_execnz .LBB110_814
	s_branch .LBB110_815
.LBB110_834:
	s_mov_b64 s[34:35], -1
                                        ; implicit-def: $vgpr2
.LBB110_835:
	s_mov_b64 s[40:41], 0
.LBB110_836:
	s_and_b64 vcc, exec, s[40:41]
	s_cbranch_vccz .LBB110_838
; %bb.837:
	s_cmp_lg_u32 s42, 11
	s_cselect_b64 s[40:41], -1, 0
	s_andn2_b64 s[34:35], s[34:35], exec
	s_and_b64 s[40:41], s[40:41], exec
	s_mov_b64 s[36:37], -1
	s_or_b64 s[34:35], s[34:35], s[40:41]
.LBB110_838:
	s_mov_b64 s[40:41], 0
.LBB110_839:
	s_and_b64 s[42:43], s[40:41], exec
	s_andn2_b64 s[40:41], s[0:1], exec
	s_and_b64 s[34:35], s[34:35], exec
	s_and_b64 s[38:39], s[38:39], exec
	;; [unrolled: 1-line block ×3, first 2 shown]
	s_or_b64 s[40:41], s[40:41], s[34:35]
.LBB110_840:
	s_or_b64 exec, exec, s[28:29]
	s_and_b64 s[34:35], s[36:37], exec
	s_andn2_b64 s[0:1], s[0:1], exec
	s_and_b64 s[36:37], s[40:41], exec
	s_and_b64 s[38:39], s[38:39], exec
	;; [unrolled: 1-line block ×3, first 2 shown]
	s_or_b64 s[0:1], s[0:1], s[36:37]
.LBB110_841:
	s_or_b64 exec, exec, s[26:27]
	s_andn2_b64 s[22:23], s[22:23], exec
	s_and_b64 s[26:27], s[30:31], exec
	s_andn2_b64 s[20:21], s[20:21], exec
	s_and_b64 s[0:1], s[0:1], exec
	s_or_b64 s[22:23], s[22:23], s[26:27]
	s_and_b64 s[30:31], s[38:39], exec
	s_and_b64 s[28:29], s[28:29], exec
	;; [unrolled: 1-line block ×3, first 2 shown]
	s_or_b64 s[20:21], s[20:21], s[0:1]
.LBB110_842:
	s_or_b64 exec, exec, s[24:25]
	s_andn2_b64 s[0:1], s[6:7], exec
	s_and_b64 s[6:7], s[22:23], exec
	s_andn2_b64 s[16:17], s[16:17], exec
	s_and_b64 s[20:21], s[20:21], exec
	s_or_b64 s[6:7], s[0:1], s[6:7]
	s_and_b64 s[0:1], s[30:31], exec
	s_and_b64 s[24:25], s[28:29], exec
	;; [unrolled: 1-line block ×3, first 2 shown]
	s_or_b64 s[16:17], s[16:17], s[20:21]
	s_or_b64 exec, exec, s[18:19]
	s_mov_b64 s[18:19], 0
	s_and_saveexec_b64 s[20:21], s[16:17]
	s_cbranch_execz .LBB110_258
.LBB110_843:
	s_mov_b64 s[18:19], exec
	s_andn2_b64 s[22:23], s[22:23], exec
	s_trap 2
	s_or_b64 exec, exec, s[20:21]
	s_and_saveexec_b64 s[16:17], s[22:23]
	s_xor_b64 s[16:17], exec, s[16:17]
	s_cbranch_execnz .LBB110_259
.LBB110_844:
	s_or_b64 exec, exec, s[16:17]
	s_and_saveexec_b64 s[16:17], s[24:25]
	s_cbranch_execz .LBB110_890
.LBB110_845:
	s_sext_i32_i16 s20, s45
	s_cmp_lt_i32 s20, 5
	s_cbranch_scc1 .LBB110_850
; %bb.846:
	s_cmp_lt_i32 s20, 8
	s_cbranch_scc1 .LBB110_851
; %bb.847:
	;; [unrolled: 3-line block ×3, first 2 shown]
	s_cmp_gt_i32 s20, 9
	s_cbranch_scc0 .LBB110_853
; %bb.849:
	global_load_dwordx2 v[2:3], v[0:1], off
	s_mov_b64 s[20:21], 0
	s_waitcnt vmcnt(0)
	v_cvt_i32_f64_e32 v2, v[2:3]
	s_branch .LBB110_854
.LBB110_850:
                                        ; implicit-def: $vgpr2
	s_branch .LBB110_871
.LBB110_851:
                                        ; implicit-def: $vgpr2
	s_branch .LBB110_860
.LBB110_852:
	s_mov_b64 s[20:21], -1
                                        ; implicit-def: $vgpr2
	s_branch .LBB110_857
.LBB110_853:
	s_mov_b64 s[20:21], -1
                                        ; implicit-def: $vgpr2
.LBB110_854:
	s_andn2_b64 vcc, exec, s[20:21]
	s_cbranch_vccnz .LBB110_856
; %bb.855:
	global_load_dword v2, v[0:1], off
	s_waitcnt vmcnt(0)
	v_cvt_i32_f32_e32 v2, v2
.LBB110_856:
	s_mov_b64 s[20:21], 0
.LBB110_857:
	s_andn2_b64 vcc, exec, s[20:21]
	s_cbranch_vccnz .LBB110_859
; %bb.858:
	global_load_dword v2, v[0:1], off
	s_waitcnt vmcnt(0)
	v_cvt_i16_f16_e32 v2, v2
.LBB110_859:
	s_cbranch_execnz .LBB110_870
.LBB110_860:
	s_sext_i32_i16 s20, s45
	s_cmp_lt_i32 s20, 6
	s_cbranch_scc1 .LBB110_863
; %bb.861:
	s_cmp_gt_i32 s20, 6
	s_cbranch_scc0 .LBB110_864
; %bb.862:
	global_load_dwordx2 v[2:3], v[0:1], off
	s_mov_b64 s[20:21], 0
	s_waitcnt vmcnt(0)
	v_cvt_i32_f64_e32 v2, v[2:3]
	s_branch .LBB110_865
.LBB110_863:
	s_mov_b64 s[20:21], -1
                                        ; implicit-def: $vgpr2
	s_branch .LBB110_868
.LBB110_864:
	s_mov_b64 s[20:21], -1
                                        ; implicit-def: $vgpr2
.LBB110_865:
	s_andn2_b64 vcc, exec, s[20:21]
	s_cbranch_vccnz .LBB110_867
; %bb.866:
	global_load_dword v2, v[0:1], off
	s_waitcnt vmcnt(0)
	v_cvt_i32_f32_e32 v2, v2
.LBB110_867:
	s_mov_b64 s[20:21], 0
.LBB110_868:
	s_andn2_b64 vcc, exec, s[20:21]
	s_cbranch_vccnz .LBB110_870
; %bb.869:
	global_load_ushort v2, v[0:1], off
	s_waitcnt vmcnt(0)
	v_cvt_i16_f16_e32 v2, v2
.LBB110_870:
	s_cbranch_execnz .LBB110_889
.LBB110_871:
	s_sext_i32_i16 s20, s45
	s_cmp_lt_i32 s20, 2
	s_cbranch_scc1 .LBB110_875
; %bb.872:
	s_cmp_lt_i32 s20, 3
	s_cbranch_scc1 .LBB110_876
; %bb.873:
	s_cmp_gt_i32 s20, 3
	s_cbranch_scc0 .LBB110_877
; %bb.874:
	global_load_dwordx2 v[2:3], v[0:1], off
	s_mov_b64 s[20:21], 0
	s_branch .LBB110_878
.LBB110_875:
                                        ; implicit-def: $vgpr2
	s_branch .LBB110_884
.LBB110_876:
	s_mov_b64 s[20:21], -1
                                        ; implicit-def: $vgpr2
	s_branch .LBB110_881
.LBB110_877:
	s_mov_b64 s[20:21], -1
                                        ; implicit-def: $vgpr2
.LBB110_878:
	s_andn2_b64 vcc, exec, s[20:21]
	s_cbranch_vccnz .LBB110_880
; %bb.879:
	global_load_dword v2, v[0:1], off
.LBB110_880:
	s_mov_b64 s[20:21], 0
.LBB110_881:
	s_andn2_b64 vcc, exec, s[20:21]
	s_cbranch_vccnz .LBB110_883
; %bb.882:
	global_load_ushort v2, v[0:1], off
.LBB110_883:
	s_cbranch_execnz .LBB110_889
.LBB110_884:
	s_sext_i32_i16 s20, s45
	s_cmp_gt_i32 s20, 0
	s_cbranch_scc0 .LBB110_886
; %bb.885:
	global_load_sbyte v2, v[0:1], off
	s_mov_b64 s[20:21], 0
	s_branch .LBB110_887
.LBB110_886:
	s_mov_b64 s[20:21], -1
                                        ; implicit-def: $vgpr2
.LBB110_887:
	s_andn2_b64 vcc, exec, s[20:21]
	s_cbranch_vccnz .LBB110_889
; %bb.888:
	global_load_ubyte v2, v[0:1], off
.LBB110_889:
	s_or_b64 s[0:1], s[0:1], exec
.LBB110_890:
	s_or_b64 exec, exec, s[16:17]
	s_mov_b64 s[22:23], 0
	s_mov_b64 s[20:21], 0
                                        ; implicit-def: $sgpr28
                                        ; implicit-def: $vgpr0_vgpr1
                                        ; implicit-def: $vgpr4
	s_and_saveexec_b64 s[16:17], s[0:1]
	s_cbranch_execz .LBB110_898
; %bb.891:
	v_mul_lo_u32 v1, v9, s12
	v_mov_b32_e32 v0, s33
	s_waitcnt vmcnt(0)
	v_mov_b32_e32 v3, s15
	v_cmp_lt_i16_e32 vcc, s14, v2
	v_cndmask_b32_e32 v4, v0, v3, vcc
	v_ashrrev_i32_e32 v2, 31, v1
	v_mov_b32_e32 v3, s9
	s_and_b32 s28, s44, 0xff
	v_add_co_u32_e32 v0, vcc, s8, v1
	s_cmp_lt_i32 s28, 11
	v_addc_co_u32_e32 v1, vcc, v3, v2, vcc
	s_cbranch_scc1 .LBB110_901
; %bb.892:
	s_and_b32 s29, 0xffff, s28
	s_mov_b64 s[22:23], -1
	s_cmp_gt_i32 s29, 25
	s_mov_b64 s[0:1], s[6:7]
	s_cbranch_scc0 .LBB110_929
; %bb.893:
	s_mov_b64 s[20:21], -1
	s_cmp_gt_i32 s29, 28
	s_mov_b64 s[0:1], s[6:7]
	s_cbranch_scc0 .LBB110_913
; %bb.894:
	s_cmp_gt_i32 s29, 43
	s_mov_b64 s[0:1], s[6:7]
	s_cbranch_scc0 .LBB110_909
; %bb.895:
	;; [unrolled: 4-line block ×3, first 2 shown]
	s_cmp_eq_u32 s29, 46
	s_mov_b64 s[0:1], -1
	s_cbranch_scc0 .LBB110_902
; %bb.897:
	v_cvt_f32_i32_sdwa v2, sext(v4) dst_sel:DWORD dst_unused:UNUSED_PAD src0_sel:WORD_0
	s_movk_i32 s0, 0x7fff
	s_mov_b64 s[20:21], 0
	v_bfe_u32 v3, v2, 16, 1
	v_add3_u32 v2, v2, v3, s0
	v_lshrrev_b32_e32 v2, 16, v2
	global_store_dword v[0:1], v2, off
	s_mov_b64 s[0:1], 0
	s_branch .LBB110_903
.LBB110_898:
	s_or_b64 exec, exec, s[16:17]
	s_and_saveexec_b64 s[0:1], s[6:7]
	s_cbranch_execnz .LBB110_971
.LBB110_899:
	s_or_b64 exec, exec, s[0:1]
	s_and_saveexec_b64 s[0:1], s[22:23]
	s_xor_b64 s[0:1], exec, s[0:1]
	s_cbranch_execz .LBB110_972
.LBB110_900:
	v_cmp_ne_u16_e32 vcc, 0, v4
	s_waitcnt vmcnt(0)
	v_cndmask_b32_e64 v2, 0, 1, vcc
	global_store_byte v[0:1], v2, off
	s_or_b64 exec, exec, s[0:1]
	s_and_saveexec_b64 s[0:1], s[20:21]
	s_xor_b64 s[0:1], exec, s[0:1]
	s_cbranch_execz .LBB110_1010
	s_branch .LBB110_973
.LBB110_901:
	s_mov_b64 s[20:21], -1
	s_mov_b64 s[0:1], s[6:7]
	s_branch .LBB110_970
.LBB110_902:
	s_mov_b64 s[20:21], 0
.LBB110_903:
	s_and_b64 vcc, exec, s[20:21]
	s_cbranch_vccz .LBB110_908
; %bb.904:
	s_cmp_eq_u32 s29, 44
	s_mov_b64 s[0:1], -1
	s_cbranch_scc0 .LBB110_908
; %bb.905:
	v_cvt_f32_i32_sdwa v2, sext(v4) dst_sel:DWORD dst_unused:UNUSED_PAD src0_sel:WORD_0
	s_movk_i32 s0, 0xff
	v_mov_b32_e32 v5, 0xff
	v_bfe_u32 v3, v2, 23, 8
	v_cmp_ne_u32_e32 vcc, s0, v3
	s_and_saveexec_b64 s[20:21], vcc
; %bb.906:
	s_mov_b32 s0, 0x3fffff
	v_lshrrev_b32_e32 v5, 23, v2
	v_and_b32_e32 v6, 0x400000, v2
	v_and_or_b32 v2, v2, s0, v3
	v_cmp_ne_u32_e32 vcc, 0, v6
	v_cmp_ne_u32_e64 s[0:1], 0, v2
	s_and_b64 s[0:1], vcc, s[0:1]
	v_cndmask_b32_e64 v2, 0, 1, s[0:1]
	v_add_u32_e32 v5, v5, v2
; %bb.907:
	s_or_b64 exec, exec, s[20:21]
	s_mov_b64 s[0:1], 0
	global_store_byte v[0:1], v5, off
.LBB110_908:
	s_mov_b64 s[20:21], 0
.LBB110_909:
	s_and_b64 vcc, exec, s[20:21]
	s_cbranch_vccz .LBB110_912
; %bb.910:
	s_cmp_eq_u32 s29, 29
	s_mov_b64 s[0:1], -1
	s_cbranch_scc0 .LBB110_912
; %bb.911:
	v_bfe_i32 v2, v4, 0, 16
	v_ashrrev_i32_e32 v3, 31, v2
	global_store_dwordx2 v[0:1], v[2:3], off
	s_mov_b64 s[0:1], 0
.LBB110_912:
	s_mov_b64 s[20:21], 0
.LBB110_913:
	s_and_b64 vcc, exec, s[20:21]
	s_cbranch_vccz .LBB110_928
; %bb.914:
	s_cmp_lt_i32 s29, 27
	s_mov_b64 s[20:21], -1
	s_cbranch_scc1 .LBB110_920
; %bb.915:
	s_cmp_gt_i32 s29, 27
	s_cbranch_scc0 .LBB110_917
; %bb.916:
	v_bfe_i32 v2, v4, 0, 16
	s_mov_b64 s[20:21], 0
	global_store_dword v[0:1], v2, off
.LBB110_917:
	s_andn2_b64 vcc, exec, s[20:21]
	s_cbranch_vccnz .LBB110_919
; %bb.918:
	global_store_short v[0:1], v4, off
.LBB110_919:
	s_mov_b64 s[20:21], 0
.LBB110_920:
	s_andn2_b64 vcc, exec, s[20:21]
	s_cbranch_vccnz .LBB110_928
; %bb.921:
	v_cvt_f32_i32_sdwa v2, sext(v4) dst_sel:DWORD dst_unused:UNUSED_PAD src0_sel:WORD_0
	s_mov_b32 s20, 0x43800000
	v_mov_b32_e32 v5, 0x80
	v_and_b32_e32 v3, 0x7fffffff, v2
	v_cmp_gt_u32_e32 vcc, s20, v3
	s_and_saveexec_b64 s[20:21], vcc
	s_cbranch_execz .LBB110_927
; %bb.922:
	s_mov_b32 s22, 0x3bffffff
	v_cmp_lt_u32_e32 vcc, s22, v3
	s_mov_b64 s[22:23], 0
                                        ; implicit-def: $vgpr3
	s_and_saveexec_b64 s[24:25], vcc
	s_xor_b64 s[24:25], exec, s[24:25]
	s_cbranch_execz .LBB110_1025
; %bb.923:
	v_bfe_u32 v3, v2, 20, 1
	s_mov_b32 s26, 0x487ffff
	v_add3_u32 v3, v2, v3, s26
	s_mov_b64 s[22:23], exec
	v_lshrrev_b32_e32 v3, 20, v3
	s_andn2_saveexec_b64 s[24:25], s[24:25]
	s_cbranch_execnz .LBB110_1026
.LBB110_924:
	s_or_b64 exec, exec, s[24:25]
	v_mov_b32_e32 v5, 0
	s_and_saveexec_b64 s[24:25], s[22:23]
.LBB110_925:
	v_lshrrev_b32_e32 v2, 24, v2
	s_movk_i32 s22, 0x80
	v_and_or_b32 v5, v2, s22, v3
.LBB110_926:
	s_or_b64 exec, exec, s[24:25]
.LBB110_927:
	s_or_b64 exec, exec, s[20:21]
	global_store_byte v[0:1], v5, off
.LBB110_928:
	s_mov_b64 s[22:23], 0
.LBB110_929:
	s_mov_b64 s[20:21], 0
	s_and_b64 vcc, exec, s[22:23]
	s_cbranch_vccz .LBB110_969
; %bb.930:
	s_cmp_gt_i32 s29, 22
	s_mov_b64 s[22:23], -1
	s_cbranch_scc0 .LBB110_962
; %bb.931:
	s_cmp_lt_i32 s29, 24
	s_cbranch_scc1 .LBB110_951
; %bb.932:
	s_cmp_gt_i32 s29, 24
	s_cbranch_scc0 .LBB110_940
; %bb.933:
	v_cvt_f32_i32_sdwa v2, sext(v4) dst_sel:DWORD dst_unused:UNUSED_PAD src0_sel:WORD_0
	s_mov_b32 s22, 0x47800000
	v_mov_b32_e32 v5, 0x80
	v_and_b32_e32 v3, 0x7fffffff, v2
	v_cmp_gt_u32_e32 vcc, s22, v3
	s_and_saveexec_b64 s[22:23], vcc
	s_cbranch_execz .LBB110_939
; %bb.934:
	s_mov_b32 s24, 0x37ffffff
	v_cmp_lt_u32_e32 vcc, s24, v3
	s_mov_b64 s[24:25], 0
                                        ; implicit-def: $vgpr3
	s_and_saveexec_b64 s[26:27], vcc
	s_xor_b64 s[26:27], exec, s[26:27]
	s_cbranch_execz .LBB110_1145
; %bb.935:
	v_bfe_u32 v3, v2, 21, 1
	s_mov_b32 s30, 0x88fffff
	v_add3_u32 v3, v2, v3, s30
	s_mov_b64 s[24:25], exec
	v_lshrrev_b32_e32 v3, 21, v3
	s_andn2_saveexec_b64 s[26:27], s[26:27]
	s_cbranch_execnz .LBB110_1146
.LBB110_936:
	s_or_b64 exec, exec, s[26:27]
	v_mov_b32_e32 v5, 0
	s_and_saveexec_b64 s[26:27], s[24:25]
.LBB110_937:
	v_lshrrev_b32_e32 v2, 24, v2
	s_movk_i32 s24, 0x80
	v_and_or_b32 v5, v2, s24, v3
.LBB110_938:
	s_or_b64 exec, exec, s[26:27]
.LBB110_939:
	s_or_b64 exec, exec, s[22:23]
	s_mov_b64 s[22:23], 0
	global_store_byte v[0:1], v5, off
.LBB110_940:
	s_and_b64 vcc, exec, s[22:23]
	s_cbranch_vccz .LBB110_950
; %bb.941:
	v_cvt_f32_i32_sdwa v2, sext(v4) dst_sel:DWORD dst_unused:UNUSED_PAD src0_sel:WORD_0
	s_mov_b32 s22, 0x43f00000
                                        ; implicit-def: $vgpr3
	v_and_b32_e32 v5, 0x7fffffff, v2
	v_cmp_gt_u32_e32 vcc, s22, v5
	s_and_saveexec_b64 s[22:23], vcc
	s_xor_b64 s[22:23], exec, s[22:23]
	s_cbranch_execz .LBB110_947
; %bb.942:
	s_mov_b32 s24, 0x3c7fffff
	v_cmp_lt_u32_e32 vcc, s24, v5
                                        ; implicit-def: $vgpr3
	s_and_saveexec_b64 s[24:25], vcc
	s_xor_b64 s[24:25], exec, s[24:25]
; %bb.943:
	v_bfe_u32 v3, v2, 20, 1
	s_mov_b32 s26, 0x407ffff
	v_add3_u32 v3, v2, v3, s26
	v_lshrrev_b32_e32 v5, 20, v3
	v_and_b32_e32 v3, 0xff00000, v3
	s_mov_b32 s26, 0x7f00000
	v_mov_b32_e32 v6, 0x7e
	v_cmp_ne_u32_e32 vcc, s26, v3
	v_cndmask_b32_e32 v3, v6, v5, vcc
; %bb.944:
	s_andn2_saveexec_b64 s[24:25], s[24:25]
; %bb.945:
	s_mov_b32 s26, 0x46800000
	v_add_f32_e64 v3, |v2|, s26
; %bb.946:
	s_or_b64 exec, exec, s[24:25]
                                        ; implicit-def: $vgpr5
.LBB110_947:
	s_andn2_saveexec_b64 s[22:23], s[22:23]
; %bb.948:
	s_mov_b32 s24, 0x7f800000
	v_mov_b32_e32 v3, 0x7e
	v_mov_b32_e32 v6, 0x7f
	v_cmp_lt_u32_e32 vcc, s24, v5
	v_cndmask_b32_e32 v3, v3, v6, vcc
; %bb.949:
	s_or_b64 exec, exec, s[22:23]
	v_lshrrev_b32_e32 v2, 24, v2
	s_movk_i32 s22, 0x80
	v_and_or_b32 v2, v2, s22, v3
	global_store_byte v[0:1], v2, off
.LBB110_950:
	s_mov_b64 s[22:23], 0
.LBB110_951:
	s_andn2_b64 vcc, exec, s[22:23]
	s_cbranch_vccnz .LBB110_961
; %bb.952:
	v_cvt_f32_i32_sdwa v2, sext(v4) dst_sel:DWORD dst_unused:UNUSED_PAD src0_sel:WORD_0
	s_mov_b32 s22, 0x47800000
                                        ; implicit-def: $vgpr3
	v_and_b32_e32 v5, 0x7fffffff, v2
	v_cmp_gt_u32_e32 vcc, s22, v5
	s_and_saveexec_b64 s[22:23], vcc
	s_xor_b64 s[22:23], exec, s[22:23]
	s_cbranch_execz .LBB110_958
; %bb.953:
	s_mov_b32 s24, 0x387fffff
	v_cmp_lt_u32_e32 vcc, s24, v5
                                        ; implicit-def: $vgpr3
	s_and_saveexec_b64 s[24:25], vcc
	s_xor_b64 s[24:25], exec, s[24:25]
; %bb.954:
	v_bfe_u32 v3, v2, 21, 1
	s_mov_b32 s26, 0x80fffff
	v_add3_u32 v3, v2, v3, s26
	v_lshrrev_b32_e32 v3, 21, v3
; %bb.955:
	s_andn2_saveexec_b64 s[24:25], s[24:25]
; %bb.956:
	s_mov_b32 s26, 0x43000000
	v_add_f32_e64 v3, |v2|, s26
; %bb.957:
	s_or_b64 exec, exec, s[24:25]
                                        ; implicit-def: $vgpr5
.LBB110_958:
	s_andn2_saveexec_b64 s[22:23], s[22:23]
; %bb.959:
	s_mov_b32 s24, 0x7f800000
	v_mov_b32_e32 v3, 0x7c
	v_mov_b32_e32 v6, 0x7f
	v_cmp_lt_u32_e32 vcc, s24, v5
	v_cndmask_b32_e32 v3, v3, v6, vcc
; %bb.960:
	s_or_b64 exec, exec, s[22:23]
	v_lshrrev_b32_e32 v2, 24, v2
	s_movk_i32 s22, 0x80
	v_and_or_b32 v2, v2, s22, v3
	global_store_byte v[0:1], v2, off
.LBB110_961:
	s_mov_b64 s[22:23], 0
.LBB110_962:
	s_andn2_b64 vcc, exec, s[22:23]
	s_mov_b64 s[22:23], 0
	s_cbranch_vccnz .LBB110_970
; %bb.963:
	s_cmp_gt_i32 s29, 14
	s_mov_b64 s[24:25], -1
	s_cbranch_scc0 .LBB110_967
; %bb.964:
	s_cmp_eq_u32 s29, 15
	s_mov_b64 s[0:1], -1
	s_cbranch_scc0 .LBB110_966
; %bb.965:
	v_cvt_f32_i32_sdwa v2, sext(v4) dst_sel:DWORD dst_unused:UNUSED_PAD src0_sel:WORD_0
	s_movk_i32 s0, 0x7fff
	v_bfe_u32 v3, v2, 16, 1
	v_add3_u32 v2, v2, v3, s0
	global_store_short_d16_hi v[0:1], v2, off
	s_mov_b64 s[0:1], 0
.LBB110_966:
	s_mov_b64 s[24:25], 0
.LBB110_967:
	s_and_b64 vcc, exec, s[24:25]
	s_cbranch_vccz .LBB110_970
; %bb.968:
	s_cmp_lg_u32 s29, 11
	s_cselect_b64 s[24:25], -1, 0
	s_andn2_b64 s[0:1], s[0:1], exec
	s_and_b64 s[24:25], s[24:25], exec
	s_mov_b64 s[22:23], -1
	s_or_b64 s[0:1], s[0:1], s[24:25]
	s_branch .LBB110_970
.LBB110_969:
	s_mov_b64 s[22:23], 0
.LBB110_970:
	s_andn2_b64 s[6:7], s[6:7], exec
	s_and_b64 s[0:1], s[0:1], exec
	s_and_b64 s[20:21], s[20:21], exec
	;; [unrolled: 1-line block ×3, first 2 shown]
	s_or_b64 s[6:7], s[6:7], s[0:1]
	s_or_b64 exec, exec, s[16:17]
	s_and_saveexec_b64 s[0:1], s[6:7]
	s_cbranch_execz .LBB110_899
.LBB110_971:
	s_or_b64 s[18:19], s[18:19], exec
	s_andn2_b64 s[22:23], s[22:23], exec
	s_trap 2
	s_or_b64 exec, exec, s[0:1]
	s_and_saveexec_b64 s[0:1], s[22:23]
	s_xor_b64 s[0:1], exec, s[0:1]
	s_cbranch_execnz .LBB110_900
.LBB110_972:
	s_or_b64 exec, exec, s[0:1]
	s_and_saveexec_b64 s[0:1], s[20:21]
	s_xor_b64 s[0:1], exec, s[0:1]
	s_cbranch_execz .LBB110_1010
.LBB110_973:
	s_sext_i32_i16 s16, s28
	s_cmp_lt_i32 s16, 5
	s_mov_b64 s[6:7], -1
	s_cbranch_scc1 .LBB110_994
; %bb.974:
	s_cmp_lt_i32 s16, 8
	s_cbranch_scc1 .LBB110_984
; %bb.975:
	s_cmp_lt_i32 s16, 9
	s_cbranch_scc1 .LBB110_981
; %bb.976:
	s_cmp_gt_i32 s16, 9
	s_cbranch_scc0 .LBB110_978
; %bb.977:
	s_waitcnt vmcnt(0)
	v_bfe_i32 v2, v4, 0, 16
	v_cvt_f64_i32_e32 v[5:6], v2
	v_mov_b32_e32 v7, 0
	v_mov_b32_e32 v8, v7
	s_mov_b64 s[6:7], 0
	global_store_dwordx4 v[0:1], v[5:8], off
.LBB110_978:
	s_andn2_b64 vcc, exec, s[6:7]
	s_cbranch_vccnz .LBB110_980
; %bb.979:
	s_waitcnt vmcnt(0)
	v_cvt_f32_i32_sdwa v2, sext(v4) dst_sel:DWORD dst_unused:UNUSED_PAD src0_sel:WORD_0
	v_mov_b32_e32 v3, 0
	global_store_dwordx2 v[0:1], v[2:3], off
.LBB110_980:
	s_mov_b64 s[6:7], 0
.LBB110_981:
	s_andn2_b64 vcc, exec, s[6:7]
	s_cbranch_vccnz .LBB110_983
; %bb.982:
	s_waitcnt vmcnt(0)
	v_cvt_f16_i16_e32 v2, v4
	global_store_dword v[0:1], v2, off
.LBB110_983:
	s_mov_b64 s[6:7], 0
.LBB110_984:
	s_andn2_b64 vcc, exec, s[6:7]
	s_cbranch_vccnz .LBB110_993
; %bb.985:
	s_sext_i32_i16 s16, s28
	s_cmp_lt_i32 s16, 6
	s_mov_b64 s[6:7], -1
	s_cbranch_scc1 .LBB110_991
; %bb.986:
	s_cmp_gt_i32 s16, 6
	s_cbranch_scc0 .LBB110_988
; %bb.987:
	s_waitcnt vmcnt(0)
	v_bfe_i32 v2, v4, 0, 16
	v_cvt_f64_i32_e32 v[2:3], v2
	s_mov_b64 s[6:7], 0
	global_store_dwordx2 v[0:1], v[2:3], off
.LBB110_988:
	s_andn2_b64 vcc, exec, s[6:7]
	s_cbranch_vccnz .LBB110_990
; %bb.989:
	s_waitcnt vmcnt(0)
	v_cvt_f32_i32_sdwa v2, sext(v4) dst_sel:DWORD dst_unused:UNUSED_PAD src0_sel:WORD_0
	global_store_dword v[0:1], v2, off
.LBB110_990:
	s_mov_b64 s[6:7], 0
.LBB110_991:
	s_andn2_b64 vcc, exec, s[6:7]
	s_cbranch_vccnz .LBB110_993
; %bb.992:
	s_waitcnt vmcnt(0)
	v_cvt_f16_i16_e32 v2, v4
	global_store_short v[0:1], v2, off
.LBB110_993:
	s_mov_b64 s[6:7], 0
.LBB110_994:
	s_andn2_b64 vcc, exec, s[6:7]
	s_cbranch_vccnz .LBB110_1010
; %bb.995:
	s_sext_i32_i16 s16, s28
	s_cmp_lt_i32 s16, 2
	s_mov_b64 s[6:7], -1
	s_cbranch_scc1 .LBB110_1005
; %bb.996:
	s_cmp_lt_i32 s16, 3
	s_cbranch_scc1 .LBB110_1002
; %bb.997:
	s_cmp_gt_i32 s16, 3
	s_waitcnt vmcnt(0)
	v_bfe_i32 v2, v4, 0, 16
	s_cbranch_scc0 .LBB110_999
; %bb.998:
	v_ashrrev_i32_e32 v3, 31, v2
	s_mov_b64 s[6:7], 0
	global_store_dwordx2 v[0:1], v[2:3], off
.LBB110_999:
	s_andn2_b64 vcc, exec, s[6:7]
	s_cbranch_vccnz .LBB110_1001
; %bb.1000:
	global_store_dword v[0:1], v2, off
.LBB110_1001:
	s_mov_b64 s[6:7], 0
.LBB110_1002:
	s_andn2_b64 vcc, exec, s[6:7]
	s_cbranch_vccnz .LBB110_1004
; %bb.1003:
	global_store_short v[0:1], v4, off
.LBB110_1004:
	s_mov_b64 s[6:7], 0
.LBB110_1005:
	s_andn2_b64 vcc, exec, s[6:7]
	s_cbranch_vccnz .LBB110_1010
; %bb.1006:
	s_sext_i32_i16 s6, s28
	s_cmp_gt_i32 s6, 0
	s_mov_b64 s[6:7], -1
	s_cbranch_scc0 .LBB110_1008
; %bb.1007:
	s_mov_b64 s[6:7], 0
	global_store_byte v[0:1], v4, off
.LBB110_1008:
	s_andn2_b64 vcc, exec, s[6:7]
	s_cbranch_vccnz .LBB110_1010
; %bb.1009:
	global_store_byte v[0:1], v4, off
.LBB110_1010:
	s_or_b64 exec, exec, s[0:1]
	s_and_b64 s[6:7], s[18:19], exec
                                        ; implicit-def: $vgpr9
.LBB110_1011:
	s_or_saveexec_b64 s[4:5], s[4:5]
	s_mov_b64 s[0:1], 0
                                        ; implicit-def: $sgpr22
                                        ; implicit-def: $vgpr0_vgpr1
                                        ; implicit-def: $vgpr4
	s_xor_b64 exec, exec, s[4:5]
	s_cbranch_execz .LBB110_1942
; %bb.1012:
	s_waitcnt vmcnt(0)
	v_mul_lo_u32 v2, s13, v9
	v_mov_b32_e32 v1, s11
	s_and_b32 s22, 0xffff, s45
	s_cmp_lt_i32 s22, 11
	v_ashrrev_i32_e32 v3, 31, v2
	v_add_co_u32_e32 v0, vcc, s10, v2
	v_addc_co_u32_e32 v1, vcc, v1, v3, vcc
	s_cbranch_scc1 .LBB110_1019
; %bb.1013:
	s_cmp_gt_i32 s22, 25
	s_cbranch_scc0 .LBB110_1021
; %bb.1014:
	s_cmp_gt_i32 s22, 28
	s_cbranch_scc0 .LBB110_1022
	;; [unrolled: 3-line block ×4, first 2 shown]
; %bb.1017:
	s_cmp_eq_u32 s22, 46
	s_mov_b64 s[16:17], 0
	s_cbranch_scc0 .LBB110_1027
; %bb.1018:
	global_load_dword v3, v[0:1], off
	s_mov_b64 s[18:19], -1
	s_waitcnt vmcnt(0)
	v_lshlrev_b32_e32 v3, 16, v3
	v_cvt_i32_f32_e32 v6, v3
	s_branch .LBB110_1028
.LBB110_1019:
	s_mov_b64 s[18:19], 0
                                        ; implicit-def: $vgpr6
	s_mov_b64 s[16:17], s[6:7]
	s_cbranch_execnz .LBB110_1086
.LBB110_1020:
	s_andn2_b64 vcc, exec, s[18:19]
	s_cbranch_vccz .LBB110_1131
	s_branch .LBB110_1940
.LBB110_1021:
	s_mov_b64 s[18:19], 0
                                        ; implicit-def: $vgpr6
	s_cbranch_execnz .LBB110_1053
	s_branch .LBB110_1082
.LBB110_1022:
	s_mov_b64 s[18:19], 0
                                        ; implicit-def: $vgpr6
	s_cbranch_execz .LBB110_1052
	s_branch .LBB110_1037
.LBB110_1023:
	s_mov_b64 s[18:19], 0
                                        ; implicit-def: $vgpr6
	s_cbranch_execnz .LBB110_1033
	s_branch .LBB110_1036
.LBB110_1024:
	s_mov_b64 s[16:17], -1
	s_mov_b64 s[18:19], 0
                                        ; implicit-def: $vgpr6
	s_branch .LBB110_1028
.LBB110_1025:
	s_andn2_saveexec_b64 s[24:25], s[24:25]
	s_cbranch_execz .LBB110_924
.LBB110_1026:
	s_mov_b32 s26, 0x46000000
	v_add_f32_e64 v3, |v2|, s26
	v_and_b32_e32 v3, 0xff, v3
	v_cmp_ne_u32_e32 vcc, 0, v3
	s_andn2_b64 s[22:23], s[22:23], exec
	s_and_b64 s[26:27], vcc, exec
	s_or_b64 s[22:23], s[22:23], s[26:27]
	s_or_b64 exec, exec, s[24:25]
	v_mov_b32_e32 v5, 0
	s_and_saveexec_b64 s[24:25], s[22:23]
	s_cbranch_execnz .LBB110_925
	s_branch .LBB110_926
.LBB110_1027:
	s_mov_b64 s[0:1], -1
                                        ; implicit-def: $vgpr6
	s_mov_b64 s[18:19], 0
.LBB110_1028:
	s_and_b64 vcc, exec, s[16:17]
	s_cbranch_vccz .LBB110_1031
; %bb.1029:
	s_cmp_eq_u32 s22, 44
	s_cbranch_scc0 .LBB110_1032
; %bb.1030:
	global_load_ubyte v3, v[0:1], off
	s_mov_b64 s[0:1], 0
	s_mov_b64 s[18:19], -1
	s_waitcnt vmcnt(0)
	v_lshlrev_b32_e32 v4, 23, v3
	v_cvt_i32_f32_e32 v4, v4
	v_cmp_ne_u32_e32 vcc, 0, v3
	v_cndmask_b32_e32 v6, 0, v4, vcc
.LBB110_1031:
	s_branch .LBB110_1036
.LBB110_1032:
	s_mov_b64 s[0:1], -1
                                        ; implicit-def: $vgpr6
	s_branch .LBB110_1036
.LBB110_1033:
	s_cmp_eq_u32 s22, 29
	s_cbranch_scc0 .LBB110_1035
; %bb.1034:
	global_load_dwordx2 v[6:7], v[0:1], off
	s_mov_b64 s[0:1], 0
	s_mov_b64 s[18:19], -1
	s_branch .LBB110_1036
.LBB110_1035:
	s_mov_b64 s[0:1], -1
                                        ; implicit-def: $vgpr6
.LBB110_1036:
	s_branch .LBB110_1052
.LBB110_1037:
	s_cmp_lt_i32 s22, 27
	s_cbranch_scc1 .LBB110_1040
; %bb.1038:
	s_cmp_gt_i32 s22, 27
	s_cbranch_scc0 .LBB110_1041
; %bb.1039:
	global_load_dword v6, v[0:1], off
	s_mov_b64 s[16:17], 0
	s_branch .LBB110_1042
.LBB110_1040:
	s_mov_b64 s[16:17], -1
                                        ; implicit-def: $vgpr6
	s_branch .LBB110_1045
.LBB110_1041:
	s_mov_b64 s[16:17], -1
                                        ; implicit-def: $vgpr6
.LBB110_1042:
	s_andn2_b64 vcc, exec, s[16:17]
	s_cbranch_vccnz .LBB110_1044
; %bb.1043:
	global_load_ushort v6, v[0:1], off
.LBB110_1044:
	s_mov_b64 s[16:17], 0
.LBB110_1045:
	s_andn2_b64 vcc, exec, s[16:17]
	s_cbranch_vccnz .LBB110_1051
; %bb.1046:
	global_load_ubyte v3, v[0:1], off
	s_movk_i32 s16, 0x7f
	s_mov_b64 s[18:19], 0
	s_waitcnt vmcnt(0)
	v_cmp_lt_i16_e32 vcc, s16, v3
	s_and_saveexec_b64 s[16:17], vcc
	s_xor_b64 s[16:17], exec, s[16:17]
	s_cbranch_execz .LBB110_1062
; %bb.1047:
	s_movk_i32 s18, 0x80
	v_cmp_ne_u16_e32 vcc, s18, v3
	s_and_b64 s[18:19], vcc, exec
	s_andn2_saveexec_b64 s[16:17], s[16:17]
	s_cbranch_execnz .LBB110_1063
.LBB110_1048:
	s_or_b64 exec, exec, s[16:17]
	v_mov_b32_e32 v6, 0
	s_and_saveexec_b64 s[16:17], s[18:19]
	s_cbranch_execz .LBB110_1050
.LBB110_1049:
	v_lshlrev_b32_e32 v4, 24, v3
	v_and_b32_e32 v3, 0xffff, v3
	v_and_b32_e32 v5, 7, v3
	v_ffbh_u32_e32 v7, v5
	v_min_u32_e32 v7, 32, v7
	v_subrev_u32_e32 v8, 28, v7
	v_bfe_u32 v6, v3, 3, 4
	v_lshlrev_b32_e32 v3, v8, v3
	v_sub_u32_e32 v7, 29, v7
	v_and_b32_e32 v3, 7, v3
	v_cmp_eq_u32_e32 vcc, 0, v6
	v_cndmask_b32_e32 v6, v6, v7, vcc
	v_cndmask_b32_e32 v3, v5, v3, vcc
	v_mov_b32_e32 v5, 0x3b800000
	v_lshlrev_b32_e32 v3, 20, v3
	v_and_b32_e32 v4, 0x80000000, v4
	v_lshl_add_u32 v5, v6, 23, v5
	v_or3_b32 v3, v4, v5, v3
	v_cvt_i32_f32_e32 v6, v3
.LBB110_1050:
	s_or_b64 exec, exec, s[16:17]
.LBB110_1051:
	s_mov_b64 s[18:19], -1
.LBB110_1052:
	s_branch .LBB110_1082
.LBB110_1053:
	s_cmp_gt_i32 s22, 22
	s_cbranch_scc0 .LBB110_1061
; %bb.1054:
	s_cmp_lt_i32 s22, 24
	s_cbranch_scc1 .LBB110_1064
; %bb.1055:
	s_cmp_gt_i32 s22, 24
	s_cbranch_scc0 .LBB110_1065
; %bb.1056:
	global_load_ubyte v3, v[0:1], off
	s_movk_i32 s2, 0x7f
	s_mov_b64 s[16:17], 0
	s_waitcnt vmcnt(0)
	v_cmp_lt_i16_e32 vcc, s2, v3
	s_and_saveexec_b64 s[2:3], vcc
	s_xor_b64 s[2:3], exec, s[2:3]
	s_cbranch_execz .LBB110_1076
; %bb.1057:
	s_movk_i32 s16, 0x80
	v_cmp_ne_u16_e32 vcc, s16, v3
	s_and_b64 s[16:17], vcc, exec
	s_andn2_saveexec_b64 s[2:3], s[2:3]
	s_cbranch_execnz .LBB110_1077
.LBB110_1058:
	s_or_b64 exec, exec, s[2:3]
	v_mov_b32_e32 v6, 0
	s_and_saveexec_b64 s[2:3], s[16:17]
	s_cbranch_execz .LBB110_1060
.LBB110_1059:
	v_lshlrev_b32_e32 v4, 24, v3
	v_and_b32_e32 v3, 0xffff, v3
	v_and_b32_e32 v5, 3, v3
	v_ffbh_u32_e32 v7, v5
	v_min_u32_e32 v7, 32, v7
	v_subrev_u32_e32 v8, 29, v7
	v_bfe_u32 v6, v3, 2, 5
	v_lshlrev_b32_e32 v3, v8, v3
	v_sub_u32_e32 v7, 30, v7
	v_and_b32_e32 v3, 3, v3
	v_cmp_eq_u32_e32 vcc, 0, v6
	v_cndmask_b32_e32 v6, v6, v7, vcc
	v_cndmask_b32_e32 v3, v5, v3, vcc
	v_mov_b32_e32 v5, 0x37800000
	v_lshlrev_b32_e32 v3, 21, v3
	v_and_b32_e32 v4, 0x80000000, v4
	v_lshl_add_u32 v5, v6, 23, v5
	v_or3_b32 v3, v4, v5, v3
	v_cvt_i32_f32_e32 v6, v3
.LBB110_1060:
	s_or_b64 exec, exec, s[2:3]
	s_mov_b64 s[2:3], 0
	s_branch .LBB110_1066
.LBB110_1061:
                                        ; implicit-def: $vgpr6
	s_mov_b64 s[2:3], 0
	s_branch .LBB110_1072
.LBB110_1062:
	s_andn2_saveexec_b64 s[16:17], s[16:17]
	s_cbranch_execz .LBB110_1048
.LBB110_1063:
	v_cmp_ne_u16_e32 vcc, 0, v3
	s_andn2_b64 s[18:19], s[18:19], exec
	s_and_b64 s[20:21], vcc, exec
	s_or_b64 s[18:19], s[18:19], s[20:21]
	s_or_b64 exec, exec, s[16:17]
	v_mov_b32_e32 v6, 0
	s_and_saveexec_b64 s[16:17], s[18:19]
	s_cbranch_execnz .LBB110_1049
	s_branch .LBB110_1050
.LBB110_1064:
	s_mov_b64 s[2:3], -1
                                        ; implicit-def: $vgpr6
	s_branch .LBB110_1069
.LBB110_1065:
	s_mov_b64 s[2:3], -1
                                        ; implicit-def: $vgpr6
.LBB110_1066:
	s_and_b64 vcc, exec, s[2:3]
	s_cbranch_vccz .LBB110_1068
; %bb.1067:
	global_load_ubyte v3, v[0:1], off
	s_mov_b32 s2, 0x7f800000
	s_waitcnt vmcnt(0)
	v_lshlrev_b32_e32 v3, 24, v3
	v_and_b32_e32 v4, 0x7f000000, v3
	v_ffbh_u32_e32 v5, v4
	v_min_u32_e32 v5, 32, v5
	v_sub_u32_e64 v5, v5, 4 clamp
	v_lshlrev_b32_e32 v7, v5, v4
	v_lshlrev_b32_e32 v5, 23, v5
	v_lshrrev_b32_e32 v7, 4, v7
	v_add_u32_e32 v6, 0x1000000, v4
	v_sub_u32_e32 v5, v7, v5
	v_ashrrev_i32_e32 v6, 8, v6
	v_add_u32_e32 v5, 0x3c000000, v5
	v_and_or_b32 v5, v6, s2, v5
	v_cmp_ne_u32_e32 vcc, 0, v4
	v_cndmask_b32_e32 v4, 0, v5, vcc
	s_brev_b32 s2, 1
	v_and_or_b32 v3, v3, s2, v4
	v_cvt_i32_f32_e32 v6, v3
.LBB110_1068:
	s_mov_b64 s[2:3], 0
.LBB110_1069:
	s_andn2_b64 vcc, exec, s[2:3]
	s_cbranch_vccnz .LBB110_1071
; %bb.1070:
	global_load_ubyte v3, v[0:1], off
	s_movk_i32 s2, 0x7f00
	s_brev_b32 s3, 16
	s_waitcnt vmcnt(0)
	v_lshlrev_b16_e32 v4, 8, v3
	v_lshlrev_b32_e32 v3, 25, v3
	v_lshrrev_b32_e32 v5, 4, v3
	v_and_or_b32 v6, v4, s2, 0.5
	v_or_b32_e32 v5, 0x70000000, v5
	v_add_f32_e32 v6, -0.5, v6
	v_mul_f32_e32 v5, 0x7800000, v5
	v_cmp_gt_u32_e32 vcc, s3, v3
	v_bfe_i32 v4, v4, 0, 16
	v_cndmask_b32_e32 v3, v5, v6, vcc
	s_brev_b32 s2, 1
	v_and_or_b32 v3, v4, s2, v3
	v_cvt_i32_f32_e32 v6, v3
.LBB110_1071:
	s_mov_b64 s[18:19], -1
	s_mov_b64 s[2:3], 0
	s_cbranch_execnz .LBB110_1082
.LBB110_1072:
	s_cmp_gt_i32 s22, 14
	s_cbranch_scc0 .LBB110_1075
; %bb.1073:
	s_cmp_eq_u32 s22, 15
	s_cbranch_scc0 .LBB110_1078
; %bb.1074:
	global_load_ushort v3, v[0:1], off
	s_mov_b64 s[0:1], 0
	s_mov_b64 s[18:19], -1
	s_waitcnt vmcnt(0)
	v_lshlrev_b32_e32 v3, 16, v3
	v_cvt_i32_f32_e32 v6, v3
	s_branch .LBB110_1079
.LBB110_1075:
	s_mov_b64 s[16:17], -1
                                        ; implicit-def: $vgpr6
	s_branch .LBB110_1080
.LBB110_1076:
	s_andn2_saveexec_b64 s[2:3], s[2:3]
	s_cbranch_execz .LBB110_1058
.LBB110_1077:
	v_cmp_ne_u16_e32 vcc, 0, v3
	s_andn2_b64 s[16:17], s[16:17], exec
	s_and_b64 s[18:19], vcc, exec
	s_or_b64 s[16:17], s[16:17], s[18:19]
	s_or_b64 exec, exec, s[2:3]
	v_mov_b32_e32 v6, 0
	s_and_saveexec_b64 s[2:3], s[16:17]
	s_cbranch_execnz .LBB110_1059
	s_branch .LBB110_1060
.LBB110_1078:
	s_mov_b64 s[0:1], -1
                                        ; implicit-def: $vgpr6
.LBB110_1079:
	s_mov_b64 s[16:17], 0
.LBB110_1080:
	s_and_b64 vcc, exec, s[16:17]
	s_cbranch_vccz .LBB110_1082
; %bb.1081:
	s_cmp_lg_u32 s22, 11
	s_mov_b64 s[2:3], -1
	s_cselect_b64 s[0:1], -1, 0
.LBB110_1082:
	s_and_b64 vcc, exec, s[0:1]
	s_mov_b64 s[16:17], s[6:7]
	s_cbranch_vccnz .LBB110_1143
; %bb.1083:
	s_andn2_b64 vcc, exec, s[2:3]
	s_cbranch_vccnz .LBB110_1085
.LBB110_1084:
	global_load_ubyte v3, v[0:1], off
	s_mov_b64 s[18:19], -1
	s_waitcnt vmcnt(0)
	v_cmp_ne_u16_e32 vcc, 0, v3
	v_cndmask_b32_e64 v6, 0, 1, vcc
.LBB110_1085:
	s_branch .LBB110_1020
.LBB110_1086:
	s_cmp_lt_i32 s22, 5
	s_cbranch_scc1 .LBB110_1091
; %bb.1087:
	s_cmp_lt_i32 s22, 8
	s_cbranch_scc1 .LBB110_1092
; %bb.1088:
	;; [unrolled: 3-line block ×3, first 2 shown]
	s_cmp_gt_i32 s22, 9
	s_cbranch_scc0 .LBB110_1094
; %bb.1090:
	global_load_dwordx2 v[3:4], v[0:1], off
	s_mov_b64 s[0:1], 0
	s_waitcnt vmcnt(0)
	v_cvt_i32_f64_e32 v6, v[3:4]
	s_branch .LBB110_1095
.LBB110_1091:
                                        ; implicit-def: $vgpr6
	s_branch .LBB110_1112
.LBB110_1092:
                                        ; implicit-def: $vgpr6
	s_branch .LBB110_1101
.LBB110_1093:
	s_mov_b64 s[0:1], -1
                                        ; implicit-def: $vgpr6
	s_branch .LBB110_1098
.LBB110_1094:
	s_mov_b64 s[0:1], -1
                                        ; implicit-def: $vgpr6
.LBB110_1095:
	s_andn2_b64 vcc, exec, s[0:1]
	s_cbranch_vccnz .LBB110_1097
; %bb.1096:
	global_load_dword v3, v[0:1], off
	s_waitcnt vmcnt(0)
	v_cvt_i32_f32_e32 v6, v3
.LBB110_1097:
	s_mov_b64 s[0:1], 0
.LBB110_1098:
	s_andn2_b64 vcc, exec, s[0:1]
	s_cbranch_vccnz .LBB110_1100
; %bb.1099:
	global_load_dword v3, v[0:1], off
	s_waitcnt vmcnt(0)
	v_cvt_i16_f16_e32 v6, v3
.LBB110_1100:
	s_cbranch_execnz .LBB110_1111
.LBB110_1101:
	s_cmp_lt_i32 s22, 6
	s_cbranch_scc1 .LBB110_1104
; %bb.1102:
	s_cmp_gt_i32 s22, 6
	s_cbranch_scc0 .LBB110_1105
; %bb.1103:
	global_load_dwordx2 v[3:4], v[0:1], off
	s_mov_b64 s[0:1], 0
	s_waitcnt vmcnt(0)
	v_cvt_i32_f64_e32 v6, v[3:4]
	s_branch .LBB110_1106
.LBB110_1104:
	s_mov_b64 s[0:1], -1
                                        ; implicit-def: $vgpr6
	s_branch .LBB110_1109
.LBB110_1105:
	s_mov_b64 s[0:1], -1
                                        ; implicit-def: $vgpr6
.LBB110_1106:
	s_andn2_b64 vcc, exec, s[0:1]
	s_cbranch_vccnz .LBB110_1108
; %bb.1107:
	global_load_dword v3, v[0:1], off
	s_waitcnt vmcnt(0)
	v_cvt_i32_f32_e32 v6, v3
.LBB110_1108:
	s_mov_b64 s[0:1], 0
.LBB110_1109:
	s_andn2_b64 vcc, exec, s[0:1]
	s_cbranch_vccnz .LBB110_1111
; %bb.1110:
	global_load_ushort v3, v[0:1], off
	s_waitcnt vmcnt(0)
	v_cvt_i16_f16_e32 v6, v3
.LBB110_1111:
	s_cbranch_execnz .LBB110_1130
.LBB110_1112:
	s_cmp_lt_i32 s22, 2
	s_cbranch_scc1 .LBB110_1116
; %bb.1113:
	s_cmp_lt_i32 s22, 3
	s_cbranch_scc1 .LBB110_1117
; %bb.1114:
	s_cmp_gt_i32 s22, 3
	s_cbranch_scc0 .LBB110_1118
; %bb.1115:
	global_load_dwordx2 v[6:7], v[0:1], off
	s_mov_b64 s[0:1], 0
	s_branch .LBB110_1119
.LBB110_1116:
                                        ; implicit-def: $vgpr6
	s_branch .LBB110_1125
.LBB110_1117:
	s_mov_b64 s[0:1], -1
                                        ; implicit-def: $vgpr6
	s_branch .LBB110_1122
.LBB110_1118:
	s_mov_b64 s[0:1], -1
                                        ; implicit-def: $vgpr6
.LBB110_1119:
	s_andn2_b64 vcc, exec, s[0:1]
	s_cbranch_vccnz .LBB110_1121
; %bb.1120:
	global_load_dword v6, v[0:1], off
.LBB110_1121:
	s_mov_b64 s[0:1], 0
.LBB110_1122:
	s_andn2_b64 vcc, exec, s[0:1]
	s_cbranch_vccnz .LBB110_1124
; %bb.1123:
	global_load_ushort v6, v[0:1], off
.LBB110_1124:
	s_cbranch_execnz .LBB110_1130
.LBB110_1125:
	s_cmp_gt_i32 s22, 0
	s_cbranch_scc0 .LBB110_1127
; %bb.1126:
	global_load_sbyte v6, v[0:1], off
	s_mov_b64 s[0:1], 0
	s_branch .LBB110_1128
.LBB110_1127:
	s_mov_b64 s[0:1], -1
                                        ; implicit-def: $vgpr6
.LBB110_1128:
	s_andn2_b64 vcc, exec, s[0:1]
	s_cbranch_vccnz .LBB110_1130
; %bb.1129:
	global_load_ubyte v6, v[0:1], off
.LBB110_1130:
.LBB110_1131:
	s_lshl_b32 s13, s13, 7
	v_add_u32_e32 v2, s13, v2
	v_ashrrev_i32_e32 v1, 31, v2
	v_mov_b32_e32 v3, s11
	v_add_co_u32_e32 v0, vcc, s10, v2
	s_cmp_lt_i32 s22, 11
	v_addc_co_u32_e32 v1, vcc, v3, v1, vcc
	s_cbranch_scc1 .LBB110_1138
; %bb.1132:
	s_cmp_gt_i32 s22, 25
	s_mov_b64 s[2:3], 0
	s_cbranch_scc0 .LBB110_1140
; %bb.1133:
	s_cmp_gt_i32 s22, 28
	s_cbranch_scc0 .LBB110_1141
; %bb.1134:
	s_cmp_gt_i32 s22, 43
	;; [unrolled: 3-line block ×3, first 2 shown]
	s_cbranch_scc0 .LBB110_1144
; %bb.1136:
	s_cmp_eq_u32 s22, 46
	s_mov_b64 s[20:21], 0
	s_cbranch_scc0 .LBB110_1147
; %bb.1137:
	global_load_dword v3, v[0:1], off
	s_mov_b64 s[0:1], 0
	s_mov_b64 s[18:19], -1
	s_waitcnt vmcnt(0)
	v_lshlrev_b32_e32 v3, 16, v3
	v_cvt_i32_f32_e32 v4, v3
	s_branch .LBB110_1148
.LBB110_1138:
	s_mov_b64 s[18:19], 0
                                        ; implicit-def: $vgpr4
	s_cbranch_execnz .LBB110_1209
.LBB110_1139:
	s_andn2_b64 vcc, exec, s[18:19]
	s_cbranch_vccnz .LBB110_1940
	s_branch .LBB110_1256
.LBB110_1140:
	s_mov_b64 s[18:19], 0
	s_mov_b64 s[0:1], 0
                                        ; implicit-def: $vgpr4
	s_cbranch_execnz .LBB110_1175
	s_branch .LBB110_1205
.LBB110_1141:
	s_mov_b64 s[20:21], -1
	s_mov_b64 s[18:19], 0
	s_mov_b64 s[0:1], 0
                                        ; implicit-def: $vgpr4
	s_branch .LBB110_1158
.LBB110_1142:
	s_mov_b64 s[20:21], -1
	s_mov_b64 s[18:19], 0
	s_mov_b64 s[0:1], 0
                                        ; implicit-def: $vgpr4
	s_branch .LBB110_1153
.LBB110_1143:
	s_or_b64 s[16:17], s[6:7], exec
	s_trap 2
	s_cbranch_execz .LBB110_1084
	s_branch .LBB110_1085
.LBB110_1144:
	s_mov_b64 s[20:21], -1
	s_mov_b64 s[18:19], 0
	s_mov_b64 s[0:1], 0
                                        ; implicit-def: $vgpr4
	s_branch .LBB110_1148
.LBB110_1145:
	s_andn2_saveexec_b64 s[26:27], s[26:27]
	s_cbranch_execz .LBB110_936
.LBB110_1146:
	s_mov_b32 s30, 0x42800000
	v_add_f32_e64 v3, |v2|, s30
	v_and_b32_e32 v3, 0xff, v3
	v_cmp_ne_u32_e32 vcc, 0, v3
	s_andn2_b64 s[24:25], s[24:25], exec
	s_and_b64 s[30:31], vcc, exec
	s_or_b64 s[24:25], s[24:25], s[30:31]
	s_or_b64 exec, exec, s[26:27]
	v_mov_b32_e32 v5, 0
	s_and_saveexec_b64 s[26:27], s[24:25]
	s_cbranch_execnz .LBB110_937
	s_branch .LBB110_938
.LBB110_1147:
	s_mov_b64 s[0:1], -1
                                        ; implicit-def: $vgpr4
	s_mov_b64 s[18:19], 0
.LBB110_1148:
	s_and_b64 vcc, exec, s[20:21]
	s_cbranch_vccz .LBB110_1152
; %bb.1149:
	s_cmp_eq_u32 s22, 44
	s_cbranch_scc0 .LBB110_1151
; %bb.1150:
	global_load_ubyte v3, v[0:1], off
	s_mov_b64 s[0:1], 0
	s_mov_b64 s[18:19], -1
	s_waitcnt vmcnt(0)
	v_lshlrev_b32_e32 v4, 23, v3
	v_cvt_i32_f32_e32 v4, v4
	v_cmp_ne_u32_e32 vcc, 0, v3
	v_cndmask_b32_e32 v4, 0, v4, vcc
	s_branch .LBB110_1152
.LBB110_1151:
	s_mov_b64 s[0:1], -1
                                        ; implicit-def: $vgpr4
.LBB110_1152:
	s_mov_b64 s[20:21], 0
.LBB110_1153:
	s_and_b64 vcc, exec, s[20:21]
	s_cbranch_vccz .LBB110_1157
; %bb.1154:
	s_cmp_eq_u32 s22, 29
	s_cbranch_scc0 .LBB110_1156
; %bb.1155:
	global_load_dwordx2 v[4:5], v[0:1], off
	s_mov_b64 s[0:1], 0
	s_mov_b64 s[18:19], -1
	s_branch .LBB110_1157
.LBB110_1156:
	s_mov_b64 s[0:1], -1
                                        ; implicit-def: $vgpr4
.LBB110_1157:
	s_mov_b64 s[20:21], 0
.LBB110_1158:
	s_and_b64 vcc, exec, s[20:21]
	s_cbranch_vccz .LBB110_1174
; %bb.1159:
	s_cmp_lt_i32 s22, 27
	s_cbranch_scc1 .LBB110_1162
; %bb.1160:
	s_cmp_gt_i32 s22, 27
	s_cbranch_scc0 .LBB110_1163
; %bb.1161:
	global_load_dword v4, v[0:1], off
	s_mov_b64 s[18:19], 0
	s_branch .LBB110_1164
.LBB110_1162:
	s_mov_b64 s[18:19], -1
                                        ; implicit-def: $vgpr4
	s_branch .LBB110_1167
.LBB110_1163:
	s_mov_b64 s[18:19], -1
                                        ; implicit-def: $vgpr4
.LBB110_1164:
	s_andn2_b64 vcc, exec, s[18:19]
	s_cbranch_vccnz .LBB110_1166
; %bb.1165:
	global_load_ushort v4, v[0:1], off
.LBB110_1166:
	s_mov_b64 s[18:19], 0
.LBB110_1167:
	s_andn2_b64 vcc, exec, s[18:19]
	s_cbranch_vccnz .LBB110_1173
; %bb.1168:
	global_load_ubyte v3, v[0:1], off
	s_movk_i32 s18, 0x7f
	s_mov_b64 s[20:21], 0
	s_waitcnt vmcnt(0)
	v_cmp_lt_i16_e32 vcc, s18, v3
	s_and_saveexec_b64 s[18:19], vcc
	s_xor_b64 s[18:19], exec, s[18:19]
	s_cbranch_execz .LBB110_1184
; %bb.1169:
	s_movk_i32 s20, 0x80
	v_cmp_ne_u16_e32 vcc, s20, v3
	s_and_b64 s[20:21], vcc, exec
	s_andn2_saveexec_b64 s[18:19], s[18:19]
	s_cbranch_execnz .LBB110_1185
.LBB110_1170:
	s_or_b64 exec, exec, s[18:19]
	v_mov_b32_e32 v4, 0
	s_and_saveexec_b64 s[18:19], s[20:21]
	s_cbranch_execz .LBB110_1172
.LBB110_1171:
	v_lshlrev_b32_e32 v4, 24, v3
	v_and_b32_e32 v3, 0xffff, v3
	v_and_b32_e32 v5, 7, v3
	v_ffbh_u32_e32 v8, v5
	v_min_u32_e32 v8, 32, v8
	v_subrev_u32_e32 v10, 28, v8
	v_bfe_u32 v7, v3, 3, 4
	v_lshlrev_b32_e32 v3, v10, v3
	v_sub_u32_e32 v8, 29, v8
	v_and_b32_e32 v3, 7, v3
	v_cmp_eq_u32_e32 vcc, 0, v7
	v_cndmask_b32_e32 v7, v7, v8, vcc
	v_cndmask_b32_e32 v3, v5, v3, vcc
	v_mov_b32_e32 v5, 0x3b800000
	v_lshlrev_b32_e32 v3, 20, v3
	v_and_b32_e32 v4, 0x80000000, v4
	v_lshl_add_u32 v5, v7, 23, v5
	v_or3_b32 v3, v4, v5, v3
	v_cvt_i32_f32_e32 v4, v3
.LBB110_1172:
	s_or_b64 exec, exec, s[18:19]
.LBB110_1173:
	s_mov_b64 s[18:19], -1
.LBB110_1174:
	s_branch .LBB110_1205
.LBB110_1175:
	s_cmp_gt_i32 s22, 22
	s_cbranch_scc0 .LBB110_1183
; %bb.1176:
	s_cmp_lt_i32 s22, 24
	s_cbranch_scc1 .LBB110_1186
; %bb.1177:
	s_cmp_gt_i32 s22, 24
	s_cbranch_scc0 .LBB110_1187
; %bb.1178:
	global_load_ubyte v3, v[0:1], off
	s_movk_i32 s2, 0x7f
	s_mov_b64 s[18:19], 0
	s_waitcnt vmcnt(0)
	v_cmp_lt_i16_e32 vcc, s2, v3
	s_and_saveexec_b64 s[2:3], vcc
	s_xor_b64 s[2:3], exec, s[2:3]
	s_cbranch_execz .LBB110_1199
; %bb.1179:
	s_movk_i32 s18, 0x80
	v_cmp_ne_u16_e32 vcc, s18, v3
	s_and_b64 s[18:19], vcc, exec
	s_andn2_saveexec_b64 s[2:3], s[2:3]
	s_cbranch_execnz .LBB110_1200
.LBB110_1180:
	s_or_b64 exec, exec, s[2:3]
	v_mov_b32_e32 v4, 0
	s_and_saveexec_b64 s[2:3], s[18:19]
	s_cbranch_execz .LBB110_1182
.LBB110_1181:
	v_lshlrev_b32_e32 v4, 24, v3
	v_and_b32_e32 v3, 0xffff, v3
	v_and_b32_e32 v5, 3, v3
	v_ffbh_u32_e32 v8, v5
	v_min_u32_e32 v8, 32, v8
	v_subrev_u32_e32 v10, 29, v8
	v_bfe_u32 v7, v3, 2, 5
	v_lshlrev_b32_e32 v3, v10, v3
	v_sub_u32_e32 v8, 30, v8
	v_and_b32_e32 v3, 3, v3
	v_cmp_eq_u32_e32 vcc, 0, v7
	v_cndmask_b32_e32 v7, v7, v8, vcc
	v_cndmask_b32_e32 v3, v5, v3, vcc
	v_mov_b32_e32 v5, 0x37800000
	v_lshlrev_b32_e32 v3, 21, v3
	v_and_b32_e32 v4, 0x80000000, v4
	v_lshl_add_u32 v5, v7, 23, v5
	v_or3_b32 v3, v4, v5, v3
	v_cvt_i32_f32_e32 v4, v3
.LBB110_1182:
	s_or_b64 exec, exec, s[2:3]
	s_mov_b64 s[2:3], 0
	s_branch .LBB110_1188
.LBB110_1183:
	s_mov_b64 s[2:3], -1
                                        ; implicit-def: $vgpr4
	s_branch .LBB110_1194
.LBB110_1184:
	s_andn2_saveexec_b64 s[18:19], s[18:19]
	s_cbranch_execz .LBB110_1170
.LBB110_1185:
	v_cmp_ne_u16_e32 vcc, 0, v3
	s_andn2_b64 s[20:21], s[20:21], exec
	s_and_b64 s[24:25], vcc, exec
	s_or_b64 s[20:21], s[20:21], s[24:25]
	s_or_b64 exec, exec, s[18:19]
	v_mov_b32_e32 v4, 0
	s_and_saveexec_b64 s[18:19], s[20:21]
	s_cbranch_execnz .LBB110_1171
	s_branch .LBB110_1172
.LBB110_1186:
	s_mov_b64 s[2:3], -1
                                        ; implicit-def: $vgpr4
	s_branch .LBB110_1191
.LBB110_1187:
	s_mov_b64 s[2:3], -1
                                        ; implicit-def: $vgpr4
.LBB110_1188:
	s_and_b64 vcc, exec, s[2:3]
	s_cbranch_vccz .LBB110_1190
; %bb.1189:
	global_load_ubyte v3, v[0:1], off
	s_mov_b32 s2, 0x7f800000
	s_waitcnt vmcnt(0)
	v_lshlrev_b32_e32 v3, 24, v3
	v_and_b32_e32 v4, 0x7f000000, v3
	v_ffbh_u32_e32 v5, v4
	v_min_u32_e32 v5, 32, v5
	v_sub_u32_e64 v5, v5, 4 clamp
	v_lshlrev_b32_e32 v8, v5, v4
	v_lshlrev_b32_e32 v5, 23, v5
	v_lshrrev_b32_e32 v8, 4, v8
	v_add_u32_e32 v7, 0x1000000, v4
	v_sub_u32_e32 v5, v8, v5
	v_ashrrev_i32_e32 v7, 8, v7
	v_add_u32_e32 v5, 0x3c000000, v5
	v_and_or_b32 v5, v7, s2, v5
	v_cmp_ne_u32_e32 vcc, 0, v4
	v_cndmask_b32_e32 v4, 0, v5, vcc
	s_brev_b32 s2, 1
	v_and_or_b32 v3, v3, s2, v4
	v_cvt_i32_f32_e32 v4, v3
.LBB110_1190:
	s_mov_b64 s[2:3], 0
.LBB110_1191:
	s_andn2_b64 vcc, exec, s[2:3]
	s_cbranch_vccnz .LBB110_1193
; %bb.1192:
	global_load_ubyte v3, v[0:1], off
	s_movk_i32 s2, 0x7f00
	s_brev_b32 s3, 16
	s_waitcnt vmcnt(0)
	v_lshlrev_b16_e32 v4, 8, v3
	v_lshlrev_b32_e32 v3, 25, v3
	v_lshrrev_b32_e32 v5, 4, v3
	v_and_or_b32 v7, v4, s2, 0.5
	v_or_b32_e32 v5, 0x70000000, v5
	v_add_f32_e32 v7, -0.5, v7
	v_mul_f32_e32 v5, 0x7800000, v5
	v_cmp_gt_u32_e32 vcc, s3, v3
	v_bfe_i32 v4, v4, 0, 16
	v_cndmask_b32_e32 v3, v5, v7, vcc
	s_brev_b32 s2, 1
	v_and_or_b32 v3, v4, s2, v3
	v_cvt_i32_f32_e32 v4, v3
.LBB110_1193:
	s_mov_b64 s[2:3], 0
	s_mov_b64 s[18:19], -1
.LBB110_1194:
	s_andn2_b64 vcc, exec, s[2:3]
	s_mov_b64 s[2:3], 0
	s_cbranch_vccnz .LBB110_1205
; %bb.1195:
	s_cmp_gt_i32 s22, 14
	s_cbranch_scc0 .LBB110_1198
; %bb.1196:
	s_cmp_eq_u32 s22, 15
	s_cbranch_scc0 .LBB110_1201
; %bb.1197:
	global_load_ushort v3, v[0:1], off
	s_mov_b64 s[0:1], 0
	s_mov_b64 s[18:19], -1
	s_waitcnt vmcnt(0)
	v_lshlrev_b32_e32 v3, 16, v3
	v_cvt_i32_f32_e32 v4, v3
	s_branch .LBB110_1202
.LBB110_1198:
	s_mov_b64 s[20:21], -1
                                        ; implicit-def: $vgpr4
	s_branch .LBB110_1203
.LBB110_1199:
	s_andn2_saveexec_b64 s[2:3], s[2:3]
	s_cbranch_execz .LBB110_1180
.LBB110_1200:
	v_cmp_ne_u16_e32 vcc, 0, v3
	s_andn2_b64 s[18:19], s[18:19], exec
	s_and_b64 s[20:21], vcc, exec
	s_or_b64 s[18:19], s[18:19], s[20:21]
	s_or_b64 exec, exec, s[2:3]
	v_mov_b32_e32 v4, 0
	s_and_saveexec_b64 s[2:3], s[18:19]
	s_cbranch_execnz .LBB110_1181
	s_branch .LBB110_1182
.LBB110_1201:
	s_mov_b64 s[0:1], -1
                                        ; implicit-def: $vgpr4
.LBB110_1202:
	s_mov_b64 s[20:21], 0
.LBB110_1203:
	s_and_b64 vcc, exec, s[20:21]
	s_cbranch_vccz .LBB110_1205
; %bb.1204:
	s_cmp_lg_u32 s22, 11
	s_mov_b64 s[2:3], -1
	s_cselect_b64 s[0:1], -1, 0
.LBB110_1205:
	s_and_b64 vcc, exec, s[0:1]
	s_cbranch_vccnz .LBB110_1268
; %bb.1206:
	s_andn2_b64 vcc, exec, s[2:3]
	s_cbranch_vccnz .LBB110_1208
.LBB110_1207:
	global_load_ubyte v3, v[0:1], off
	s_mov_b64 s[18:19], -1
	s_waitcnt vmcnt(0)
	v_cmp_ne_u16_e32 vcc, 0, v3
	v_cndmask_b32_e64 v4, 0, 1, vcc
.LBB110_1208:
	s_branch .LBB110_1139
.LBB110_1209:
	s_cmp_lt_i32 s22, 5
	s_cbranch_scc1 .LBB110_1214
; %bb.1210:
	s_cmp_lt_i32 s22, 8
	s_cbranch_scc1 .LBB110_1215
; %bb.1211:
	;; [unrolled: 3-line block ×3, first 2 shown]
	s_cmp_gt_i32 s22, 9
	s_cbranch_scc0 .LBB110_1217
; %bb.1213:
	global_load_dwordx2 v[3:4], v[0:1], off
	s_mov_b64 s[0:1], 0
	s_waitcnt vmcnt(0)
	v_cvt_i32_f64_e32 v4, v[3:4]
	s_branch .LBB110_1218
.LBB110_1214:
                                        ; implicit-def: $vgpr4
	s_branch .LBB110_1236
.LBB110_1215:
	s_mov_b64 s[0:1], -1
                                        ; implicit-def: $vgpr4
	s_branch .LBB110_1224
.LBB110_1216:
	s_mov_b64 s[0:1], -1
                                        ; implicit-def: $vgpr4
	s_branch .LBB110_1221
.LBB110_1217:
	s_mov_b64 s[0:1], -1
                                        ; implicit-def: $vgpr4
.LBB110_1218:
	s_andn2_b64 vcc, exec, s[0:1]
	s_cbranch_vccnz .LBB110_1220
; %bb.1219:
	global_load_dword v3, v[0:1], off
	s_waitcnt vmcnt(0)
	v_cvt_i32_f32_e32 v4, v3
.LBB110_1220:
	s_mov_b64 s[0:1], 0
.LBB110_1221:
	s_andn2_b64 vcc, exec, s[0:1]
	s_cbranch_vccnz .LBB110_1223
; %bb.1222:
	global_load_dword v3, v[0:1], off
	s_waitcnt vmcnt(0)
	v_cvt_i16_f16_e32 v4, v3
.LBB110_1223:
	s_mov_b64 s[0:1], 0
.LBB110_1224:
	s_andn2_b64 vcc, exec, s[0:1]
	s_cbranch_vccnz .LBB110_1235
; %bb.1225:
	s_cmp_lt_i32 s22, 6
	s_cbranch_scc1 .LBB110_1228
; %bb.1226:
	s_cmp_gt_i32 s22, 6
	s_cbranch_scc0 .LBB110_1229
; %bb.1227:
	global_load_dwordx2 v[3:4], v[0:1], off
	s_mov_b64 s[0:1], 0
	s_waitcnt vmcnt(0)
	v_cvt_i32_f64_e32 v4, v[3:4]
	s_branch .LBB110_1230
.LBB110_1228:
	s_mov_b64 s[0:1], -1
                                        ; implicit-def: $vgpr4
	s_branch .LBB110_1233
.LBB110_1229:
	s_mov_b64 s[0:1], -1
                                        ; implicit-def: $vgpr4
.LBB110_1230:
	s_andn2_b64 vcc, exec, s[0:1]
	s_cbranch_vccnz .LBB110_1232
; %bb.1231:
	global_load_dword v3, v[0:1], off
	s_waitcnt vmcnt(0)
	v_cvt_i32_f32_e32 v4, v3
.LBB110_1232:
	s_mov_b64 s[0:1], 0
.LBB110_1233:
	s_andn2_b64 vcc, exec, s[0:1]
	s_cbranch_vccnz .LBB110_1235
; %bb.1234:
	global_load_ushort v3, v[0:1], off
	s_waitcnt vmcnt(0)
	v_cvt_i16_f16_e32 v4, v3
.LBB110_1235:
	s_cbranch_execnz .LBB110_1255
.LBB110_1236:
	s_cmp_lt_i32 s22, 2
	s_cbranch_scc1 .LBB110_1240
; %bb.1237:
	s_cmp_lt_i32 s22, 3
	s_cbranch_scc1 .LBB110_1241
; %bb.1238:
	s_cmp_gt_i32 s22, 3
	s_cbranch_scc0 .LBB110_1242
; %bb.1239:
	global_load_dwordx2 v[4:5], v[0:1], off
	s_mov_b64 s[0:1], 0
	s_branch .LBB110_1243
.LBB110_1240:
	s_mov_b64 s[0:1], -1
                                        ; implicit-def: $vgpr4
	s_branch .LBB110_1249
.LBB110_1241:
	s_mov_b64 s[0:1], -1
                                        ; implicit-def: $vgpr4
	s_branch .LBB110_1246
.LBB110_1242:
	s_mov_b64 s[0:1], -1
                                        ; implicit-def: $vgpr4
.LBB110_1243:
	s_andn2_b64 vcc, exec, s[0:1]
	s_cbranch_vccnz .LBB110_1245
; %bb.1244:
	global_load_dword v4, v[0:1], off
.LBB110_1245:
	s_mov_b64 s[0:1], 0
.LBB110_1246:
	s_andn2_b64 vcc, exec, s[0:1]
	s_cbranch_vccnz .LBB110_1248
; %bb.1247:
	global_load_ushort v4, v[0:1], off
.LBB110_1248:
	s_mov_b64 s[0:1], 0
.LBB110_1249:
	s_andn2_b64 vcc, exec, s[0:1]
	s_cbranch_vccnz .LBB110_1255
; %bb.1250:
	s_cmp_gt_i32 s22, 0
	s_cbranch_scc0 .LBB110_1252
; %bb.1251:
	global_load_sbyte v4, v[0:1], off
	s_mov_b64 s[0:1], 0
	s_branch .LBB110_1253
.LBB110_1252:
	s_mov_b64 s[0:1], -1
                                        ; implicit-def: $vgpr4
.LBB110_1253:
	s_andn2_b64 vcc, exec, s[0:1]
	s_cbranch_vccnz .LBB110_1255
; %bb.1254:
	global_load_ubyte v4, v[0:1], off
.LBB110_1255:
.LBB110_1256:
	s_waitcnt vmcnt(0)
	v_add_u32_e32 v5, s13, v2
	v_ashrrev_i32_e32 v1, 31, v5
	v_mov_b32_e32 v2, s11
	v_add_co_u32_e32 v0, vcc, s10, v5
	s_cmp_lt_i32 s22, 11
	v_addc_co_u32_e32 v1, vcc, v2, v1, vcc
	s_cbranch_scc1 .LBB110_1263
; %bb.1257:
	s_cmp_gt_i32 s22, 25
	s_mov_b64 s[2:3], 0
	s_cbranch_scc0 .LBB110_1265
; %bb.1258:
	s_cmp_gt_i32 s22, 28
	s_cbranch_scc0 .LBB110_1266
; %bb.1259:
	s_cmp_gt_i32 s22, 43
	s_cbranch_scc0 .LBB110_1267
; %bb.1260:
	s_cmp_gt_i32 s22, 45
	s_cbranch_scc0 .LBB110_1269
; %bb.1261:
	s_cmp_eq_u32 s22, 46
	s_mov_b64 s[20:21], 0
	s_cbranch_scc0 .LBB110_1270
; %bb.1262:
	global_load_dword v2, v[0:1], off
	s_mov_b64 s[0:1], 0
	s_mov_b64 s[18:19], -1
	s_waitcnt vmcnt(0)
	v_lshlrev_b32_e32 v2, 16, v2
	v_cvt_i32_f32_e32 v2, v2
	s_branch .LBB110_1271
.LBB110_1263:
	s_mov_b64 s[18:19], 0
                                        ; implicit-def: $vgpr2
	s_cbranch_execnz .LBB110_1333
.LBB110_1264:
	s_andn2_b64 vcc, exec, s[18:19]
	s_cbranch_vccnz .LBB110_1940
	s_branch .LBB110_1381
.LBB110_1265:
	s_mov_b64 s[20:21], -1
	s_mov_b64 s[18:19], 0
	s_mov_b64 s[0:1], 0
                                        ; implicit-def: $vgpr2
	s_branch .LBB110_1298
.LBB110_1266:
	s_mov_b64 s[20:21], -1
	s_mov_b64 s[18:19], 0
	s_mov_b64 s[0:1], 0
                                        ; implicit-def: $vgpr2
	s_branch .LBB110_1281
.LBB110_1267:
	s_mov_b64 s[20:21], -1
	s_mov_b64 s[18:19], 0
	s_mov_b64 s[0:1], 0
                                        ; implicit-def: $vgpr2
	s_branch .LBB110_1276
.LBB110_1268:
	s_trap 2
	s_or_b64 s[16:17], s[16:17], exec
	s_cbranch_execz .LBB110_1207
	s_branch .LBB110_1208
.LBB110_1269:
	s_mov_b64 s[20:21], -1
	s_mov_b64 s[18:19], 0
	s_mov_b64 s[0:1], 0
                                        ; implicit-def: $vgpr2
	s_branch .LBB110_1271
.LBB110_1270:
	s_mov_b64 s[0:1], -1
                                        ; implicit-def: $vgpr2
	s_mov_b64 s[18:19], 0
.LBB110_1271:
	s_and_b64 vcc, exec, s[20:21]
	s_cbranch_vccz .LBB110_1275
; %bb.1272:
	s_cmp_eq_u32 s22, 44
	s_cbranch_scc0 .LBB110_1274
; %bb.1273:
	global_load_ubyte v2, v[0:1], off
	s_mov_b64 s[0:1], 0
	s_mov_b64 s[18:19], -1
	s_waitcnt vmcnt(0)
	v_lshlrev_b32_e32 v3, 23, v2
	v_cvt_i32_f32_e32 v3, v3
	v_cmp_ne_u32_e32 vcc, 0, v2
	v_cndmask_b32_e32 v2, 0, v3, vcc
	s_branch .LBB110_1275
.LBB110_1274:
	s_mov_b64 s[0:1], -1
                                        ; implicit-def: $vgpr2
.LBB110_1275:
	s_mov_b64 s[20:21], 0
.LBB110_1276:
	s_and_b64 vcc, exec, s[20:21]
	s_cbranch_vccz .LBB110_1280
; %bb.1277:
	s_cmp_eq_u32 s22, 29
	s_cbranch_scc0 .LBB110_1279
; %bb.1278:
	global_load_dwordx2 v[2:3], v[0:1], off
	s_mov_b64 s[0:1], 0
	s_mov_b64 s[18:19], -1
	s_branch .LBB110_1280
.LBB110_1279:
	s_mov_b64 s[0:1], -1
                                        ; implicit-def: $vgpr2
.LBB110_1280:
	s_mov_b64 s[20:21], 0
.LBB110_1281:
	s_and_b64 vcc, exec, s[20:21]
	s_cbranch_vccz .LBB110_1297
; %bb.1282:
	s_cmp_lt_i32 s22, 27
	s_cbranch_scc1 .LBB110_1285
; %bb.1283:
	s_cmp_gt_i32 s22, 27
	s_cbranch_scc0 .LBB110_1286
; %bb.1284:
	global_load_dword v2, v[0:1], off
	s_mov_b64 s[18:19], 0
	s_branch .LBB110_1287
.LBB110_1285:
	s_mov_b64 s[18:19], -1
                                        ; implicit-def: $vgpr2
	s_branch .LBB110_1290
.LBB110_1286:
	s_mov_b64 s[18:19], -1
                                        ; implicit-def: $vgpr2
.LBB110_1287:
	s_andn2_b64 vcc, exec, s[18:19]
	s_cbranch_vccnz .LBB110_1289
; %bb.1288:
	global_load_ushort v2, v[0:1], off
.LBB110_1289:
	s_mov_b64 s[18:19], 0
.LBB110_1290:
	s_andn2_b64 vcc, exec, s[18:19]
	s_cbranch_vccnz .LBB110_1296
; %bb.1291:
	global_load_ubyte v3, v[0:1], off
	s_movk_i32 s18, 0x7f
	s_mov_b64 s[20:21], 0
	s_waitcnt vmcnt(0)
	v_cmp_lt_i16_e32 vcc, s18, v3
	s_and_saveexec_b64 s[18:19], vcc
	s_xor_b64 s[18:19], exec, s[18:19]
	s_cbranch_execz .LBB110_1308
; %bb.1292:
	s_movk_i32 s20, 0x80
	v_cmp_ne_u16_e32 vcc, s20, v3
	s_and_b64 s[20:21], vcc, exec
	s_andn2_saveexec_b64 s[18:19], s[18:19]
	s_cbranch_execnz .LBB110_1309
.LBB110_1293:
	s_or_b64 exec, exec, s[18:19]
	v_mov_b32_e32 v2, 0
	s_and_saveexec_b64 s[18:19], s[20:21]
	s_cbranch_execz .LBB110_1295
.LBB110_1294:
	v_lshlrev_b32_e32 v2, 24, v3
	v_and_b32_e32 v3, 0xffff, v3
	v_and_b32_e32 v7, 7, v3
	v_ffbh_u32_e32 v10, v7
	v_min_u32_e32 v10, 32, v10
	v_subrev_u32_e32 v11, 28, v10
	v_bfe_u32 v8, v3, 3, 4
	v_lshlrev_b32_e32 v3, v11, v3
	v_sub_u32_e32 v10, 29, v10
	v_and_b32_e32 v3, 7, v3
	v_cmp_eq_u32_e32 vcc, 0, v8
	v_cndmask_b32_e32 v8, v8, v10, vcc
	v_cndmask_b32_e32 v3, v7, v3, vcc
	v_mov_b32_e32 v7, 0x3b800000
	v_lshlrev_b32_e32 v3, 20, v3
	v_and_b32_e32 v2, 0x80000000, v2
	v_lshl_add_u32 v7, v8, 23, v7
	v_or3_b32 v2, v2, v7, v3
	v_cvt_i32_f32_e32 v2, v2
.LBB110_1295:
	s_or_b64 exec, exec, s[18:19]
.LBB110_1296:
	s_mov_b64 s[18:19], -1
.LBB110_1297:
	s_mov_b64 s[20:21], 0
.LBB110_1298:
	s_and_b64 vcc, exec, s[20:21]
	s_cbranch_vccz .LBB110_1329
; %bb.1299:
	s_cmp_gt_i32 s22, 22
	s_cbranch_scc0 .LBB110_1307
; %bb.1300:
	s_cmp_lt_i32 s22, 24
	s_cbranch_scc1 .LBB110_1310
; %bb.1301:
	s_cmp_gt_i32 s22, 24
	s_cbranch_scc0 .LBB110_1311
; %bb.1302:
	global_load_ubyte v3, v[0:1], off
	s_movk_i32 s2, 0x7f
	s_mov_b64 s[18:19], 0
	s_waitcnt vmcnt(0)
	v_cmp_lt_i16_e32 vcc, s2, v3
	s_and_saveexec_b64 s[2:3], vcc
	s_xor_b64 s[2:3], exec, s[2:3]
	s_cbranch_execz .LBB110_1323
; %bb.1303:
	s_movk_i32 s18, 0x80
	v_cmp_ne_u16_e32 vcc, s18, v3
	s_and_b64 s[18:19], vcc, exec
	s_andn2_saveexec_b64 s[2:3], s[2:3]
	s_cbranch_execnz .LBB110_1324
.LBB110_1304:
	s_or_b64 exec, exec, s[2:3]
	v_mov_b32_e32 v2, 0
	s_and_saveexec_b64 s[2:3], s[18:19]
	s_cbranch_execz .LBB110_1306
.LBB110_1305:
	v_lshlrev_b32_e32 v2, 24, v3
	v_and_b32_e32 v3, 0xffff, v3
	v_and_b32_e32 v7, 3, v3
	v_ffbh_u32_e32 v10, v7
	v_min_u32_e32 v10, 32, v10
	v_subrev_u32_e32 v11, 29, v10
	v_bfe_u32 v8, v3, 2, 5
	v_lshlrev_b32_e32 v3, v11, v3
	v_sub_u32_e32 v10, 30, v10
	v_and_b32_e32 v3, 3, v3
	v_cmp_eq_u32_e32 vcc, 0, v8
	v_cndmask_b32_e32 v8, v8, v10, vcc
	v_cndmask_b32_e32 v3, v7, v3, vcc
	v_mov_b32_e32 v7, 0x37800000
	v_lshlrev_b32_e32 v3, 21, v3
	v_and_b32_e32 v2, 0x80000000, v2
	v_lshl_add_u32 v7, v8, 23, v7
	v_or3_b32 v2, v2, v7, v3
	v_cvt_i32_f32_e32 v2, v2
.LBB110_1306:
	s_or_b64 exec, exec, s[2:3]
	s_mov_b64 s[2:3], 0
	s_branch .LBB110_1312
.LBB110_1307:
	s_mov_b64 s[2:3], -1
                                        ; implicit-def: $vgpr2
	s_branch .LBB110_1318
.LBB110_1308:
	s_andn2_saveexec_b64 s[18:19], s[18:19]
	s_cbranch_execz .LBB110_1293
.LBB110_1309:
	v_cmp_ne_u16_e32 vcc, 0, v3
	s_andn2_b64 s[20:21], s[20:21], exec
	s_and_b64 s[24:25], vcc, exec
	s_or_b64 s[20:21], s[20:21], s[24:25]
	s_or_b64 exec, exec, s[18:19]
	v_mov_b32_e32 v2, 0
	s_and_saveexec_b64 s[18:19], s[20:21]
	s_cbranch_execnz .LBB110_1294
	s_branch .LBB110_1295
.LBB110_1310:
	s_mov_b64 s[2:3], -1
                                        ; implicit-def: $vgpr2
	s_branch .LBB110_1315
.LBB110_1311:
	s_mov_b64 s[2:3], -1
                                        ; implicit-def: $vgpr2
.LBB110_1312:
	s_and_b64 vcc, exec, s[2:3]
	s_cbranch_vccz .LBB110_1314
; %bb.1313:
	global_load_ubyte v2, v[0:1], off
	s_mov_b32 s2, 0x7f800000
	s_waitcnt vmcnt(0)
	v_lshlrev_b32_e32 v2, 24, v2
	v_and_b32_e32 v3, 0x7f000000, v2
	v_ffbh_u32_e32 v7, v3
	v_min_u32_e32 v7, 32, v7
	v_sub_u32_e64 v7, v7, 4 clamp
	v_lshlrev_b32_e32 v10, v7, v3
	v_lshlrev_b32_e32 v7, 23, v7
	v_lshrrev_b32_e32 v10, 4, v10
	v_add_u32_e32 v8, 0x1000000, v3
	v_sub_u32_e32 v7, v10, v7
	v_ashrrev_i32_e32 v8, 8, v8
	v_add_u32_e32 v7, 0x3c000000, v7
	v_and_or_b32 v7, v8, s2, v7
	v_cmp_ne_u32_e32 vcc, 0, v3
	v_cndmask_b32_e32 v3, 0, v7, vcc
	s_brev_b32 s2, 1
	v_and_or_b32 v2, v2, s2, v3
	v_cvt_i32_f32_e32 v2, v2
.LBB110_1314:
	s_mov_b64 s[2:3], 0
.LBB110_1315:
	s_andn2_b64 vcc, exec, s[2:3]
	s_cbranch_vccnz .LBB110_1317
; %bb.1316:
	global_load_ubyte v2, v[0:1], off
	s_movk_i32 s2, 0x7f00
	s_brev_b32 s3, 16
	s_waitcnt vmcnt(0)
	v_lshlrev_b16_e32 v3, 8, v2
	v_lshlrev_b32_e32 v2, 25, v2
	v_lshrrev_b32_e32 v7, 4, v2
	v_and_or_b32 v8, v3, s2, 0.5
	v_or_b32_e32 v7, 0x70000000, v7
	v_add_f32_e32 v8, -0.5, v8
	v_mul_f32_e32 v7, 0x7800000, v7
	v_cmp_gt_u32_e32 vcc, s3, v2
	v_bfe_i32 v3, v3, 0, 16
	v_cndmask_b32_e32 v2, v7, v8, vcc
	s_brev_b32 s2, 1
	v_and_or_b32 v2, v3, s2, v2
	v_cvt_i32_f32_e32 v2, v2
.LBB110_1317:
	s_mov_b64 s[2:3], 0
	s_mov_b64 s[18:19], -1
.LBB110_1318:
	s_andn2_b64 vcc, exec, s[2:3]
	s_mov_b64 s[2:3], 0
	s_cbranch_vccnz .LBB110_1329
; %bb.1319:
	s_cmp_gt_i32 s22, 14
	s_cbranch_scc0 .LBB110_1322
; %bb.1320:
	s_cmp_eq_u32 s22, 15
	s_cbranch_scc0 .LBB110_1325
; %bb.1321:
	global_load_ushort v2, v[0:1], off
	s_mov_b64 s[0:1], 0
	s_mov_b64 s[18:19], -1
	s_waitcnt vmcnt(0)
	v_lshlrev_b32_e32 v2, 16, v2
	v_cvt_i32_f32_e32 v2, v2
	s_branch .LBB110_1326
.LBB110_1322:
	s_mov_b64 s[20:21], -1
                                        ; implicit-def: $vgpr2
	s_branch .LBB110_1327
.LBB110_1323:
	s_andn2_saveexec_b64 s[2:3], s[2:3]
	s_cbranch_execz .LBB110_1304
.LBB110_1324:
	v_cmp_ne_u16_e32 vcc, 0, v3
	s_andn2_b64 s[18:19], s[18:19], exec
	s_and_b64 s[20:21], vcc, exec
	s_or_b64 s[18:19], s[18:19], s[20:21]
	s_or_b64 exec, exec, s[2:3]
	v_mov_b32_e32 v2, 0
	s_and_saveexec_b64 s[2:3], s[18:19]
	s_cbranch_execnz .LBB110_1305
	s_branch .LBB110_1306
.LBB110_1325:
	s_mov_b64 s[0:1], -1
                                        ; implicit-def: $vgpr2
.LBB110_1326:
	s_mov_b64 s[20:21], 0
.LBB110_1327:
	s_and_b64 vcc, exec, s[20:21]
	s_cbranch_vccz .LBB110_1329
; %bb.1328:
	s_cmp_lg_u32 s22, 11
	s_mov_b64 s[2:3], -1
	s_cselect_b64 s[0:1], -1, 0
.LBB110_1329:
	s_and_b64 vcc, exec, s[0:1]
	s_cbranch_vccnz .LBB110_1392
; %bb.1330:
	s_andn2_b64 vcc, exec, s[2:3]
	s_cbranch_vccnz .LBB110_1332
.LBB110_1331:
	global_load_ubyte v2, v[0:1], off
	s_mov_b64 s[18:19], -1
	s_waitcnt vmcnt(0)
	v_cmp_ne_u16_e32 vcc, 0, v2
	v_cndmask_b32_e64 v2, 0, 1, vcc
.LBB110_1332:
	s_branch .LBB110_1264
.LBB110_1333:
	s_cmp_lt_i32 s22, 5
	s_cbranch_scc1 .LBB110_1338
; %bb.1334:
	s_cmp_lt_i32 s22, 8
	s_cbranch_scc1 .LBB110_1339
; %bb.1335:
	s_cmp_lt_i32 s22, 9
	s_cbranch_scc1 .LBB110_1340
; %bb.1336:
	s_cmp_gt_i32 s22, 9
	s_cbranch_scc0 .LBB110_1341
; %bb.1337:
	global_load_dwordx2 v[2:3], v[0:1], off
	s_mov_b64 s[0:1], 0
	s_waitcnt vmcnt(0)
	v_cvt_i32_f64_e32 v2, v[2:3]
	s_branch .LBB110_1342
.LBB110_1338:
	s_mov_b64 s[0:1], -1
                                        ; implicit-def: $vgpr2
	s_branch .LBB110_1360
.LBB110_1339:
	s_mov_b64 s[0:1], -1
                                        ; implicit-def: $vgpr2
	s_branch .LBB110_1348
.LBB110_1340:
	s_mov_b64 s[0:1], -1
                                        ; implicit-def: $vgpr2
	s_branch .LBB110_1345
.LBB110_1341:
	s_mov_b64 s[0:1], -1
                                        ; implicit-def: $vgpr2
.LBB110_1342:
	s_andn2_b64 vcc, exec, s[0:1]
	s_cbranch_vccnz .LBB110_1344
; %bb.1343:
	global_load_dword v2, v[0:1], off
	s_waitcnt vmcnt(0)
	v_cvt_i32_f32_e32 v2, v2
.LBB110_1344:
	s_mov_b64 s[0:1], 0
.LBB110_1345:
	s_andn2_b64 vcc, exec, s[0:1]
	s_cbranch_vccnz .LBB110_1347
; %bb.1346:
	global_load_dword v2, v[0:1], off
	s_waitcnt vmcnt(0)
	v_cvt_i16_f16_e32 v2, v2
.LBB110_1347:
	s_mov_b64 s[0:1], 0
.LBB110_1348:
	s_andn2_b64 vcc, exec, s[0:1]
	s_cbranch_vccnz .LBB110_1359
; %bb.1349:
	s_cmp_lt_i32 s22, 6
	s_cbranch_scc1 .LBB110_1352
; %bb.1350:
	s_cmp_gt_i32 s22, 6
	s_cbranch_scc0 .LBB110_1353
; %bb.1351:
	global_load_dwordx2 v[2:3], v[0:1], off
	s_mov_b64 s[0:1], 0
	s_waitcnt vmcnt(0)
	v_cvt_i32_f64_e32 v2, v[2:3]
	s_branch .LBB110_1354
.LBB110_1352:
	s_mov_b64 s[0:1], -1
                                        ; implicit-def: $vgpr2
	s_branch .LBB110_1357
.LBB110_1353:
	s_mov_b64 s[0:1], -1
                                        ; implicit-def: $vgpr2
.LBB110_1354:
	s_andn2_b64 vcc, exec, s[0:1]
	s_cbranch_vccnz .LBB110_1356
; %bb.1355:
	global_load_dword v2, v[0:1], off
	s_waitcnt vmcnt(0)
	v_cvt_i32_f32_e32 v2, v2
.LBB110_1356:
	s_mov_b64 s[0:1], 0
.LBB110_1357:
	s_andn2_b64 vcc, exec, s[0:1]
	s_cbranch_vccnz .LBB110_1359
; %bb.1358:
	global_load_ushort v2, v[0:1], off
	s_waitcnt vmcnt(0)
	v_cvt_i16_f16_e32 v2, v2
.LBB110_1359:
	s_mov_b64 s[0:1], 0
.LBB110_1360:
	s_andn2_b64 vcc, exec, s[0:1]
	s_cbranch_vccnz .LBB110_1380
; %bb.1361:
	s_cmp_lt_i32 s22, 2
	s_cbranch_scc1 .LBB110_1365
; %bb.1362:
	s_cmp_lt_i32 s22, 3
	s_cbranch_scc1 .LBB110_1366
; %bb.1363:
	s_cmp_gt_i32 s22, 3
	s_cbranch_scc0 .LBB110_1367
; %bb.1364:
	global_load_dwordx2 v[2:3], v[0:1], off
	s_mov_b64 s[0:1], 0
	s_branch .LBB110_1368
.LBB110_1365:
	s_mov_b64 s[0:1], -1
                                        ; implicit-def: $vgpr2
	s_branch .LBB110_1374
.LBB110_1366:
	s_mov_b64 s[0:1], -1
                                        ; implicit-def: $vgpr2
	s_branch .LBB110_1371
.LBB110_1367:
	s_mov_b64 s[0:1], -1
                                        ; implicit-def: $vgpr2
.LBB110_1368:
	s_andn2_b64 vcc, exec, s[0:1]
	s_cbranch_vccnz .LBB110_1370
; %bb.1369:
	global_load_dword v2, v[0:1], off
.LBB110_1370:
	s_mov_b64 s[0:1], 0
.LBB110_1371:
	s_andn2_b64 vcc, exec, s[0:1]
	s_cbranch_vccnz .LBB110_1373
; %bb.1372:
	global_load_ushort v2, v[0:1], off
.LBB110_1373:
	s_mov_b64 s[0:1], 0
.LBB110_1374:
	s_andn2_b64 vcc, exec, s[0:1]
	s_cbranch_vccnz .LBB110_1380
; %bb.1375:
	s_cmp_gt_i32 s22, 0
	s_cbranch_scc0 .LBB110_1377
; %bb.1376:
	global_load_sbyte v2, v[0:1], off
	s_mov_b64 s[0:1], 0
	s_branch .LBB110_1378
.LBB110_1377:
	s_mov_b64 s[0:1], -1
                                        ; implicit-def: $vgpr2
.LBB110_1378:
	s_andn2_b64 vcc, exec, s[0:1]
	s_cbranch_vccnz .LBB110_1380
; %bb.1379:
	global_load_ubyte v2, v[0:1], off
.LBB110_1380:
.LBB110_1381:
	v_add_u32_e32 v0, s13, v5
	v_ashrrev_i32_e32 v1, 31, v0
	s_waitcnt vmcnt(0)
	v_mov_b32_e32 v3, s11
	v_add_co_u32_e32 v7, vcc, s10, v0
	s_cmp_lt_i32 s22, 11
	v_addc_co_u32_e32 v8, vcc, v3, v1, vcc
	s_cbranch_scc1 .LBB110_1388
; %bb.1382:
	s_cmp_gt_i32 s22, 25
	s_mov_b64 s[2:3], 0
	s_cbranch_scc0 .LBB110_1389
; %bb.1383:
	s_cmp_gt_i32 s22, 28
	s_cbranch_scc0 .LBB110_1390
; %bb.1384:
	s_cmp_gt_i32 s22, 43
	;; [unrolled: 3-line block ×3, first 2 shown]
	s_cbranch_scc0 .LBB110_1393
; %bb.1386:
	s_cmp_eq_u32 s22, 46
	s_mov_b64 s[18:19], 0
	s_cbranch_scc0 .LBB110_1394
; %bb.1387:
	global_load_dword v0, v[7:8], off
	s_mov_b64 s[0:1], 0
	s_mov_b64 s[10:11], -1
	s_waitcnt vmcnt(0)
	v_lshlrev_b32_e32 v0, 16, v0
	v_cvt_i32_f32_e32 v0, v0
	s_branch .LBB110_1395
.LBB110_1388:
	s_mov_b64 s[0:1], -1
	s_mov_b64 s[10:11], 0
                                        ; implicit-def: $vgpr0
	s_branch .LBB110_1457
.LBB110_1389:
	s_mov_b64 s[18:19], -1
	s_mov_b64 s[10:11], 0
	s_mov_b64 s[0:1], 0
                                        ; implicit-def: $vgpr0
	s_branch .LBB110_1422
.LBB110_1390:
	s_mov_b64 s[18:19], -1
	s_mov_b64 s[10:11], 0
	s_mov_b64 s[0:1], 0
                                        ; implicit-def: $vgpr0
	s_branch .LBB110_1405
.LBB110_1391:
	s_mov_b64 s[18:19], -1
	s_mov_b64 s[10:11], 0
	s_mov_b64 s[0:1], 0
                                        ; implicit-def: $vgpr0
	s_branch .LBB110_1400
.LBB110_1392:
	s_trap 2
	s_or_b64 s[16:17], s[16:17], exec
	s_cbranch_execz .LBB110_1331
	s_branch .LBB110_1332
.LBB110_1393:
	s_mov_b64 s[18:19], -1
	s_mov_b64 s[10:11], 0
	s_mov_b64 s[0:1], 0
                                        ; implicit-def: $vgpr0
	s_branch .LBB110_1395
.LBB110_1394:
	s_mov_b64 s[0:1], -1
                                        ; implicit-def: $vgpr0
	s_mov_b64 s[10:11], 0
.LBB110_1395:
	s_and_b64 vcc, exec, s[18:19]
	s_cbranch_vccz .LBB110_1399
; %bb.1396:
	s_cmp_eq_u32 s22, 44
	s_cbranch_scc0 .LBB110_1398
; %bb.1397:
	global_load_ubyte v0, v[7:8], off
	s_mov_b64 s[0:1], 0
	s_mov_b64 s[10:11], -1
	s_waitcnt vmcnt(0)
	v_lshlrev_b32_e32 v1, 23, v0
	v_cvt_i32_f32_e32 v1, v1
	v_cmp_ne_u32_e32 vcc, 0, v0
	v_cndmask_b32_e32 v0, 0, v1, vcc
	s_branch .LBB110_1399
.LBB110_1398:
	s_mov_b64 s[0:1], -1
                                        ; implicit-def: $vgpr0
.LBB110_1399:
	s_mov_b64 s[18:19], 0
.LBB110_1400:
	s_and_b64 vcc, exec, s[18:19]
	s_cbranch_vccz .LBB110_1404
; %bb.1401:
	s_cmp_eq_u32 s22, 29
	s_cbranch_scc0 .LBB110_1403
; %bb.1402:
	global_load_dwordx2 v[0:1], v[7:8], off
	s_mov_b64 s[0:1], 0
	s_mov_b64 s[10:11], -1
	s_branch .LBB110_1404
.LBB110_1403:
	s_mov_b64 s[0:1], -1
                                        ; implicit-def: $vgpr0
.LBB110_1404:
	s_mov_b64 s[18:19], 0
.LBB110_1405:
	s_and_b64 vcc, exec, s[18:19]
	s_cbranch_vccz .LBB110_1421
; %bb.1406:
	s_cmp_lt_i32 s22, 27
	s_cbranch_scc1 .LBB110_1409
; %bb.1407:
	s_cmp_gt_i32 s22, 27
	s_cbranch_scc0 .LBB110_1410
; %bb.1408:
	global_load_dword v0, v[7:8], off
	s_mov_b64 s[10:11], 0
	s_branch .LBB110_1411
.LBB110_1409:
	s_mov_b64 s[10:11], -1
                                        ; implicit-def: $vgpr0
	s_branch .LBB110_1414
.LBB110_1410:
	s_mov_b64 s[10:11], -1
                                        ; implicit-def: $vgpr0
.LBB110_1411:
	s_andn2_b64 vcc, exec, s[10:11]
	s_cbranch_vccnz .LBB110_1413
; %bb.1412:
	global_load_ushort v0, v[7:8], off
.LBB110_1413:
	s_mov_b64 s[10:11], 0
.LBB110_1414:
	s_andn2_b64 vcc, exec, s[10:11]
	s_cbranch_vccnz .LBB110_1420
; %bb.1415:
	global_load_ubyte v1, v[7:8], off
	s_movk_i32 s10, 0x7f
	s_mov_b64 s[18:19], 0
	s_waitcnt vmcnt(0)
	v_cmp_lt_i16_e32 vcc, s10, v1
	s_and_saveexec_b64 s[10:11], vcc
	s_xor_b64 s[10:11], exec, s[10:11]
	s_cbranch_execz .LBB110_1432
; %bb.1416:
	s_movk_i32 s13, 0x80
	v_cmp_ne_u16_e32 vcc, s13, v1
	s_and_b64 s[18:19], vcc, exec
	s_andn2_saveexec_b64 s[10:11], s[10:11]
	s_cbranch_execnz .LBB110_1433
.LBB110_1417:
	s_or_b64 exec, exec, s[10:11]
	v_mov_b32_e32 v0, 0
	s_and_saveexec_b64 s[10:11], s[18:19]
	s_cbranch_execz .LBB110_1419
.LBB110_1418:
	v_lshlrev_b32_e32 v0, 24, v1
	v_and_b32_e32 v1, 0xffff, v1
	v_and_b32_e32 v3, 7, v1
	v_ffbh_u32_e32 v10, v3
	v_min_u32_e32 v10, 32, v10
	v_subrev_u32_e32 v11, 28, v10
	v_bfe_u32 v5, v1, 3, 4
	v_lshlrev_b32_e32 v1, v11, v1
	v_sub_u32_e32 v10, 29, v10
	v_and_b32_e32 v1, 7, v1
	v_cmp_eq_u32_e32 vcc, 0, v5
	v_cndmask_b32_e32 v5, v5, v10, vcc
	v_cndmask_b32_e32 v1, v3, v1, vcc
	v_mov_b32_e32 v3, 0x3b800000
	v_lshlrev_b32_e32 v1, 20, v1
	v_and_b32_e32 v0, 0x80000000, v0
	v_lshl_add_u32 v3, v5, 23, v3
	v_or3_b32 v0, v0, v3, v1
	v_cvt_i32_f32_e32 v0, v0
.LBB110_1419:
	s_or_b64 exec, exec, s[10:11]
.LBB110_1420:
	s_mov_b64 s[10:11], -1
.LBB110_1421:
	s_mov_b64 s[18:19], 0
.LBB110_1422:
	s_and_b64 vcc, exec, s[18:19]
	s_cbranch_vccz .LBB110_1453
; %bb.1423:
	s_cmp_gt_i32 s22, 22
	s_cbranch_scc0 .LBB110_1431
; %bb.1424:
	s_cmp_lt_i32 s22, 24
	s_cbranch_scc1 .LBB110_1434
; %bb.1425:
	s_cmp_gt_i32 s22, 24
	s_cbranch_scc0 .LBB110_1435
; %bb.1426:
	global_load_ubyte v1, v[7:8], off
	s_movk_i32 s2, 0x7f
	s_mov_b64 s[10:11], 0
	s_waitcnt vmcnt(0)
	v_cmp_lt_i16_e32 vcc, s2, v1
	s_and_saveexec_b64 s[2:3], vcc
	s_xor_b64 s[2:3], exec, s[2:3]
	s_cbranch_execz .LBB110_1447
; %bb.1427:
	s_movk_i32 s10, 0x80
	v_cmp_ne_u16_e32 vcc, s10, v1
	s_and_b64 s[10:11], vcc, exec
	s_andn2_saveexec_b64 s[2:3], s[2:3]
	s_cbranch_execnz .LBB110_1448
.LBB110_1428:
	s_or_b64 exec, exec, s[2:3]
	v_mov_b32_e32 v0, 0
	s_and_saveexec_b64 s[2:3], s[10:11]
	s_cbranch_execz .LBB110_1430
.LBB110_1429:
	v_lshlrev_b32_e32 v0, 24, v1
	v_and_b32_e32 v1, 0xffff, v1
	v_and_b32_e32 v3, 3, v1
	v_ffbh_u32_e32 v10, v3
	v_min_u32_e32 v10, 32, v10
	v_subrev_u32_e32 v11, 29, v10
	v_bfe_u32 v5, v1, 2, 5
	v_lshlrev_b32_e32 v1, v11, v1
	v_sub_u32_e32 v10, 30, v10
	v_and_b32_e32 v1, 3, v1
	v_cmp_eq_u32_e32 vcc, 0, v5
	v_cndmask_b32_e32 v5, v5, v10, vcc
	v_cndmask_b32_e32 v1, v3, v1, vcc
	v_mov_b32_e32 v3, 0x37800000
	v_lshlrev_b32_e32 v1, 21, v1
	v_and_b32_e32 v0, 0x80000000, v0
	v_lshl_add_u32 v3, v5, 23, v3
	v_or3_b32 v0, v0, v3, v1
	v_cvt_i32_f32_e32 v0, v0
.LBB110_1430:
	s_or_b64 exec, exec, s[2:3]
	s_mov_b64 s[2:3], 0
	s_branch .LBB110_1436
.LBB110_1431:
	s_mov_b64 s[2:3], -1
                                        ; implicit-def: $vgpr0
	s_branch .LBB110_1442
.LBB110_1432:
	s_andn2_saveexec_b64 s[10:11], s[10:11]
	s_cbranch_execz .LBB110_1417
.LBB110_1433:
	v_cmp_ne_u16_e32 vcc, 0, v1
	s_andn2_b64 s[18:19], s[18:19], exec
	s_and_b64 s[20:21], vcc, exec
	s_or_b64 s[18:19], s[18:19], s[20:21]
	s_or_b64 exec, exec, s[10:11]
	v_mov_b32_e32 v0, 0
	s_and_saveexec_b64 s[10:11], s[18:19]
	s_cbranch_execnz .LBB110_1418
	s_branch .LBB110_1419
.LBB110_1434:
	s_mov_b64 s[2:3], -1
                                        ; implicit-def: $vgpr0
	s_branch .LBB110_1439
.LBB110_1435:
	s_mov_b64 s[2:3], -1
                                        ; implicit-def: $vgpr0
.LBB110_1436:
	s_and_b64 vcc, exec, s[2:3]
	s_cbranch_vccz .LBB110_1438
; %bb.1437:
	global_load_ubyte v0, v[7:8], off
	s_mov_b32 s2, 0x7f800000
	s_waitcnt vmcnt(0)
	v_lshlrev_b32_e32 v0, 24, v0
	v_and_b32_e32 v1, 0x7f000000, v0
	v_ffbh_u32_e32 v3, v1
	v_min_u32_e32 v3, 32, v3
	v_sub_u32_e64 v3, v3, 4 clamp
	v_lshlrev_b32_e32 v10, v3, v1
	v_lshlrev_b32_e32 v3, 23, v3
	v_lshrrev_b32_e32 v10, 4, v10
	v_add_u32_e32 v5, 0x1000000, v1
	v_sub_u32_e32 v3, v10, v3
	v_ashrrev_i32_e32 v5, 8, v5
	v_add_u32_e32 v3, 0x3c000000, v3
	v_and_or_b32 v3, v5, s2, v3
	v_cmp_ne_u32_e32 vcc, 0, v1
	v_cndmask_b32_e32 v1, 0, v3, vcc
	s_brev_b32 s2, 1
	v_and_or_b32 v0, v0, s2, v1
	v_cvt_i32_f32_e32 v0, v0
.LBB110_1438:
	s_mov_b64 s[2:3], 0
.LBB110_1439:
	s_andn2_b64 vcc, exec, s[2:3]
	s_cbranch_vccnz .LBB110_1441
; %bb.1440:
	global_load_ubyte v0, v[7:8], off
	s_movk_i32 s2, 0x7f00
	s_brev_b32 s3, 16
	s_waitcnt vmcnt(0)
	v_lshlrev_b16_e32 v1, 8, v0
	v_lshlrev_b32_e32 v0, 25, v0
	v_lshrrev_b32_e32 v3, 4, v0
	v_and_or_b32 v5, v1, s2, 0.5
	v_or_b32_e32 v3, 0x70000000, v3
	v_add_f32_e32 v5, -0.5, v5
	v_mul_f32_e32 v3, 0x7800000, v3
	v_cmp_gt_u32_e32 vcc, s3, v0
	v_bfe_i32 v1, v1, 0, 16
	v_cndmask_b32_e32 v0, v3, v5, vcc
	s_brev_b32 s2, 1
	v_and_or_b32 v0, v1, s2, v0
	v_cvt_i32_f32_e32 v0, v0
.LBB110_1441:
	s_mov_b64 s[2:3], 0
	s_mov_b64 s[10:11], -1
.LBB110_1442:
	s_andn2_b64 vcc, exec, s[2:3]
	s_mov_b64 s[2:3], 0
	s_cbranch_vccnz .LBB110_1453
; %bb.1443:
	s_cmp_gt_i32 s22, 14
	s_cbranch_scc0 .LBB110_1446
; %bb.1444:
	s_cmp_eq_u32 s22, 15
	s_cbranch_scc0 .LBB110_1449
; %bb.1445:
	global_load_ushort v0, v[7:8], off
	s_mov_b64 s[0:1], 0
	s_mov_b64 s[10:11], -1
	s_waitcnt vmcnt(0)
	v_lshlrev_b32_e32 v0, 16, v0
	v_cvt_i32_f32_e32 v0, v0
	s_branch .LBB110_1450
.LBB110_1446:
	s_mov_b64 s[18:19], -1
                                        ; implicit-def: $vgpr0
	s_branch .LBB110_1451
.LBB110_1447:
	s_andn2_saveexec_b64 s[2:3], s[2:3]
	s_cbranch_execz .LBB110_1428
.LBB110_1448:
	v_cmp_ne_u16_e32 vcc, 0, v1
	s_andn2_b64 s[10:11], s[10:11], exec
	s_and_b64 s[18:19], vcc, exec
	s_or_b64 s[10:11], s[10:11], s[18:19]
	s_or_b64 exec, exec, s[2:3]
	v_mov_b32_e32 v0, 0
	s_and_saveexec_b64 s[2:3], s[10:11]
	s_cbranch_execnz .LBB110_1429
	s_branch .LBB110_1430
.LBB110_1449:
	s_mov_b64 s[0:1], -1
                                        ; implicit-def: $vgpr0
.LBB110_1450:
	s_mov_b64 s[18:19], 0
.LBB110_1451:
	s_and_b64 vcc, exec, s[18:19]
	s_cbranch_vccz .LBB110_1453
; %bb.1452:
	s_cmp_lg_u32 s22, 11
	s_mov_b64 s[2:3], -1
	s_cselect_b64 s[0:1], -1, 0
.LBB110_1453:
	s_and_b64 vcc, exec, s[0:1]
	s_cbranch_vccnz .LBB110_1986
; %bb.1454:
	s_andn2_b64 vcc, exec, s[2:3]
	s_cbranch_vccnz .LBB110_1456
.LBB110_1455:
	global_load_ubyte v0, v[7:8], off
	s_mov_b64 s[10:11], -1
	s_waitcnt vmcnt(0)
	v_cmp_ne_u16_e32 vcc, 0, v0
	v_cndmask_b32_e64 v0, 0, 1, vcc
.LBB110_1456:
	s_mov_b64 s[0:1], 0
.LBB110_1457:
	s_and_b64 vcc, exec, s[0:1]
	s_cbranch_vccz .LBB110_1506
; %bb.1458:
	s_cmp_lt_i32 s22, 5
	s_cbranch_scc1 .LBB110_1463
; %bb.1459:
	s_cmp_lt_i32 s22, 8
	s_cbranch_scc1 .LBB110_1464
	;; [unrolled: 3-line block ×3, first 2 shown]
; %bb.1461:
	s_cmp_gt_i32 s22, 9
	s_cbranch_scc0 .LBB110_1466
; %bb.1462:
	global_load_dwordx2 v[0:1], v[7:8], off
	s_mov_b64 s[0:1], 0
	s_waitcnt vmcnt(0)
	v_cvt_i32_f64_e32 v0, v[0:1]
	s_branch .LBB110_1467
.LBB110_1463:
	s_mov_b64 s[0:1], -1
                                        ; implicit-def: $vgpr0
	s_branch .LBB110_1485
.LBB110_1464:
	s_mov_b64 s[0:1], -1
                                        ; implicit-def: $vgpr0
	s_branch .LBB110_1473
.LBB110_1465:
	s_mov_b64 s[0:1], -1
                                        ; implicit-def: $vgpr0
	s_branch .LBB110_1470
.LBB110_1466:
	s_mov_b64 s[0:1], -1
                                        ; implicit-def: $vgpr0
.LBB110_1467:
	s_andn2_b64 vcc, exec, s[0:1]
	s_cbranch_vccnz .LBB110_1469
; %bb.1468:
	global_load_dword v0, v[7:8], off
	s_waitcnt vmcnt(0)
	v_cvt_i32_f32_e32 v0, v0
.LBB110_1469:
	s_mov_b64 s[0:1], 0
.LBB110_1470:
	s_andn2_b64 vcc, exec, s[0:1]
	s_cbranch_vccnz .LBB110_1472
; %bb.1471:
	global_load_dword v0, v[7:8], off
	s_waitcnt vmcnt(0)
	v_cvt_i16_f16_e32 v0, v0
.LBB110_1472:
	s_mov_b64 s[0:1], 0
.LBB110_1473:
	s_andn2_b64 vcc, exec, s[0:1]
	s_cbranch_vccnz .LBB110_1484
; %bb.1474:
	s_cmp_lt_i32 s22, 6
	s_cbranch_scc1 .LBB110_1477
; %bb.1475:
	s_cmp_gt_i32 s22, 6
	s_cbranch_scc0 .LBB110_1478
; %bb.1476:
	global_load_dwordx2 v[0:1], v[7:8], off
	s_mov_b64 s[0:1], 0
	s_waitcnt vmcnt(0)
	v_cvt_i32_f64_e32 v0, v[0:1]
	s_branch .LBB110_1479
.LBB110_1477:
	s_mov_b64 s[0:1], -1
                                        ; implicit-def: $vgpr0
	s_branch .LBB110_1482
.LBB110_1478:
	s_mov_b64 s[0:1], -1
                                        ; implicit-def: $vgpr0
.LBB110_1479:
	s_andn2_b64 vcc, exec, s[0:1]
	s_cbranch_vccnz .LBB110_1481
; %bb.1480:
	global_load_dword v0, v[7:8], off
	s_waitcnt vmcnt(0)
	v_cvt_i32_f32_e32 v0, v0
.LBB110_1481:
	s_mov_b64 s[0:1], 0
.LBB110_1482:
	s_andn2_b64 vcc, exec, s[0:1]
	s_cbranch_vccnz .LBB110_1484
; %bb.1483:
	global_load_ushort v0, v[7:8], off
	s_waitcnt vmcnt(0)
	v_cvt_i16_f16_e32 v0, v0
.LBB110_1484:
	s_mov_b64 s[0:1], 0
.LBB110_1485:
	s_andn2_b64 vcc, exec, s[0:1]
	s_cbranch_vccnz .LBB110_1505
; %bb.1486:
	s_cmp_lt_i32 s22, 2
	s_cbranch_scc1 .LBB110_1490
; %bb.1487:
	s_cmp_lt_i32 s22, 3
	s_cbranch_scc1 .LBB110_1491
; %bb.1488:
	s_cmp_gt_i32 s22, 3
	s_cbranch_scc0 .LBB110_1492
; %bb.1489:
	global_load_dwordx2 v[0:1], v[7:8], off
	s_mov_b64 s[0:1], 0
	s_branch .LBB110_1493
.LBB110_1490:
	s_mov_b64 s[0:1], -1
                                        ; implicit-def: $vgpr0
	s_branch .LBB110_1499
.LBB110_1491:
	s_mov_b64 s[0:1], -1
                                        ; implicit-def: $vgpr0
	s_branch .LBB110_1496
.LBB110_1492:
	s_mov_b64 s[0:1], -1
                                        ; implicit-def: $vgpr0
.LBB110_1493:
	s_andn2_b64 vcc, exec, s[0:1]
	s_cbranch_vccnz .LBB110_1495
; %bb.1494:
	global_load_dword v0, v[7:8], off
.LBB110_1495:
	s_mov_b64 s[0:1], 0
.LBB110_1496:
	s_andn2_b64 vcc, exec, s[0:1]
	s_cbranch_vccnz .LBB110_1498
; %bb.1497:
	global_load_ushort v0, v[7:8], off
.LBB110_1498:
	s_mov_b64 s[0:1], 0
.LBB110_1499:
	s_andn2_b64 vcc, exec, s[0:1]
	s_cbranch_vccnz .LBB110_1505
; %bb.1500:
	s_cmp_gt_i32 s22, 0
	s_cbranch_scc0 .LBB110_1502
; %bb.1501:
	global_load_sbyte v0, v[7:8], off
	s_mov_b64 s[0:1], 0
	s_branch .LBB110_1503
.LBB110_1502:
	s_mov_b64 s[0:1], -1
                                        ; implicit-def: $vgpr0
.LBB110_1503:
	s_andn2_b64 vcc, exec, s[0:1]
	s_cbranch_vccnz .LBB110_1505
; %bb.1504:
	global_load_ubyte v0, v[7:8], off
.LBB110_1505:
	s_mov_b64 s[10:11], -1
.LBB110_1506:
	s_andn2_b64 vcc, exec, s[10:11]
	s_cbranch_vccnz .LBB110_1940
; %bb.1507:
	s_waitcnt vmcnt(0)
	v_mul_lo_u32 v1, s12, v9
	v_mov_b32_e32 v3, s33
	v_mov_b32_e32 v5, s15
	v_cmp_lt_i16_e32 vcc, s14, v6
	v_cndmask_b32_e32 v3, v3, v5, vcc
	v_ashrrev_i32_e32 v6, 31, v1
	v_mov_b32_e32 v7, s9
	s_and_b32 s22, s44, 0xff
	v_add_co_u32_e32 v5, vcc, s8, v1
	s_cmp_lt_i32 s22, 11
	v_addc_co_u32_e32 v6, vcc, v7, v6, vcc
	s_cbranch_scc1 .LBB110_1585
; %bb.1508:
	s_and_b32 s13, 0xffff, s22
	s_mov_b64 s[18:19], -1
	s_mov_b64 s[2:3], 0
	s_cmp_gt_i32 s13, 25
	s_mov_b64 s[10:11], 0
	s_mov_b64 s[0:1], 0
	s_cbranch_scc0 .LBB110_1541
; %bb.1509:
	s_cmp_gt_i32 s13, 28
	s_cbranch_scc0 .LBB110_1524
; %bb.1510:
	s_cmp_gt_i32 s13, 43
	;; [unrolled: 3-line block ×3, first 2 shown]
	s_cbranch_scc0 .LBB110_1514
; %bb.1512:
	s_mov_b64 s[0:1], -1
	s_mov_b64 s[18:19], 0
	s_cmp_eq_u32 s13, 46
	s_cbranch_scc0 .LBB110_1514
; %bb.1513:
	v_cvt_f32_i32_sdwa v7, sext(v3) dst_sel:DWORD dst_unused:UNUSED_PAD src0_sel:WORD_0
	s_movk_i32 s10, 0x7fff
	s_mov_b64 s[0:1], 0
	v_bfe_u32 v8, v7, 16, 1
	v_add3_u32 v7, v7, v8, s10
	v_lshrrev_b32_e32 v7, 16, v7
	global_store_dword v[5:6], v7, off
	s_mov_b64 s[10:11], -1
.LBB110_1514:
	s_and_b64 vcc, exec, s[18:19]
	s_cbranch_vccz .LBB110_1519
; %bb.1515:
	s_cmp_eq_u32 s13, 44
	s_mov_b64 s[0:1], -1
	s_cbranch_scc0 .LBB110_1519
; %bb.1516:
	v_cvt_f32_i32_sdwa v7, sext(v3) dst_sel:DWORD dst_unused:UNUSED_PAD src0_sel:WORD_0
	s_movk_i32 s0, 0xff
	v_mov_b32_e32 v9, 0xff
	v_bfe_u32 v8, v7, 23, 8
	v_cmp_ne_u32_e32 vcc, s0, v8
	s_and_saveexec_b64 s[10:11], vcc
; %bb.1517:
	s_mov_b32 s0, 0x3fffff
	v_lshrrev_b32_e32 v9, 23, v7
	v_and_b32_e32 v10, 0x400000, v7
	v_and_or_b32 v7, v7, s0, v8
	v_cmp_ne_u32_e32 vcc, 0, v10
	v_cmp_ne_u32_e64 s[0:1], 0, v7
	s_and_b64 s[0:1], vcc, s[0:1]
	v_cndmask_b32_e64 v7, 0, 1, s[0:1]
	v_add_u32_e32 v9, v9, v7
; %bb.1518:
	s_or_b64 exec, exec, s[10:11]
	s_mov_b64 s[0:1], 0
	s_mov_b64 s[10:11], -1
	global_store_byte v[5:6], v9, off
.LBB110_1519:
	s_mov_b64 s[18:19], 0
.LBB110_1520:
	s_and_b64 vcc, exec, s[18:19]
	s_cbranch_vccz .LBB110_1523
; %bb.1521:
	s_cmp_eq_u32 s13, 29
	s_mov_b64 s[0:1], -1
	s_cbranch_scc0 .LBB110_1523
; %bb.1522:
	v_bfe_i32 v7, v3, 0, 16
	v_ashrrev_i32_e32 v8, 31, v7
	global_store_dwordx2 v[5:6], v[7:8], off
	s_mov_b64 s[0:1], 0
	s_mov_b64 s[10:11], -1
.LBB110_1523:
	s_mov_b64 s[18:19], 0
.LBB110_1524:
	s_and_b64 vcc, exec, s[18:19]
	s_cbranch_vccz .LBB110_1540
; %bb.1525:
	s_cmp_lt_i32 s13, 27
	s_mov_b64 s[10:11], -1
	s_cbranch_scc1 .LBB110_1531
; %bb.1526:
	s_cmp_gt_i32 s13, 27
	s_cbranch_scc0 .LBB110_1528
; %bb.1527:
	v_bfe_i32 v7, v3, 0, 16
	s_mov_b64 s[10:11], 0
	global_store_dword v[5:6], v7, off
.LBB110_1528:
	s_andn2_b64 vcc, exec, s[10:11]
	s_cbranch_vccnz .LBB110_1530
; %bb.1529:
	global_store_short v[5:6], v3, off
.LBB110_1530:
	s_mov_b64 s[10:11], 0
.LBB110_1531:
	s_andn2_b64 vcc, exec, s[10:11]
	s_cbranch_vccnz .LBB110_1539
; %bb.1532:
	v_cvt_f32_i32_sdwa v7, sext(v3) dst_sel:DWORD dst_unused:UNUSED_PAD src0_sel:WORD_0
	s_mov_b32 s10, 0x43800000
	v_mov_b32_e32 v9, 0x80
	v_and_b32_e32 v8, 0x7fffffff, v7
	v_cmp_gt_u32_e32 vcc, s10, v8
	s_and_saveexec_b64 s[10:11], vcc
	s_cbranch_execz .LBB110_1538
; %bb.1533:
	s_mov_b32 s18, 0x3bffffff
	v_cmp_lt_u32_e32 vcc, s18, v8
	s_mov_b64 s[18:19], 0
                                        ; implicit-def: $vgpr8
	s_and_saveexec_b64 s[20:21], vcc
	s_xor_b64 s[20:21], exec, s[20:21]
	s_cbranch_execz .LBB110_1987
; %bb.1534:
	v_bfe_u32 v8, v7, 20, 1
	s_mov_b32 s23, 0x487ffff
	v_add3_u32 v8, v7, v8, s23
	s_mov_b64 s[18:19], exec
	v_lshrrev_b32_e32 v8, 20, v8
	s_andn2_saveexec_b64 s[20:21], s[20:21]
	s_cbranch_execnz .LBB110_1988
.LBB110_1535:
	s_or_b64 exec, exec, s[20:21]
	v_mov_b32_e32 v9, 0
	s_and_saveexec_b64 s[20:21], s[18:19]
.LBB110_1536:
	v_lshrrev_b32_e32 v7, 24, v7
	s_movk_i32 s18, 0x80
	v_and_or_b32 v9, v7, s18, v8
.LBB110_1537:
	s_or_b64 exec, exec, s[20:21]
.LBB110_1538:
	s_or_b64 exec, exec, s[10:11]
	global_store_byte v[5:6], v9, off
.LBB110_1539:
	s_mov_b64 s[10:11], -1
.LBB110_1540:
	s_mov_b64 s[18:19], 0
.LBB110_1541:
	s_and_b64 vcc, exec, s[18:19]
	s_cbranch_vccz .LBB110_1581
; %bb.1542:
	s_cmp_gt_i32 s13, 22
	s_mov_b64 s[2:3], -1
	s_cbranch_scc0 .LBB110_1574
; %bb.1543:
	s_cmp_lt_i32 s13, 24
	s_cbranch_scc1 .LBB110_1563
; %bb.1544:
	s_cmp_gt_i32 s13, 24
	s_cbranch_scc0 .LBB110_1552
; %bb.1545:
	v_cvt_f32_i32_sdwa v7, sext(v3) dst_sel:DWORD dst_unused:UNUSED_PAD src0_sel:WORD_0
	s_mov_b32 s2, 0x47800000
	v_mov_b32_e32 v9, 0x80
	v_and_b32_e32 v8, 0x7fffffff, v7
	v_cmp_gt_u32_e32 vcc, s2, v8
	s_and_saveexec_b64 s[2:3], vcc
	s_cbranch_execz .LBB110_1551
; %bb.1546:
	s_mov_b32 s10, 0x37ffffff
	v_cmp_lt_u32_e32 vcc, s10, v8
	s_mov_b64 s[10:11], 0
                                        ; implicit-def: $vgpr8
	s_and_saveexec_b64 s[18:19], vcc
	s_xor_b64 s[18:19], exec, s[18:19]
	s_cbranch_execz .LBB110_1990
; %bb.1547:
	v_bfe_u32 v8, v7, 21, 1
	s_mov_b32 s20, 0x88fffff
	v_add3_u32 v8, v7, v8, s20
	s_mov_b64 s[10:11], exec
	v_lshrrev_b32_e32 v8, 21, v8
	s_andn2_saveexec_b64 s[18:19], s[18:19]
	s_cbranch_execnz .LBB110_1991
.LBB110_1548:
	s_or_b64 exec, exec, s[18:19]
	v_mov_b32_e32 v9, 0
	s_and_saveexec_b64 s[18:19], s[10:11]
.LBB110_1549:
	v_lshrrev_b32_e32 v7, 24, v7
	s_movk_i32 s10, 0x80
	v_and_or_b32 v9, v7, s10, v8
.LBB110_1550:
	s_or_b64 exec, exec, s[18:19]
.LBB110_1551:
	s_or_b64 exec, exec, s[2:3]
	s_mov_b64 s[2:3], 0
	global_store_byte v[5:6], v9, off
.LBB110_1552:
	s_and_b64 vcc, exec, s[2:3]
	s_cbranch_vccz .LBB110_1562
; %bb.1553:
	v_cvt_f32_i32_sdwa v7, sext(v3) dst_sel:DWORD dst_unused:UNUSED_PAD src0_sel:WORD_0
	s_mov_b32 s2, 0x43f00000
                                        ; implicit-def: $vgpr8
	v_and_b32_e32 v9, 0x7fffffff, v7
	v_cmp_gt_u32_e32 vcc, s2, v9
	s_and_saveexec_b64 s[2:3], vcc
	s_xor_b64 s[2:3], exec, s[2:3]
	s_cbranch_execz .LBB110_1559
; %bb.1554:
	s_mov_b32 s10, 0x3c7fffff
	v_cmp_lt_u32_e32 vcc, s10, v9
                                        ; implicit-def: $vgpr8
	s_and_saveexec_b64 s[10:11], vcc
	s_xor_b64 s[10:11], exec, s[10:11]
; %bb.1555:
	v_bfe_u32 v8, v7, 20, 1
	s_mov_b32 s18, 0x407ffff
	v_add3_u32 v8, v7, v8, s18
	v_lshrrev_b32_e32 v9, 20, v8
	v_and_b32_e32 v8, 0xff00000, v8
	s_mov_b32 s18, 0x7f00000
	v_mov_b32_e32 v10, 0x7e
	v_cmp_ne_u32_e32 vcc, s18, v8
	v_cndmask_b32_e32 v8, v10, v9, vcc
; %bb.1556:
	s_andn2_saveexec_b64 s[10:11], s[10:11]
; %bb.1557:
	s_mov_b32 s18, 0x46800000
	v_add_f32_e64 v8, |v7|, s18
; %bb.1558:
	s_or_b64 exec, exec, s[10:11]
                                        ; implicit-def: $vgpr9
.LBB110_1559:
	s_andn2_saveexec_b64 s[2:3], s[2:3]
; %bb.1560:
	s_mov_b32 s10, 0x7f800000
	v_mov_b32_e32 v8, 0x7e
	v_mov_b32_e32 v10, 0x7f
	v_cmp_lt_u32_e32 vcc, s10, v9
	v_cndmask_b32_e32 v8, v8, v10, vcc
; %bb.1561:
	s_or_b64 exec, exec, s[2:3]
	v_lshrrev_b32_e32 v7, 24, v7
	s_movk_i32 s2, 0x80
	v_and_or_b32 v7, v7, s2, v8
	global_store_byte v[5:6], v7, off
.LBB110_1562:
	s_mov_b64 s[2:3], 0
.LBB110_1563:
	s_andn2_b64 vcc, exec, s[2:3]
	s_cbranch_vccnz .LBB110_1573
; %bb.1564:
	v_cvt_f32_i32_sdwa v7, sext(v3) dst_sel:DWORD dst_unused:UNUSED_PAD src0_sel:WORD_0
	s_mov_b32 s2, 0x47800000
                                        ; implicit-def: $vgpr8
	v_and_b32_e32 v9, 0x7fffffff, v7
	v_cmp_gt_u32_e32 vcc, s2, v9
	s_and_saveexec_b64 s[2:3], vcc
	s_xor_b64 s[2:3], exec, s[2:3]
	s_cbranch_execz .LBB110_1570
; %bb.1565:
	s_mov_b32 s10, 0x387fffff
	v_cmp_lt_u32_e32 vcc, s10, v9
                                        ; implicit-def: $vgpr8
	s_and_saveexec_b64 s[10:11], vcc
	s_xor_b64 s[10:11], exec, s[10:11]
; %bb.1566:
	v_bfe_u32 v8, v7, 21, 1
	s_mov_b32 s18, 0x80fffff
	v_add3_u32 v8, v7, v8, s18
	v_lshrrev_b32_e32 v8, 21, v8
; %bb.1567:
	s_andn2_saveexec_b64 s[10:11], s[10:11]
; %bb.1568:
	s_mov_b32 s18, 0x43000000
	v_add_f32_e64 v8, |v7|, s18
; %bb.1569:
	s_or_b64 exec, exec, s[10:11]
                                        ; implicit-def: $vgpr9
.LBB110_1570:
	s_andn2_saveexec_b64 s[2:3], s[2:3]
; %bb.1571:
	s_mov_b32 s10, 0x7f800000
	v_mov_b32_e32 v8, 0x7c
	v_mov_b32_e32 v10, 0x7f
	v_cmp_lt_u32_e32 vcc, s10, v9
	v_cndmask_b32_e32 v8, v8, v10, vcc
; %bb.1572:
	s_or_b64 exec, exec, s[2:3]
	v_lshrrev_b32_e32 v7, 24, v7
	s_movk_i32 s2, 0x80
	v_and_or_b32 v7, v7, s2, v8
	global_store_byte v[5:6], v7, off
.LBB110_1573:
	s_mov_b64 s[2:3], 0
	s_mov_b64 s[10:11], -1
.LBB110_1574:
	s_andn2_b64 vcc, exec, s[2:3]
	s_mov_b64 s[2:3], 0
	s_cbranch_vccnz .LBB110_1581
; %bb.1575:
	s_cmp_gt_i32 s13, 14
	s_mov_b64 s[18:19], -1
	s_cbranch_scc0 .LBB110_1579
; %bb.1576:
	s_cmp_eq_u32 s13, 15
	s_mov_b64 s[0:1], -1
	s_cbranch_scc0 .LBB110_1578
; %bb.1577:
	v_cvt_f32_i32_sdwa v7, sext(v3) dst_sel:DWORD dst_unused:UNUSED_PAD src0_sel:WORD_0
	s_movk_i32 s2, 0x7fff
	s_mov_b64 s[0:1], 0
	s_mov_b64 s[10:11], -1
	v_bfe_u32 v8, v7, 16, 1
	v_add3_u32 v7, v7, v8, s2
	global_store_short_d16_hi v[5:6], v7, off
.LBB110_1578:
	s_mov_b64 s[18:19], 0
.LBB110_1579:
	s_mov_b64 s[2:3], 0
	s_and_b64 vcc, exec, s[18:19]
	s_cbranch_vccz .LBB110_1581
; %bb.1580:
	s_cmp_lg_u32 s13, 11
	s_mov_b64 s[2:3], -1
	s_cselect_b64 s[0:1], -1, 0
.LBB110_1581:
	s_and_b64 vcc, exec, s[0:1]
	s_cbranch_vccnz .LBB110_1989
; %bb.1582:
	s_andn2_b64 vcc, exec, s[2:3]
	s_cbranch_vccnz .LBB110_1584
.LBB110_1583:
	v_cmp_ne_u16_e32 vcc, 0, v3
	v_cndmask_b32_e64 v7, 0, 1, vcc
	s_mov_b64 s[10:11], -1
	global_store_byte v[5:6], v7, off
.LBB110_1584:
	s_mov_b64 s[0:1], 0
	s_branch .LBB110_1586
.LBB110_1585:
	s_mov_b64 s[0:1], -1
	s_mov_b64 s[10:11], 0
.LBB110_1586:
	s_and_b64 vcc, exec, s[0:1]
	s_cbranch_vccz .LBB110_1625
; %bb.1587:
	s_and_b32 s2, 0xffff, s22
	s_cmp_lt_i32 s2, 5
	s_mov_b64 s[0:1], -1
	s_cbranch_scc1 .LBB110_1608
; %bb.1588:
	s_cmp_lt_i32 s2, 8
	s_cbranch_scc1 .LBB110_1598
; %bb.1589:
	s_cmp_lt_i32 s2, 9
	s_cbranch_scc1 .LBB110_1595
; %bb.1590:
	s_cmp_gt_i32 s2, 9
	s_cbranch_scc0 .LBB110_1592
; %bb.1591:
	v_bfe_i32 v7, v3, 0, 16
	v_cvt_f64_i32_e32 v[7:8], v7
	v_mov_b32_e32 v9, 0
	v_mov_b32_e32 v10, v9
	s_mov_b64 s[0:1], 0
	global_store_dwordx4 v[5:6], v[7:10], off
.LBB110_1592:
	s_andn2_b64 vcc, exec, s[0:1]
	s_cbranch_vccnz .LBB110_1594
; %bb.1593:
	v_cvt_f32_i32_sdwa v7, sext(v3) dst_sel:DWORD dst_unused:UNUSED_PAD src0_sel:WORD_0
	v_mov_b32_e32 v8, 0
	global_store_dwordx2 v[5:6], v[7:8], off
.LBB110_1594:
	s_mov_b64 s[0:1], 0
.LBB110_1595:
	s_andn2_b64 vcc, exec, s[0:1]
	s_cbranch_vccnz .LBB110_1597
; %bb.1596:
	v_cvt_f16_i16_e32 v7, v3
	global_store_dword v[5:6], v7, off
.LBB110_1597:
	s_mov_b64 s[0:1], 0
.LBB110_1598:
	s_andn2_b64 vcc, exec, s[0:1]
	s_cbranch_vccnz .LBB110_1607
; %bb.1599:
	s_cmp_lt_i32 s2, 6
	s_mov_b64 s[0:1], -1
	s_cbranch_scc1 .LBB110_1605
; %bb.1600:
	s_cmp_gt_i32 s2, 6
	s_cbranch_scc0 .LBB110_1602
; %bb.1601:
	v_bfe_i32 v7, v3, 0, 16
	v_cvt_f64_i32_e32 v[7:8], v7
	s_mov_b64 s[0:1], 0
	global_store_dwordx2 v[5:6], v[7:8], off
.LBB110_1602:
	s_andn2_b64 vcc, exec, s[0:1]
	s_cbranch_vccnz .LBB110_1604
; %bb.1603:
	v_cvt_f32_i32_sdwa v7, sext(v3) dst_sel:DWORD dst_unused:UNUSED_PAD src0_sel:WORD_0
	global_store_dword v[5:6], v7, off
.LBB110_1604:
	s_mov_b64 s[0:1], 0
.LBB110_1605:
	s_andn2_b64 vcc, exec, s[0:1]
	s_cbranch_vccnz .LBB110_1607
; %bb.1606:
	v_cvt_f16_i16_e32 v7, v3
	global_store_short v[5:6], v7, off
.LBB110_1607:
	s_mov_b64 s[0:1], 0
.LBB110_1608:
	s_andn2_b64 vcc, exec, s[0:1]
	s_cbranch_vccnz .LBB110_1624
; %bb.1609:
	s_cmp_lt_i32 s2, 2
	s_mov_b64 s[0:1], -1
	s_cbranch_scc1 .LBB110_1619
; %bb.1610:
	s_cmp_lt_i32 s2, 3
	s_cbranch_scc1 .LBB110_1616
; %bb.1611:
	s_cmp_gt_i32 s2, 3
	v_bfe_i32 v7, v3, 0, 16
	s_cbranch_scc0 .LBB110_1613
; %bb.1612:
	v_ashrrev_i32_e32 v8, 31, v7
	global_store_dwordx2 v[5:6], v[7:8], off
	s_mov_b64 s[0:1], 0
.LBB110_1613:
	s_andn2_b64 vcc, exec, s[0:1]
	s_cbranch_vccnz .LBB110_1615
; %bb.1614:
	global_store_dword v[5:6], v7, off
.LBB110_1615:
	s_mov_b64 s[0:1], 0
.LBB110_1616:
	s_andn2_b64 vcc, exec, s[0:1]
	s_cbranch_vccnz .LBB110_1618
; %bb.1617:
	global_store_short v[5:6], v3, off
.LBB110_1618:
	s_mov_b64 s[0:1], 0
.LBB110_1619:
	s_andn2_b64 vcc, exec, s[0:1]
	s_cbranch_vccnz .LBB110_1624
; %bb.1620:
	s_cmp_gt_i32 s2, 0
	s_mov_b64 s[0:1], -1
	s_cbranch_scc0 .LBB110_1622
; %bb.1621:
	global_store_byte v[5:6], v3, off
	s_mov_b64 s[0:1], 0
.LBB110_1622:
	s_andn2_b64 vcc, exec, s[0:1]
	s_cbranch_vccnz .LBB110_1624
; %bb.1623:
	global_store_byte v[5:6], v3, off
.LBB110_1624:
	s_mov_b64 s[10:11], -1
.LBB110_1625:
	s_andn2_b64 vcc, exec, s[10:11]
	s_cbranch_vccnz .LBB110_1940
; %bb.1626:
	s_lshl_b32 s20, s12, 7
	v_mov_b32_e32 v3, s33
	v_mov_b32_e32 v5, s15
	v_cmp_lt_i16_e32 vcc, s14, v4
	v_add_u32_e32 v1, s20, v1
	v_cndmask_b32_e32 v7, v3, v5, vcc
	v_ashrrev_i32_e32 v4, 31, v1
	v_mov_b32_e32 v5, s9
	v_add_co_u32_e32 v3, vcc, s8, v1
	s_cmp_lt_i32 s22, 11
	v_addc_co_u32_e32 v4, vcc, v5, v4, vcc
	s_cbranch_scc1 .LBB110_1704
; %bb.1627:
	s_and_b32 s21, 0xffff, s22
	s_mov_b64 s[12:13], -1
	s_mov_b64 s[2:3], 0
	s_cmp_gt_i32 s21, 25
	s_mov_b64 s[10:11], 0
	s_mov_b64 s[0:1], 0
	s_cbranch_scc0 .LBB110_1660
; %bb.1628:
	s_cmp_gt_i32 s21, 28
	s_cbranch_scc0 .LBB110_1643
; %bb.1629:
	s_cmp_gt_i32 s21, 43
	;; [unrolled: 3-line block ×3, first 2 shown]
	s_cbranch_scc0 .LBB110_1633
; %bb.1631:
	s_mov_b64 s[0:1], -1
	s_mov_b64 s[12:13], 0
	s_cmp_eq_u32 s21, 46
	s_cbranch_scc0 .LBB110_1633
; %bb.1632:
	v_cvt_f32_i32_sdwa v5, sext(v7) dst_sel:DWORD dst_unused:UNUSED_PAD src0_sel:WORD_0
	s_movk_i32 s10, 0x7fff
	s_mov_b64 s[0:1], 0
	v_bfe_u32 v6, v5, 16, 1
	v_add3_u32 v5, v5, v6, s10
	v_lshrrev_b32_e32 v5, 16, v5
	global_store_dword v[3:4], v5, off
	s_mov_b64 s[10:11], -1
.LBB110_1633:
	s_and_b64 vcc, exec, s[12:13]
	s_cbranch_vccz .LBB110_1638
; %bb.1634:
	s_cmp_eq_u32 s21, 44
	s_mov_b64 s[0:1], -1
	s_cbranch_scc0 .LBB110_1638
; %bb.1635:
	v_cvt_f32_i32_sdwa v5, sext(v7) dst_sel:DWORD dst_unused:UNUSED_PAD src0_sel:WORD_0
	s_movk_i32 s0, 0xff
	v_mov_b32_e32 v8, 0xff
	v_bfe_u32 v6, v5, 23, 8
	v_cmp_ne_u32_e32 vcc, s0, v6
	s_and_saveexec_b64 s[10:11], vcc
; %bb.1636:
	s_mov_b32 s0, 0x3fffff
	v_lshrrev_b32_e32 v8, 23, v5
	v_and_b32_e32 v9, 0x400000, v5
	v_and_or_b32 v5, v5, s0, v6
	v_cmp_ne_u32_e32 vcc, 0, v9
	v_cmp_ne_u32_e64 s[0:1], 0, v5
	s_and_b64 s[0:1], vcc, s[0:1]
	v_cndmask_b32_e64 v5, 0, 1, s[0:1]
	v_add_u32_e32 v8, v8, v5
; %bb.1637:
	s_or_b64 exec, exec, s[10:11]
	s_mov_b64 s[0:1], 0
	s_mov_b64 s[10:11], -1
	global_store_byte v[3:4], v8, off
.LBB110_1638:
	s_mov_b64 s[12:13], 0
.LBB110_1639:
	s_and_b64 vcc, exec, s[12:13]
	s_cbranch_vccz .LBB110_1642
; %bb.1640:
	s_cmp_eq_u32 s21, 29
	s_mov_b64 s[0:1], -1
	s_cbranch_scc0 .LBB110_1642
; %bb.1641:
	v_bfe_i32 v5, v7, 0, 16
	v_ashrrev_i32_e32 v6, 31, v5
	global_store_dwordx2 v[3:4], v[5:6], off
	s_mov_b64 s[0:1], 0
	s_mov_b64 s[10:11], -1
.LBB110_1642:
	s_mov_b64 s[12:13], 0
.LBB110_1643:
	s_and_b64 vcc, exec, s[12:13]
	s_cbranch_vccz .LBB110_1659
; %bb.1644:
	s_cmp_lt_i32 s21, 27
	s_mov_b64 s[10:11], -1
	s_cbranch_scc1 .LBB110_1650
; %bb.1645:
	s_cmp_gt_i32 s21, 27
	s_cbranch_scc0 .LBB110_1647
; %bb.1646:
	v_bfe_i32 v5, v7, 0, 16
	s_mov_b64 s[10:11], 0
	global_store_dword v[3:4], v5, off
.LBB110_1647:
	s_andn2_b64 vcc, exec, s[10:11]
	s_cbranch_vccnz .LBB110_1649
; %bb.1648:
	global_store_short v[3:4], v7, off
.LBB110_1649:
	s_mov_b64 s[10:11], 0
.LBB110_1650:
	s_andn2_b64 vcc, exec, s[10:11]
	s_cbranch_vccnz .LBB110_1658
; %bb.1651:
	v_cvt_f32_i32_sdwa v5, sext(v7) dst_sel:DWORD dst_unused:UNUSED_PAD src0_sel:WORD_0
	s_mov_b32 s10, 0x43800000
	v_mov_b32_e32 v8, 0x80
	v_and_b32_e32 v6, 0x7fffffff, v5
	v_cmp_gt_u32_e32 vcc, s10, v6
	s_and_saveexec_b64 s[10:11], vcc
	s_cbranch_execz .LBB110_1657
; %bb.1652:
	s_mov_b32 s12, 0x3bffffff
	v_cmp_lt_u32_e32 vcc, s12, v6
	s_mov_b64 s[12:13], 0
                                        ; implicit-def: $vgpr6
	s_and_saveexec_b64 s[18:19], vcc
	s_xor_b64 s[18:19], exec, s[18:19]
	s_cbranch_execz .LBB110_1992
; %bb.1653:
	v_bfe_u32 v6, v5, 20, 1
	s_mov_b32 s23, 0x487ffff
	v_add3_u32 v6, v5, v6, s23
	s_mov_b64 s[12:13], exec
	v_lshrrev_b32_e32 v6, 20, v6
	s_andn2_saveexec_b64 s[18:19], s[18:19]
	s_cbranch_execnz .LBB110_1993
.LBB110_1654:
	s_or_b64 exec, exec, s[18:19]
	v_mov_b32_e32 v8, 0
	s_and_saveexec_b64 s[18:19], s[12:13]
.LBB110_1655:
	v_lshrrev_b32_e32 v5, 24, v5
	s_movk_i32 s12, 0x80
	v_and_or_b32 v8, v5, s12, v6
.LBB110_1656:
	s_or_b64 exec, exec, s[18:19]
.LBB110_1657:
	s_or_b64 exec, exec, s[10:11]
	global_store_byte v[3:4], v8, off
.LBB110_1658:
	s_mov_b64 s[10:11], -1
.LBB110_1659:
	s_mov_b64 s[12:13], 0
.LBB110_1660:
	s_and_b64 vcc, exec, s[12:13]
	s_cbranch_vccz .LBB110_1700
; %bb.1661:
	s_cmp_gt_i32 s21, 22
	s_mov_b64 s[2:3], -1
	s_cbranch_scc0 .LBB110_1693
; %bb.1662:
	s_cmp_lt_i32 s21, 24
	s_cbranch_scc1 .LBB110_1682
; %bb.1663:
	s_cmp_gt_i32 s21, 24
	s_cbranch_scc0 .LBB110_1671
; %bb.1664:
	v_cvt_f32_i32_sdwa v5, sext(v7) dst_sel:DWORD dst_unused:UNUSED_PAD src0_sel:WORD_0
	s_mov_b32 s2, 0x47800000
	v_mov_b32_e32 v8, 0x80
	v_and_b32_e32 v6, 0x7fffffff, v5
	v_cmp_gt_u32_e32 vcc, s2, v6
	s_and_saveexec_b64 s[2:3], vcc
	s_cbranch_execz .LBB110_1670
; %bb.1665:
	s_mov_b32 s10, 0x37ffffff
	v_cmp_lt_u32_e32 vcc, s10, v6
	s_mov_b64 s[10:11], 0
                                        ; implicit-def: $vgpr6
	s_and_saveexec_b64 s[12:13], vcc
	s_xor_b64 s[12:13], exec, s[12:13]
	s_cbranch_execz .LBB110_1995
; %bb.1666:
	v_bfe_u32 v6, v5, 21, 1
	s_mov_b32 s18, 0x88fffff
	v_add3_u32 v6, v5, v6, s18
	s_mov_b64 s[10:11], exec
	v_lshrrev_b32_e32 v6, 21, v6
	s_andn2_saveexec_b64 s[12:13], s[12:13]
	s_cbranch_execnz .LBB110_1996
.LBB110_1667:
	s_or_b64 exec, exec, s[12:13]
	v_mov_b32_e32 v8, 0
	s_and_saveexec_b64 s[12:13], s[10:11]
.LBB110_1668:
	v_lshrrev_b32_e32 v5, 24, v5
	s_movk_i32 s10, 0x80
	v_and_or_b32 v8, v5, s10, v6
.LBB110_1669:
	s_or_b64 exec, exec, s[12:13]
.LBB110_1670:
	s_or_b64 exec, exec, s[2:3]
	s_mov_b64 s[2:3], 0
	global_store_byte v[3:4], v8, off
.LBB110_1671:
	s_and_b64 vcc, exec, s[2:3]
	s_cbranch_vccz .LBB110_1681
; %bb.1672:
	v_cvt_f32_i32_sdwa v5, sext(v7) dst_sel:DWORD dst_unused:UNUSED_PAD src0_sel:WORD_0
	s_mov_b32 s2, 0x43f00000
                                        ; implicit-def: $vgpr6
	v_and_b32_e32 v8, 0x7fffffff, v5
	v_cmp_gt_u32_e32 vcc, s2, v8
	s_and_saveexec_b64 s[2:3], vcc
	s_xor_b64 s[2:3], exec, s[2:3]
	s_cbranch_execz .LBB110_1678
; %bb.1673:
	s_mov_b32 s10, 0x3c7fffff
	v_cmp_lt_u32_e32 vcc, s10, v8
                                        ; implicit-def: $vgpr6
	s_and_saveexec_b64 s[10:11], vcc
	s_xor_b64 s[10:11], exec, s[10:11]
; %bb.1674:
	v_bfe_u32 v6, v5, 20, 1
	s_mov_b32 s12, 0x407ffff
	v_add3_u32 v6, v5, v6, s12
	v_lshrrev_b32_e32 v8, 20, v6
	v_and_b32_e32 v6, 0xff00000, v6
	s_mov_b32 s12, 0x7f00000
	v_mov_b32_e32 v9, 0x7e
	v_cmp_ne_u32_e32 vcc, s12, v6
	v_cndmask_b32_e32 v6, v9, v8, vcc
; %bb.1675:
	s_andn2_saveexec_b64 s[10:11], s[10:11]
; %bb.1676:
	s_mov_b32 s12, 0x46800000
	v_add_f32_e64 v6, |v5|, s12
; %bb.1677:
	s_or_b64 exec, exec, s[10:11]
                                        ; implicit-def: $vgpr8
.LBB110_1678:
	s_andn2_saveexec_b64 s[2:3], s[2:3]
; %bb.1679:
	s_mov_b32 s10, 0x7f800000
	v_mov_b32_e32 v6, 0x7e
	v_mov_b32_e32 v9, 0x7f
	v_cmp_lt_u32_e32 vcc, s10, v8
	v_cndmask_b32_e32 v6, v6, v9, vcc
; %bb.1680:
	s_or_b64 exec, exec, s[2:3]
	v_lshrrev_b32_e32 v5, 24, v5
	s_movk_i32 s2, 0x80
	v_and_or_b32 v5, v5, s2, v6
	global_store_byte v[3:4], v5, off
.LBB110_1681:
	s_mov_b64 s[2:3], 0
.LBB110_1682:
	s_andn2_b64 vcc, exec, s[2:3]
	s_cbranch_vccnz .LBB110_1692
; %bb.1683:
	v_cvt_f32_i32_sdwa v5, sext(v7) dst_sel:DWORD dst_unused:UNUSED_PAD src0_sel:WORD_0
	s_mov_b32 s2, 0x47800000
                                        ; implicit-def: $vgpr6
	v_and_b32_e32 v8, 0x7fffffff, v5
	v_cmp_gt_u32_e32 vcc, s2, v8
	s_and_saveexec_b64 s[2:3], vcc
	s_xor_b64 s[2:3], exec, s[2:3]
	s_cbranch_execz .LBB110_1689
; %bb.1684:
	s_mov_b32 s10, 0x387fffff
	v_cmp_lt_u32_e32 vcc, s10, v8
                                        ; implicit-def: $vgpr6
	s_and_saveexec_b64 s[10:11], vcc
	s_xor_b64 s[10:11], exec, s[10:11]
; %bb.1685:
	v_bfe_u32 v6, v5, 21, 1
	s_mov_b32 s12, 0x80fffff
	v_add3_u32 v6, v5, v6, s12
	v_lshrrev_b32_e32 v6, 21, v6
; %bb.1686:
	s_andn2_saveexec_b64 s[10:11], s[10:11]
; %bb.1687:
	s_mov_b32 s12, 0x43000000
	v_add_f32_e64 v6, |v5|, s12
; %bb.1688:
	s_or_b64 exec, exec, s[10:11]
                                        ; implicit-def: $vgpr8
.LBB110_1689:
	s_andn2_saveexec_b64 s[2:3], s[2:3]
; %bb.1690:
	s_mov_b32 s10, 0x7f800000
	v_mov_b32_e32 v6, 0x7c
	v_mov_b32_e32 v9, 0x7f
	v_cmp_lt_u32_e32 vcc, s10, v8
	v_cndmask_b32_e32 v6, v6, v9, vcc
; %bb.1691:
	s_or_b64 exec, exec, s[2:3]
	v_lshrrev_b32_e32 v5, 24, v5
	s_movk_i32 s2, 0x80
	v_and_or_b32 v5, v5, s2, v6
	global_store_byte v[3:4], v5, off
.LBB110_1692:
	s_mov_b64 s[2:3], 0
	s_mov_b64 s[10:11], -1
.LBB110_1693:
	s_andn2_b64 vcc, exec, s[2:3]
	s_mov_b64 s[2:3], 0
	s_cbranch_vccnz .LBB110_1700
; %bb.1694:
	s_cmp_gt_i32 s21, 14
	s_mov_b64 s[12:13], -1
	s_cbranch_scc0 .LBB110_1698
; %bb.1695:
	s_cmp_eq_u32 s21, 15
	s_mov_b64 s[0:1], -1
	s_cbranch_scc0 .LBB110_1697
; %bb.1696:
	v_cvt_f32_i32_sdwa v5, sext(v7) dst_sel:DWORD dst_unused:UNUSED_PAD src0_sel:WORD_0
	s_movk_i32 s2, 0x7fff
	s_mov_b64 s[0:1], 0
	s_mov_b64 s[10:11], -1
	v_bfe_u32 v6, v5, 16, 1
	v_add3_u32 v5, v5, v6, s2
	global_store_short_d16_hi v[3:4], v5, off
.LBB110_1697:
	s_mov_b64 s[12:13], 0
.LBB110_1698:
	s_mov_b64 s[2:3], 0
	s_and_b64 vcc, exec, s[12:13]
	s_cbranch_vccz .LBB110_1700
; %bb.1699:
	s_cmp_lg_u32 s21, 11
	s_mov_b64 s[2:3], -1
	s_cselect_b64 s[0:1], -1, 0
.LBB110_1700:
	s_and_b64 vcc, exec, s[0:1]
	s_cbranch_vccnz .LBB110_1994
; %bb.1701:
	s_andn2_b64 vcc, exec, s[2:3]
	s_cbranch_vccnz .LBB110_1703
.LBB110_1702:
	v_cmp_ne_u16_e32 vcc, 0, v7
	v_cndmask_b32_e64 v5, 0, 1, vcc
	s_mov_b64 s[10:11], -1
	global_store_byte v[3:4], v5, off
.LBB110_1703:
	s_mov_b64 s[0:1], 0
	s_branch .LBB110_1705
.LBB110_1704:
	s_mov_b64 s[0:1], -1
	s_mov_b64 s[10:11], 0
.LBB110_1705:
	s_and_b64 vcc, exec, s[0:1]
	s_cbranch_vccz .LBB110_1744
; %bb.1706:
	s_and_b32 s2, 0xffff, s22
	s_cmp_lt_i32 s2, 5
	s_mov_b64 s[0:1], -1
	s_cbranch_scc1 .LBB110_1727
; %bb.1707:
	s_cmp_lt_i32 s2, 8
	s_cbranch_scc1 .LBB110_1717
; %bb.1708:
	s_cmp_lt_i32 s2, 9
	s_cbranch_scc1 .LBB110_1714
; %bb.1709:
	s_cmp_gt_i32 s2, 9
	s_cbranch_scc0 .LBB110_1711
; %bb.1710:
	v_bfe_i32 v5, v7, 0, 16
	v_cvt_f64_i32_e32 v[8:9], v5
	v_mov_b32_e32 v10, 0
	v_mov_b32_e32 v11, v10
	s_mov_b64 s[0:1], 0
	global_store_dwordx4 v[3:4], v[8:11], off
.LBB110_1711:
	s_andn2_b64 vcc, exec, s[0:1]
	s_cbranch_vccnz .LBB110_1713
; %bb.1712:
	v_cvt_f32_i32_sdwa v5, sext(v7) dst_sel:DWORD dst_unused:UNUSED_PAD src0_sel:WORD_0
	v_mov_b32_e32 v6, 0
	global_store_dwordx2 v[3:4], v[5:6], off
.LBB110_1713:
	s_mov_b64 s[0:1], 0
.LBB110_1714:
	s_andn2_b64 vcc, exec, s[0:1]
	s_cbranch_vccnz .LBB110_1716
; %bb.1715:
	v_cvt_f16_i16_e32 v5, v7
	global_store_dword v[3:4], v5, off
.LBB110_1716:
	s_mov_b64 s[0:1], 0
.LBB110_1717:
	s_andn2_b64 vcc, exec, s[0:1]
	s_cbranch_vccnz .LBB110_1726
; %bb.1718:
	s_cmp_lt_i32 s2, 6
	s_mov_b64 s[0:1], -1
	s_cbranch_scc1 .LBB110_1724
; %bb.1719:
	s_cmp_gt_i32 s2, 6
	s_cbranch_scc0 .LBB110_1721
; %bb.1720:
	v_bfe_i32 v5, v7, 0, 16
	v_cvt_f64_i32_e32 v[5:6], v5
	s_mov_b64 s[0:1], 0
	global_store_dwordx2 v[3:4], v[5:6], off
.LBB110_1721:
	s_andn2_b64 vcc, exec, s[0:1]
	s_cbranch_vccnz .LBB110_1723
; %bb.1722:
	v_cvt_f32_i32_sdwa v5, sext(v7) dst_sel:DWORD dst_unused:UNUSED_PAD src0_sel:WORD_0
	global_store_dword v[3:4], v5, off
.LBB110_1723:
	s_mov_b64 s[0:1], 0
.LBB110_1724:
	s_andn2_b64 vcc, exec, s[0:1]
	s_cbranch_vccnz .LBB110_1726
; %bb.1725:
	v_cvt_f16_i16_e32 v5, v7
	global_store_short v[3:4], v5, off
.LBB110_1726:
	s_mov_b64 s[0:1], 0
.LBB110_1727:
	s_andn2_b64 vcc, exec, s[0:1]
	s_cbranch_vccnz .LBB110_1743
; %bb.1728:
	s_cmp_lt_i32 s2, 2
	s_mov_b64 s[0:1], -1
	s_cbranch_scc1 .LBB110_1738
; %bb.1729:
	s_cmp_lt_i32 s2, 3
	s_cbranch_scc1 .LBB110_1735
; %bb.1730:
	s_cmp_gt_i32 s2, 3
	v_bfe_i32 v5, v7, 0, 16
	s_cbranch_scc0 .LBB110_1732
; %bb.1731:
	v_ashrrev_i32_e32 v6, 31, v5
	global_store_dwordx2 v[3:4], v[5:6], off
	s_mov_b64 s[0:1], 0
.LBB110_1732:
	s_andn2_b64 vcc, exec, s[0:1]
	s_cbranch_vccnz .LBB110_1734
; %bb.1733:
	global_store_dword v[3:4], v5, off
.LBB110_1734:
	s_mov_b64 s[0:1], 0
.LBB110_1735:
	s_andn2_b64 vcc, exec, s[0:1]
	s_cbranch_vccnz .LBB110_1737
; %bb.1736:
	global_store_short v[3:4], v7, off
.LBB110_1737:
	s_mov_b64 s[0:1], 0
.LBB110_1738:
	s_andn2_b64 vcc, exec, s[0:1]
	s_cbranch_vccnz .LBB110_1743
; %bb.1739:
	s_cmp_gt_i32 s2, 0
	s_mov_b64 s[0:1], -1
	s_cbranch_scc0 .LBB110_1741
; %bb.1740:
	global_store_byte v[3:4], v7, off
	s_mov_b64 s[0:1], 0
.LBB110_1741:
	s_andn2_b64 vcc, exec, s[0:1]
	s_cbranch_vccnz .LBB110_1743
; %bb.1742:
	global_store_byte v[3:4], v7, off
.LBB110_1743:
	s_mov_b64 s[10:11], -1
.LBB110_1744:
	s_andn2_b64 vcc, exec, s[10:11]
	s_cbranch_vccnz .LBB110_1940
; %bb.1745:
	v_mov_b32_e32 v3, s33
	v_mov_b32_e32 v4, s15
	v_cmp_lt_i16_e32 vcc, s14, v2
	v_add_u32_e32 v5, s20, v1
	v_cndmask_b32_e32 v6, v3, v4, vcc
	v_ashrrev_i32_e32 v2, 31, v5
	v_mov_b32_e32 v3, s9
	v_add_co_u32_e32 v1, vcc, s8, v5
	s_cmp_lt_i32 s22, 11
	v_addc_co_u32_e32 v2, vcc, v3, v2, vcc
	s_cbranch_scc1 .LBB110_1823
; %bb.1746:
	s_and_b32 s21, 0xffff, s22
	s_mov_b64 s[12:13], -1
	s_mov_b64 s[2:3], 0
	s_cmp_gt_i32 s21, 25
	s_mov_b64 s[10:11], 0
	s_mov_b64 s[0:1], 0
	s_cbranch_scc0 .LBB110_1779
; %bb.1747:
	s_cmp_gt_i32 s21, 28
	s_cbranch_scc0 .LBB110_1762
; %bb.1748:
	s_cmp_gt_i32 s21, 43
	;; [unrolled: 3-line block ×3, first 2 shown]
	s_cbranch_scc0 .LBB110_1752
; %bb.1750:
	s_mov_b64 s[0:1], -1
	s_mov_b64 s[12:13], 0
	s_cmp_eq_u32 s21, 46
	s_cbranch_scc0 .LBB110_1752
; %bb.1751:
	v_cvt_f32_i32_sdwa v3, sext(v6) dst_sel:DWORD dst_unused:UNUSED_PAD src0_sel:WORD_0
	s_movk_i32 s10, 0x7fff
	s_mov_b64 s[0:1], 0
	v_bfe_u32 v4, v3, 16, 1
	v_add3_u32 v3, v3, v4, s10
	v_lshrrev_b32_e32 v3, 16, v3
	global_store_dword v[1:2], v3, off
	s_mov_b64 s[10:11], -1
.LBB110_1752:
	s_and_b64 vcc, exec, s[12:13]
	s_cbranch_vccz .LBB110_1757
; %bb.1753:
	s_cmp_eq_u32 s21, 44
	s_mov_b64 s[0:1], -1
	s_cbranch_scc0 .LBB110_1757
; %bb.1754:
	v_cvt_f32_i32_sdwa v3, sext(v6) dst_sel:DWORD dst_unused:UNUSED_PAD src0_sel:WORD_0
	s_movk_i32 s0, 0xff
	v_mov_b32_e32 v7, 0xff
	v_bfe_u32 v4, v3, 23, 8
	v_cmp_ne_u32_e32 vcc, s0, v4
	s_and_saveexec_b64 s[10:11], vcc
; %bb.1755:
	s_mov_b32 s0, 0x3fffff
	v_lshrrev_b32_e32 v7, 23, v3
	v_and_b32_e32 v8, 0x400000, v3
	v_and_or_b32 v3, v3, s0, v4
	v_cmp_ne_u32_e32 vcc, 0, v8
	v_cmp_ne_u32_e64 s[0:1], 0, v3
	s_and_b64 s[0:1], vcc, s[0:1]
	v_cndmask_b32_e64 v3, 0, 1, s[0:1]
	v_add_u32_e32 v7, v7, v3
; %bb.1756:
	s_or_b64 exec, exec, s[10:11]
	s_mov_b64 s[0:1], 0
	s_mov_b64 s[10:11], -1
	global_store_byte v[1:2], v7, off
.LBB110_1757:
	s_mov_b64 s[12:13], 0
.LBB110_1758:
	s_and_b64 vcc, exec, s[12:13]
	s_cbranch_vccz .LBB110_1761
; %bb.1759:
	s_cmp_eq_u32 s21, 29
	s_mov_b64 s[0:1], -1
	s_cbranch_scc0 .LBB110_1761
; %bb.1760:
	v_bfe_i32 v3, v6, 0, 16
	v_ashrrev_i32_e32 v4, 31, v3
	global_store_dwordx2 v[1:2], v[3:4], off
	s_mov_b64 s[0:1], 0
	s_mov_b64 s[10:11], -1
.LBB110_1761:
	s_mov_b64 s[12:13], 0
.LBB110_1762:
	s_and_b64 vcc, exec, s[12:13]
	s_cbranch_vccz .LBB110_1778
; %bb.1763:
	s_cmp_lt_i32 s21, 27
	s_mov_b64 s[10:11], -1
	s_cbranch_scc1 .LBB110_1769
; %bb.1764:
	s_cmp_gt_i32 s21, 27
	s_cbranch_scc0 .LBB110_1766
; %bb.1765:
	v_bfe_i32 v3, v6, 0, 16
	s_mov_b64 s[10:11], 0
	global_store_dword v[1:2], v3, off
.LBB110_1766:
	s_andn2_b64 vcc, exec, s[10:11]
	s_cbranch_vccnz .LBB110_1768
; %bb.1767:
	global_store_short v[1:2], v6, off
.LBB110_1768:
	s_mov_b64 s[10:11], 0
.LBB110_1769:
	s_andn2_b64 vcc, exec, s[10:11]
	s_cbranch_vccnz .LBB110_1777
; %bb.1770:
	v_cvt_f32_i32_sdwa v3, sext(v6) dst_sel:DWORD dst_unused:UNUSED_PAD src0_sel:WORD_0
	s_mov_b32 s10, 0x43800000
	v_mov_b32_e32 v7, 0x80
	v_and_b32_e32 v4, 0x7fffffff, v3
	v_cmp_gt_u32_e32 vcc, s10, v4
	s_and_saveexec_b64 s[10:11], vcc
	s_cbranch_execz .LBB110_1776
; %bb.1771:
	s_mov_b32 s12, 0x3bffffff
	v_cmp_lt_u32_e32 vcc, s12, v4
	s_mov_b64 s[12:13], 0
                                        ; implicit-def: $vgpr4
	s_and_saveexec_b64 s[18:19], vcc
	s_xor_b64 s[18:19], exec, s[18:19]
	s_cbranch_execz .LBB110_1997
; %bb.1772:
	v_bfe_u32 v4, v3, 20, 1
	s_mov_b32 s23, 0x487ffff
	v_add3_u32 v4, v3, v4, s23
	s_mov_b64 s[12:13], exec
	v_lshrrev_b32_e32 v4, 20, v4
	s_andn2_saveexec_b64 s[18:19], s[18:19]
	s_cbranch_execnz .LBB110_1998
.LBB110_1773:
	s_or_b64 exec, exec, s[18:19]
	v_mov_b32_e32 v7, 0
	s_and_saveexec_b64 s[18:19], s[12:13]
.LBB110_1774:
	v_lshrrev_b32_e32 v3, 24, v3
	s_movk_i32 s12, 0x80
	v_and_or_b32 v7, v3, s12, v4
.LBB110_1775:
	s_or_b64 exec, exec, s[18:19]
.LBB110_1776:
	s_or_b64 exec, exec, s[10:11]
	global_store_byte v[1:2], v7, off
.LBB110_1777:
	s_mov_b64 s[10:11], -1
.LBB110_1778:
	s_mov_b64 s[12:13], 0
.LBB110_1779:
	s_and_b64 vcc, exec, s[12:13]
	s_cbranch_vccz .LBB110_1819
; %bb.1780:
	s_cmp_gt_i32 s21, 22
	s_mov_b64 s[2:3], -1
	s_cbranch_scc0 .LBB110_1812
; %bb.1781:
	s_cmp_lt_i32 s21, 24
	s_cbranch_scc1 .LBB110_1801
; %bb.1782:
	s_cmp_gt_i32 s21, 24
	s_cbranch_scc0 .LBB110_1790
; %bb.1783:
	v_cvt_f32_i32_sdwa v3, sext(v6) dst_sel:DWORD dst_unused:UNUSED_PAD src0_sel:WORD_0
	s_mov_b32 s2, 0x47800000
	v_mov_b32_e32 v7, 0x80
	v_and_b32_e32 v4, 0x7fffffff, v3
	v_cmp_gt_u32_e32 vcc, s2, v4
	s_and_saveexec_b64 s[2:3], vcc
	s_cbranch_execz .LBB110_1789
; %bb.1784:
	s_mov_b32 s10, 0x37ffffff
	v_cmp_lt_u32_e32 vcc, s10, v4
	s_mov_b64 s[10:11], 0
                                        ; implicit-def: $vgpr4
	s_and_saveexec_b64 s[12:13], vcc
	s_xor_b64 s[12:13], exec, s[12:13]
	s_cbranch_execz .LBB110_2000
; %bb.1785:
	v_bfe_u32 v4, v3, 21, 1
	s_mov_b32 s18, 0x88fffff
	v_add3_u32 v4, v3, v4, s18
	s_mov_b64 s[10:11], exec
	v_lshrrev_b32_e32 v4, 21, v4
	s_andn2_saveexec_b64 s[12:13], s[12:13]
	s_cbranch_execnz .LBB110_2001
.LBB110_1786:
	s_or_b64 exec, exec, s[12:13]
	v_mov_b32_e32 v7, 0
	s_and_saveexec_b64 s[12:13], s[10:11]
.LBB110_1787:
	v_lshrrev_b32_e32 v3, 24, v3
	s_movk_i32 s10, 0x80
	v_and_or_b32 v7, v3, s10, v4
.LBB110_1788:
	s_or_b64 exec, exec, s[12:13]
.LBB110_1789:
	s_or_b64 exec, exec, s[2:3]
	s_mov_b64 s[2:3], 0
	global_store_byte v[1:2], v7, off
.LBB110_1790:
	s_and_b64 vcc, exec, s[2:3]
	s_cbranch_vccz .LBB110_1800
; %bb.1791:
	v_cvt_f32_i32_sdwa v3, sext(v6) dst_sel:DWORD dst_unused:UNUSED_PAD src0_sel:WORD_0
	s_mov_b32 s2, 0x43f00000
                                        ; implicit-def: $vgpr4
	v_and_b32_e32 v7, 0x7fffffff, v3
	v_cmp_gt_u32_e32 vcc, s2, v7
	s_and_saveexec_b64 s[2:3], vcc
	s_xor_b64 s[2:3], exec, s[2:3]
	s_cbranch_execz .LBB110_1797
; %bb.1792:
	s_mov_b32 s10, 0x3c7fffff
	v_cmp_lt_u32_e32 vcc, s10, v7
                                        ; implicit-def: $vgpr4
	s_and_saveexec_b64 s[10:11], vcc
	s_xor_b64 s[10:11], exec, s[10:11]
; %bb.1793:
	v_bfe_u32 v4, v3, 20, 1
	s_mov_b32 s12, 0x407ffff
	v_add3_u32 v4, v3, v4, s12
	v_lshrrev_b32_e32 v7, 20, v4
	v_and_b32_e32 v4, 0xff00000, v4
	s_mov_b32 s12, 0x7f00000
	v_mov_b32_e32 v8, 0x7e
	v_cmp_ne_u32_e32 vcc, s12, v4
	v_cndmask_b32_e32 v4, v8, v7, vcc
; %bb.1794:
	s_andn2_saveexec_b64 s[10:11], s[10:11]
; %bb.1795:
	s_mov_b32 s12, 0x46800000
	v_add_f32_e64 v4, |v3|, s12
; %bb.1796:
	s_or_b64 exec, exec, s[10:11]
                                        ; implicit-def: $vgpr7
.LBB110_1797:
	s_andn2_saveexec_b64 s[2:3], s[2:3]
; %bb.1798:
	s_mov_b32 s10, 0x7f800000
	v_mov_b32_e32 v4, 0x7e
	v_mov_b32_e32 v8, 0x7f
	v_cmp_lt_u32_e32 vcc, s10, v7
	v_cndmask_b32_e32 v4, v4, v8, vcc
; %bb.1799:
	s_or_b64 exec, exec, s[2:3]
	v_lshrrev_b32_e32 v3, 24, v3
	s_movk_i32 s2, 0x80
	v_and_or_b32 v3, v3, s2, v4
	global_store_byte v[1:2], v3, off
.LBB110_1800:
	s_mov_b64 s[2:3], 0
.LBB110_1801:
	s_andn2_b64 vcc, exec, s[2:3]
	s_cbranch_vccnz .LBB110_1811
; %bb.1802:
	v_cvt_f32_i32_sdwa v3, sext(v6) dst_sel:DWORD dst_unused:UNUSED_PAD src0_sel:WORD_0
	s_mov_b32 s2, 0x47800000
                                        ; implicit-def: $vgpr4
	v_and_b32_e32 v7, 0x7fffffff, v3
	v_cmp_gt_u32_e32 vcc, s2, v7
	s_and_saveexec_b64 s[2:3], vcc
	s_xor_b64 s[2:3], exec, s[2:3]
	s_cbranch_execz .LBB110_1808
; %bb.1803:
	s_mov_b32 s10, 0x387fffff
	v_cmp_lt_u32_e32 vcc, s10, v7
                                        ; implicit-def: $vgpr4
	s_and_saveexec_b64 s[10:11], vcc
	s_xor_b64 s[10:11], exec, s[10:11]
; %bb.1804:
	v_bfe_u32 v4, v3, 21, 1
	s_mov_b32 s12, 0x80fffff
	v_add3_u32 v4, v3, v4, s12
	v_lshrrev_b32_e32 v4, 21, v4
; %bb.1805:
	s_andn2_saveexec_b64 s[10:11], s[10:11]
; %bb.1806:
	s_mov_b32 s12, 0x43000000
	v_add_f32_e64 v4, |v3|, s12
; %bb.1807:
	s_or_b64 exec, exec, s[10:11]
                                        ; implicit-def: $vgpr7
.LBB110_1808:
	s_andn2_saveexec_b64 s[2:3], s[2:3]
; %bb.1809:
	s_mov_b32 s10, 0x7f800000
	v_mov_b32_e32 v4, 0x7c
	v_mov_b32_e32 v8, 0x7f
	v_cmp_lt_u32_e32 vcc, s10, v7
	v_cndmask_b32_e32 v4, v4, v8, vcc
; %bb.1810:
	s_or_b64 exec, exec, s[2:3]
	v_lshrrev_b32_e32 v3, 24, v3
	s_movk_i32 s2, 0x80
	v_and_or_b32 v3, v3, s2, v4
	global_store_byte v[1:2], v3, off
.LBB110_1811:
	s_mov_b64 s[2:3], 0
	s_mov_b64 s[10:11], -1
.LBB110_1812:
	s_andn2_b64 vcc, exec, s[2:3]
	s_mov_b64 s[2:3], 0
	s_cbranch_vccnz .LBB110_1819
; %bb.1813:
	s_cmp_gt_i32 s21, 14
	s_mov_b64 s[12:13], -1
	s_cbranch_scc0 .LBB110_1817
; %bb.1814:
	s_cmp_eq_u32 s21, 15
	s_mov_b64 s[0:1], -1
	s_cbranch_scc0 .LBB110_1816
; %bb.1815:
	v_cvt_f32_i32_sdwa v3, sext(v6) dst_sel:DWORD dst_unused:UNUSED_PAD src0_sel:WORD_0
	s_movk_i32 s2, 0x7fff
	s_mov_b64 s[0:1], 0
	s_mov_b64 s[10:11], -1
	v_bfe_u32 v4, v3, 16, 1
	v_add3_u32 v3, v3, v4, s2
	global_store_short_d16_hi v[1:2], v3, off
.LBB110_1816:
	s_mov_b64 s[12:13], 0
.LBB110_1817:
	s_mov_b64 s[2:3], 0
	s_and_b64 vcc, exec, s[12:13]
	s_cbranch_vccz .LBB110_1819
; %bb.1818:
	s_cmp_lg_u32 s21, 11
	s_mov_b64 s[2:3], -1
	s_cselect_b64 s[0:1], -1, 0
.LBB110_1819:
	s_and_b64 vcc, exec, s[0:1]
	s_cbranch_vccnz .LBB110_1999
; %bb.1820:
	s_andn2_b64 vcc, exec, s[2:3]
	s_cbranch_vccnz .LBB110_1822
.LBB110_1821:
	v_cmp_ne_u16_e32 vcc, 0, v6
	v_cndmask_b32_e64 v3, 0, 1, vcc
	s_mov_b64 s[10:11], -1
	global_store_byte v[1:2], v3, off
.LBB110_1822:
	s_mov_b64 s[0:1], 0
	s_branch .LBB110_1824
.LBB110_1823:
	s_mov_b64 s[0:1], -1
	s_mov_b64 s[10:11], 0
.LBB110_1824:
	s_and_b64 vcc, exec, s[0:1]
	s_cbranch_vccz .LBB110_1863
; %bb.1825:
	s_and_b32 s2, 0xffff, s22
	s_cmp_lt_i32 s2, 5
	s_mov_b64 s[0:1], -1
	s_cbranch_scc1 .LBB110_1846
; %bb.1826:
	s_cmp_lt_i32 s2, 8
	s_cbranch_scc1 .LBB110_1836
; %bb.1827:
	s_cmp_lt_i32 s2, 9
	s_cbranch_scc1 .LBB110_1833
; %bb.1828:
	s_cmp_gt_i32 s2, 9
	s_cbranch_scc0 .LBB110_1830
; %bb.1829:
	v_bfe_i32 v3, v6, 0, 16
	v_cvt_f64_i32_e32 v[7:8], v3
	v_mov_b32_e32 v9, 0
	v_mov_b32_e32 v10, v9
	s_mov_b64 s[0:1], 0
	global_store_dwordx4 v[1:2], v[7:10], off
.LBB110_1830:
	s_andn2_b64 vcc, exec, s[0:1]
	s_cbranch_vccnz .LBB110_1832
; %bb.1831:
	v_cvt_f32_i32_sdwa v3, sext(v6) dst_sel:DWORD dst_unused:UNUSED_PAD src0_sel:WORD_0
	v_mov_b32_e32 v4, 0
	global_store_dwordx2 v[1:2], v[3:4], off
.LBB110_1832:
	s_mov_b64 s[0:1], 0
.LBB110_1833:
	s_andn2_b64 vcc, exec, s[0:1]
	s_cbranch_vccnz .LBB110_1835
; %bb.1834:
	v_cvt_f16_i16_e32 v3, v6
	global_store_dword v[1:2], v3, off
.LBB110_1835:
	s_mov_b64 s[0:1], 0
.LBB110_1836:
	s_andn2_b64 vcc, exec, s[0:1]
	s_cbranch_vccnz .LBB110_1845
; %bb.1837:
	s_cmp_lt_i32 s2, 6
	s_mov_b64 s[0:1], -1
	s_cbranch_scc1 .LBB110_1843
; %bb.1838:
	s_cmp_gt_i32 s2, 6
	s_cbranch_scc0 .LBB110_1840
; %bb.1839:
	v_bfe_i32 v3, v6, 0, 16
	v_cvt_f64_i32_e32 v[3:4], v3
	s_mov_b64 s[0:1], 0
	global_store_dwordx2 v[1:2], v[3:4], off
.LBB110_1840:
	s_andn2_b64 vcc, exec, s[0:1]
	s_cbranch_vccnz .LBB110_1842
; %bb.1841:
	v_cvt_f32_i32_sdwa v3, sext(v6) dst_sel:DWORD dst_unused:UNUSED_PAD src0_sel:WORD_0
	global_store_dword v[1:2], v3, off
.LBB110_1842:
	s_mov_b64 s[0:1], 0
.LBB110_1843:
	s_andn2_b64 vcc, exec, s[0:1]
	s_cbranch_vccnz .LBB110_1845
; %bb.1844:
	v_cvt_f16_i16_e32 v3, v6
	global_store_short v[1:2], v3, off
.LBB110_1845:
	s_mov_b64 s[0:1], 0
.LBB110_1846:
	s_andn2_b64 vcc, exec, s[0:1]
	s_cbranch_vccnz .LBB110_1862
; %bb.1847:
	s_cmp_lt_i32 s2, 2
	s_mov_b64 s[0:1], -1
	s_cbranch_scc1 .LBB110_1857
; %bb.1848:
	s_cmp_lt_i32 s2, 3
	s_cbranch_scc1 .LBB110_1854
; %bb.1849:
	s_cmp_gt_i32 s2, 3
	v_bfe_i32 v3, v6, 0, 16
	s_cbranch_scc0 .LBB110_1851
; %bb.1850:
	v_ashrrev_i32_e32 v4, 31, v3
	global_store_dwordx2 v[1:2], v[3:4], off
	s_mov_b64 s[0:1], 0
.LBB110_1851:
	s_andn2_b64 vcc, exec, s[0:1]
	s_cbranch_vccnz .LBB110_1853
; %bb.1852:
	global_store_dword v[1:2], v3, off
.LBB110_1853:
	s_mov_b64 s[0:1], 0
.LBB110_1854:
	s_andn2_b64 vcc, exec, s[0:1]
	s_cbranch_vccnz .LBB110_1856
; %bb.1855:
	global_store_short v[1:2], v6, off
.LBB110_1856:
	s_mov_b64 s[0:1], 0
.LBB110_1857:
	s_andn2_b64 vcc, exec, s[0:1]
	s_cbranch_vccnz .LBB110_1862
; %bb.1858:
	s_cmp_gt_i32 s2, 0
	s_mov_b64 s[0:1], -1
	s_cbranch_scc0 .LBB110_1860
; %bb.1859:
	global_store_byte v[1:2], v6, off
	s_mov_b64 s[0:1], 0
.LBB110_1860:
	s_andn2_b64 vcc, exec, s[0:1]
	s_cbranch_vccnz .LBB110_1862
; %bb.1861:
	global_store_byte v[1:2], v6, off
.LBB110_1862:
	s_mov_b64 s[10:11], -1
.LBB110_1863:
	s_andn2_b64 vcc, exec, s[10:11]
	s_cbranch_vccnz .LBB110_1940
; %bb.1864:
	v_mov_b32_e32 v1, s33
	v_mov_b32_e32 v2, s15
	v_cmp_lt_i16_e32 vcc, s14, v0
	v_add_u32_e32 v0, s20, v5
	v_cndmask_b32_e32 v4, v1, v2, vcc
	v_ashrrev_i32_e32 v1, 31, v0
	v_mov_b32_e32 v2, s9
	v_add_co_u32_e32 v0, vcc, s8, v0
	s_cmp_lt_i32 s22, 11
	v_addc_co_u32_e32 v1, vcc, v2, v1, vcc
	s_cbranch_scc1 .LBB110_1985
; %bb.1865:
	s_and_b32 s14, 0xffff, s22
	s_mov_b64 s[8:9], -1
	s_mov_b64 s[2:3], 0
	s_cmp_gt_i32 s14, 25
	s_mov_b64 s[0:1], 0
	s_cbranch_scc0 .LBB110_1898
; %bb.1866:
	s_cmp_gt_i32 s14, 28
	s_cbranch_scc0 .LBB110_1882
; %bb.1867:
	s_cmp_gt_i32 s14, 43
	s_cbranch_scc0 .LBB110_1878
; %bb.1868:
	s_cmp_gt_i32 s14, 45
	s_cbranch_scc0 .LBB110_1872
; %bb.1869:
	s_cmp_eq_u32 s14, 46
	s_mov_b64 s[0:1], -1
	s_cbranch_scc0 .LBB110_1871
; %bb.1870:
	v_cvt_f32_i32_sdwa v2, sext(v4) dst_sel:DWORD dst_unused:UNUSED_PAD src0_sel:WORD_0
	s_movk_i32 s0, 0x7fff
	v_bfe_u32 v3, v2, 16, 1
	v_add3_u32 v2, v2, v3, s0
	v_lshrrev_b32_e32 v2, 16, v2
	global_store_dword v[0:1], v2, off
	s_mov_b64 s[0:1], 0
.LBB110_1871:
	s_mov_b64 s[8:9], 0
.LBB110_1872:
	s_and_b64 vcc, exec, s[8:9]
	s_cbranch_vccz .LBB110_1877
; %bb.1873:
	s_cmp_eq_u32 s14, 44
	s_mov_b64 s[0:1], -1
	s_cbranch_scc0 .LBB110_1877
; %bb.1874:
	v_cvt_f32_i32_sdwa v2, sext(v4) dst_sel:DWORD dst_unused:UNUSED_PAD src0_sel:WORD_0
	s_movk_i32 s0, 0xff
	v_mov_b32_e32 v5, 0xff
	v_bfe_u32 v3, v2, 23, 8
	v_cmp_ne_u32_e32 vcc, s0, v3
	s_and_saveexec_b64 s[8:9], vcc
; %bb.1875:
	s_mov_b32 s0, 0x3fffff
	v_lshrrev_b32_e32 v5, 23, v2
	v_and_b32_e32 v6, 0x400000, v2
	v_and_or_b32 v2, v2, s0, v3
	v_cmp_ne_u32_e32 vcc, 0, v6
	v_cmp_ne_u32_e64 s[0:1], 0, v2
	s_and_b64 s[0:1], vcc, s[0:1]
	v_cndmask_b32_e64 v2, 0, 1, s[0:1]
	v_add_u32_e32 v5, v5, v2
; %bb.1876:
	s_or_b64 exec, exec, s[8:9]
	s_mov_b64 s[0:1], 0
	global_store_byte v[0:1], v5, off
.LBB110_1877:
	s_mov_b64 s[8:9], 0
.LBB110_1878:
	s_and_b64 vcc, exec, s[8:9]
	s_cbranch_vccz .LBB110_1881
; %bb.1879:
	s_cmp_eq_u32 s14, 29
	s_mov_b64 s[0:1], -1
	s_cbranch_scc0 .LBB110_1881
; %bb.1880:
	v_bfe_i32 v2, v4, 0, 16
	v_ashrrev_i32_e32 v3, 31, v2
	global_store_dwordx2 v[0:1], v[2:3], off
	s_mov_b64 s[0:1], 0
.LBB110_1881:
	s_mov_b64 s[8:9], 0
.LBB110_1882:
	s_and_b64 vcc, exec, s[8:9]
	s_cbranch_vccz .LBB110_1897
; %bb.1883:
	s_cmp_lt_i32 s14, 27
	s_mov_b64 s[8:9], -1
	s_cbranch_scc1 .LBB110_1889
; %bb.1884:
	s_cmp_gt_i32 s14, 27
	s_cbranch_scc0 .LBB110_1886
; %bb.1885:
	v_bfe_i32 v2, v4, 0, 16
	global_store_dword v[0:1], v2, off
	s_mov_b64 s[8:9], 0
.LBB110_1886:
	s_andn2_b64 vcc, exec, s[8:9]
	s_cbranch_vccnz .LBB110_1888
; %bb.1887:
	global_store_short v[0:1], v4, off
.LBB110_1888:
	s_mov_b64 s[8:9], 0
.LBB110_1889:
	s_andn2_b64 vcc, exec, s[8:9]
	s_cbranch_vccnz .LBB110_1897
; %bb.1890:
	v_cvt_f32_i32_sdwa v2, sext(v4) dst_sel:DWORD dst_unused:UNUSED_PAD src0_sel:WORD_0
	s_mov_b32 s8, 0x43800000
	v_mov_b32_e32 v5, 0x80
	v_and_b32_e32 v3, 0x7fffffff, v2
	v_cmp_gt_u32_e32 vcc, s8, v3
	s_and_saveexec_b64 s[8:9], vcc
	s_cbranch_execz .LBB110_1896
; %bb.1891:
	s_mov_b32 s10, 0x3bffffff
	v_cmp_lt_u32_e32 vcc, s10, v3
	s_mov_b64 s[10:11], 0
                                        ; implicit-def: $vgpr3
	s_and_saveexec_b64 s[12:13], vcc
	s_xor_b64 s[12:13], exec, s[12:13]
	s_cbranch_execz .LBB110_2002
; %bb.1892:
	v_bfe_u32 v3, v2, 20, 1
	s_mov_b32 s15, 0x487ffff
	v_add3_u32 v3, v2, v3, s15
	s_mov_b64 s[10:11], exec
	v_lshrrev_b32_e32 v3, 20, v3
	s_andn2_saveexec_b64 s[12:13], s[12:13]
	s_cbranch_execnz .LBB110_2003
.LBB110_1893:
	s_or_b64 exec, exec, s[12:13]
	v_mov_b32_e32 v5, 0
	s_and_saveexec_b64 s[12:13], s[10:11]
.LBB110_1894:
	v_lshrrev_b32_e32 v2, 24, v2
	s_movk_i32 s10, 0x80
	v_and_or_b32 v5, v2, s10, v3
.LBB110_1895:
	s_or_b64 exec, exec, s[12:13]
.LBB110_1896:
	s_or_b64 exec, exec, s[8:9]
	global_store_byte v[0:1], v5, off
.LBB110_1897:
	s_mov_b64 s[8:9], 0
.LBB110_1898:
	s_and_b64 vcc, exec, s[8:9]
	s_cbranch_vccz .LBB110_1938
; %bb.1899:
	s_cmp_gt_i32 s14, 22
	s_mov_b64 s[2:3], -1
	s_cbranch_scc0 .LBB110_1931
; %bb.1900:
	s_cmp_lt_i32 s14, 24
	s_cbranch_scc1 .LBB110_1920
; %bb.1901:
	s_cmp_gt_i32 s14, 24
	s_cbranch_scc0 .LBB110_1909
; %bb.1902:
	v_cvt_f32_i32_sdwa v2, sext(v4) dst_sel:DWORD dst_unused:UNUSED_PAD src0_sel:WORD_0
	s_mov_b32 s2, 0x47800000
	v_mov_b32_e32 v5, 0x80
	v_and_b32_e32 v3, 0x7fffffff, v2
	v_cmp_gt_u32_e32 vcc, s2, v3
	s_and_saveexec_b64 s[2:3], vcc
	s_cbranch_execz .LBB110_1908
; %bb.1903:
	s_mov_b32 s8, 0x37ffffff
	v_cmp_lt_u32_e32 vcc, s8, v3
	s_mov_b64 s[8:9], 0
                                        ; implicit-def: $vgpr3
	s_and_saveexec_b64 s[10:11], vcc
	s_xor_b64 s[10:11], exec, s[10:11]
	s_cbranch_execz .LBB110_2005
; %bb.1904:
	v_bfe_u32 v3, v2, 21, 1
	s_mov_b32 s12, 0x88fffff
	v_add3_u32 v3, v2, v3, s12
	s_mov_b64 s[8:9], exec
	v_lshrrev_b32_e32 v3, 21, v3
	s_andn2_saveexec_b64 s[10:11], s[10:11]
	s_cbranch_execnz .LBB110_2006
.LBB110_1905:
	s_or_b64 exec, exec, s[10:11]
	v_mov_b32_e32 v5, 0
	s_and_saveexec_b64 s[10:11], s[8:9]
.LBB110_1906:
	v_lshrrev_b32_e32 v2, 24, v2
	s_movk_i32 s8, 0x80
	v_and_or_b32 v5, v2, s8, v3
.LBB110_1907:
	s_or_b64 exec, exec, s[10:11]
.LBB110_1908:
	s_or_b64 exec, exec, s[2:3]
	s_mov_b64 s[2:3], 0
	global_store_byte v[0:1], v5, off
.LBB110_1909:
	s_and_b64 vcc, exec, s[2:3]
	s_cbranch_vccz .LBB110_1919
; %bb.1910:
	v_cvt_f32_i32_sdwa v2, sext(v4) dst_sel:DWORD dst_unused:UNUSED_PAD src0_sel:WORD_0
	s_mov_b32 s2, 0x43f00000
                                        ; implicit-def: $vgpr3
	v_and_b32_e32 v5, 0x7fffffff, v2
	v_cmp_gt_u32_e32 vcc, s2, v5
	s_and_saveexec_b64 s[2:3], vcc
	s_xor_b64 s[2:3], exec, s[2:3]
	s_cbranch_execz .LBB110_1916
; %bb.1911:
	s_mov_b32 s8, 0x3c7fffff
	v_cmp_lt_u32_e32 vcc, s8, v5
                                        ; implicit-def: $vgpr3
	s_and_saveexec_b64 s[8:9], vcc
	s_xor_b64 s[8:9], exec, s[8:9]
; %bb.1912:
	v_bfe_u32 v3, v2, 20, 1
	s_mov_b32 s10, 0x407ffff
	v_add3_u32 v3, v2, v3, s10
	v_lshrrev_b32_e32 v5, 20, v3
	v_and_b32_e32 v3, 0xff00000, v3
	s_mov_b32 s10, 0x7f00000
	v_mov_b32_e32 v6, 0x7e
	v_cmp_ne_u32_e32 vcc, s10, v3
	v_cndmask_b32_e32 v3, v6, v5, vcc
; %bb.1913:
	s_andn2_saveexec_b64 s[8:9], s[8:9]
; %bb.1914:
	s_mov_b32 s10, 0x46800000
	v_add_f32_e64 v3, |v2|, s10
; %bb.1915:
	s_or_b64 exec, exec, s[8:9]
                                        ; implicit-def: $vgpr5
.LBB110_1916:
	s_andn2_saveexec_b64 s[2:3], s[2:3]
; %bb.1917:
	s_mov_b32 s8, 0x7f800000
	v_mov_b32_e32 v3, 0x7e
	v_mov_b32_e32 v6, 0x7f
	v_cmp_lt_u32_e32 vcc, s8, v5
	v_cndmask_b32_e32 v3, v3, v6, vcc
; %bb.1918:
	s_or_b64 exec, exec, s[2:3]
	v_lshrrev_b32_e32 v2, 24, v2
	s_movk_i32 s2, 0x80
	v_and_or_b32 v2, v2, s2, v3
	global_store_byte v[0:1], v2, off
.LBB110_1919:
	s_mov_b64 s[2:3], 0
.LBB110_1920:
	s_andn2_b64 vcc, exec, s[2:3]
	s_cbranch_vccnz .LBB110_1930
; %bb.1921:
	v_cvt_f32_i32_sdwa v2, sext(v4) dst_sel:DWORD dst_unused:UNUSED_PAD src0_sel:WORD_0
	s_mov_b32 s2, 0x47800000
                                        ; implicit-def: $vgpr3
	v_and_b32_e32 v5, 0x7fffffff, v2
	v_cmp_gt_u32_e32 vcc, s2, v5
	s_and_saveexec_b64 s[2:3], vcc
	s_xor_b64 s[2:3], exec, s[2:3]
	s_cbranch_execz .LBB110_1927
; %bb.1922:
	s_mov_b32 s8, 0x387fffff
	v_cmp_lt_u32_e32 vcc, s8, v5
                                        ; implicit-def: $vgpr3
	s_and_saveexec_b64 s[8:9], vcc
	s_xor_b64 s[8:9], exec, s[8:9]
; %bb.1923:
	v_bfe_u32 v3, v2, 21, 1
	s_mov_b32 s10, 0x80fffff
	v_add3_u32 v3, v2, v3, s10
	v_lshrrev_b32_e32 v3, 21, v3
; %bb.1924:
	s_andn2_saveexec_b64 s[8:9], s[8:9]
; %bb.1925:
	s_mov_b32 s10, 0x43000000
	v_add_f32_e64 v3, |v2|, s10
; %bb.1926:
	s_or_b64 exec, exec, s[8:9]
                                        ; implicit-def: $vgpr5
.LBB110_1927:
	s_andn2_saveexec_b64 s[2:3], s[2:3]
; %bb.1928:
	s_mov_b32 s8, 0x7f800000
	v_mov_b32_e32 v3, 0x7c
	v_mov_b32_e32 v6, 0x7f
	v_cmp_lt_u32_e32 vcc, s8, v5
	v_cndmask_b32_e32 v3, v3, v6, vcc
; %bb.1929:
	s_or_b64 exec, exec, s[2:3]
	v_lshrrev_b32_e32 v2, 24, v2
	s_movk_i32 s2, 0x80
	v_and_or_b32 v2, v2, s2, v3
	global_store_byte v[0:1], v2, off
.LBB110_1930:
	s_mov_b64 s[2:3], 0
.LBB110_1931:
	s_andn2_b64 vcc, exec, s[2:3]
	s_mov_b64 s[2:3], 0
	s_cbranch_vccnz .LBB110_1938
; %bb.1932:
	s_cmp_gt_i32 s14, 14
	s_mov_b64 s[8:9], -1
	s_cbranch_scc0 .LBB110_1936
; %bb.1933:
	s_cmp_eq_u32 s14, 15
	s_mov_b64 s[0:1], -1
	s_cbranch_scc0 .LBB110_1935
; %bb.1934:
	v_cvt_f32_i32_sdwa v2, sext(v4) dst_sel:DWORD dst_unused:UNUSED_PAD src0_sel:WORD_0
	s_movk_i32 s0, 0x7fff
	v_bfe_u32 v3, v2, 16, 1
	v_add3_u32 v2, v2, v3, s0
	global_store_short_d16_hi v[0:1], v2, off
	s_mov_b64 s[0:1], 0
.LBB110_1935:
	s_mov_b64 s[8:9], 0
.LBB110_1936:
	s_and_b64 vcc, exec, s[8:9]
	s_cbranch_vccz .LBB110_1938
; %bb.1937:
	s_cmp_lg_u32 s14, 11
	s_mov_b64 s[2:3], -1
	s_cselect_b64 s[0:1], -1, 0
.LBB110_1938:
	s_and_b64 vcc, exec, s[0:1]
	s_cbranch_vccnz .LBB110_2004
.LBB110_1939:
	s_mov_b64 s[0:1], 0
	s_branch .LBB110_1941
.LBB110_1940:
	s_mov_b64 s[0:1], 0
	s_mov_b64 s[2:3], 0
                                        ; implicit-def: $sgpr22
                                        ; implicit-def: $vgpr0_vgpr1
                                        ; implicit-def: $vgpr4
.LBB110_1941:
	s_andn2_b64 s[6:7], s[6:7], exec
	s_and_b64 s[8:9], s[16:17], exec
	s_and_b64 s[0:1], s[0:1], exec
	;; [unrolled: 1-line block ×3, first 2 shown]
	s_or_b64 s[6:7], s[6:7], s[8:9]
.LBB110_1942:
	s_or_b64 exec, exec, s[4:5]
	s_and_saveexec_b64 s[4:5], s[6:7]
	s_cbranch_execz .LBB110_1945
; %bb.1943:
	; divergent unreachable
	s_or_b64 exec, exec, s[4:5]
	s_and_saveexec_b64 s[4:5], s[2:3]
	s_xor_b64 s[2:3], exec, s[4:5]
	s_cbranch_execnz .LBB110_1946
.LBB110_1944:
	s_or_b64 exec, exec, s[2:3]
	s_and_saveexec_b64 s[2:3], s[0:1]
	s_cbranch_execnz .LBB110_1947
	s_branch .LBB110_1984
.LBB110_1945:
	s_or_b64 exec, exec, s[4:5]
	s_and_saveexec_b64 s[4:5], s[2:3]
	s_xor_b64 s[2:3], exec, s[4:5]
	s_cbranch_execz .LBB110_1944
.LBB110_1946:
	s_waitcnt vmcnt(0)
	v_cmp_ne_u16_e32 vcc, 0, v4
	v_cndmask_b32_e64 v2, 0, 1, vcc
	global_store_byte v[0:1], v2, off
	s_or_b64 exec, exec, s[2:3]
	s_and_saveexec_b64 s[2:3], s[0:1]
	s_cbranch_execz .LBB110_1984
.LBB110_1947:
	s_sext_i32_i16 s2, s22
	s_cmp_lt_i32 s2, 5
	s_mov_b64 s[0:1], -1
	s_cbranch_scc1 .LBB110_1968
; %bb.1948:
	s_cmp_lt_i32 s2, 8
	s_cbranch_scc1 .LBB110_1958
; %bb.1949:
	s_cmp_lt_i32 s2, 9
	s_cbranch_scc1 .LBB110_1955
; %bb.1950:
	s_cmp_gt_i32 s2, 9
	s_cbranch_scc0 .LBB110_1952
; %bb.1951:
	s_waitcnt vmcnt(0)
	v_bfe_i32 v2, v4, 0, 16
	v_cvt_f64_i32_e32 v[5:6], v2
	v_mov_b32_e32 v7, 0
	v_mov_b32_e32 v8, v7
	s_mov_b64 s[0:1], 0
	global_store_dwordx4 v[0:1], v[5:8], off
.LBB110_1952:
	s_andn2_b64 vcc, exec, s[0:1]
	s_cbranch_vccnz .LBB110_1954
; %bb.1953:
	s_waitcnt vmcnt(0)
	v_cvt_f32_i32_sdwa v2, sext(v4) dst_sel:DWORD dst_unused:UNUSED_PAD src0_sel:WORD_0
	v_mov_b32_e32 v3, 0
	global_store_dwordx2 v[0:1], v[2:3], off
.LBB110_1954:
	s_mov_b64 s[0:1], 0
.LBB110_1955:
	s_andn2_b64 vcc, exec, s[0:1]
	s_cbranch_vccnz .LBB110_1957
; %bb.1956:
	s_waitcnt vmcnt(0)
	v_cvt_f16_i16_e32 v2, v4
	global_store_dword v[0:1], v2, off
.LBB110_1957:
	s_mov_b64 s[0:1], 0
.LBB110_1958:
	s_andn2_b64 vcc, exec, s[0:1]
	s_cbranch_vccnz .LBB110_1967
; %bb.1959:
	s_sext_i32_i16 s2, s22
	s_cmp_lt_i32 s2, 6
	s_mov_b64 s[0:1], -1
	s_cbranch_scc1 .LBB110_1965
; %bb.1960:
	s_cmp_gt_i32 s2, 6
	s_cbranch_scc0 .LBB110_1962
; %bb.1961:
	s_waitcnt vmcnt(0)
	v_bfe_i32 v2, v4, 0, 16
	v_cvt_f64_i32_e32 v[2:3], v2
	s_mov_b64 s[0:1], 0
	global_store_dwordx2 v[0:1], v[2:3], off
.LBB110_1962:
	s_andn2_b64 vcc, exec, s[0:1]
	s_cbranch_vccnz .LBB110_1964
; %bb.1963:
	s_waitcnt vmcnt(0)
	v_cvt_f32_i32_sdwa v2, sext(v4) dst_sel:DWORD dst_unused:UNUSED_PAD src0_sel:WORD_0
	global_store_dword v[0:1], v2, off
.LBB110_1964:
	s_mov_b64 s[0:1], 0
.LBB110_1965:
	s_andn2_b64 vcc, exec, s[0:1]
	s_cbranch_vccnz .LBB110_1967
; %bb.1966:
	s_waitcnt vmcnt(0)
	v_cvt_f16_i16_e32 v2, v4
	global_store_short v[0:1], v2, off
.LBB110_1967:
	s_mov_b64 s[0:1], 0
.LBB110_1968:
	s_andn2_b64 vcc, exec, s[0:1]
	s_cbranch_vccnz .LBB110_1984
; %bb.1969:
	s_sext_i32_i16 s2, s22
	s_cmp_lt_i32 s2, 2
	s_mov_b64 s[0:1], -1
	s_cbranch_scc1 .LBB110_1979
; %bb.1970:
	s_cmp_lt_i32 s2, 3
	s_cbranch_scc1 .LBB110_1976
; %bb.1971:
	s_cmp_gt_i32 s2, 3
	s_waitcnt vmcnt(0)
	v_bfe_i32 v2, v4, 0, 16
	s_cbranch_scc0 .LBB110_1973
; %bb.1972:
	v_ashrrev_i32_e32 v3, 31, v2
	global_store_dwordx2 v[0:1], v[2:3], off
	s_mov_b64 s[0:1], 0
.LBB110_1973:
	s_andn2_b64 vcc, exec, s[0:1]
	s_cbranch_vccnz .LBB110_1975
; %bb.1974:
	global_store_dword v[0:1], v2, off
.LBB110_1975:
	s_mov_b64 s[0:1], 0
.LBB110_1976:
	s_andn2_b64 vcc, exec, s[0:1]
	s_cbranch_vccnz .LBB110_1978
; %bb.1977:
	s_waitcnt vmcnt(0)
	global_store_short v[0:1], v4, off
.LBB110_1978:
	s_mov_b64 s[0:1], 0
.LBB110_1979:
	s_andn2_b64 vcc, exec, s[0:1]
	s_cbranch_vccnz .LBB110_1984
; %bb.1980:
	s_sext_i32_i16 s0, s22
	s_cmp_gt_i32 s0, 0
	s_mov_b64 s[0:1], -1
	s_cbranch_scc0 .LBB110_1982
; %bb.1981:
	s_waitcnt vmcnt(0)
	global_store_byte v[0:1], v4, off
	s_mov_b64 s[0:1], 0
.LBB110_1982:
	s_andn2_b64 vcc, exec, s[0:1]
	s_cbranch_vccnz .LBB110_1984
; %bb.1983:
	s_waitcnt vmcnt(0)
	global_store_byte v[0:1], v4, off
	s_endpgm
.LBB110_1984:
	s_endpgm
.LBB110_1985:
	s_mov_b64 s[2:3], 0
	s_mov_b64 s[0:1], -1
	s_branch .LBB110_1941
.LBB110_1986:
	s_trap 2
	s_or_b64 s[16:17], s[16:17], exec
	s_cbranch_execz .LBB110_1455
	s_branch .LBB110_1456
.LBB110_1987:
	s_andn2_saveexec_b64 s[20:21], s[20:21]
	s_cbranch_execz .LBB110_1535
.LBB110_1988:
	s_mov_b32 s23, 0x46000000
	v_add_f32_e64 v8, |v7|, s23
	v_and_b32_e32 v8, 0xff, v8
	v_cmp_ne_u32_e32 vcc, 0, v8
	s_andn2_b64 s[18:19], s[18:19], exec
	s_and_b64 s[24:25], vcc, exec
	s_or_b64 s[18:19], s[18:19], s[24:25]
	s_or_b64 exec, exec, s[20:21]
	v_mov_b32_e32 v9, 0
	s_and_saveexec_b64 s[20:21], s[18:19]
	s_cbranch_execnz .LBB110_1536
	s_branch .LBB110_1537
.LBB110_1989:
	s_trap 2
	s_or_b64 s[16:17], s[16:17], exec
	s_cbranch_execz .LBB110_1583
	s_branch .LBB110_1584
.LBB110_1990:
	s_andn2_saveexec_b64 s[18:19], s[18:19]
	s_cbranch_execz .LBB110_1548
.LBB110_1991:
	s_mov_b32 s20, 0x42800000
	v_add_f32_e64 v8, |v7|, s20
	v_and_b32_e32 v8, 0xff, v8
	v_cmp_ne_u32_e32 vcc, 0, v8
	s_andn2_b64 s[10:11], s[10:11], exec
	s_and_b64 s[20:21], vcc, exec
	s_or_b64 s[10:11], s[10:11], s[20:21]
	s_or_b64 exec, exec, s[18:19]
	v_mov_b32_e32 v9, 0
	s_and_saveexec_b64 s[18:19], s[10:11]
	s_cbranch_execnz .LBB110_1549
	s_branch .LBB110_1550
.LBB110_1992:
	s_andn2_saveexec_b64 s[18:19], s[18:19]
	s_cbranch_execz .LBB110_1654
.LBB110_1993:
	s_mov_b32 s23, 0x46000000
	v_add_f32_e64 v6, |v5|, s23
	v_and_b32_e32 v6, 0xff, v6
	v_cmp_ne_u32_e32 vcc, 0, v6
	s_andn2_b64 s[12:13], s[12:13], exec
	s_and_b64 s[24:25], vcc, exec
	s_or_b64 s[12:13], s[12:13], s[24:25]
	s_or_b64 exec, exec, s[18:19]
	v_mov_b32_e32 v8, 0
	s_and_saveexec_b64 s[18:19], s[12:13]
	s_cbranch_execnz .LBB110_1655
	s_branch .LBB110_1656
.LBB110_1994:
	s_trap 2
	s_or_b64 s[16:17], s[16:17], exec
	s_cbranch_execz .LBB110_1702
	s_branch .LBB110_1703
.LBB110_1995:
	s_andn2_saveexec_b64 s[12:13], s[12:13]
	s_cbranch_execz .LBB110_1667
.LBB110_1996:
	s_mov_b32 s18, 0x42800000
	v_add_f32_e64 v6, |v5|, s18
	v_and_b32_e32 v6, 0xff, v6
	v_cmp_ne_u32_e32 vcc, 0, v6
	s_andn2_b64 s[10:11], s[10:11], exec
	s_and_b64 s[18:19], vcc, exec
	s_or_b64 s[10:11], s[10:11], s[18:19]
	s_or_b64 exec, exec, s[12:13]
	v_mov_b32_e32 v8, 0
	s_and_saveexec_b64 s[12:13], s[10:11]
	s_cbranch_execnz .LBB110_1668
	s_branch .LBB110_1669
.LBB110_1997:
	s_andn2_saveexec_b64 s[18:19], s[18:19]
	s_cbranch_execz .LBB110_1773
.LBB110_1998:
	s_mov_b32 s23, 0x46000000
	v_add_f32_e64 v4, |v3|, s23
	v_and_b32_e32 v4, 0xff, v4
	v_cmp_ne_u32_e32 vcc, 0, v4
	s_andn2_b64 s[12:13], s[12:13], exec
	s_and_b64 s[24:25], vcc, exec
	s_or_b64 s[12:13], s[12:13], s[24:25]
	s_or_b64 exec, exec, s[18:19]
	v_mov_b32_e32 v7, 0
	s_and_saveexec_b64 s[18:19], s[12:13]
	s_cbranch_execnz .LBB110_1774
	s_branch .LBB110_1775
.LBB110_1999:
	s_trap 2
	s_or_b64 s[16:17], s[16:17], exec
	s_cbranch_execz .LBB110_1821
	s_branch .LBB110_1822
.LBB110_2000:
	s_andn2_saveexec_b64 s[12:13], s[12:13]
	s_cbranch_execz .LBB110_1786
.LBB110_2001:
	s_mov_b32 s18, 0x42800000
	v_add_f32_e64 v4, |v3|, s18
	v_and_b32_e32 v4, 0xff, v4
	v_cmp_ne_u32_e32 vcc, 0, v4
	s_andn2_b64 s[10:11], s[10:11], exec
	s_and_b64 s[18:19], vcc, exec
	s_or_b64 s[10:11], s[10:11], s[18:19]
	s_or_b64 exec, exec, s[12:13]
	v_mov_b32_e32 v7, 0
	s_and_saveexec_b64 s[12:13], s[10:11]
	s_cbranch_execnz .LBB110_1787
	s_branch .LBB110_1788
.LBB110_2002:
	s_andn2_saveexec_b64 s[12:13], s[12:13]
	s_cbranch_execz .LBB110_1893
.LBB110_2003:
	s_mov_b32 s15, 0x46000000
	v_add_f32_e64 v3, |v2|, s15
	v_and_b32_e32 v3, 0xff, v3
	v_cmp_ne_u32_e32 vcc, 0, v3
	s_andn2_b64 s[10:11], s[10:11], exec
	s_and_b64 s[18:19], vcc, exec
	s_or_b64 s[10:11], s[10:11], s[18:19]
	s_or_b64 exec, exec, s[12:13]
	v_mov_b32_e32 v5, 0
	s_and_saveexec_b64 s[12:13], s[10:11]
	s_cbranch_execnz .LBB110_1894
	s_branch .LBB110_1895
.LBB110_2004:
	s_mov_b64 s[2:3], 0
	s_or_b64 s[16:17], s[16:17], exec
	s_trap 2
	s_branch .LBB110_1939
.LBB110_2005:
	s_andn2_saveexec_b64 s[10:11], s[10:11]
	s_cbranch_execz .LBB110_1905
.LBB110_2006:
	s_mov_b32 s12, 0x42800000
	v_add_f32_e64 v3, |v2|, s12
	v_and_b32_e32 v3, 0xff, v3
	v_cmp_ne_u32_e32 vcc, 0, v3
	s_andn2_b64 s[8:9], s[8:9], exec
	s_and_b64 s[12:13], vcc, exec
	s_or_b64 s[8:9], s[8:9], s[12:13]
	s_or_b64 exec, exec, s[10:11]
	v_mov_b32_e32 v5, 0
	s_and_saveexec_b64 s[10:11], s[8:9]
	s_cbranch_execnz .LBB110_1906
	s_branch .LBB110_1907
	.section	.rodata,"a",@progbits
	.p2align	6, 0x0
	.amdhsa_kernel _ZN2at6native32elementwise_kernel_manual_unrollILi128ELi4EZNS0_15gpu_kernel_implINS0_13BUnaryFunctorIsssZNS0_12_GLOBAL__N_121threshold_kernel_implIsEEvRNS_18TensorIteratorBaseET_S8_EUlssE_EEEEvS7_RKS8_EUlibE_EEviT1_
		.amdhsa_group_segment_fixed_size 0
		.amdhsa_private_segment_fixed_size 0
		.amdhsa_kernarg_size 40
		.amdhsa_user_sgpr_count 6
		.amdhsa_user_sgpr_private_segment_buffer 1
		.amdhsa_user_sgpr_dispatch_ptr 0
		.amdhsa_user_sgpr_queue_ptr 0
		.amdhsa_user_sgpr_kernarg_segment_ptr 1
		.amdhsa_user_sgpr_dispatch_id 0
		.amdhsa_user_sgpr_flat_scratch_init 0
		.amdhsa_user_sgpr_private_segment_size 0
		.amdhsa_uses_dynamic_stack 0
		.amdhsa_system_sgpr_private_segment_wavefront_offset 0
		.amdhsa_system_sgpr_workgroup_id_x 1
		.amdhsa_system_sgpr_workgroup_id_y 0
		.amdhsa_system_sgpr_workgroup_id_z 0
		.amdhsa_system_sgpr_workgroup_info 0
		.amdhsa_system_vgpr_workitem_id 0
		.amdhsa_next_free_vgpr 12
		.amdhsa_next_free_sgpr 48
		.amdhsa_reserve_vcc 1
		.amdhsa_reserve_flat_scratch 0
		.amdhsa_float_round_mode_32 0
		.amdhsa_float_round_mode_16_64 0
		.amdhsa_float_denorm_mode_32 3
		.amdhsa_float_denorm_mode_16_64 3
		.amdhsa_dx10_clamp 1
		.amdhsa_ieee_mode 1
		.amdhsa_fp16_overflow 0
		.amdhsa_exception_fp_ieee_invalid_op 0
		.amdhsa_exception_fp_denorm_src 0
		.amdhsa_exception_fp_ieee_div_zero 0
		.amdhsa_exception_fp_ieee_overflow 0
		.amdhsa_exception_fp_ieee_underflow 0
		.amdhsa_exception_fp_ieee_inexact 0
		.amdhsa_exception_int_div_zero 0
	.end_amdhsa_kernel
	.section	.text._ZN2at6native32elementwise_kernel_manual_unrollILi128ELi4EZNS0_15gpu_kernel_implINS0_13BUnaryFunctorIsssZNS0_12_GLOBAL__N_121threshold_kernel_implIsEEvRNS_18TensorIteratorBaseET_S8_EUlssE_EEEEvS7_RKS8_EUlibE_EEviT1_,"axG",@progbits,_ZN2at6native32elementwise_kernel_manual_unrollILi128ELi4EZNS0_15gpu_kernel_implINS0_13BUnaryFunctorIsssZNS0_12_GLOBAL__N_121threshold_kernel_implIsEEvRNS_18TensorIteratorBaseET_S8_EUlssE_EEEEvS7_RKS8_EUlibE_EEviT1_,comdat
.Lfunc_end110:
	.size	_ZN2at6native32elementwise_kernel_manual_unrollILi128ELi4EZNS0_15gpu_kernel_implINS0_13BUnaryFunctorIsssZNS0_12_GLOBAL__N_121threshold_kernel_implIsEEvRNS_18TensorIteratorBaseET_S8_EUlssE_EEEEvS7_RKS8_EUlibE_EEviT1_, .Lfunc_end110-_ZN2at6native32elementwise_kernel_manual_unrollILi128ELi4EZNS0_15gpu_kernel_implINS0_13BUnaryFunctorIsssZNS0_12_GLOBAL__N_121threshold_kernel_implIsEEvRNS_18TensorIteratorBaseET_S8_EUlssE_EEEEvS7_RKS8_EUlibE_EEviT1_
                                        ; -- End function
	.set _ZN2at6native32elementwise_kernel_manual_unrollILi128ELi4EZNS0_15gpu_kernel_implINS0_13BUnaryFunctorIsssZNS0_12_GLOBAL__N_121threshold_kernel_implIsEEvRNS_18TensorIteratorBaseET_S8_EUlssE_EEEEvS7_RKS8_EUlibE_EEviT1_.num_vgpr, 12
	.set _ZN2at6native32elementwise_kernel_manual_unrollILi128ELi4EZNS0_15gpu_kernel_implINS0_13BUnaryFunctorIsssZNS0_12_GLOBAL__N_121threshold_kernel_implIsEEvRNS_18TensorIteratorBaseET_S8_EUlssE_EEEEvS7_RKS8_EUlibE_EEviT1_.num_agpr, 0
	.set _ZN2at6native32elementwise_kernel_manual_unrollILi128ELi4EZNS0_15gpu_kernel_implINS0_13BUnaryFunctorIsssZNS0_12_GLOBAL__N_121threshold_kernel_implIsEEvRNS_18TensorIteratorBaseET_S8_EUlssE_EEEEvS7_RKS8_EUlibE_EEviT1_.numbered_sgpr, 48
	.set _ZN2at6native32elementwise_kernel_manual_unrollILi128ELi4EZNS0_15gpu_kernel_implINS0_13BUnaryFunctorIsssZNS0_12_GLOBAL__N_121threshold_kernel_implIsEEvRNS_18TensorIteratorBaseET_S8_EUlssE_EEEEvS7_RKS8_EUlibE_EEviT1_.num_named_barrier, 0
	.set _ZN2at6native32elementwise_kernel_manual_unrollILi128ELi4EZNS0_15gpu_kernel_implINS0_13BUnaryFunctorIsssZNS0_12_GLOBAL__N_121threshold_kernel_implIsEEvRNS_18TensorIteratorBaseET_S8_EUlssE_EEEEvS7_RKS8_EUlibE_EEviT1_.private_seg_size, 0
	.set _ZN2at6native32elementwise_kernel_manual_unrollILi128ELi4EZNS0_15gpu_kernel_implINS0_13BUnaryFunctorIsssZNS0_12_GLOBAL__N_121threshold_kernel_implIsEEvRNS_18TensorIteratorBaseET_S8_EUlssE_EEEEvS7_RKS8_EUlibE_EEviT1_.uses_vcc, 1
	.set _ZN2at6native32elementwise_kernel_manual_unrollILi128ELi4EZNS0_15gpu_kernel_implINS0_13BUnaryFunctorIsssZNS0_12_GLOBAL__N_121threshold_kernel_implIsEEvRNS_18TensorIteratorBaseET_S8_EUlssE_EEEEvS7_RKS8_EUlibE_EEviT1_.uses_flat_scratch, 0
	.set _ZN2at6native32elementwise_kernel_manual_unrollILi128ELi4EZNS0_15gpu_kernel_implINS0_13BUnaryFunctorIsssZNS0_12_GLOBAL__N_121threshold_kernel_implIsEEvRNS_18TensorIteratorBaseET_S8_EUlssE_EEEEvS7_RKS8_EUlibE_EEviT1_.has_dyn_sized_stack, 0
	.set _ZN2at6native32elementwise_kernel_manual_unrollILi128ELi4EZNS0_15gpu_kernel_implINS0_13BUnaryFunctorIsssZNS0_12_GLOBAL__N_121threshold_kernel_implIsEEvRNS_18TensorIteratorBaseET_S8_EUlssE_EEEEvS7_RKS8_EUlibE_EEviT1_.has_recursion, 0
	.set _ZN2at6native32elementwise_kernel_manual_unrollILi128ELi4EZNS0_15gpu_kernel_implINS0_13BUnaryFunctorIsssZNS0_12_GLOBAL__N_121threshold_kernel_implIsEEvRNS_18TensorIteratorBaseET_S8_EUlssE_EEEEvS7_RKS8_EUlibE_EEviT1_.has_indirect_call, 0
	.section	.AMDGPU.csdata,"",@progbits
; Kernel info:
; codeLenInByte = 29864
; TotalNumSgprs: 52
; NumVgprs: 12
; ScratchSize: 0
; MemoryBound: 1
; FloatMode: 240
; IeeeMode: 1
; LDSByteSize: 0 bytes/workgroup (compile time only)
; SGPRBlocks: 6
; VGPRBlocks: 2
; NumSGPRsForWavesPerEU: 52
; NumVGPRsForWavesPerEU: 12
; Occupancy: 10
; WaveLimiterHint : 0
; COMPUTE_PGM_RSRC2:SCRATCH_EN: 0
; COMPUTE_PGM_RSRC2:USER_SGPR: 6
; COMPUTE_PGM_RSRC2:TRAP_HANDLER: 0
; COMPUTE_PGM_RSRC2:TGID_X_EN: 1
; COMPUTE_PGM_RSRC2:TGID_Y_EN: 0
; COMPUTE_PGM_RSRC2:TGID_Z_EN: 0
; COMPUTE_PGM_RSRC2:TIDIG_COMP_CNT: 0
	.section	.text._ZN2at6native32elementwise_kernel_manual_unrollILi128ELi4EZNS0_15gpu_kernel_implINS0_13BUnaryFunctorIsssZNS0_12_GLOBAL__N_121threshold_kernel_implIsEEvRNS_18TensorIteratorBaseET_S8_EUlssE_EEEEvS7_RKS8_EUlibE0_EEviT1_,"axG",@progbits,_ZN2at6native32elementwise_kernel_manual_unrollILi128ELi4EZNS0_15gpu_kernel_implINS0_13BUnaryFunctorIsssZNS0_12_GLOBAL__N_121threshold_kernel_implIsEEvRNS_18TensorIteratorBaseET_S8_EUlssE_EEEEvS7_RKS8_EUlibE0_EEviT1_,comdat
	.globl	_ZN2at6native32elementwise_kernel_manual_unrollILi128ELi4EZNS0_15gpu_kernel_implINS0_13BUnaryFunctorIsssZNS0_12_GLOBAL__N_121threshold_kernel_implIsEEvRNS_18TensorIteratorBaseET_S8_EUlssE_EEEEvS7_RKS8_EUlibE0_EEviT1_ ; -- Begin function _ZN2at6native32elementwise_kernel_manual_unrollILi128ELi4EZNS0_15gpu_kernel_implINS0_13BUnaryFunctorIsssZNS0_12_GLOBAL__N_121threshold_kernel_implIsEEvRNS_18TensorIteratorBaseET_S8_EUlssE_EEEEvS7_RKS8_EUlibE0_EEviT1_
	.p2align	8
	.type	_ZN2at6native32elementwise_kernel_manual_unrollILi128ELi4EZNS0_15gpu_kernel_implINS0_13BUnaryFunctorIsssZNS0_12_GLOBAL__N_121threshold_kernel_implIsEEvRNS_18TensorIteratorBaseET_S8_EUlssE_EEEEvS7_RKS8_EUlibE0_EEviT1_,@function
_ZN2at6native32elementwise_kernel_manual_unrollILi128ELi4EZNS0_15gpu_kernel_implINS0_13BUnaryFunctorIsssZNS0_12_GLOBAL__N_121threshold_kernel_implIsEEvRNS_18TensorIteratorBaseET_S8_EUlssE_EEEEvS7_RKS8_EUlibE0_EEviT1_: ; @_ZN2at6native32elementwise_kernel_manual_unrollILi128ELi4EZNS0_15gpu_kernel_implINS0_13BUnaryFunctorIsssZNS0_12_GLOBAL__N_121threshold_kernel_implIsEEvRNS_18TensorIteratorBaseET_S8_EUlssE_EEEEvS7_RKS8_EUlibE0_EEviT1_
; %bb.0:
	s_load_dword s72, s[4:5], 0x0
	s_load_dword s33, s[4:5], 0x8
	s_add_u32 s34, s4, 8
	s_addc_u32 s35, s5, 0
	v_lshl_or_b32 v8, s6, 9, v0
	v_or_b32_e32 v15, 0x180, v8
	s_waitcnt lgkmcnt(0)
	s_add_i32 s74, s33, -1
	s_cmp_gt_u32 s74, 1
	v_cmp_le_i32_e32 vcc, s72, v15
	s_cselect_b64 s[40:41], -1, 0
	s_mov_b64 s[6:7], 0
	s_mov_b64 s[28:29], 0
	s_and_saveexec_b64 s[0:1], vcc
	s_xor_b64 s[42:43], exec, s[0:1]
	s_cbranch_execz .LBB111_1070
; %bb.1:
	s_load_dword s0, s[4:5], 0x164
	s_cmp_lg_u32 s33, 0
	s_load_dwordx4 s[28:31], s[34:35], 0x4
	s_load_dwordx2 s[46:47], s[34:35], 0x14
	s_cselect_b64 s[52:53], -1, 0
	s_add_u32 s50, s34, 0xc4
	s_load_dwordx2 s[44:45], s[34:35], 0x158
	s_load_dwordx4 s[36:39], s[34:35], 0xc4
	s_load_dwordx4 s[24:27], s[34:35], 0x148
	s_addc_u32 s51, s35, 0
	s_min_u32 s78, s74, 15
	s_cmp_gt_u32 s33, 1
	s_cselect_b64 s[48:49], -1, 0
	s_waitcnt lgkmcnt(0)
	s_lshr_b32 s75, s0, 16
	s_lshr_b32 s77, s0, 24
	;; [unrolled: 1-line block ×3, first 2 shown]
	v_cmp_gt_i32_e32 vcc, s72, v8
	s_mov_b64 s[2:3], -1
	s_mov_b64 s[62:63], 0
	s_mov_b64 s[56:57], 0
	;; [unrolled: 1-line block ×3, first 2 shown]
	s_and_saveexec_b64 s[58:59], vcc
	s_cbranch_execz .LBB111_262
; %bb.2:
	s_andn2_b64 vcc, exec, s[40:41]
	s_cbranch_vccnz .LBB111_7
; %bb.3:
	s_andn2_b64 vcc, exec, s[52:53]
	s_cbranch_vccnz .LBB111_8
; %bb.4:
	s_add_i32 s61, s78, 1
	s_cmp_eq_u32 s74, 2
	s_cbranch_scc1 .LBB111_9
; %bb.5:
	s_and_b32 s60, s61, 28
	v_mov_b32_e32 v2, 0
	s_mov_b32 s64, 0
	s_mov_b64 s[54:55], s[34:35]
	s_mov_b64 s[56:57], s[50:51]
	v_mov_b32_e32 v0, 0
	v_mov_b32_e32 v1, v8
.LBB111_6:                              ; =>This Inner Loop Header: Depth=1
	s_load_dwordx8 s[16:23], s[54:55], 0x4
	s_load_dwordx4 s[0:3], s[54:55], 0x24
	s_load_dwordx8 s[8:15], s[56:57], 0x0
	s_add_u32 s54, s54, 48
	s_addc_u32 s55, s55, 0
	s_waitcnt lgkmcnt(0)
	v_mul_hi_u32 v3, s17, v1
	s_add_i32 s64, s64, 4
	s_add_u32 s56, s56, 32
	s_addc_u32 s57, s57, 0
	v_add_u32_e32 v3, v1, v3
	v_lshrrev_b32_e32 v3, s18, v3
	v_mul_lo_u32 v4, v3, s16
	v_mul_hi_u32 v5, s20, v3
	s_cmp_lg_u32 s60, s64
	v_sub_u32_e32 v1, v1, v4
	v_add_u32_e32 v4, v3, v5
	v_mul_lo_u32 v5, v1, s8
	v_mul_lo_u32 v6, v1, s9
	v_lshrrev_b32_e32 v1, s21, v4
	v_mul_lo_u32 v4, v1, s19
	v_mul_hi_u32 v7, s23, v1
	v_sub_u32_e32 v3, v3, v4
	v_add_u32_e32 v4, v1, v7
	v_lshrrev_b32_e32 v4, s0, v4
	v_mul_hi_u32 v9, s2, v4
	v_mul_lo_u32 v10, v4, s22
	v_mul_lo_u32 v7, v3, s10
	;; [unrolled: 1-line block ×3, first 2 shown]
	v_sub_u32_e32 v10, v1, v10
	v_add_u32_e32 v1, v4, v9
	v_lshrrev_b32_e32 v1, s3, v1
	v_mul_lo_u32 v9, v1, s1
	v_mul_lo_u32 v11, v10, s12
	;; [unrolled: 1-line block ×3, first 2 shown]
	v_add3_u32 v0, v5, v0, v7
	v_sub_u32_e32 v4, v4, v9
	v_mul_lo_u32 v9, v4, s14
	v_mul_lo_u32 v4, v4, s15
	v_add3_u32 v2, v6, v2, v3
	v_add3_u32 v0, v11, v0, v9
	;; [unrolled: 1-line block ×3, first 2 shown]
	s_cbranch_scc1 .LBB111_6
	s_branch .LBB111_10
.LBB111_7:
                                        ; implicit-def: $vgpr0
                                        ; implicit-def: $vgpr2
	s_branch .LBB111_14
.LBB111_8:
	v_mov_b32_e32 v0, 0
	v_mov_b32_e32 v2, 0
	s_branch .LBB111_13
.LBB111_9:
	s_mov_b32 s60, 0
	v_mov_b32_e32 v0, 0
	v_mov_b32_e32 v2, 0
	;; [unrolled: 1-line block ×3, first 2 shown]
.LBB111_10:
	s_and_b32 s8, s61, 3
	s_cmp_eq_u32 s8, 0
	s_cbranch_scc1 .LBB111_13
; %bb.11:
	s_lshl_b32 s0, s60, 3
	s_add_u32 s0, s34, s0
	s_addc_u32 s1, s35, 0
	s_add_u32 s0, s0, 0xc4
	s_addc_u32 s1, s1, 0
	s_mul_i32 s2, s60, 12
	s_add_u32 s2, s34, s2
	s_addc_u32 s3, s35, 0
.LBB111_12:                             ; =>This Inner Loop Header: Depth=1
	s_load_dwordx2 s[10:11], s[2:3], 0x4
	s_load_dword s9, s[2:3], 0xc
	s_load_dwordx2 s[12:13], s[0:1], 0x0
	s_add_u32 s2, s2, 12
	s_addc_u32 s3, s3, 0
	s_waitcnt lgkmcnt(0)
	v_mul_hi_u32 v3, s11, v1
	s_add_u32 s0, s0, 8
	s_addc_u32 s1, s1, 0
	s_add_i32 s8, s8, -1
	v_add_u32_e32 v3, v1, v3
	v_lshrrev_b32_e32 v4, s9, v3
	v_mul_lo_u32 v3, v4, s10
	s_cmp_lg_u32 s8, 0
	v_sub_u32_e32 v3, v1, v3
	v_mad_u64_u32 v[0:1], s[10:11], v3, s12, v[0:1]
	v_mad_u64_u32 v[2:3], s[10:11], v3, s13, v[2:3]
	v_mov_b32_e32 v1, v4
	s_cbranch_scc1 .LBB111_12
.LBB111_13:
	s_cbranch_execnz .LBB111_16
.LBB111_14:
	v_mul_hi_u32 v0, s29, v8
	s_andn2_b64 vcc, exec, s[48:49]
	v_add_u32_e32 v0, v8, v0
	v_lshrrev_b32_e32 v1, s30, v0
	v_mul_lo_u32 v0, v1, s28
	v_sub_u32_e32 v2, v8, v0
	v_mul_lo_u32 v0, v2, s36
	v_mul_lo_u32 v2, v2, s37
	s_cbranch_vccnz .LBB111_16
; %bb.15:
	v_mul_hi_u32 v3, s46, v1
	v_add_u32_e32 v3, v1, v3
	v_lshrrev_b32_e32 v3, s47, v3
	v_mul_lo_u32 v3, v3, s31
	v_sub_u32_e32 v3, v1, v3
	v_mad_u64_u32 v[0:1], s[0:1], v3, s38, v[0:1]
	v_mad_u64_u32 v[2:3], s[0:1], v3, s39, v[2:3]
.LBB111_16:
	v_mov_b32_e32 v3, s27
	s_and_b32 s10, 0xffff, s77
	v_add_co_u32_e32 v1, vcc, s26, v2
	s_cmp_lt_i32 s10, 11
	v_addc_co_u32_e32 v2, vcc, 0, v3, vcc
	s_cbranch_scc1 .LBB111_23
; %bb.17:
	s_cmp_gt_i32 s10, 25
	s_cbranch_scc0 .LBB111_32
; %bb.18:
	s_cmp_gt_i32 s10, 28
	s_cbranch_scc0 .LBB111_35
	;; [unrolled: 3-line block ×4, first 2 shown]
; %bb.21:
	s_cmp_eq_u32 s10, 46
	s_mov_b64 s[8:9], 0
	s_cbranch_scc0 .LBB111_41
; %bb.22:
	global_load_dword v3, v[1:2], off
	s_mov_b64 s[0:1], -1
	s_mov_b64 s[2:3], 0
	s_waitcnt vmcnt(0)
	v_lshlrev_b32_e32 v3, 16, v3
	v_cvt_i32_f32_e32 v3, v3
	s_branch .LBB111_43
.LBB111_23:
	s_mov_b64 s[2:3], 0
                                        ; implicit-def: $vgpr3
	s_mov_b64 s[0:1], 0
	s_cbranch_execnz .LBB111_212
.LBB111_24:
	s_andn2_b64 vcc, exec, s[0:1]
	s_cbranch_vccnz .LBB111_259
.LBB111_25:
	v_mov_b32_e32 v1, s76
	v_mov_b32_e32 v2, s45
	s_waitcnt vmcnt(0)
	v_cmp_lt_i16_e32 vcc, s44, v3
	v_cndmask_b32_e32 v4, v1, v2, vcc
	v_mov_b32_e32 v1, s25
	s_and_b32 s14, s75, 0xff
	v_add_co_u32_e32 v0, vcc, s24, v0
	s_cmp_lt_i32 s14, 11
	v_addc_co_u32_e32 v1, vcc, 0, v1, vcc
	s_cbranch_scc1 .LBB111_33
; %bb.26:
	s_and_b32 s15, 0xffff, s14
	s_cmp_gt_i32 s15, 25
	s_cbranch_scc0 .LBB111_36
; %bb.27:
	s_cmp_gt_i32 s15, 28
	s_cbranch_scc0 .LBB111_38
; %bb.28:
	;; [unrolled: 3-line block ×4, first 2 shown]
	s_mov_b64 s[10:11], 0
	s_mov_b64 s[0:1], -1
	s_cmp_eq_u32 s15, 46
	s_mov_b64 s[8:9], 0
	s_cbranch_scc0 .LBB111_47
; %bb.31:
	v_cvt_f32_i32_sdwa v2, sext(v4) dst_sel:DWORD dst_unused:UNUSED_PAD src0_sel:WORD_0
	s_movk_i32 s0, 0x7fff
	s_mov_b64 s[8:9], -1
	v_bfe_u32 v3, v2, 16, 1
	v_add3_u32 v2, v2, v3, s0
	v_lshrrev_b32_e32 v2, 16, v2
	global_store_dword v[0:1], v2, off
	s_mov_b64 s[0:1], 0
	s_branch .LBB111_47
.LBB111_32:
	s_mov_b64 s[2:3], 0
	s_mov_b64 s[0:1], 0
                                        ; implicit-def: $vgpr3
	s_cbranch_execnz .LBB111_179
	s_branch .LBB111_211
.LBB111_33:
	s_mov_b64 s[0:1], 0
	s_mov_b64 s[8:9], 0
	s_cbranch_execnz .LBB111_116
.LBB111_34:
	s_andn2_b64 vcc, exec, s[8:9]
	s_cbranch_vccnz .LBB111_260
	s_branch .LBB111_154
.LBB111_35:
	s_mov_b64 s[8:9], -1
	s_mov_b64 s[2:3], 0
	s_mov_b64 s[0:1], 0
                                        ; implicit-def: $vgpr3
	s_branch .LBB111_162
.LBB111_36:
	s_mov_b64 s[10:11], -1
	s_mov_b64 s[0:1], 0
	s_mov_b64 s[8:9], 0
	s_branch .LBB111_74
.LBB111_37:
	s_mov_b64 s[8:9], -1
	s_mov_b64 s[2:3], 0
	s_mov_b64 s[0:1], 0
                                        ; implicit-def: $vgpr3
	s_branch .LBB111_157
.LBB111_38:
	s_mov_b64 s[10:11], -1
	s_mov_b64 s[0:1], 0
	s_mov_b64 s[8:9], 0
	s_branch .LBB111_57
.LBB111_39:
	s_mov_b64 s[8:9], -1
	s_mov_b64 s[2:3], 0
	s_branch .LBB111_42
.LBB111_40:
	s_mov_b64 s[10:11], -1
	s_mov_b64 s[0:1], 0
	s_mov_b64 s[8:9], 0
	s_branch .LBB111_53
.LBB111_41:
	s_mov_b64 s[2:3], -1
.LBB111_42:
	s_mov_b64 s[0:1], 0
                                        ; implicit-def: $vgpr3
.LBB111_43:
	s_and_b64 vcc, exec, s[8:9]
	s_cbranch_vccz .LBB111_156
; %bb.44:
	s_cmp_eq_u32 s10, 44
	s_cbranch_scc0 .LBB111_155
; %bb.45:
	global_load_ubyte v3, v[1:2], off
	s_mov_b64 s[0:1], -1
	s_mov_b64 s[2:3], 0
	s_waitcnt vmcnt(0)
	v_lshlrev_b32_e32 v4, 23, v3
	v_cvt_i32_f32_e32 v4, v4
	v_cmp_ne_u32_e32 vcc, 0, v3
	v_cndmask_b32_e32 v3, 0, v4, vcc
	s_branch .LBB111_156
.LBB111_46:
	s_mov_b64 s[10:11], -1
	s_mov_b64 s[0:1], 0
	s_mov_b64 s[8:9], 0
.LBB111_47:
	s_and_b64 vcc, exec, s[10:11]
	s_cbranch_vccz .LBB111_52
; %bb.48:
	s_cmp_eq_u32 s15, 44
	s_mov_b64 s[0:1], -1
	s_cbranch_scc0 .LBB111_52
; %bb.49:
	v_cvt_f32_i32_sdwa v2, sext(v4) dst_sel:DWORD dst_unused:UNUSED_PAD src0_sel:WORD_0
	s_movk_i32 s0, 0xff
	v_mov_b32_e32 v5, 0xff
	v_bfe_u32 v3, v2, 23, 8
	v_cmp_ne_u32_e32 vcc, s0, v3
	s_and_saveexec_b64 s[8:9], vcc
; %bb.50:
	s_mov_b32 s0, 0x3fffff
	v_lshrrev_b32_e32 v5, 23, v2
	v_and_b32_e32 v6, 0x400000, v2
	v_and_or_b32 v2, v2, s0, v3
	v_cmp_ne_u32_e32 vcc, 0, v6
	v_cmp_ne_u32_e64 s[0:1], 0, v2
	s_and_b64 s[0:1], vcc, s[0:1]
	v_cndmask_b32_e64 v2, 0, 1, s[0:1]
	v_add_u32_e32 v5, v5, v2
; %bb.51:
	s_or_b64 exec, exec, s[8:9]
	s_mov_b64 s[8:9], -1
	s_mov_b64 s[0:1], 0
	global_store_byte v[0:1], v5, off
.LBB111_52:
	s_mov_b64 s[10:11], 0
.LBB111_53:
	s_and_b64 vcc, exec, s[10:11]
	s_cbranch_vccz .LBB111_56
; %bb.54:
	s_cmp_eq_u32 s15, 29
	s_mov_b64 s[0:1], -1
	s_cbranch_scc0 .LBB111_56
; %bb.55:
	v_bfe_i32 v2, v4, 0, 16
	v_ashrrev_i32_e32 v3, 31, v2
	global_store_dwordx2 v[0:1], v[2:3], off
	s_mov_b64 s[8:9], -1
	s_mov_b64 s[0:1], 0
.LBB111_56:
	s_mov_b64 s[10:11], 0
.LBB111_57:
	s_and_b64 vcc, exec, s[10:11]
	s_cbranch_vccz .LBB111_73
; %bb.58:
	s_cmp_lt_i32 s15, 27
	s_mov_b64 s[8:9], -1
	s_cbranch_scc1 .LBB111_64
; %bb.59:
	s_cmp_gt_i32 s15, 27
	s_cbranch_scc0 .LBB111_61
; %bb.60:
	v_bfe_i32 v2, v4, 0, 16
	s_mov_b64 s[8:9], 0
	global_store_dword v[0:1], v2, off
.LBB111_61:
	s_andn2_b64 vcc, exec, s[8:9]
	s_cbranch_vccnz .LBB111_63
; %bb.62:
	global_store_short v[0:1], v4, off
.LBB111_63:
	s_mov_b64 s[8:9], 0
.LBB111_64:
	s_andn2_b64 vcc, exec, s[8:9]
	s_cbranch_vccnz .LBB111_72
; %bb.65:
	v_cvt_f32_i32_sdwa v2, sext(v4) dst_sel:DWORD dst_unused:UNUSED_PAD src0_sel:WORD_0
	s_mov_b32 s8, 0x43800000
	v_mov_b32_e32 v5, 0x80
	v_and_b32_e32 v3, 0x7fffffff, v2
	v_cmp_gt_u32_e32 vcc, s8, v3
	s_and_saveexec_b64 s[8:9], vcc
	s_cbranch_execz .LBB111_71
; %bb.66:
	s_mov_b32 s10, 0x3bffffff
	v_cmp_lt_u32_e32 vcc, s10, v3
	s_mov_b64 s[10:11], 0
                                        ; implicit-def: $vgpr3
	s_and_saveexec_b64 s[12:13], vcc
	s_xor_b64 s[12:13], exec, s[12:13]
	s_cbranch_execz .LBB111_303
; %bb.67:
	v_bfe_u32 v3, v2, 20, 1
	s_mov_b32 s16, 0x487ffff
	v_add3_u32 v3, v2, v3, s16
	s_mov_b64 s[10:11], exec
	v_lshrrev_b32_e32 v3, 20, v3
	s_andn2_saveexec_b64 s[12:13], s[12:13]
	s_cbranch_execnz .LBB111_304
.LBB111_68:
	s_or_b64 exec, exec, s[12:13]
	v_mov_b32_e32 v5, 0
	s_and_saveexec_b64 s[12:13], s[10:11]
.LBB111_69:
	v_lshrrev_b32_e32 v2, 24, v2
	s_movk_i32 s10, 0x80
	v_and_or_b32 v5, v2, s10, v3
.LBB111_70:
	s_or_b64 exec, exec, s[12:13]
.LBB111_71:
	s_or_b64 exec, exec, s[8:9]
	global_store_byte v[0:1], v5, off
.LBB111_72:
	s_mov_b64 s[8:9], -1
.LBB111_73:
	s_mov_b64 s[10:11], 0
.LBB111_74:
	s_and_b64 vcc, exec, s[10:11]
	s_cbranch_vccz .LBB111_115
; %bb.75:
	s_cmp_gt_i32 s15, 22
	s_mov_b64 s[10:11], -1
	s_cbranch_scc0 .LBB111_107
; %bb.76:
	s_cmp_lt_i32 s15, 24
	s_mov_b64 s[8:9], -1
	s_cbranch_scc1 .LBB111_96
; %bb.77:
	s_cmp_gt_i32 s15, 24
	s_cbranch_scc0 .LBB111_85
; %bb.78:
	v_cvt_f32_i32_sdwa v2, sext(v4) dst_sel:DWORD dst_unused:UNUSED_PAD src0_sel:WORD_0
	s_mov_b32 s8, 0x47800000
	v_mov_b32_e32 v5, 0x80
	v_and_b32_e32 v3, 0x7fffffff, v2
	v_cmp_gt_u32_e32 vcc, s8, v3
	s_and_saveexec_b64 s[8:9], vcc
	s_cbranch_execz .LBB111_84
; %bb.79:
	s_mov_b32 s10, 0x37ffffff
	v_cmp_lt_u32_e32 vcc, s10, v3
	s_mov_b64 s[10:11], 0
                                        ; implicit-def: $vgpr3
	s_and_saveexec_b64 s[12:13], vcc
	s_xor_b64 s[12:13], exec, s[12:13]
	s_cbranch_execz .LBB111_307
; %bb.80:
	v_bfe_u32 v3, v2, 21, 1
	s_mov_b32 s16, 0x88fffff
	v_add3_u32 v3, v2, v3, s16
	s_mov_b64 s[10:11], exec
	v_lshrrev_b32_e32 v3, 21, v3
	s_andn2_saveexec_b64 s[12:13], s[12:13]
	s_cbranch_execnz .LBB111_308
.LBB111_81:
	s_or_b64 exec, exec, s[12:13]
	v_mov_b32_e32 v5, 0
	s_and_saveexec_b64 s[12:13], s[10:11]
.LBB111_82:
	v_lshrrev_b32_e32 v2, 24, v2
	s_movk_i32 s10, 0x80
	v_and_or_b32 v5, v2, s10, v3
.LBB111_83:
	s_or_b64 exec, exec, s[12:13]
.LBB111_84:
	s_or_b64 exec, exec, s[8:9]
	s_mov_b64 s[8:9], 0
	global_store_byte v[0:1], v5, off
.LBB111_85:
	s_and_b64 vcc, exec, s[8:9]
	s_cbranch_vccz .LBB111_95
; %bb.86:
	v_cvt_f32_i32_sdwa v2, sext(v4) dst_sel:DWORD dst_unused:UNUSED_PAD src0_sel:WORD_0
	s_mov_b32 s8, 0x43f00000
                                        ; implicit-def: $vgpr3
	v_and_b32_e32 v5, 0x7fffffff, v2
	v_cmp_gt_u32_e32 vcc, s8, v5
	s_and_saveexec_b64 s[8:9], vcc
	s_xor_b64 s[8:9], exec, s[8:9]
	s_cbranch_execz .LBB111_92
; %bb.87:
	s_mov_b32 s10, 0x3c7fffff
	v_cmp_lt_u32_e32 vcc, s10, v5
                                        ; implicit-def: $vgpr3
	s_and_saveexec_b64 s[10:11], vcc
	s_xor_b64 s[10:11], exec, s[10:11]
; %bb.88:
	v_bfe_u32 v3, v2, 20, 1
	s_mov_b32 s12, 0x407ffff
	v_add3_u32 v3, v2, v3, s12
	v_lshrrev_b32_e32 v5, 20, v3
	v_and_b32_e32 v3, 0xff00000, v3
	s_mov_b32 s12, 0x7f00000
	v_mov_b32_e32 v6, 0x7e
	v_cmp_ne_u32_e32 vcc, s12, v3
	v_cndmask_b32_e32 v3, v6, v5, vcc
; %bb.89:
	s_andn2_saveexec_b64 s[10:11], s[10:11]
; %bb.90:
	s_mov_b32 s12, 0x46800000
	v_add_f32_e64 v3, |v2|, s12
; %bb.91:
	s_or_b64 exec, exec, s[10:11]
                                        ; implicit-def: $vgpr5
.LBB111_92:
	s_andn2_saveexec_b64 s[8:9], s[8:9]
; %bb.93:
	s_mov_b32 s10, 0x7f800000
	v_mov_b32_e32 v3, 0x7e
	v_mov_b32_e32 v6, 0x7f
	v_cmp_lt_u32_e32 vcc, s10, v5
	v_cndmask_b32_e32 v3, v3, v6, vcc
; %bb.94:
	s_or_b64 exec, exec, s[8:9]
	v_lshrrev_b32_e32 v2, 24, v2
	s_movk_i32 s8, 0x80
	v_and_or_b32 v2, v2, s8, v3
	global_store_byte v[0:1], v2, off
.LBB111_95:
	s_mov_b64 s[8:9], 0
.LBB111_96:
	s_andn2_b64 vcc, exec, s[8:9]
	s_cbranch_vccnz .LBB111_106
; %bb.97:
	v_cvt_f32_i32_sdwa v2, sext(v4) dst_sel:DWORD dst_unused:UNUSED_PAD src0_sel:WORD_0
	s_mov_b32 s8, 0x47800000
                                        ; implicit-def: $vgpr3
	v_and_b32_e32 v5, 0x7fffffff, v2
	v_cmp_gt_u32_e32 vcc, s8, v5
	s_and_saveexec_b64 s[8:9], vcc
	s_xor_b64 s[8:9], exec, s[8:9]
	s_cbranch_execz .LBB111_103
; %bb.98:
	s_mov_b32 s10, 0x387fffff
	v_cmp_lt_u32_e32 vcc, s10, v5
                                        ; implicit-def: $vgpr3
	s_and_saveexec_b64 s[10:11], vcc
	s_xor_b64 s[10:11], exec, s[10:11]
; %bb.99:
	v_bfe_u32 v3, v2, 21, 1
	s_mov_b32 s12, 0x80fffff
	v_add3_u32 v3, v2, v3, s12
	v_lshrrev_b32_e32 v3, 21, v3
; %bb.100:
	s_andn2_saveexec_b64 s[10:11], s[10:11]
; %bb.101:
	s_mov_b32 s12, 0x43000000
	v_add_f32_e64 v3, |v2|, s12
; %bb.102:
	s_or_b64 exec, exec, s[10:11]
                                        ; implicit-def: $vgpr5
.LBB111_103:
	s_andn2_saveexec_b64 s[8:9], s[8:9]
; %bb.104:
	s_mov_b32 s10, 0x7f800000
	v_mov_b32_e32 v3, 0x7c
	v_mov_b32_e32 v6, 0x7f
	v_cmp_lt_u32_e32 vcc, s10, v5
	v_cndmask_b32_e32 v3, v3, v6, vcc
; %bb.105:
	s_or_b64 exec, exec, s[8:9]
	v_lshrrev_b32_e32 v2, 24, v2
	s_movk_i32 s8, 0x80
	v_and_or_b32 v2, v2, s8, v3
	global_store_byte v[0:1], v2, off
.LBB111_106:
	s_mov_b64 s[10:11], 0
	s_mov_b64 s[8:9], -1
.LBB111_107:
	s_andn2_b64 vcc, exec, s[10:11]
	s_cbranch_vccnz .LBB111_115
; %bb.108:
	s_cmp_gt_i32 s15, 14
	s_mov_b64 s[10:11], -1
	s_cbranch_scc0 .LBB111_112
; %bb.109:
	s_cmp_eq_u32 s15, 15
	s_mov_b64 s[0:1], -1
	s_cbranch_scc0 .LBB111_111
; %bb.110:
	v_cvt_f32_i32_sdwa v2, sext(v4) dst_sel:DWORD dst_unused:UNUSED_PAD src0_sel:WORD_0
	s_movk_i32 s0, 0x7fff
	s_mov_b64 s[8:9], -1
	v_bfe_u32 v3, v2, 16, 1
	v_add3_u32 v2, v2, v3, s0
	global_store_short_d16_hi v[0:1], v2, off
	s_mov_b64 s[0:1], 0
.LBB111_111:
	s_mov_b64 s[10:11], 0
.LBB111_112:
	s_and_b64 vcc, exec, s[10:11]
	s_cbranch_vccz .LBB111_115
; %bb.113:
	s_cmp_eq_u32 s15, 11
	s_mov_b64 s[0:1], -1
	s_cbranch_scc0 .LBB111_115
; %bb.114:
	v_cmp_ne_u16_e32 vcc, 0, v4
	v_cndmask_b32_e64 v2, 0, 1, vcc
	s_mov_b64 s[8:9], -1
	s_mov_b64 s[0:1], 0
	global_store_byte v[0:1], v2, off
.LBB111_115:
	s_branch .LBB111_34
.LBB111_116:
	s_and_b32 s10, 0xffff, s14
	s_cmp_lt_i32 s10, 5
	s_mov_b64 s[8:9], -1
	s_cbranch_scc1 .LBB111_137
; %bb.117:
	s_cmp_lt_i32 s10, 8
	s_cbranch_scc1 .LBB111_127
; %bb.118:
	s_cmp_lt_i32 s10, 9
	s_cbranch_scc1 .LBB111_124
; %bb.119:
	s_cmp_gt_i32 s10, 9
	s_cbranch_scc0 .LBB111_121
; %bb.120:
	v_bfe_i32 v2, v4, 0, 16
	v_cvt_f64_i32_e32 v[9:10], v2
	v_mov_b32_e32 v11, 0
	v_mov_b32_e32 v12, v11
	s_mov_b64 s[8:9], 0
	global_store_dwordx4 v[0:1], v[9:12], off
.LBB111_121:
	s_andn2_b64 vcc, exec, s[8:9]
	s_cbranch_vccnz .LBB111_123
; %bb.122:
	v_cvt_f32_i32_sdwa v2, sext(v4) dst_sel:DWORD dst_unused:UNUSED_PAD src0_sel:WORD_0
	v_mov_b32_e32 v3, 0
	global_store_dwordx2 v[0:1], v[2:3], off
.LBB111_123:
	s_mov_b64 s[8:9], 0
.LBB111_124:
	s_andn2_b64 vcc, exec, s[8:9]
	s_cbranch_vccnz .LBB111_126
; %bb.125:
	v_cvt_f16_i16_e32 v2, v4
	global_store_dword v[0:1], v2, off
.LBB111_126:
	s_mov_b64 s[8:9], 0
.LBB111_127:
	s_andn2_b64 vcc, exec, s[8:9]
	s_cbranch_vccnz .LBB111_136
; %bb.128:
	s_cmp_lt_i32 s10, 6
	s_mov_b64 s[8:9], -1
	s_cbranch_scc1 .LBB111_134
; %bb.129:
	s_cmp_gt_i32 s10, 6
	s_cbranch_scc0 .LBB111_131
; %bb.130:
	v_bfe_i32 v2, v4, 0, 16
	v_cvt_f64_i32_e32 v[2:3], v2
	s_mov_b64 s[8:9], 0
	global_store_dwordx2 v[0:1], v[2:3], off
.LBB111_131:
	s_andn2_b64 vcc, exec, s[8:9]
	s_cbranch_vccnz .LBB111_133
; %bb.132:
	v_cvt_f32_i32_sdwa v2, sext(v4) dst_sel:DWORD dst_unused:UNUSED_PAD src0_sel:WORD_0
	global_store_dword v[0:1], v2, off
.LBB111_133:
	s_mov_b64 s[8:9], 0
.LBB111_134:
	s_andn2_b64 vcc, exec, s[8:9]
	s_cbranch_vccnz .LBB111_136
; %bb.135:
	v_cvt_f16_i16_e32 v2, v4
	global_store_short v[0:1], v2, off
.LBB111_136:
	s_mov_b64 s[8:9], 0
.LBB111_137:
	s_andn2_b64 vcc, exec, s[8:9]
	s_cbranch_vccnz .LBB111_153
; %bb.138:
	s_cmp_lt_i32 s10, 2
	s_mov_b64 s[8:9], -1
	s_cbranch_scc1 .LBB111_148
; %bb.139:
	s_cmp_lt_i32 s10, 3
	s_cbranch_scc1 .LBB111_145
; %bb.140:
	s_cmp_gt_i32 s10, 3
	v_bfe_i32 v2, v4, 0, 16
	s_cbranch_scc0 .LBB111_142
; %bb.141:
	v_ashrrev_i32_e32 v3, 31, v2
	global_store_dwordx2 v[0:1], v[2:3], off
	s_mov_b64 s[8:9], 0
.LBB111_142:
	s_andn2_b64 vcc, exec, s[8:9]
	s_cbranch_vccnz .LBB111_144
; %bb.143:
	global_store_dword v[0:1], v2, off
.LBB111_144:
	s_mov_b64 s[8:9], 0
.LBB111_145:
	s_andn2_b64 vcc, exec, s[8:9]
	s_cbranch_vccnz .LBB111_147
; %bb.146:
	global_store_short v[0:1], v4, off
.LBB111_147:
	s_mov_b64 s[8:9], 0
.LBB111_148:
	s_andn2_b64 vcc, exec, s[8:9]
	s_cbranch_vccnz .LBB111_153
; %bb.149:
	s_cmp_gt_i32 s10, 0
	s_mov_b64 s[8:9], -1
	s_cbranch_scc0 .LBB111_151
; %bb.150:
	global_store_byte v[0:1], v4, off
	s_mov_b64 s[8:9], 0
.LBB111_151:
	s_andn2_b64 vcc, exec, s[8:9]
	s_cbranch_vccnz .LBB111_153
; %bb.152:
	global_store_byte v[0:1], v4, off
.LBB111_153:
.LBB111_154:
	v_add_u32_e32 v8, 0x80, v8
	s_mov_b64 s[8:9], -1
	s_branch .LBB111_261
.LBB111_155:
	s_mov_b64 s[2:3], -1
                                        ; implicit-def: $vgpr3
.LBB111_156:
	s_mov_b64 s[8:9], 0
.LBB111_157:
	s_and_b64 vcc, exec, s[8:9]
	s_cbranch_vccz .LBB111_161
; %bb.158:
	s_cmp_eq_u32 s10, 29
	s_cbranch_scc0 .LBB111_160
; %bb.159:
	global_load_dwordx2 v[3:4], v[1:2], off
	s_mov_b64 s[0:1], -1
	s_mov_b64 s[2:3], 0
	s_branch .LBB111_161
.LBB111_160:
	s_mov_b64 s[2:3], -1
                                        ; implicit-def: $vgpr3
.LBB111_161:
	s_mov_b64 s[8:9], 0
.LBB111_162:
	s_and_b64 vcc, exec, s[8:9]
	s_cbranch_vccz .LBB111_178
; %bb.163:
	s_cmp_lt_i32 s10, 27
	s_cbranch_scc1 .LBB111_166
; %bb.164:
	s_cmp_gt_i32 s10, 27
	s_cbranch_scc0 .LBB111_167
; %bb.165:
	global_load_dword v3, v[1:2], off
	s_mov_b64 s[0:1], 0
	s_branch .LBB111_168
.LBB111_166:
	s_mov_b64 s[0:1], -1
                                        ; implicit-def: $vgpr3
	s_branch .LBB111_171
.LBB111_167:
	s_mov_b64 s[0:1], -1
                                        ; implicit-def: $vgpr3
.LBB111_168:
	s_andn2_b64 vcc, exec, s[0:1]
	s_cbranch_vccnz .LBB111_170
; %bb.169:
	global_load_ushort v3, v[1:2], off
.LBB111_170:
	s_mov_b64 s[0:1], 0
.LBB111_171:
	s_andn2_b64 vcc, exec, s[0:1]
	s_cbranch_vccnz .LBB111_177
; %bb.172:
	global_load_ubyte v4, v[1:2], off
	s_movk_i32 s0, 0x7f
	s_mov_b64 s[8:9], 0
	s_waitcnt vmcnt(0)
	v_cmp_lt_i16_e32 vcc, s0, v4
	s_and_saveexec_b64 s[0:1], vcc
	s_xor_b64 s[0:1], exec, s[0:1]
	s_cbranch_execz .LBB111_188
; %bb.173:
	s_movk_i32 s8, 0x80
	v_cmp_ne_u16_e32 vcc, s8, v4
	s_and_b64 s[8:9], vcc, exec
	s_andn2_saveexec_b64 s[0:1], s[0:1]
	s_cbranch_execnz .LBB111_189
.LBB111_174:
	s_or_b64 exec, exec, s[0:1]
	v_mov_b32_e32 v3, 0
	s_and_saveexec_b64 s[0:1], s[8:9]
	s_cbranch_execz .LBB111_176
.LBB111_175:
	v_lshlrev_b32_e32 v3, 24, v4
	v_and_b32_e32 v4, 0xffff, v4
	v_and_b32_e32 v5, 7, v4
	v_ffbh_u32_e32 v7, v5
	v_min_u32_e32 v7, 32, v7
	v_subrev_u32_e32 v9, 28, v7
	v_bfe_u32 v6, v4, 3, 4
	v_lshlrev_b32_e32 v4, v9, v4
	v_sub_u32_e32 v7, 29, v7
	v_and_b32_e32 v4, 7, v4
	v_cmp_eq_u32_e32 vcc, 0, v6
	v_cndmask_b32_e32 v6, v6, v7, vcc
	v_cndmask_b32_e32 v4, v5, v4, vcc
	v_mov_b32_e32 v5, 0x3b800000
	v_lshlrev_b32_e32 v4, 20, v4
	v_and_b32_e32 v3, 0x80000000, v3
	v_lshl_add_u32 v5, v6, 23, v5
	v_or3_b32 v3, v3, v5, v4
	v_cvt_i32_f32_e32 v3, v3
.LBB111_176:
	s_or_b64 exec, exec, s[0:1]
.LBB111_177:
	s_mov_b64 s[0:1], -1
.LBB111_178:
	s_branch .LBB111_211
.LBB111_179:
	s_cmp_gt_i32 s10, 22
	s_cbranch_scc0 .LBB111_187
; %bb.180:
	s_cmp_lt_i32 s10, 24
	s_cbranch_scc1 .LBB111_190
; %bb.181:
	s_cmp_gt_i32 s10, 24
	s_cbranch_scc0 .LBB111_191
; %bb.182:
	global_load_ubyte v4, v[1:2], off
	s_movk_i32 s0, 0x7f
	s_mov_b64 s[8:9], 0
	s_waitcnt vmcnt(0)
	v_cmp_lt_i16_e32 vcc, s0, v4
	s_and_saveexec_b64 s[0:1], vcc
	s_xor_b64 s[0:1], exec, s[0:1]
	s_cbranch_execz .LBB111_203
; %bb.183:
	s_movk_i32 s8, 0x80
	v_cmp_ne_u16_e32 vcc, s8, v4
	s_and_b64 s[8:9], vcc, exec
	s_andn2_saveexec_b64 s[0:1], s[0:1]
	s_cbranch_execnz .LBB111_204
.LBB111_184:
	s_or_b64 exec, exec, s[0:1]
	v_mov_b32_e32 v3, 0
	s_and_saveexec_b64 s[0:1], s[8:9]
	s_cbranch_execz .LBB111_186
.LBB111_185:
	v_lshlrev_b32_e32 v3, 24, v4
	v_and_b32_e32 v4, 0xffff, v4
	v_and_b32_e32 v5, 3, v4
	v_ffbh_u32_e32 v7, v5
	v_min_u32_e32 v7, 32, v7
	v_subrev_u32_e32 v9, 29, v7
	v_bfe_u32 v6, v4, 2, 5
	v_lshlrev_b32_e32 v4, v9, v4
	v_sub_u32_e32 v7, 30, v7
	v_and_b32_e32 v4, 3, v4
	v_cmp_eq_u32_e32 vcc, 0, v6
	v_cndmask_b32_e32 v6, v6, v7, vcc
	v_cndmask_b32_e32 v4, v5, v4, vcc
	v_mov_b32_e32 v5, 0x37800000
	v_lshlrev_b32_e32 v4, 21, v4
	v_and_b32_e32 v3, 0x80000000, v3
	v_lshl_add_u32 v5, v6, 23, v5
	v_or3_b32 v3, v3, v5, v4
	v_cvt_i32_f32_e32 v3, v3
.LBB111_186:
	s_or_b64 exec, exec, s[0:1]
	s_mov_b64 s[0:1], 0
	s_branch .LBB111_192
.LBB111_187:
	s_mov_b64 s[8:9], -1
                                        ; implicit-def: $vgpr3
	s_branch .LBB111_198
.LBB111_188:
	s_andn2_saveexec_b64 s[0:1], s[0:1]
	s_cbranch_execz .LBB111_174
.LBB111_189:
	v_cmp_ne_u16_e32 vcc, 0, v4
	s_andn2_b64 s[8:9], s[8:9], exec
	s_and_b64 s[12:13], vcc, exec
	s_or_b64 s[8:9], s[8:9], s[12:13]
	s_or_b64 exec, exec, s[0:1]
	v_mov_b32_e32 v3, 0
	s_and_saveexec_b64 s[0:1], s[8:9]
	s_cbranch_execnz .LBB111_175
	s_branch .LBB111_176
.LBB111_190:
	s_mov_b64 s[0:1], -1
                                        ; implicit-def: $vgpr3
	s_branch .LBB111_195
.LBB111_191:
	s_mov_b64 s[0:1], -1
                                        ; implicit-def: $vgpr3
.LBB111_192:
	s_and_b64 vcc, exec, s[0:1]
	s_cbranch_vccz .LBB111_194
; %bb.193:
	global_load_ubyte v3, v[1:2], off
	s_mov_b32 s0, 0x7f800000
	s_waitcnt vmcnt(0)
	v_lshlrev_b32_e32 v3, 24, v3
	v_and_b32_e32 v4, 0x7f000000, v3
	v_ffbh_u32_e32 v5, v4
	v_min_u32_e32 v5, 32, v5
	v_sub_u32_e64 v5, v5, 4 clamp
	v_lshlrev_b32_e32 v7, v5, v4
	v_lshlrev_b32_e32 v5, 23, v5
	v_lshrrev_b32_e32 v7, 4, v7
	v_add_u32_e32 v6, 0x1000000, v4
	v_sub_u32_e32 v5, v7, v5
	v_ashrrev_i32_e32 v6, 8, v6
	v_add_u32_e32 v5, 0x3c000000, v5
	v_and_or_b32 v5, v6, s0, v5
	v_cmp_ne_u32_e32 vcc, 0, v4
	v_cndmask_b32_e32 v4, 0, v5, vcc
	s_brev_b32 s0, 1
	v_and_or_b32 v3, v3, s0, v4
	v_cvt_i32_f32_e32 v3, v3
.LBB111_194:
	s_mov_b64 s[0:1], 0
.LBB111_195:
	s_andn2_b64 vcc, exec, s[0:1]
	s_cbranch_vccnz .LBB111_197
; %bb.196:
	global_load_ubyte v3, v[1:2], off
	s_movk_i32 s0, 0x7f00
	s_brev_b32 s1, 16
	s_waitcnt vmcnt(0)
	v_lshlrev_b16_e32 v4, 8, v3
	v_lshlrev_b32_e32 v3, 25, v3
	v_lshrrev_b32_e32 v5, 4, v3
	v_and_or_b32 v6, v4, s0, 0.5
	v_or_b32_e32 v5, 0x70000000, v5
	v_add_f32_e32 v6, -0.5, v6
	v_mul_f32_e32 v5, 0x7800000, v5
	v_cmp_gt_u32_e32 vcc, s1, v3
	v_bfe_i32 v4, v4, 0, 16
	v_cndmask_b32_e32 v3, v5, v6, vcc
	s_brev_b32 s0, 1
	v_and_or_b32 v3, v4, s0, v3
	v_cvt_i32_f32_e32 v3, v3
.LBB111_197:
	s_mov_b64 s[8:9], 0
	s_mov_b64 s[0:1], -1
.LBB111_198:
	s_andn2_b64 vcc, exec, s[8:9]
	s_cbranch_vccnz .LBB111_211
; %bb.199:
	s_cmp_gt_i32 s10, 14
	s_cbranch_scc0 .LBB111_202
; %bb.200:
	s_cmp_eq_u32 s10, 15
	s_cbranch_scc0 .LBB111_205
; %bb.201:
	global_load_ushort v3, v[1:2], off
	s_mov_b64 s[0:1], -1
	s_mov_b64 s[2:3], 0
	s_waitcnt vmcnt(0)
	v_lshlrev_b32_e32 v3, 16, v3
	v_cvt_i32_f32_e32 v3, v3
	s_branch .LBB111_206
.LBB111_202:
	s_mov_b64 s[8:9], -1
                                        ; implicit-def: $vgpr3
	s_branch .LBB111_207
.LBB111_203:
	s_andn2_saveexec_b64 s[0:1], s[0:1]
	s_cbranch_execz .LBB111_184
.LBB111_204:
	v_cmp_ne_u16_e32 vcc, 0, v4
	s_andn2_b64 s[8:9], s[8:9], exec
	s_and_b64 s[12:13], vcc, exec
	s_or_b64 s[8:9], s[8:9], s[12:13]
	s_or_b64 exec, exec, s[0:1]
	v_mov_b32_e32 v3, 0
	s_and_saveexec_b64 s[0:1], s[8:9]
	s_cbranch_execnz .LBB111_185
	s_branch .LBB111_186
.LBB111_205:
	s_mov_b64 s[2:3], -1
                                        ; implicit-def: $vgpr3
.LBB111_206:
	s_mov_b64 s[8:9], 0
.LBB111_207:
	s_and_b64 vcc, exec, s[8:9]
	s_cbranch_vccz .LBB111_211
; %bb.208:
	s_cmp_eq_u32 s10, 11
	s_cbranch_scc0 .LBB111_210
; %bb.209:
	global_load_ubyte v3, v[1:2], off
	s_mov_b64 s[0:1], -1
	s_mov_b64 s[2:3], 0
	s_waitcnt vmcnt(0)
	v_cmp_ne_u16_e32 vcc, 0, v3
	v_cndmask_b32_e64 v3, 0, 1, vcc
	s_branch .LBB111_211
.LBB111_210:
	s_mov_b64 s[2:3], -1
                                        ; implicit-def: $vgpr3
.LBB111_211:
	s_branch .LBB111_24
.LBB111_212:
	s_cmp_lt_i32 s10, 5
	s_cbranch_scc1 .LBB111_217
; %bb.213:
	s_cmp_lt_i32 s10, 8
	s_cbranch_scc1 .LBB111_218
; %bb.214:
	;; [unrolled: 3-line block ×3, first 2 shown]
	s_cmp_gt_i32 s10, 9
	s_cbranch_scc0 .LBB111_220
; %bb.216:
	global_load_dwordx2 v[3:4], v[1:2], off
	s_mov_b64 s[0:1], 0
	s_waitcnt vmcnt(0)
	v_cvt_i32_f64_e32 v3, v[3:4]
	s_branch .LBB111_221
.LBB111_217:
                                        ; implicit-def: $vgpr3
	s_branch .LBB111_239
.LBB111_218:
	s_mov_b64 s[0:1], -1
                                        ; implicit-def: $vgpr3
	s_branch .LBB111_227
.LBB111_219:
	s_mov_b64 s[0:1], -1
                                        ; implicit-def: $vgpr3
	s_branch .LBB111_224
.LBB111_220:
	s_mov_b64 s[0:1], -1
                                        ; implicit-def: $vgpr3
.LBB111_221:
	s_andn2_b64 vcc, exec, s[0:1]
	s_cbranch_vccnz .LBB111_223
; %bb.222:
	global_load_dword v3, v[1:2], off
	s_waitcnt vmcnt(0)
	v_cvt_i32_f32_e32 v3, v3
.LBB111_223:
	s_mov_b64 s[0:1], 0
.LBB111_224:
	s_andn2_b64 vcc, exec, s[0:1]
	s_cbranch_vccnz .LBB111_226
; %bb.225:
	global_load_dword v3, v[1:2], off
	s_waitcnt vmcnt(0)
	v_cvt_i16_f16_e32 v3, v3
.LBB111_226:
	s_mov_b64 s[0:1], 0
.LBB111_227:
	s_andn2_b64 vcc, exec, s[0:1]
	s_cbranch_vccnz .LBB111_238
; %bb.228:
	s_cmp_lt_i32 s10, 6
	s_cbranch_scc1 .LBB111_231
; %bb.229:
	s_cmp_gt_i32 s10, 6
	s_cbranch_scc0 .LBB111_232
; %bb.230:
	global_load_dwordx2 v[3:4], v[1:2], off
	s_mov_b64 s[0:1], 0
	s_waitcnt vmcnt(0)
	v_cvt_i32_f64_e32 v3, v[3:4]
	s_branch .LBB111_233
.LBB111_231:
	s_mov_b64 s[0:1], -1
                                        ; implicit-def: $vgpr3
	s_branch .LBB111_236
.LBB111_232:
	s_mov_b64 s[0:1], -1
                                        ; implicit-def: $vgpr3
.LBB111_233:
	s_andn2_b64 vcc, exec, s[0:1]
	s_cbranch_vccnz .LBB111_235
; %bb.234:
	global_load_dword v3, v[1:2], off
	s_waitcnt vmcnt(0)
	v_cvt_i32_f32_e32 v3, v3
.LBB111_235:
	s_mov_b64 s[0:1], 0
.LBB111_236:
	s_andn2_b64 vcc, exec, s[0:1]
	s_cbranch_vccnz .LBB111_238
; %bb.237:
	global_load_ushort v3, v[1:2], off
	s_waitcnt vmcnt(0)
	v_cvt_i16_f16_e32 v3, v3
.LBB111_238:
	s_cbranch_execnz .LBB111_258
.LBB111_239:
	s_cmp_lt_i32 s10, 2
	s_cbranch_scc1 .LBB111_243
; %bb.240:
	s_cmp_lt_i32 s10, 3
	s_cbranch_scc1 .LBB111_244
; %bb.241:
	s_cmp_gt_i32 s10, 3
	s_cbranch_scc0 .LBB111_245
; %bb.242:
	global_load_dwordx2 v[3:4], v[1:2], off
	s_mov_b64 s[0:1], 0
	s_branch .LBB111_246
.LBB111_243:
	s_mov_b64 s[0:1], -1
                                        ; implicit-def: $vgpr3
	s_branch .LBB111_252
.LBB111_244:
	s_mov_b64 s[0:1], -1
                                        ; implicit-def: $vgpr3
	s_branch .LBB111_249
.LBB111_245:
	s_mov_b64 s[0:1], -1
                                        ; implicit-def: $vgpr3
.LBB111_246:
	s_andn2_b64 vcc, exec, s[0:1]
	s_cbranch_vccnz .LBB111_248
; %bb.247:
	global_load_dword v3, v[1:2], off
.LBB111_248:
	s_mov_b64 s[0:1], 0
.LBB111_249:
	s_andn2_b64 vcc, exec, s[0:1]
	s_cbranch_vccnz .LBB111_251
; %bb.250:
	global_load_ushort v3, v[1:2], off
.LBB111_251:
	s_mov_b64 s[0:1], 0
.LBB111_252:
	s_andn2_b64 vcc, exec, s[0:1]
	s_cbranch_vccnz .LBB111_258
; %bb.253:
	s_cmp_gt_i32 s10, 0
	s_cbranch_scc0 .LBB111_255
; %bb.254:
	global_load_sbyte v3, v[1:2], off
	s_mov_b64 s[0:1], 0
	s_branch .LBB111_256
.LBB111_255:
	s_mov_b64 s[0:1], -1
                                        ; implicit-def: $vgpr3
.LBB111_256:
	s_andn2_b64 vcc, exec, s[0:1]
	s_cbranch_vccnz .LBB111_258
; %bb.257:
	global_load_ubyte v3, v[1:2], off
.LBB111_258:
	s_branch .LBB111_25
.LBB111_259:
	s_mov_b64 s[0:1], 0
.LBB111_260:
	s_mov_b64 s[8:9], 0
                                        ; implicit-def: $vgpr8
.LBB111_261:
	s_and_b64 s[54:55], s[0:1], exec
	s_and_b64 s[56:57], s[2:3], exec
	s_orn2_b64 s[2:3], s[8:9], exec
.LBB111_262:
	s_or_b64 exec, exec, s[58:59]
	s_mov_b64 s[10:11], 0
	s_mov_b64 s[0:1], 0
                                        ; implicit-def: $vgpr1_vgpr2
                                        ; implicit-def: $vgpr0
                                        ; implicit-def: $vgpr3
	s_and_saveexec_b64 s[58:59], s[2:3]
	s_cbranch_execz .LBB111_269
; %bb.263:
	v_cmp_gt_i32_e32 vcc, s72, v8
	s_mov_b64 s[0:1], -1
	s_mov_b64 s[60:61], s[56:57]
	s_mov_b64 s[62:63], s[54:55]
	s_and_saveexec_b64 s[64:65], vcc
	s_cbranch_execz .LBB111_534
; %bb.264:
	s_andn2_b64 vcc, exec, s[40:41]
	s_cbranch_vccnz .LBB111_272
; %bb.265:
	s_andn2_b64 vcc, exec, s[52:53]
	s_cbranch_vccnz .LBB111_273
; %bb.266:
	s_add_i32 s67, s78, 1
	s_cmp_eq_u32 s74, 2
	s_cbranch_scc1 .LBB111_274
; %bb.267:
	s_and_b32 s66, s67, 28
	v_mov_b32_e32 v2, 0
	s_mov_b32 s68, 0
	s_mov_b64 s[60:61], s[34:35]
	s_mov_b64 s[62:63], s[50:51]
	v_mov_b32_e32 v0, 0
	v_mov_b32_e32 v1, v8
.LBB111_268:                            ; =>This Inner Loop Header: Depth=1
	s_load_dwordx8 s[16:23], s[60:61], 0x4
	s_load_dwordx4 s[0:3], s[60:61], 0x24
	s_load_dwordx8 s[8:15], s[62:63], 0x0
	s_add_u32 s60, s60, 48
	s_addc_u32 s61, s61, 0
	s_waitcnt vmcnt(0) lgkmcnt(0)
	v_mul_hi_u32 v3, s17, v1
	s_add_i32 s68, s68, 4
	s_add_u32 s62, s62, 32
	s_addc_u32 s63, s63, 0
	v_add_u32_e32 v3, v1, v3
	v_lshrrev_b32_e32 v3, s18, v3
	v_mul_lo_u32 v4, v3, s16
	v_mul_hi_u32 v5, s20, v3
	s_cmp_eq_u32 s66, s68
	v_sub_u32_e32 v1, v1, v4
	v_add_u32_e32 v4, v3, v5
	v_mul_lo_u32 v5, v1, s8
	v_mul_lo_u32 v6, v1, s9
	v_lshrrev_b32_e32 v1, s21, v4
	v_mul_lo_u32 v4, v1, s19
	v_mul_hi_u32 v7, s23, v1
	v_sub_u32_e32 v3, v3, v4
	v_add_u32_e32 v4, v1, v7
	v_lshrrev_b32_e32 v4, s0, v4
	v_mul_hi_u32 v9, s2, v4
	v_mul_lo_u32 v10, v4, s22
	v_mul_lo_u32 v7, v3, s10
	;; [unrolled: 1-line block ×3, first 2 shown]
	v_sub_u32_e32 v10, v1, v10
	v_add_u32_e32 v1, v4, v9
	v_lshrrev_b32_e32 v1, s3, v1
	v_mul_lo_u32 v9, v1, s1
	v_mul_lo_u32 v11, v10, s12
	;; [unrolled: 1-line block ×3, first 2 shown]
	v_add3_u32 v0, v5, v0, v7
	v_sub_u32_e32 v4, v4, v9
	v_mul_lo_u32 v9, v4, s14
	v_mul_lo_u32 v4, v4, s15
	v_add3_u32 v2, v6, v2, v3
	v_add3_u32 v0, v11, v0, v9
	;; [unrolled: 1-line block ×3, first 2 shown]
	s_cbranch_scc0 .LBB111_268
	s_branch .LBB111_275
.LBB111_269:
	s_or_b64 exec, exec, s[58:59]
	s_mov_b64 s[2:3], 0
	s_and_saveexec_b64 s[8:9], s[56:57]
	s_cbranch_execnz .LBB111_902
.LBB111_270:
	s_or_b64 exec, exec, s[8:9]
	s_and_saveexec_b64 s[8:9], s[62:63]
	s_xor_b64 s[8:9], exec, s[8:9]
	s_cbranch_execz .LBB111_903
.LBB111_271:
	global_load_ubyte v3, v[1:2], off
	s_or_b64 s[0:1], s[0:1], exec
	s_waitcnt vmcnt(0)
	v_cmp_ne_u16_e32 vcc, 0, v3
	v_cndmask_b32_e64 v3, 0, 1, vcc
	s_or_b64 exec, exec, s[8:9]
	s_and_saveexec_b64 s[8:9], s[10:11]
	s_cbranch_execz .LBB111_949
	s_branch .LBB111_904
.LBB111_272:
                                        ; implicit-def: $vgpr0
                                        ; implicit-def: $vgpr2
	s_andn2_b64 vcc, exec, s[0:1]
	s_cbranch_vccz .LBB111_279
	s_branch .LBB111_281
.LBB111_273:
	v_mov_b32_e32 v0, 0
	v_mov_b32_e32 v2, 0
	s_branch .LBB111_278
.LBB111_274:
	s_mov_b32 s66, 0
	v_mov_b32_e32 v0, 0
	v_mov_b32_e32 v2, 0
	;; [unrolled: 1-line block ×3, first 2 shown]
.LBB111_275:
	s_and_b32 s8, s67, 3
	s_cmp_eq_u32 s8, 0
	s_cbranch_scc1 .LBB111_278
; %bb.276:
	s_lshl_b32 s0, s66, 3
	s_add_u32 s0, s34, s0
	s_addc_u32 s1, s35, 0
	s_add_u32 s0, s0, 0xc4
	s_addc_u32 s1, s1, 0
	s_mul_i32 s2, s66, 12
	s_add_u32 s2, s34, s2
	s_addc_u32 s3, s35, 0
.LBB111_277:                            ; =>This Inner Loop Header: Depth=1
	s_load_dwordx2 s[10:11], s[2:3], 0x4
	s_load_dword s9, s[2:3], 0xc
	s_load_dwordx2 s[12:13], s[0:1], 0x0
	s_add_u32 s2, s2, 12
	s_addc_u32 s3, s3, 0
	s_waitcnt vmcnt(0) lgkmcnt(0)
	v_mul_hi_u32 v3, s11, v1
	s_add_u32 s0, s0, 8
	s_addc_u32 s1, s1, 0
	s_add_i32 s8, s8, -1
	v_add_u32_e32 v3, v1, v3
	v_lshrrev_b32_e32 v4, s9, v3
	v_mul_lo_u32 v3, v4, s10
	s_cmp_lg_u32 s8, 0
	v_sub_u32_e32 v3, v1, v3
	v_mad_u64_u32 v[0:1], s[10:11], v3, s12, v[0:1]
	v_mad_u64_u32 v[2:3], s[10:11], v3, s13, v[2:3]
	v_mov_b32_e32 v1, v4
	s_cbranch_scc1 .LBB111_277
.LBB111_278:
	s_cbranch_execnz .LBB111_281
.LBB111_279:
	v_mul_hi_u32 v0, s29, v8
	s_andn2_b64 vcc, exec, s[48:49]
	v_add_u32_e32 v0, v8, v0
	v_lshrrev_b32_e32 v1, s30, v0
	v_mul_lo_u32 v0, v1, s28
	v_sub_u32_e32 v2, v8, v0
	v_mul_lo_u32 v0, v2, s36
	v_mul_lo_u32 v2, v2, s37
	s_cbranch_vccnz .LBB111_281
; %bb.280:
	s_waitcnt vmcnt(0)
	v_mul_hi_u32 v3, s46, v1
	v_add_u32_e32 v3, v1, v3
	v_lshrrev_b32_e32 v3, s47, v3
	v_mul_lo_u32 v3, v3, s31
	v_sub_u32_e32 v3, v1, v3
	v_mad_u64_u32 v[0:1], s[0:1], v3, s38, v[0:1]
	v_mad_u64_u32 v[2:3], s[0:1], v3, s39, v[2:3]
.LBB111_281:
	s_waitcnt vmcnt(0)
	v_mov_b32_e32 v3, s27
	s_and_b32 s10, 0xffff, s77
	v_add_co_u32_e32 v1, vcc, s26, v2
	s_cmp_lt_i32 s10, 11
	v_addc_co_u32_e32 v2, vcc, 0, v3, vcc
	s_cbranch_scc1 .LBB111_288
; %bb.282:
	s_cmp_gt_i32 s10, 25
	s_cbranch_scc0 .LBB111_297
; %bb.283:
	s_cmp_gt_i32 s10, 28
	s_cbranch_scc0 .LBB111_299
	;; [unrolled: 3-line block ×4, first 2 shown]
; %bb.286:
	s_cmp_eq_u32 s10, 46
	s_mov_b64 s[8:9], 0
	s_cbranch_scc0 .LBB111_309
; %bb.287:
	global_load_dword v3, v[1:2], off
	s_mov_b64 s[0:1], -1
	s_mov_b64 s[2:3], 0
	s_waitcnt vmcnt(0)
	v_lshlrev_b32_e32 v3, 16, v3
	v_cvt_i32_f32_e32 v3, v3
	s_branch .LBB111_310
.LBB111_288:
	s_mov_b64 s[0:1], 0
                                        ; implicit-def: $vgpr3
	s_mov_b64 s[2:3], s[56:57]
	s_cbranch_execnz .LBB111_483
.LBB111_289:
	s_andn2_b64 vcc, exec, s[0:1]
	s_cbranch_vccnz .LBB111_531
.LBB111_290:
	v_mov_b32_e32 v1, s76
	v_mov_b32_e32 v2, s45
	s_waitcnt vmcnt(0)
	v_cmp_lt_i16_e32 vcc, s44, v3
	v_cndmask_b32_e32 v4, v1, v2, vcc
	v_mov_b32_e32 v1, s25
	s_and_b32 s14, s75, 0xff
	v_add_co_u32_e32 v0, vcc, s24, v0
	s_cmp_lt_i32 s14, 11
	v_addc_co_u32_e32 v1, vcc, 0, v1, vcc
	s_cbranch_scc1 .LBB111_298
; %bb.291:
	s_and_b32 s15, 0xffff, s14
	s_cmp_gt_i32 s15, 25
	s_cbranch_scc0 .LBB111_300
; %bb.292:
	s_cmp_gt_i32 s15, 28
	s_cbranch_scc0 .LBB111_302
; %bb.293:
	;; [unrolled: 3-line block ×4, first 2 shown]
	s_mov_b64 s[10:11], 0
	s_mov_b64 s[0:1], -1
	s_cmp_eq_u32 s15, 46
	s_mov_b64 s[8:9], 0
	s_cbranch_scc0 .LBB111_314
; %bb.296:
	v_cvt_f32_i32_sdwa v2, sext(v4) dst_sel:DWORD dst_unused:UNUSED_PAD src0_sel:WORD_0
	s_movk_i32 s0, 0x7fff
	s_mov_b64 s[8:9], -1
	v_bfe_u32 v3, v2, 16, 1
	v_add3_u32 v2, v2, v3, s0
	v_lshrrev_b32_e32 v2, 16, v2
	global_store_dword v[0:1], v2, off
	s_mov_b64 s[0:1], 0
	s_branch .LBB111_314
.LBB111_297:
	s_mov_b64 s[8:9], -1
	s_mov_b64 s[0:1], 0
	s_mov_b64 s[2:3], s[56:57]
                                        ; implicit-def: $vgpr3
	s_branch .LBB111_449
.LBB111_298:
	s_mov_b64 s[10:11], -1
	s_mov_b64 s[8:9], 0
	s_mov_b64 s[0:1], s[54:55]
	s_branch .LBB111_383
.LBB111_299:
	s_mov_b64 s[8:9], -1
	s_mov_b64 s[0:1], 0
	s_mov_b64 s[2:3], s[56:57]
                                        ; implicit-def: $vgpr3
	s_branch .LBB111_432
.LBB111_300:
	s_mov_b64 s[10:11], -1
	s_mov_b64 s[8:9], 0
	s_mov_b64 s[0:1], s[54:55]
	s_branch .LBB111_341
.LBB111_301:
	s_mov_b64 s[8:9], -1
	s_mov_b64 s[0:1], 0
	s_mov_b64 s[2:3], s[56:57]
                                        ; implicit-def: $vgpr3
	s_branch .LBB111_427
.LBB111_302:
	s_mov_b64 s[10:11], -1
	s_mov_b64 s[8:9], 0
	s_mov_b64 s[0:1], s[54:55]
	s_branch .LBB111_324
.LBB111_303:
	s_andn2_saveexec_b64 s[12:13], s[12:13]
	s_cbranch_execz .LBB111_68
.LBB111_304:
	s_mov_b32 s16, 0x46000000
	v_add_f32_e64 v3, |v2|, s16
	v_and_b32_e32 v3, 0xff, v3
	v_cmp_ne_u32_e32 vcc, 0, v3
	s_andn2_b64 s[10:11], s[10:11], exec
	s_and_b64 s[16:17], vcc, exec
	s_or_b64 s[10:11], s[10:11], s[16:17]
	s_or_b64 exec, exec, s[12:13]
	v_mov_b32_e32 v5, 0
	s_and_saveexec_b64 s[12:13], s[10:11]
	s_cbranch_execnz .LBB111_69
	s_branch .LBB111_70
.LBB111_305:
	s_mov_b64 s[8:9], -1
	s_mov_b64 s[0:1], 0
	s_mov_b64 s[2:3], s[56:57]
                                        ; implicit-def: $vgpr3
	s_branch .LBB111_310
.LBB111_306:
	s_mov_b64 s[10:11], -1
	s_mov_b64 s[8:9], 0
	s_mov_b64 s[0:1], s[54:55]
	s_branch .LBB111_320
.LBB111_307:
	s_andn2_saveexec_b64 s[12:13], s[12:13]
	s_cbranch_execz .LBB111_81
.LBB111_308:
	s_mov_b32 s16, 0x42800000
	v_add_f32_e64 v3, |v2|, s16
	v_and_b32_e32 v3, 0xff, v3
	v_cmp_ne_u32_e32 vcc, 0, v3
	s_andn2_b64 s[10:11], s[10:11], exec
	s_and_b64 s[16:17], vcc, exec
	s_or_b64 s[10:11], s[10:11], s[16:17]
	s_or_b64 exec, exec, s[12:13]
	v_mov_b32_e32 v5, 0
	s_and_saveexec_b64 s[12:13], s[10:11]
	s_cbranch_execnz .LBB111_82
	s_branch .LBB111_83
.LBB111_309:
	s_mov_b64 s[2:3], -1
                                        ; implicit-def: $vgpr3
	s_mov_b64 s[0:1], 0
.LBB111_310:
	s_and_b64 vcc, exec, s[8:9]
	s_cbranch_vccz .LBB111_426
; %bb.311:
	s_cmp_eq_u32 s10, 44
	s_cbranch_scc0 .LBB111_425
; %bb.312:
	global_load_ubyte v3, v[1:2], off
	s_mov_b64 s[0:1], -1
	s_mov_b64 s[2:3], 0
	s_waitcnt vmcnt(0)
	v_lshlrev_b32_e32 v4, 23, v3
	v_cvt_i32_f32_e32 v4, v4
	v_cmp_ne_u32_e32 vcc, 0, v3
	v_cndmask_b32_e32 v3, 0, v4, vcc
	s_branch .LBB111_426
.LBB111_313:
	s_mov_b64 s[10:11], -1
	s_mov_b64 s[8:9], 0
	s_mov_b64 s[0:1], s[54:55]
.LBB111_314:
	s_and_b64 vcc, exec, s[10:11]
	s_cbranch_vccz .LBB111_319
; %bb.315:
	s_cmp_eq_u32 s15, 44
	s_mov_b64 s[0:1], -1
	s_cbranch_scc0 .LBB111_319
; %bb.316:
	v_cvt_f32_i32_sdwa v2, sext(v4) dst_sel:DWORD dst_unused:UNUSED_PAD src0_sel:WORD_0
	s_movk_i32 s0, 0xff
	v_mov_b32_e32 v5, 0xff
	v_bfe_u32 v3, v2, 23, 8
	v_cmp_ne_u32_e32 vcc, s0, v3
	s_and_saveexec_b64 s[8:9], vcc
; %bb.317:
	s_mov_b32 s0, 0x3fffff
	v_lshrrev_b32_e32 v5, 23, v2
	v_and_b32_e32 v6, 0x400000, v2
	v_and_or_b32 v2, v2, s0, v3
	v_cmp_ne_u32_e32 vcc, 0, v6
	v_cmp_ne_u32_e64 s[0:1], 0, v2
	s_and_b64 s[0:1], vcc, s[0:1]
	v_cndmask_b32_e64 v2, 0, 1, s[0:1]
	v_add_u32_e32 v5, v5, v2
; %bb.318:
	s_or_b64 exec, exec, s[8:9]
	s_mov_b64 s[8:9], -1
	s_mov_b64 s[0:1], 0
	global_store_byte v[0:1], v5, off
.LBB111_319:
	s_mov_b64 s[10:11], 0
.LBB111_320:
	s_and_b64 vcc, exec, s[10:11]
	s_cbranch_vccz .LBB111_323
; %bb.321:
	s_cmp_eq_u32 s15, 29
	s_mov_b64 s[0:1], -1
	s_cbranch_scc0 .LBB111_323
; %bb.322:
	v_bfe_i32 v2, v4, 0, 16
	v_ashrrev_i32_e32 v3, 31, v2
	global_store_dwordx2 v[0:1], v[2:3], off
	s_mov_b64 s[8:9], -1
	s_mov_b64 s[0:1], 0
.LBB111_323:
	s_mov_b64 s[10:11], 0
.LBB111_324:
	s_and_b64 vcc, exec, s[10:11]
	s_cbranch_vccz .LBB111_340
; %bb.325:
	s_cmp_lt_i32 s15, 27
	s_mov_b64 s[8:9], -1
	s_cbranch_scc1 .LBB111_331
; %bb.326:
	s_cmp_gt_i32 s15, 27
	s_cbranch_scc0 .LBB111_328
; %bb.327:
	v_bfe_i32 v2, v4, 0, 16
	s_mov_b64 s[8:9], 0
	global_store_dword v[0:1], v2, off
.LBB111_328:
	s_andn2_b64 vcc, exec, s[8:9]
	s_cbranch_vccnz .LBB111_330
; %bb.329:
	global_store_short v[0:1], v4, off
.LBB111_330:
	s_mov_b64 s[8:9], 0
.LBB111_331:
	s_andn2_b64 vcc, exec, s[8:9]
	s_cbranch_vccnz .LBB111_339
; %bb.332:
	v_cvt_f32_i32_sdwa v2, sext(v4) dst_sel:DWORD dst_unused:UNUSED_PAD src0_sel:WORD_0
	s_mov_b32 s8, 0x43800000
	v_mov_b32_e32 v5, 0x80
	v_and_b32_e32 v3, 0x7fffffff, v2
	v_cmp_gt_u32_e32 vcc, s8, v3
	s_and_saveexec_b64 s[8:9], vcc
	s_cbranch_execz .LBB111_338
; %bb.333:
	s_mov_b32 s10, 0x3bffffff
	v_cmp_lt_u32_e32 vcc, s10, v3
	s_mov_b64 s[10:11], 0
                                        ; implicit-def: $vgpr3
	s_and_saveexec_b64 s[12:13], vcc
	s_xor_b64 s[12:13], exec, s[12:13]
	s_cbranch_execz .LBB111_562
; %bb.334:
	v_bfe_u32 v3, v2, 20, 1
	s_mov_b32 s16, 0x487ffff
	v_add3_u32 v3, v2, v3, s16
	s_mov_b64 s[10:11], exec
	v_lshrrev_b32_e32 v3, 20, v3
	s_andn2_saveexec_b64 s[12:13], s[12:13]
	s_cbranch_execnz .LBB111_563
.LBB111_335:
	s_or_b64 exec, exec, s[12:13]
	v_mov_b32_e32 v5, 0
	s_and_saveexec_b64 s[12:13], s[10:11]
.LBB111_336:
	v_lshrrev_b32_e32 v2, 24, v2
	s_movk_i32 s10, 0x80
	v_and_or_b32 v5, v2, s10, v3
.LBB111_337:
	s_or_b64 exec, exec, s[12:13]
.LBB111_338:
	s_or_b64 exec, exec, s[8:9]
	global_store_byte v[0:1], v5, off
.LBB111_339:
	s_mov_b64 s[8:9], -1
.LBB111_340:
	s_mov_b64 s[10:11], 0
.LBB111_341:
	s_and_b64 vcc, exec, s[10:11]
	s_cbranch_vccz .LBB111_382
; %bb.342:
	s_cmp_gt_i32 s15, 22
	s_mov_b64 s[10:11], -1
	s_cbranch_scc0 .LBB111_374
; %bb.343:
	s_cmp_lt_i32 s15, 24
	s_mov_b64 s[8:9], -1
	s_cbranch_scc1 .LBB111_363
; %bb.344:
	s_cmp_gt_i32 s15, 24
	s_cbranch_scc0 .LBB111_352
; %bb.345:
	v_cvt_f32_i32_sdwa v2, sext(v4) dst_sel:DWORD dst_unused:UNUSED_PAD src0_sel:WORD_0
	s_mov_b32 s8, 0x47800000
	v_mov_b32_e32 v5, 0x80
	v_and_b32_e32 v3, 0x7fffffff, v2
	v_cmp_gt_u32_e32 vcc, s8, v3
	s_and_saveexec_b64 s[8:9], vcc
	s_cbranch_execz .LBB111_351
; %bb.346:
	s_mov_b32 s10, 0x37ffffff
	v_cmp_lt_u32_e32 vcc, s10, v3
	s_mov_b64 s[10:11], 0
                                        ; implicit-def: $vgpr3
	s_and_saveexec_b64 s[12:13], vcc
	s_xor_b64 s[12:13], exec, s[12:13]
	s_cbranch_execz .LBB111_565
; %bb.347:
	v_bfe_u32 v3, v2, 21, 1
	s_mov_b32 s16, 0x88fffff
	v_add3_u32 v3, v2, v3, s16
	s_mov_b64 s[10:11], exec
	v_lshrrev_b32_e32 v3, 21, v3
	s_andn2_saveexec_b64 s[12:13], s[12:13]
	s_cbranch_execnz .LBB111_566
.LBB111_348:
	s_or_b64 exec, exec, s[12:13]
	v_mov_b32_e32 v5, 0
	s_and_saveexec_b64 s[12:13], s[10:11]
.LBB111_349:
	v_lshrrev_b32_e32 v2, 24, v2
	s_movk_i32 s10, 0x80
	v_and_or_b32 v5, v2, s10, v3
.LBB111_350:
	s_or_b64 exec, exec, s[12:13]
.LBB111_351:
	s_or_b64 exec, exec, s[8:9]
	s_mov_b64 s[8:9], 0
	global_store_byte v[0:1], v5, off
.LBB111_352:
	s_and_b64 vcc, exec, s[8:9]
	s_cbranch_vccz .LBB111_362
; %bb.353:
	v_cvt_f32_i32_sdwa v2, sext(v4) dst_sel:DWORD dst_unused:UNUSED_PAD src0_sel:WORD_0
	s_mov_b32 s8, 0x43f00000
                                        ; implicit-def: $vgpr3
	v_and_b32_e32 v5, 0x7fffffff, v2
	v_cmp_gt_u32_e32 vcc, s8, v5
	s_and_saveexec_b64 s[8:9], vcc
	s_xor_b64 s[8:9], exec, s[8:9]
	s_cbranch_execz .LBB111_359
; %bb.354:
	s_mov_b32 s10, 0x3c7fffff
	v_cmp_lt_u32_e32 vcc, s10, v5
                                        ; implicit-def: $vgpr3
	s_and_saveexec_b64 s[10:11], vcc
	s_xor_b64 s[10:11], exec, s[10:11]
; %bb.355:
	v_bfe_u32 v3, v2, 20, 1
	s_mov_b32 s12, 0x407ffff
	v_add3_u32 v3, v2, v3, s12
	v_lshrrev_b32_e32 v5, 20, v3
	v_and_b32_e32 v3, 0xff00000, v3
	s_mov_b32 s12, 0x7f00000
	v_mov_b32_e32 v6, 0x7e
	v_cmp_ne_u32_e32 vcc, s12, v3
	v_cndmask_b32_e32 v3, v6, v5, vcc
; %bb.356:
	s_andn2_saveexec_b64 s[10:11], s[10:11]
; %bb.357:
	s_mov_b32 s12, 0x46800000
	v_add_f32_e64 v3, |v2|, s12
; %bb.358:
	s_or_b64 exec, exec, s[10:11]
                                        ; implicit-def: $vgpr5
.LBB111_359:
	s_andn2_saveexec_b64 s[8:9], s[8:9]
; %bb.360:
	s_mov_b32 s10, 0x7f800000
	v_mov_b32_e32 v3, 0x7e
	v_mov_b32_e32 v6, 0x7f
	v_cmp_lt_u32_e32 vcc, s10, v5
	v_cndmask_b32_e32 v3, v3, v6, vcc
; %bb.361:
	s_or_b64 exec, exec, s[8:9]
	v_lshrrev_b32_e32 v2, 24, v2
	s_movk_i32 s8, 0x80
	v_and_or_b32 v2, v2, s8, v3
	global_store_byte v[0:1], v2, off
.LBB111_362:
	s_mov_b64 s[8:9], 0
.LBB111_363:
	s_andn2_b64 vcc, exec, s[8:9]
	s_cbranch_vccnz .LBB111_373
; %bb.364:
	v_cvt_f32_i32_sdwa v2, sext(v4) dst_sel:DWORD dst_unused:UNUSED_PAD src0_sel:WORD_0
	s_mov_b32 s8, 0x47800000
                                        ; implicit-def: $vgpr3
	v_and_b32_e32 v5, 0x7fffffff, v2
	v_cmp_gt_u32_e32 vcc, s8, v5
	s_and_saveexec_b64 s[8:9], vcc
	s_xor_b64 s[8:9], exec, s[8:9]
	s_cbranch_execz .LBB111_370
; %bb.365:
	s_mov_b32 s10, 0x387fffff
	v_cmp_lt_u32_e32 vcc, s10, v5
                                        ; implicit-def: $vgpr3
	s_and_saveexec_b64 s[10:11], vcc
	s_xor_b64 s[10:11], exec, s[10:11]
; %bb.366:
	v_bfe_u32 v3, v2, 21, 1
	s_mov_b32 s12, 0x80fffff
	v_add3_u32 v3, v2, v3, s12
	v_lshrrev_b32_e32 v3, 21, v3
; %bb.367:
	s_andn2_saveexec_b64 s[10:11], s[10:11]
; %bb.368:
	s_mov_b32 s12, 0x43000000
	v_add_f32_e64 v3, |v2|, s12
; %bb.369:
	s_or_b64 exec, exec, s[10:11]
                                        ; implicit-def: $vgpr5
.LBB111_370:
	s_andn2_saveexec_b64 s[8:9], s[8:9]
; %bb.371:
	s_mov_b32 s10, 0x7f800000
	v_mov_b32_e32 v3, 0x7c
	v_mov_b32_e32 v6, 0x7f
	v_cmp_lt_u32_e32 vcc, s10, v5
	v_cndmask_b32_e32 v3, v3, v6, vcc
; %bb.372:
	s_or_b64 exec, exec, s[8:9]
	v_lshrrev_b32_e32 v2, 24, v2
	s_movk_i32 s8, 0x80
	v_and_or_b32 v2, v2, s8, v3
	global_store_byte v[0:1], v2, off
.LBB111_373:
	s_mov_b64 s[10:11], 0
	s_mov_b64 s[8:9], -1
.LBB111_374:
	s_andn2_b64 vcc, exec, s[10:11]
	s_cbranch_vccnz .LBB111_382
; %bb.375:
	s_cmp_gt_i32 s15, 14
	s_mov_b64 s[10:11], -1
	s_cbranch_scc0 .LBB111_379
; %bb.376:
	s_cmp_eq_u32 s15, 15
	s_mov_b64 s[0:1], -1
	s_cbranch_scc0 .LBB111_378
; %bb.377:
	v_cvt_f32_i32_sdwa v2, sext(v4) dst_sel:DWORD dst_unused:UNUSED_PAD src0_sel:WORD_0
	s_movk_i32 s0, 0x7fff
	s_mov_b64 s[8:9], -1
	v_bfe_u32 v3, v2, 16, 1
	v_add3_u32 v2, v2, v3, s0
	global_store_short_d16_hi v[0:1], v2, off
	s_mov_b64 s[0:1], 0
.LBB111_378:
	s_mov_b64 s[10:11], 0
.LBB111_379:
	s_and_b64 vcc, exec, s[10:11]
	s_cbranch_vccz .LBB111_382
; %bb.380:
	s_cmp_eq_u32 s15, 11
	s_mov_b64 s[0:1], -1
	s_cbranch_scc0 .LBB111_382
; %bb.381:
	v_cmp_ne_u16_e32 vcc, 0, v4
	v_cndmask_b32_e64 v2, 0, 1, vcc
	s_mov_b64 s[8:9], -1
	s_mov_b64 s[0:1], 0
	global_store_byte v[0:1], v2, off
.LBB111_382:
	s_mov_b64 s[10:11], 0
.LBB111_383:
	s_and_b64 vcc, exec, s[10:11]
	s_cbranch_vccz .LBB111_422
; %bb.384:
	s_and_b32 s10, 0xffff, s14
	s_cmp_lt_i32 s10, 5
	s_mov_b64 s[8:9], -1
	s_cbranch_scc1 .LBB111_405
; %bb.385:
	s_cmp_lt_i32 s10, 8
	s_cbranch_scc1 .LBB111_395
; %bb.386:
	s_cmp_lt_i32 s10, 9
	s_cbranch_scc1 .LBB111_392
; %bb.387:
	s_cmp_gt_i32 s10, 9
	s_cbranch_scc0 .LBB111_389
; %bb.388:
	v_bfe_i32 v2, v4, 0, 16
	v_cvt_f64_i32_e32 v[9:10], v2
	v_mov_b32_e32 v11, 0
	v_mov_b32_e32 v12, v11
	s_mov_b64 s[8:9], 0
	global_store_dwordx4 v[0:1], v[9:12], off
.LBB111_389:
	s_andn2_b64 vcc, exec, s[8:9]
	s_cbranch_vccnz .LBB111_391
; %bb.390:
	v_cvt_f32_i32_sdwa v2, sext(v4) dst_sel:DWORD dst_unused:UNUSED_PAD src0_sel:WORD_0
	v_mov_b32_e32 v3, 0
	global_store_dwordx2 v[0:1], v[2:3], off
.LBB111_391:
	s_mov_b64 s[8:9], 0
.LBB111_392:
	s_andn2_b64 vcc, exec, s[8:9]
	s_cbranch_vccnz .LBB111_394
; %bb.393:
	v_cvt_f16_i16_e32 v2, v4
	global_store_dword v[0:1], v2, off
.LBB111_394:
	s_mov_b64 s[8:9], 0
.LBB111_395:
	s_andn2_b64 vcc, exec, s[8:9]
	s_cbranch_vccnz .LBB111_404
; %bb.396:
	s_cmp_lt_i32 s10, 6
	s_mov_b64 s[8:9], -1
	s_cbranch_scc1 .LBB111_402
; %bb.397:
	s_cmp_gt_i32 s10, 6
	s_cbranch_scc0 .LBB111_399
; %bb.398:
	v_bfe_i32 v2, v4, 0, 16
	v_cvt_f64_i32_e32 v[2:3], v2
	s_mov_b64 s[8:9], 0
	global_store_dwordx2 v[0:1], v[2:3], off
.LBB111_399:
	s_andn2_b64 vcc, exec, s[8:9]
	s_cbranch_vccnz .LBB111_401
; %bb.400:
	v_cvt_f32_i32_sdwa v2, sext(v4) dst_sel:DWORD dst_unused:UNUSED_PAD src0_sel:WORD_0
	global_store_dword v[0:1], v2, off
.LBB111_401:
	s_mov_b64 s[8:9], 0
.LBB111_402:
	s_andn2_b64 vcc, exec, s[8:9]
	s_cbranch_vccnz .LBB111_404
; %bb.403:
	v_cvt_f16_i16_e32 v2, v4
	global_store_short v[0:1], v2, off
.LBB111_404:
	s_mov_b64 s[8:9], 0
.LBB111_405:
	s_andn2_b64 vcc, exec, s[8:9]
	s_cbranch_vccnz .LBB111_421
; %bb.406:
	s_cmp_lt_i32 s10, 2
	s_mov_b64 s[8:9], -1
	s_cbranch_scc1 .LBB111_416
; %bb.407:
	s_cmp_lt_i32 s10, 3
	s_cbranch_scc1 .LBB111_413
; %bb.408:
	s_cmp_gt_i32 s10, 3
	v_bfe_i32 v2, v4, 0, 16
	s_cbranch_scc0 .LBB111_410
; %bb.409:
	v_ashrrev_i32_e32 v3, 31, v2
	s_mov_b64 s[8:9], 0
	global_store_dwordx2 v[0:1], v[2:3], off
.LBB111_410:
	s_andn2_b64 vcc, exec, s[8:9]
	s_cbranch_vccnz .LBB111_412
; %bb.411:
	global_store_dword v[0:1], v2, off
.LBB111_412:
	s_mov_b64 s[8:9], 0
.LBB111_413:
	s_andn2_b64 vcc, exec, s[8:9]
	s_cbranch_vccnz .LBB111_415
; %bb.414:
	global_store_short v[0:1], v4, off
.LBB111_415:
	s_mov_b64 s[8:9], 0
.LBB111_416:
	s_andn2_b64 vcc, exec, s[8:9]
	s_cbranch_vccnz .LBB111_421
; %bb.417:
	s_cmp_gt_i32 s10, 0
	s_mov_b64 s[8:9], -1
	s_cbranch_scc0 .LBB111_419
; %bb.418:
	s_mov_b64 s[8:9], 0
	global_store_byte v[0:1], v4, off
.LBB111_419:
	s_andn2_b64 vcc, exec, s[8:9]
	s_cbranch_vccnz .LBB111_421
; %bb.420:
	global_store_byte v[0:1], v4, off
.LBB111_421:
	s_mov_b64 s[8:9], -1
.LBB111_422:
	s_andn2_b64 vcc, exec, s[8:9]
	s_cbranch_vccnz .LBB111_424
; %bb.423:
	v_add_u32_e32 v8, 0x80, v8
	s_mov_b64 s[8:9], -1
	s_branch .LBB111_533
.LBB111_424:
	s_mov_b64 s[8:9], 0
	s_branch .LBB111_532
.LBB111_425:
	s_mov_b64 s[2:3], -1
                                        ; implicit-def: $vgpr3
.LBB111_426:
	s_mov_b64 s[8:9], 0
.LBB111_427:
	s_and_b64 vcc, exec, s[8:9]
	s_cbranch_vccz .LBB111_431
; %bb.428:
	s_cmp_eq_u32 s10, 29
	s_cbranch_scc0 .LBB111_430
; %bb.429:
	global_load_dwordx2 v[3:4], v[1:2], off
	s_mov_b64 s[0:1], -1
	s_mov_b64 s[2:3], 0
	s_branch .LBB111_431
.LBB111_430:
	s_mov_b64 s[2:3], -1
                                        ; implicit-def: $vgpr3
.LBB111_431:
	s_mov_b64 s[8:9], 0
.LBB111_432:
	s_and_b64 vcc, exec, s[8:9]
	s_cbranch_vccz .LBB111_448
; %bb.433:
	s_cmp_lt_i32 s10, 27
	s_cbranch_scc1 .LBB111_436
; %bb.434:
	s_cmp_gt_i32 s10, 27
	s_cbranch_scc0 .LBB111_437
; %bb.435:
	global_load_dword v3, v[1:2], off
	s_mov_b64 s[0:1], 0
	s_branch .LBB111_438
.LBB111_436:
	s_mov_b64 s[0:1], -1
                                        ; implicit-def: $vgpr3
	s_branch .LBB111_441
.LBB111_437:
	s_mov_b64 s[0:1], -1
                                        ; implicit-def: $vgpr3
.LBB111_438:
	s_andn2_b64 vcc, exec, s[0:1]
	s_cbranch_vccnz .LBB111_440
; %bb.439:
	global_load_ushort v3, v[1:2], off
.LBB111_440:
	s_mov_b64 s[0:1], 0
.LBB111_441:
	s_andn2_b64 vcc, exec, s[0:1]
	s_cbranch_vccnz .LBB111_447
; %bb.442:
	global_load_ubyte v4, v[1:2], off
	s_movk_i32 s0, 0x7f
	s_mov_b64 s[8:9], 0
	s_waitcnt vmcnt(0)
	v_cmp_lt_i16_e32 vcc, s0, v4
	s_and_saveexec_b64 s[0:1], vcc
	s_xor_b64 s[0:1], exec, s[0:1]
	s_cbranch_execz .LBB111_459
; %bb.443:
	s_movk_i32 s8, 0x80
	v_cmp_ne_u16_e32 vcc, s8, v4
	s_and_b64 s[8:9], vcc, exec
	s_andn2_saveexec_b64 s[0:1], s[0:1]
	s_cbranch_execnz .LBB111_460
.LBB111_444:
	s_or_b64 exec, exec, s[0:1]
	v_mov_b32_e32 v3, 0
	s_and_saveexec_b64 s[0:1], s[8:9]
	s_cbranch_execz .LBB111_446
.LBB111_445:
	v_lshlrev_b32_e32 v3, 24, v4
	v_and_b32_e32 v4, 0xffff, v4
	v_and_b32_e32 v5, 7, v4
	v_ffbh_u32_e32 v7, v5
	v_min_u32_e32 v7, 32, v7
	v_subrev_u32_e32 v9, 28, v7
	v_bfe_u32 v6, v4, 3, 4
	v_lshlrev_b32_e32 v4, v9, v4
	v_sub_u32_e32 v7, 29, v7
	v_and_b32_e32 v4, 7, v4
	v_cmp_eq_u32_e32 vcc, 0, v6
	v_cndmask_b32_e32 v6, v6, v7, vcc
	v_cndmask_b32_e32 v4, v5, v4, vcc
	v_mov_b32_e32 v5, 0x3b800000
	v_lshlrev_b32_e32 v4, 20, v4
	v_and_b32_e32 v3, 0x80000000, v3
	v_lshl_add_u32 v5, v6, 23, v5
	v_or3_b32 v3, v3, v5, v4
	v_cvt_i32_f32_e32 v3, v3
.LBB111_446:
	s_or_b64 exec, exec, s[0:1]
.LBB111_447:
	s_mov_b64 s[0:1], -1
.LBB111_448:
	s_mov_b64 s[8:9], 0
.LBB111_449:
	s_and_b64 vcc, exec, s[8:9]
	s_cbranch_vccz .LBB111_482
; %bb.450:
	s_cmp_gt_i32 s10, 22
	s_cbranch_scc0 .LBB111_458
; %bb.451:
	s_cmp_lt_i32 s10, 24
	s_cbranch_scc1 .LBB111_461
; %bb.452:
	s_cmp_gt_i32 s10, 24
	s_cbranch_scc0 .LBB111_462
; %bb.453:
	global_load_ubyte v4, v[1:2], off
	s_movk_i32 s0, 0x7f
	s_mov_b64 s[8:9], 0
	s_waitcnt vmcnt(0)
	v_cmp_lt_i16_e32 vcc, s0, v4
	s_and_saveexec_b64 s[0:1], vcc
	s_xor_b64 s[0:1], exec, s[0:1]
	s_cbranch_execz .LBB111_474
; %bb.454:
	s_movk_i32 s8, 0x80
	v_cmp_ne_u16_e32 vcc, s8, v4
	s_and_b64 s[8:9], vcc, exec
	s_andn2_saveexec_b64 s[0:1], s[0:1]
	s_cbranch_execnz .LBB111_475
.LBB111_455:
	s_or_b64 exec, exec, s[0:1]
	v_mov_b32_e32 v3, 0
	s_and_saveexec_b64 s[0:1], s[8:9]
	s_cbranch_execz .LBB111_457
.LBB111_456:
	v_lshlrev_b32_e32 v3, 24, v4
	v_and_b32_e32 v4, 0xffff, v4
	v_and_b32_e32 v5, 3, v4
	v_ffbh_u32_e32 v7, v5
	v_min_u32_e32 v7, 32, v7
	v_subrev_u32_e32 v9, 29, v7
	v_bfe_u32 v6, v4, 2, 5
	v_lshlrev_b32_e32 v4, v9, v4
	v_sub_u32_e32 v7, 30, v7
	v_and_b32_e32 v4, 3, v4
	v_cmp_eq_u32_e32 vcc, 0, v6
	v_cndmask_b32_e32 v6, v6, v7, vcc
	v_cndmask_b32_e32 v4, v5, v4, vcc
	v_mov_b32_e32 v5, 0x37800000
	v_lshlrev_b32_e32 v4, 21, v4
	v_and_b32_e32 v3, 0x80000000, v3
	v_lshl_add_u32 v5, v6, 23, v5
	v_or3_b32 v3, v3, v5, v4
	v_cvt_i32_f32_e32 v3, v3
.LBB111_457:
	s_or_b64 exec, exec, s[0:1]
	s_mov_b64 s[0:1], 0
	s_branch .LBB111_463
.LBB111_458:
	s_mov_b64 s[8:9], -1
                                        ; implicit-def: $vgpr3
	s_branch .LBB111_469
.LBB111_459:
	s_andn2_saveexec_b64 s[0:1], s[0:1]
	s_cbranch_execz .LBB111_444
.LBB111_460:
	v_cmp_ne_u16_e32 vcc, 0, v4
	s_andn2_b64 s[8:9], s[8:9], exec
	s_and_b64 s[12:13], vcc, exec
	s_or_b64 s[8:9], s[8:9], s[12:13]
	s_or_b64 exec, exec, s[0:1]
	v_mov_b32_e32 v3, 0
	s_and_saveexec_b64 s[0:1], s[8:9]
	s_cbranch_execnz .LBB111_445
	s_branch .LBB111_446
.LBB111_461:
	s_mov_b64 s[0:1], -1
                                        ; implicit-def: $vgpr3
	s_branch .LBB111_466
.LBB111_462:
	s_mov_b64 s[0:1], -1
                                        ; implicit-def: $vgpr3
.LBB111_463:
	s_and_b64 vcc, exec, s[0:1]
	s_cbranch_vccz .LBB111_465
; %bb.464:
	global_load_ubyte v3, v[1:2], off
	s_mov_b32 s0, 0x7f800000
	s_waitcnt vmcnt(0)
	v_lshlrev_b32_e32 v3, 24, v3
	v_and_b32_e32 v4, 0x7f000000, v3
	v_ffbh_u32_e32 v5, v4
	v_min_u32_e32 v5, 32, v5
	v_sub_u32_e64 v5, v5, 4 clamp
	v_lshlrev_b32_e32 v7, v5, v4
	v_lshlrev_b32_e32 v5, 23, v5
	v_lshrrev_b32_e32 v7, 4, v7
	v_add_u32_e32 v6, 0x1000000, v4
	v_sub_u32_e32 v5, v7, v5
	v_ashrrev_i32_e32 v6, 8, v6
	v_add_u32_e32 v5, 0x3c000000, v5
	v_and_or_b32 v5, v6, s0, v5
	v_cmp_ne_u32_e32 vcc, 0, v4
	v_cndmask_b32_e32 v4, 0, v5, vcc
	s_brev_b32 s0, 1
	v_and_or_b32 v3, v3, s0, v4
	v_cvt_i32_f32_e32 v3, v3
.LBB111_465:
	s_mov_b64 s[0:1], 0
.LBB111_466:
	s_andn2_b64 vcc, exec, s[0:1]
	s_cbranch_vccnz .LBB111_468
; %bb.467:
	global_load_ubyte v3, v[1:2], off
	s_movk_i32 s0, 0x7f00
	s_brev_b32 s1, 16
	s_waitcnt vmcnt(0)
	v_lshlrev_b16_e32 v4, 8, v3
	v_lshlrev_b32_e32 v3, 25, v3
	v_lshrrev_b32_e32 v5, 4, v3
	v_and_or_b32 v6, v4, s0, 0.5
	v_or_b32_e32 v5, 0x70000000, v5
	v_add_f32_e32 v6, -0.5, v6
	v_mul_f32_e32 v5, 0x7800000, v5
	v_cmp_gt_u32_e32 vcc, s1, v3
	v_bfe_i32 v4, v4, 0, 16
	v_cndmask_b32_e32 v3, v5, v6, vcc
	s_brev_b32 s0, 1
	v_and_or_b32 v3, v4, s0, v3
	v_cvt_i32_f32_e32 v3, v3
.LBB111_468:
	s_mov_b64 s[8:9], 0
	s_mov_b64 s[0:1], -1
.LBB111_469:
	s_andn2_b64 vcc, exec, s[8:9]
	s_cbranch_vccnz .LBB111_482
; %bb.470:
	s_cmp_gt_i32 s10, 14
	s_cbranch_scc0 .LBB111_473
; %bb.471:
	s_cmp_eq_u32 s10, 15
	s_cbranch_scc0 .LBB111_476
; %bb.472:
	global_load_ushort v3, v[1:2], off
	s_mov_b64 s[0:1], -1
	s_mov_b64 s[2:3], 0
	s_waitcnt vmcnt(0)
	v_lshlrev_b32_e32 v3, 16, v3
	v_cvt_i32_f32_e32 v3, v3
	s_branch .LBB111_477
.LBB111_473:
	s_mov_b64 s[8:9], -1
                                        ; implicit-def: $vgpr3
	s_branch .LBB111_478
.LBB111_474:
	s_andn2_saveexec_b64 s[0:1], s[0:1]
	s_cbranch_execz .LBB111_455
.LBB111_475:
	v_cmp_ne_u16_e32 vcc, 0, v4
	s_andn2_b64 s[8:9], s[8:9], exec
	s_and_b64 s[12:13], vcc, exec
	s_or_b64 s[8:9], s[8:9], s[12:13]
	s_or_b64 exec, exec, s[0:1]
	v_mov_b32_e32 v3, 0
	s_and_saveexec_b64 s[0:1], s[8:9]
	s_cbranch_execnz .LBB111_456
	s_branch .LBB111_457
.LBB111_476:
	s_mov_b64 s[2:3], -1
                                        ; implicit-def: $vgpr3
.LBB111_477:
	s_mov_b64 s[8:9], 0
.LBB111_478:
	s_and_b64 vcc, exec, s[8:9]
	s_cbranch_vccz .LBB111_482
; %bb.479:
	s_cmp_eq_u32 s10, 11
	s_cbranch_scc0 .LBB111_481
; %bb.480:
	global_load_ubyte v3, v[1:2], off
	s_mov_b64 s[0:1], -1
	s_mov_b64 s[2:3], 0
	s_waitcnt vmcnt(0)
	v_cmp_ne_u16_e32 vcc, 0, v3
	v_cndmask_b32_e64 v3, 0, 1, vcc
	s_branch .LBB111_482
.LBB111_481:
	s_mov_b64 s[2:3], -1
                                        ; implicit-def: $vgpr3
.LBB111_482:
	s_branch .LBB111_289
.LBB111_483:
	s_cmp_lt_i32 s10, 5
	s_cbranch_scc1 .LBB111_488
; %bb.484:
	s_cmp_lt_i32 s10, 8
	s_cbranch_scc1 .LBB111_489
; %bb.485:
	;; [unrolled: 3-line block ×3, first 2 shown]
	s_cmp_gt_i32 s10, 9
	s_cbranch_scc0 .LBB111_491
; %bb.487:
	global_load_dwordx2 v[3:4], v[1:2], off
	s_mov_b64 s[0:1], 0
	s_waitcnt vmcnt(0)
	v_cvt_i32_f64_e32 v3, v[3:4]
	s_branch .LBB111_492
.LBB111_488:
	s_mov_b64 s[0:1], -1
                                        ; implicit-def: $vgpr3
	s_branch .LBB111_510
.LBB111_489:
	s_mov_b64 s[0:1], -1
                                        ; implicit-def: $vgpr3
	s_branch .LBB111_498
.LBB111_490:
	s_mov_b64 s[0:1], -1
                                        ; implicit-def: $vgpr3
	s_branch .LBB111_495
.LBB111_491:
	s_mov_b64 s[0:1], -1
                                        ; implicit-def: $vgpr3
.LBB111_492:
	s_andn2_b64 vcc, exec, s[0:1]
	s_cbranch_vccnz .LBB111_494
; %bb.493:
	global_load_dword v3, v[1:2], off
	s_waitcnt vmcnt(0)
	v_cvt_i32_f32_e32 v3, v3
.LBB111_494:
	s_mov_b64 s[0:1], 0
.LBB111_495:
	s_andn2_b64 vcc, exec, s[0:1]
	s_cbranch_vccnz .LBB111_497
; %bb.496:
	global_load_dword v3, v[1:2], off
	s_waitcnt vmcnt(0)
	v_cvt_i16_f16_e32 v3, v3
.LBB111_497:
	s_mov_b64 s[0:1], 0
.LBB111_498:
	s_andn2_b64 vcc, exec, s[0:1]
	s_cbranch_vccnz .LBB111_509
; %bb.499:
	s_cmp_lt_i32 s10, 6
	s_cbranch_scc1 .LBB111_502
; %bb.500:
	s_cmp_gt_i32 s10, 6
	s_cbranch_scc0 .LBB111_503
; %bb.501:
	global_load_dwordx2 v[3:4], v[1:2], off
	s_mov_b64 s[0:1], 0
	s_waitcnt vmcnt(0)
	v_cvt_i32_f64_e32 v3, v[3:4]
	s_branch .LBB111_504
.LBB111_502:
	s_mov_b64 s[0:1], -1
                                        ; implicit-def: $vgpr3
	s_branch .LBB111_507
.LBB111_503:
	s_mov_b64 s[0:1], -1
                                        ; implicit-def: $vgpr3
.LBB111_504:
	s_andn2_b64 vcc, exec, s[0:1]
	s_cbranch_vccnz .LBB111_506
; %bb.505:
	global_load_dword v3, v[1:2], off
	s_waitcnt vmcnt(0)
	v_cvt_i32_f32_e32 v3, v3
.LBB111_506:
	s_mov_b64 s[0:1], 0
.LBB111_507:
	s_andn2_b64 vcc, exec, s[0:1]
	s_cbranch_vccnz .LBB111_509
; %bb.508:
	global_load_ushort v3, v[1:2], off
	s_waitcnt vmcnt(0)
	v_cvt_i16_f16_e32 v3, v3
.LBB111_509:
	s_mov_b64 s[0:1], 0
.LBB111_510:
	s_andn2_b64 vcc, exec, s[0:1]
	s_cbranch_vccnz .LBB111_530
; %bb.511:
	s_cmp_lt_i32 s10, 2
	s_cbranch_scc1 .LBB111_515
; %bb.512:
	s_cmp_lt_i32 s10, 3
	s_cbranch_scc1 .LBB111_516
; %bb.513:
	s_cmp_gt_i32 s10, 3
	s_cbranch_scc0 .LBB111_517
; %bb.514:
	global_load_dwordx2 v[3:4], v[1:2], off
	s_mov_b64 s[0:1], 0
	s_branch .LBB111_518
.LBB111_515:
	s_mov_b64 s[0:1], -1
                                        ; implicit-def: $vgpr3
	s_branch .LBB111_524
.LBB111_516:
	s_mov_b64 s[0:1], -1
                                        ; implicit-def: $vgpr3
	s_branch .LBB111_521
.LBB111_517:
	s_mov_b64 s[0:1], -1
                                        ; implicit-def: $vgpr3
.LBB111_518:
	s_andn2_b64 vcc, exec, s[0:1]
	s_cbranch_vccnz .LBB111_520
; %bb.519:
	global_load_dword v3, v[1:2], off
.LBB111_520:
	s_mov_b64 s[0:1], 0
.LBB111_521:
	s_andn2_b64 vcc, exec, s[0:1]
	s_cbranch_vccnz .LBB111_523
; %bb.522:
	global_load_ushort v3, v[1:2], off
.LBB111_523:
	s_mov_b64 s[0:1], 0
.LBB111_524:
	s_andn2_b64 vcc, exec, s[0:1]
	s_cbranch_vccnz .LBB111_530
; %bb.525:
	s_cmp_gt_i32 s10, 0
	s_cbranch_scc0 .LBB111_527
; %bb.526:
	global_load_sbyte v3, v[1:2], off
	s_mov_b64 s[0:1], 0
	s_branch .LBB111_528
.LBB111_527:
	s_mov_b64 s[0:1], -1
                                        ; implicit-def: $vgpr3
.LBB111_528:
	s_andn2_b64 vcc, exec, s[0:1]
	s_cbranch_vccnz .LBB111_530
; %bb.529:
	global_load_ubyte v3, v[1:2], off
.LBB111_530:
	s_branch .LBB111_290
.LBB111_531:
	s_mov_b64 s[8:9], 0
	s_mov_b64 s[0:1], s[54:55]
.LBB111_532:
                                        ; implicit-def: $vgpr8
.LBB111_533:
	s_andn2_b64 s[10:11], s[54:55], exec
	s_and_b64 s[0:1], s[0:1], exec
	s_or_b64 s[62:63], s[10:11], s[0:1]
	s_andn2_b64 s[0:1], s[56:57], exec
	s_and_b64 s[2:3], s[2:3], exec
	s_or_b64 s[60:61], s[0:1], s[2:3]
	s_orn2_b64 s[0:1], s[8:9], exec
.LBB111_534:
	s_or_b64 exec, exec, s[64:65]
	s_mov_b64 s[2:3], 0
	s_mov_b64 s[8:9], 0
	;; [unrolled: 1-line block ×3, first 2 shown]
                                        ; implicit-def: $vgpr1_vgpr2
                                        ; implicit-def: $vgpr0
                                        ; implicit-def: $vgpr3
	s_and_saveexec_b64 s[64:65], s[0:1]
	s_cbranch_execz .LBB111_901
; %bb.535:
	v_cmp_gt_i32_e32 vcc, s72, v8
	s_mov_b64 s[2:3], -1
	s_mov_b64 s[68:69], s[60:61]
	s_mov_b64 s[70:71], s[62:63]
	s_and_saveexec_b64 s[66:67], vcc
	s_cbranch_execz .LBB111_805
; %bb.536:
	s_andn2_b64 vcc, exec, s[40:41]
	s_cbranch_vccnz .LBB111_541
; %bb.537:
	s_andn2_b64 vcc, exec, s[52:53]
	s_cbranch_vccnz .LBB111_542
; %bb.538:
	s_add_i32 s79, s78, 1
	s_cmp_eq_u32 s74, 2
	s_cbranch_scc1 .LBB111_543
; %bb.539:
	s_and_b32 s73, s79, 28
	v_mov_b32_e32 v2, 0
	s_mov_b32 s80, 0
	s_mov_b64 s[68:69], s[34:35]
	s_mov_b64 s[70:71], s[50:51]
	v_mov_b32_e32 v0, 0
	v_mov_b32_e32 v1, v8
.LBB111_540:                            ; =>This Inner Loop Header: Depth=1
	s_load_dwordx8 s[16:23], s[68:69], 0x4
	s_load_dwordx4 s[0:3], s[68:69], 0x24
	s_load_dwordx8 s[8:15], s[70:71], 0x0
	s_add_u32 s68, s68, 48
	s_addc_u32 s69, s69, 0
	s_waitcnt vmcnt(0) lgkmcnt(0)
	v_mul_hi_u32 v3, s17, v1
	s_add_i32 s80, s80, 4
	s_add_u32 s70, s70, 32
	s_addc_u32 s71, s71, 0
	v_add_u32_e32 v3, v1, v3
	v_lshrrev_b32_e32 v3, s18, v3
	v_mul_lo_u32 v4, v3, s16
	v_mul_hi_u32 v5, s20, v3
	s_cmp_eq_u32 s73, s80
	v_sub_u32_e32 v1, v1, v4
	v_add_u32_e32 v4, v3, v5
	v_mul_lo_u32 v5, v1, s8
	v_mul_lo_u32 v6, v1, s9
	v_lshrrev_b32_e32 v1, s21, v4
	v_mul_lo_u32 v4, v1, s19
	v_mul_hi_u32 v7, s23, v1
	v_sub_u32_e32 v3, v3, v4
	v_add_u32_e32 v4, v1, v7
	v_lshrrev_b32_e32 v4, s0, v4
	v_mul_hi_u32 v9, s2, v4
	v_mul_lo_u32 v10, v4, s22
	v_mul_lo_u32 v7, v3, s10
	;; [unrolled: 1-line block ×3, first 2 shown]
	v_sub_u32_e32 v10, v1, v10
	v_add_u32_e32 v1, v4, v9
	v_lshrrev_b32_e32 v1, s3, v1
	v_mul_lo_u32 v9, v1, s1
	v_mul_lo_u32 v11, v10, s12
	;; [unrolled: 1-line block ×3, first 2 shown]
	v_add3_u32 v0, v5, v0, v7
	v_sub_u32_e32 v4, v4, v9
	v_mul_lo_u32 v9, v4, s14
	v_mul_lo_u32 v4, v4, s15
	v_add3_u32 v2, v6, v2, v3
	v_add3_u32 v0, v11, v0, v9
	;; [unrolled: 1-line block ×3, first 2 shown]
	s_cbranch_scc0 .LBB111_540
	s_branch .LBB111_544
.LBB111_541:
	s_mov_b64 s[0:1], -1
                                        ; implicit-def: $vgpr0
                                        ; implicit-def: $vgpr2
	s_branch .LBB111_548
.LBB111_542:
	v_mov_b32_e32 v0, 0
	v_mov_b32_e32 v2, 0
	s_branch .LBB111_547
.LBB111_543:
	s_mov_b32 s73, 0
	v_mov_b32_e32 v0, 0
	v_mov_b32_e32 v2, 0
	;; [unrolled: 1-line block ×3, first 2 shown]
.LBB111_544:
	s_and_b32 s8, s79, 3
	s_cmp_eq_u32 s8, 0
	s_cbranch_scc1 .LBB111_547
; %bb.545:
	s_lshl_b32 s0, s73, 3
	s_add_u32 s0, s34, s0
	s_addc_u32 s1, s35, 0
	s_add_u32 s0, s0, 0xc4
	s_addc_u32 s1, s1, 0
	s_mul_i32 s2, s73, 12
	s_add_u32 s2, s34, s2
	s_addc_u32 s3, s35, 0
.LBB111_546:                            ; =>This Inner Loop Header: Depth=1
	s_load_dwordx2 s[10:11], s[2:3], 0x4
	s_load_dword s9, s[2:3], 0xc
	s_load_dwordx2 s[12:13], s[0:1], 0x0
	s_add_u32 s2, s2, 12
	s_addc_u32 s3, s3, 0
	s_waitcnt vmcnt(0) lgkmcnt(0)
	v_mul_hi_u32 v3, s11, v1
	s_add_u32 s0, s0, 8
	s_addc_u32 s1, s1, 0
	s_add_i32 s8, s8, -1
	v_add_u32_e32 v3, v1, v3
	v_lshrrev_b32_e32 v4, s9, v3
	v_mul_lo_u32 v3, v4, s10
	s_cmp_lg_u32 s8, 0
	v_sub_u32_e32 v3, v1, v3
	v_mad_u64_u32 v[0:1], s[10:11], v3, s12, v[0:1]
	v_mad_u64_u32 v[2:3], s[10:11], v3, s13, v[2:3]
	v_mov_b32_e32 v1, v4
	s_cbranch_scc1 .LBB111_546
.LBB111_547:
	s_mov_b64 s[0:1], 0
.LBB111_548:
	s_andn2_b64 vcc, exec, s[0:1]
	s_cbranch_vccnz .LBB111_551
; %bb.549:
	v_mul_hi_u32 v0, s29, v8
	s_andn2_b64 vcc, exec, s[48:49]
	v_add_u32_e32 v0, v8, v0
	v_lshrrev_b32_e32 v1, s30, v0
	v_mul_lo_u32 v0, v1, s28
	v_sub_u32_e32 v2, v8, v0
	v_mul_lo_u32 v0, v2, s36
	v_mul_lo_u32 v2, v2, s37
	s_cbranch_vccnz .LBB111_551
; %bb.550:
	s_waitcnt vmcnt(0)
	v_mul_hi_u32 v3, s46, v1
	v_add_u32_e32 v3, v1, v3
	v_lshrrev_b32_e32 v3, s47, v3
	v_mul_lo_u32 v3, v3, s31
	v_sub_u32_e32 v3, v1, v3
	v_mad_u64_u32 v[0:1], s[0:1], v3, s38, v[0:1]
	v_mad_u64_u32 v[2:3], s[0:1], v3, s39, v[2:3]
.LBB111_551:
	s_waitcnt vmcnt(0)
	v_mov_b32_e32 v3, s27
	s_and_b32 s10, 0xffff, s77
	v_add_co_u32_e32 v1, vcc, s26, v2
	s_cmp_lt_i32 s10, 11
	v_addc_co_u32_e32 v2, vcc, 0, v3, vcc
	s_cbranch_scc1 .LBB111_558
; %bb.552:
	s_cmp_gt_i32 s10, 25
	s_cbranch_scc0 .LBB111_559
; %bb.553:
	s_cmp_gt_i32 s10, 28
	s_cbranch_scc0 .LBB111_560
	;; [unrolled: 3-line block ×4, first 2 shown]
; %bb.556:
	s_cmp_eq_u32 s10, 46
	s_mov_b64 s[8:9], 0
	s_cbranch_scc0 .LBB111_567
; %bb.557:
	global_load_dword v3, v[1:2], off
	s_mov_b64 s[0:1], -1
	s_mov_b64 s[2:3], 0
	s_waitcnt vmcnt(0)
	v_lshlrev_b32_e32 v3, 16, v3
	v_cvt_i32_f32_e32 v3, v3
	s_branch .LBB111_568
.LBB111_558:
	s_mov_b64 s[8:9], -1
	s_mov_b64 s[0:1], 0
                                        ; implicit-def: $vgpr3
	s_mov_b64 s[2:3], s[60:61]
	s_branch .LBB111_629
.LBB111_559:
	s_mov_b64 s[8:9], -1
	s_mov_b64 s[0:1], 0
	s_mov_b64 s[2:3], s[60:61]
                                        ; implicit-def: $vgpr3
	s_branch .LBB111_595
.LBB111_560:
	s_mov_b64 s[8:9], -1
	s_mov_b64 s[0:1], 0
	s_mov_b64 s[2:3], s[60:61]
                                        ; implicit-def: $vgpr3
	s_branch .LBB111_578
.LBB111_561:
	s_mov_b64 s[8:9], -1
	s_mov_b64 s[0:1], 0
	s_mov_b64 s[2:3], s[60:61]
                                        ; implicit-def: $vgpr3
	s_branch .LBB111_573
.LBB111_562:
	s_andn2_saveexec_b64 s[12:13], s[12:13]
	s_cbranch_execz .LBB111_335
.LBB111_563:
	s_mov_b32 s16, 0x46000000
	v_add_f32_e64 v3, |v2|, s16
	v_and_b32_e32 v3, 0xff, v3
	v_cmp_ne_u32_e32 vcc, 0, v3
	s_andn2_b64 s[10:11], s[10:11], exec
	s_and_b64 s[16:17], vcc, exec
	s_or_b64 s[10:11], s[10:11], s[16:17]
	s_or_b64 exec, exec, s[12:13]
	v_mov_b32_e32 v5, 0
	s_and_saveexec_b64 s[12:13], s[10:11]
	s_cbranch_execnz .LBB111_336
	s_branch .LBB111_337
.LBB111_564:
	s_mov_b64 s[8:9], -1
	s_mov_b64 s[0:1], 0
	s_mov_b64 s[2:3], s[60:61]
                                        ; implicit-def: $vgpr3
	s_branch .LBB111_568
.LBB111_565:
	s_andn2_saveexec_b64 s[12:13], s[12:13]
	s_cbranch_execz .LBB111_348
.LBB111_566:
	s_mov_b32 s16, 0x42800000
	v_add_f32_e64 v3, |v2|, s16
	v_and_b32_e32 v3, 0xff, v3
	v_cmp_ne_u32_e32 vcc, 0, v3
	s_andn2_b64 s[10:11], s[10:11], exec
	s_and_b64 s[16:17], vcc, exec
	s_or_b64 s[10:11], s[10:11], s[16:17]
	s_or_b64 exec, exec, s[12:13]
	v_mov_b32_e32 v5, 0
	s_and_saveexec_b64 s[12:13], s[10:11]
	s_cbranch_execnz .LBB111_349
	s_branch .LBB111_350
.LBB111_567:
	s_mov_b64 s[2:3], -1
                                        ; implicit-def: $vgpr3
	s_mov_b64 s[0:1], 0
.LBB111_568:
	s_and_b64 vcc, exec, s[8:9]
	s_cbranch_vccz .LBB111_572
; %bb.569:
	s_cmp_eq_u32 s10, 44
	s_cbranch_scc0 .LBB111_571
; %bb.570:
	global_load_ubyte v3, v[1:2], off
	s_mov_b64 s[0:1], -1
	s_mov_b64 s[2:3], 0
	s_waitcnt vmcnt(0)
	v_lshlrev_b32_e32 v4, 23, v3
	v_cvt_i32_f32_e32 v4, v4
	v_cmp_ne_u32_e32 vcc, 0, v3
	v_cndmask_b32_e32 v3, 0, v4, vcc
	s_branch .LBB111_572
.LBB111_571:
	s_mov_b64 s[2:3], -1
                                        ; implicit-def: $vgpr3
.LBB111_572:
	s_mov_b64 s[8:9], 0
.LBB111_573:
	s_and_b64 vcc, exec, s[8:9]
	s_cbranch_vccz .LBB111_577
; %bb.574:
	s_cmp_eq_u32 s10, 29
	s_cbranch_scc0 .LBB111_576
; %bb.575:
	global_load_dwordx2 v[3:4], v[1:2], off
	s_mov_b64 s[0:1], -1
	s_mov_b64 s[2:3], 0
	s_branch .LBB111_577
.LBB111_576:
	s_mov_b64 s[2:3], -1
                                        ; implicit-def: $vgpr3
.LBB111_577:
	s_mov_b64 s[8:9], 0
.LBB111_578:
	s_and_b64 vcc, exec, s[8:9]
	s_cbranch_vccz .LBB111_594
; %bb.579:
	s_cmp_lt_i32 s10, 27
	s_cbranch_scc1 .LBB111_582
; %bb.580:
	s_cmp_gt_i32 s10, 27
	s_cbranch_scc0 .LBB111_583
; %bb.581:
	global_load_dword v3, v[1:2], off
	s_mov_b64 s[0:1], 0
	s_branch .LBB111_584
.LBB111_582:
	s_mov_b64 s[0:1], -1
                                        ; implicit-def: $vgpr3
	s_branch .LBB111_587
.LBB111_583:
	s_mov_b64 s[0:1], -1
                                        ; implicit-def: $vgpr3
.LBB111_584:
	s_andn2_b64 vcc, exec, s[0:1]
	s_cbranch_vccnz .LBB111_586
; %bb.585:
	global_load_ushort v3, v[1:2], off
.LBB111_586:
	s_mov_b64 s[0:1], 0
.LBB111_587:
	s_andn2_b64 vcc, exec, s[0:1]
	s_cbranch_vccnz .LBB111_593
; %bb.588:
	global_load_ubyte v4, v[1:2], off
	s_movk_i32 s0, 0x7f
	s_mov_b64 s[8:9], 0
	s_waitcnt vmcnt(0)
	v_cmp_lt_i16_e32 vcc, s0, v4
	s_and_saveexec_b64 s[0:1], vcc
	s_xor_b64 s[0:1], exec, s[0:1]
	s_cbranch_execz .LBB111_605
; %bb.589:
	s_movk_i32 s8, 0x80
	v_cmp_ne_u16_e32 vcc, s8, v4
	s_and_b64 s[8:9], vcc, exec
	s_andn2_saveexec_b64 s[0:1], s[0:1]
	s_cbranch_execnz .LBB111_606
.LBB111_590:
	s_or_b64 exec, exec, s[0:1]
	v_mov_b32_e32 v3, 0
	s_and_saveexec_b64 s[0:1], s[8:9]
	s_cbranch_execz .LBB111_592
.LBB111_591:
	v_lshlrev_b32_e32 v3, 24, v4
	v_and_b32_e32 v4, 0xffff, v4
	v_and_b32_e32 v5, 7, v4
	v_ffbh_u32_e32 v7, v5
	v_min_u32_e32 v7, 32, v7
	v_subrev_u32_e32 v9, 28, v7
	v_bfe_u32 v6, v4, 3, 4
	v_lshlrev_b32_e32 v4, v9, v4
	v_sub_u32_e32 v7, 29, v7
	v_and_b32_e32 v4, 7, v4
	v_cmp_eq_u32_e32 vcc, 0, v6
	v_cndmask_b32_e32 v6, v6, v7, vcc
	v_cndmask_b32_e32 v4, v5, v4, vcc
	v_mov_b32_e32 v5, 0x3b800000
	v_lshlrev_b32_e32 v4, 20, v4
	v_and_b32_e32 v3, 0x80000000, v3
	v_lshl_add_u32 v5, v6, 23, v5
	v_or3_b32 v3, v3, v5, v4
	v_cvt_i32_f32_e32 v3, v3
.LBB111_592:
	s_or_b64 exec, exec, s[0:1]
.LBB111_593:
	s_mov_b64 s[0:1], -1
.LBB111_594:
	s_mov_b64 s[8:9], 0
.LBB111_595:
	s_and_b64 vcc, exec, s[8:9]
	s_cbranch_vccz .LBB111_628
; %bb.596:
	s_cmp_gt_i32 s10, 22
	s_cbranch_scc0 .LBB111_604
; %bb.597:
	s_cmp_lt_i32 s10, 24
	s_cbranch_scc1 .LBB111_607
; %bb.598:
	s_cmp_gt_i32 s10, 24
	s_cbranch_scc0 .LBB111_608
; %bb.599:
	global_load_ubyte v4, v[1:2], off
	s_movk_i32 s0, 0x7f
	s_mov_b64 s[8:9], 0
	s_waitcnt vmcnt(0)
	v_cmp_lt_i16_e32 vcc, s0, v4
	s_and_saveexec_b64 s[0:1], vcc
	s_xor_b64 s[0:1], exec, s[0:1]
	s_cbranch_execz .LBB111_620
; %bb.600:
	s_movk_i32 s8, 0x80
	v_cmp_ne_u16_e32 vcc, s8, v4
	s_and_b64 s[8:9], vcc, exec
	s_andn2_saveexec_b64 s[0:1], s[0:1]
	s_cbranch_execnz .LBB111_621
.LBB111_601:
	s_or_b64 exec, exec, s[0:1]
	v_mov_b32_e32 v3, 0
	s_and_saveexec_b64 s[0:1], s[8:9]
	s_cbranch_execz .LBB111_603
.LBB111_602:
	v_lshlrev_b32_e32 v3, 24, v4
	v_and_b32_e32 v4, 0xffff, v4
	v_and_b32_e32 v5, 3, v4
	v_ffbh_u32_e32 v7, v5
	v_min_u32_e32 v7, 32, v7
	v_subrev_u32_e32 v9, 29, v7
	v_bfe_u32 v6, v4, 2, 5
	v_lshlrev_b32_e32 v4, v9, v4
	v_sub_u32_e32 v7, 30, v7
	v_and_b32_e32 v4, 3, v4
	v_cmp_eq_u32_e32 vcc, 0, v6
	v_cndmask_b32_e32 v6, v6, v7, vcc
	v_cndmask_b32_e32 v4, v5, v4, vcc
	v_mov_b32_e32 v5, 0x37800000
	v_lshlrev_b32_e32 v4, 21, v4
	v_and_b32_e32 v3, 0x80000000, v3
	v_lshl_add_u32 v5, v6, 23, v5
	v_or3_b32 v3, v3, v5, v4
	v_cvt_i32_f32_e32 v3, v3
.LBB111_603:
	s_or_b64 exec, exec, s[0:1]
	s_mov_b64 s[0:1], 0
	s_branch .LBB111_609
.LBB111_604:
	s_mov_b64 s[8:9], -1
                                        ; implicit-def: $vgpr3
	s_branch .LBB111_615
.LBB111_605:
	s_andn2_saveexec_b64 s[0:1], s[0:1]
	s_cbranch_execz .LBB111_590
.LBB111_606:
	v_cmp_ne_u16_e32 vcc, 0, v4
	s_andn2_b64 s[8:9], s[8:9], exec
	s_and_b64 s[12:13], vcc, exec
	s_or_b64 s[8:9], s[8:9], s[12:13]
	s_or_b64 exec, exec, s[0:1]
	v_mov_b32_e32 v3, 0
	s_and_saveexec_b64 s[0:1], s[8:9]
	s_cbranch_execnz .LBB111_591
	s_branch .LBB111_592
.LBB111_607:
	s_mov_b64 s[0:1], -1
                                        ; implicit-def: $vgpr3
	s_branch .LBB111_612
.LBB111_608:
	s_mov_b64 s[0:1], -1
                                        ; implicit-def: $vgpr3
.LBB111_609:
	s_and_b64 vcc, exec, s[0:1]
	s_cbranch_vccz .LBB111_611
; %bb.610:
	global_load_ubyte v3, v[1:2], off
	s_mov_b32 s0, 0x7f800000
	s_waitcnt vmcnt(0)
	v_lshlrev_b32_e32 v3, 24, v3
	v_and_b32_e32 v4, 0x7f000000, v3
	v_ffbh_u32_e32 v5, v4
	v_min_u32_e32 v5, 32, v5
	v_sub_u32_e64 v5, v5, 4 clamp
	v_lshlrev_b32_e32 v7, v5, v4
	v_lshlrev_b32_e32 v5, 23, v5
	v_lshrrev_b32_e32 v7, 4, v7
	v_add_u32_e32 v6, 0x1000000, v4
	v_sub_u32_e32 v5, v7, v5
	v_ashrrev_i32_e32 v6, 8, v6
	v_add_u32_e32 v5, 0x3c000000, v5
	v_and_or_b32 v5, v6, s0, v5
	v_cmp_ne_u32_e32 vcc, 0, v4
	v_cndmask_b32_e32 v4, 0, v5, vcc
	s_brev_b32 s0, 1
	v_and_or_b32 v3, v3, s0, v4
	v_cvt_i32_f32_e32 v3, v3
.LBB111_611:
	s_mov_b64 s[0:1], 0
.LBB111_612:
	s_andn2_b64 vcc, exec, s[0:1]
	s_cbranch_vccnz .LBB111_614
; %bb.613:
	global_load_ubyte v3, v[1:2], off
	s_movk_i32 s0, 0x7f00
	s_brev_b32 s1, 16
	s_waitcnt vmcnt(0)
	v_lshlrev_b16_e32 v4, 8, v3
	v_lshlrev_b32_e32 v3, 25, v3
	v_lshrrev_b32_e32 v5, 4, v3
	v_and_or_b32 v6, v4, s0, 0.5
	v_or_b32_e32 v5, 0x70000000, v5
	v_add_f32_e32 v6, -0.5, v6
	v_mul_f32_e32 v5, 0x7800000, v5
	v_cmp_gt_u32_e32 vcc, s1, v3
	v_bfe_i32 v4, v4, 0, 16
	v_cndmask_b32_e32 v3, v5, v6, vcc
	s_brev_b32 s0, 1
	v_and_or_b32 v3, v4, s0, v3
	v_cvt_i32_f32_e32 v3, v3
.LBB111_614:
	s_mov_b64 s[8:9], 0
	s_mov_b64 s[0:1], -1
.LBB111_615:
	s_andn2_b64 vcc, exec, s[8:9]
	s_cbranch_vccnz .LBB111_628
; %bb.616:
	s_cmp_gt_i32 s10, 14
	s_cbranch_scc0 .LBB111_619
; %bb.617:
	s_cmp_eq_u32 s10, 15
	s_cbranch_scc0 .LBB111_622
; %bb.618:
	global_load_ushort v3, v[1:2], off
	s_mov_b64 s[0:1], -1
	s_mov_b64 s[2:3], 0
	s_waitcnt vmcnt(0)
	v_lshlrev_b32_e32 v3, 16, v3
	v_cvt_i32_f32_e32 v3, v3
	s_branch .LBB111_623
.LBB111_619:
	s_mov_b64 s[8:9], -1
                                        ; implicit-def: $vgpr3
	s_branch .LBB111_624
.LBB111_620:
	s_andn2_saveexec_b64 s[0:1], s[0:1]
	s_cbranch_execz .LBB111_601
.LBB111_621:
	v_cmp_ne_u16_e32 vcc, 0, v4
	s_andn2_b64 s[8:9], s[8:9], exec
	s_and_b64 s[12:13], vcc, exec
	s_or_b64 s[8:9], s[8:9], s[12:13]
	s_or_b64 exec, exec, s[0:1]
	v_mov_b32_e32 v3, 0
	s_and_saveexec_b64 s[0:1], s[8:9]
	s_cbranch_execnz .LBB111_602
	s_branch .LBB111_603
.LBB111_622:
	s_mov_b64 s[2:3], -1
                                        ; implicit-def: $vgpr3
.LBB111_623:
	s_mov_b64 s[8:9], 0
.LBB111_624:
	s_and_b64 vcc, exec, s[8:9]
	s_cbranch_vccz .LBB111_628
; %bb.625:
	s_cmp_eq_u32 s10, 11
	s_cbranch_scc0 .LBB111_627
; %bb.626:
	global_load_ubyte v3, v[1:2], off
	s_mov_b64 s[0:1], -1
	s_mov_b64 s[2:3], 0
	s_waitcnt vmcnt(0)
	v_cmp_ne_u16_e32 vcc, 0, v3
	v_cndmask_b32_e64 v3, 0, 1, vcc
	s_branch .LBB111_628
.LBB111_627:
	s_mov_b64 s[2:3], -1
                                        ; implicit-def: $vgpr3
.LBB111_628:
	s_mov_b64 s[8:9], 0
.LBB111_629:
	s_and_b64 vcc, exec, s[8:9]
	s_cbranch_vccz .LBB111_678
; %bb.630:
	s_cmp_lt_i32 s10, 5
	s_cbranch_scc1 .LBB111_635
; %bb.631:
	s_cmp_lt_i32 s10, 8
	s_cbranch_scc1 .LBB111_636
	;; [unrolled: 3-line block ×3, first 2 shown]
; %bb.633:
	s_cmp_gt_i32 s10, 9
	s_cbranch_scc0 .LBB111_638
; %bb.634:
	global_load_dwordx2 v[3:4], v[1:2], off
	s_mov_b64 s[0:1], 0
	s_waitcnt vmcnt(0)
	v_cvt_i32_f64_e32 v3, v[3:4]
	s_branch .LBB111_639
.LBB111_635:
	s_mov_b64 s[0:1], -1
                                        ; implicit-def: $vgpr3
	s_branch .LBB111_657
.LBB111_636:
	s_mov_b64 s[0:1], -1
                                        ; implicit-def: $vgpr3
	s_branch .LBB111_645
.LBB111_637:
	s_mov_b64 s[0:1], -1
                                        ; implicit-def: $vgpr3
	s_branch .LBB111_642
.LBB111_638:
	s_mov_b64 s[0:1], -1
                                        ; implicit-def: $vgpr3
.LBB111_639:
	s_andn2_b64 vcc, exec, s[0:1]
	s_cbranch_vccnz .LBB111_641
; %bb.640:
	global_load_dword v3, v[1:2], off
	s_waitcnt vmcnt(0)
	v_cvt_i32_f32_e32 v3, v3
.LBB111_641:
	s_mov_b64 s[0:1], 0
.LBB111_642:
	s_andn2_b64 vcc, exec, s[0:1]
	s_cbranch_vccnz .LBB111_644
; %bb.643:
	global_load_dword v3, v[1:2], off
	s_waitcnt vmcnt(0)
	v_cvt_i16_f16_e32 v3, v3
.LBB111_644:
	s_mov_b64 s[0:1], 0
.LBB111_645:
	s_andn2_b64 vcc, exec, s[0:1]
	s_cbranch_vccnz .LBB111_656
; %bb.646:
	s_cmp_lt_i32 s10, 6
	s_cbranch_scc1 .LBB111_649
; %bb.647:
	s_cmp_gt_i32 s10, 6
	s_cbranch_scc0 .LBB111_650
; %bb.648:
	global_load_dwordx2 v[3:4], v[1:2], off
	s_mov_b64 s[0:1], 0
	s_waitcnt vmcnt(0)
	v_cvt_i32_f64_e32 v3, v[3:4]
	s_branch .LBB111_651
.LBB111_649:
	s_mov_b64 s[0:1], -1
                                        ; implicit-def: $vgpr3
	s_branch .LBB111_654
.LBB111_650:
	s_mov_b64 s[0:1], -1
                                        ; implicit-def: $vgpr3
.LBB111_651:
	s_andn2_b64 vcc, exec, s[0:1]
	s_cbranch_vccnz .LBB111_653
; %bb.652:
	global_load_dword v3, v[1:2], off
	s_waitcnt vmcnt(0)
	v_cvt_i32_f32_e32 v3, v3
.LBB111_653:
	s_mov_b64 s[0:1], 0
.LBB111_654:
	s_andn2_b64 vcc, exec, s[0:1]
	s_cbranch_vccnz .LBB111_656
; %bb.655:
	global_load_ushort v3, v[1:2], off
	s_waitcnt vmcnt(0)
	v_cvt_i16_f16_e32 v3, v3
.LBB111_656:
	s_mov_b64 s[0:1], 0
.LBB111_657:
	s_andn2_b64 vcc, exec, s[0:1]
	s_cbranch_vccnz .LBB111_677
; %bb.658:
	s_cmp_lt_i32 s10, 2
	s_cbranch_scc1 .LBB111_662
; %bb.659:
	s_cmp_lt_i32 s10, 3
	s_cbranch_scc1 .LBB111_663
; %bb.660:
	s_cmp_gt_i32 s10, 3
	s_cbranch_scc0 .LBB111_664
; %bb.661:
	global_load_dwordx2 v[3:4], v[1:2], off
	s_mov_b64 s[0:1], 0
	s_branch .LBB111_665
.LBB111_662:
	s_mov_b64 s[0:1], -1
                                        ; implicit-def: $vgpr3
	s_branch .LBB111_671
.LBB111_663:
	s_mov_b64 s[0:1], -1
                                        ; implicit-def: $vgpr3
	s_branch .LBB111_668
.LBB111_664:
	s_mov_b64 s[0:1], -1
                                        ; implicit-def: $vgpr3
.LBB111_665:
	s_andn2_b64 vcc, exec, s[0:1]
	s_cbranch_vccnz .LBB111_667
; %bb.666:
	global_load_dword v3, v[1:2], off
.LBB111_667:
	s_mov_b64 s[0:1], 0
.LBB111_668:
	s_andn2_b64 vcc, exec, s[0:1]
	s_cbranch_vccnz .LBB111_670
; %bb.669:
	global_load_ushort v3, v[1:2], off
.LBB111_670:
	s_mov_b64 s[0:1], 0
.LBB111_671:
	s_andn2_b64 vcc, exec, s[0:1]
	s_cbranch_vccnz .LBB111_677
; %bb.672:
	s_cmp_gt_i32 s10, 0
	s_cbranch_scc0 .LBB111_674
; %bb.673:
	global_load_sbyte v3, v[1:2], off
	s_mov_b64 s[0:1], 0
	s_branch .LBB111_675
.LBB111_674:
	s_mov_b64 s[0:1], -1
                                        ; implicit-def: $vgpr3
.LBB111_675:
	s_andn2_b64 vcc, exec, s[0:1]
	s_cbranch_vccnz .LBB111_677
; %bb.676:
	global_load_ubyte v3, v[1:2], off
.LBB111_677:
	s_mov_b64 s[0:1], -1
.LBB111_678:
	s_andn2_b64 vcc, exec, s[0:1]
	s_cbranch_vccnz .LBB111_686
; %bb.679:
	v_mov_b32_e32 v1, s76
	v_mov_b32_e32 v2, s45
	s_waitcnt vmcnt(0)
	v_cmp_lt_i16_e32 vcc, s44, v3
	v_cndmask_b32_e32 v4, v1, v2, vcc
	v_mov_b32_e32 v1, s25
	s_and_b32 s14, s75, 0xff
	v_add_co_u32_e32 v0, vcc, s24, v0
	s_cmp_lt_i32 s14, 11
	v_addc_co_u32_e32 v1, vcc, 0, v1, vcc
	s_cbranch_scc1 .LBB111_687
; %bb.680:
	s_and_b32 s15, 0xffff, s14
	s_cmp_gt_i32 s15, 25
	s_cbranch_scc0 .LBB111_688
; %bb.681:
	s_cmp_gt_i32 s15, 28
	s_cbranch_scc0 .LBB111_689
; %bb.682:
	;; [unrolled: 3-line block ×4, first 2 shown]
	s_mov_b64 s[10:11], 0
	s_mov_b64 s[0:1], -1
	s_cmp_eq_u32 s15, 46
	s_mov_b64 s[8:9], 0
	s_cbranch_scc0 .LBB111_692
; %bb.685:
	v_cvt_f32_i32_sdwa v2, sext(v4) dst_sel:DWORD dst_unused:UNUSED_PAD src0_sel:WORD_0
	s_movk_i32 s0, 0x7fff
	s_mov_b64 s[8:9], -1
	v_bfe_u32 v3, v2, 16, 1
	v_add3_u32 v2, v2, v3, s0
	v_lshrrev_b32_e32 v2, 16, v2
	global_store_dword v[0:1], v2, off
	s_mov_b64 s[0:1], 0
	s_branch .LBB111_692
.LBB111_686:
	s_mov_b64 s[8:9], 0
	s_mov_b64 s[0:1], s[62:63]
	s_branch .LBB111_803
.LBB111_687:
	s_mov_b64 s[10:11], -1
	s_mov_b64 s[8:9], 0
	s_mov_b64 s[0:1], s[62:63]
	s_branch .LBB111_761
.LBB111_688:
	s_mov_b64 s[10:11], -1
	s_mov_b64 s[8:9], 0
	s_mov_b64 s[0:1], s[62:63]
	s_branch .LBB111_719
.LBB111_689:
	s_mov_b64 s[10:11], -1
	s_mov_b64 s[8:9], 0
	s_mov_b64 s[0:1], s[62:63]
	s_branch .LBB111_702
.LBB111_690:
	s_mov_b64 s[10:11], -1
	s_mov_b64 s[8:9], 0
	s_mov_b64 s[0:1], s[62:63]
	s_branch .LBB111_698
.LBB111_691:
	s_mov_b64 s[10:11], -1
	s_mov_b64 s[8:9], 0
	s_mov_b64 s[0:1], s[62:63]
.LBB111_692:
	s_and_b64 vcc, exec, s[10:11]
	s_cbranch_vccz .LBB111_697
; %bb.693:
	s_cmp_eq_u32 s15, 44
	s_mov_b64 s[0:1], -1
	s_cbranch_scc0 .LBB111_697
; %bb.694:
	v_cvt_f32_i32_sdwa v2, sext(v4) dst_sel:DWORD dst_unused:UNUSED_PAD src0_sel:WORD_0
	s_movk_i32 s0, 0xff
	v_mov_b32_e32 v5, 0xff
	v_bfe_u32 v3, v2, 23, 8
	v_cmp_ne_u32_e32 vcc, s0, v3
	s_and_saveexec_b64 s[8:9], vcc
; %bb.695:
	s_mov_b32 s0, 0x3fffff
	v_lshrrev_b32_e32 v5, 23, v2
	v_and_b32_e32 v6, 0x400000, v2
	v_and_or_b32 v2, v2, s0, v3
	v_cmp_ne_u32_e32 vcc, 0, v6
	v_cmp_ne_u32_e64 s[0:1], 0, v2
	s_and_b64 s[0:1], vcc, s[0:1]
	v_cndmask_b32_e64 v2, 0, 1, s[0:1]
	v_add_u32_e32 v5, v5, v2
; %bb.696:
	s_or_b64 exec, exec, s[8:9]
	s_mov_b64 s[8:9], -1
	s_mov_b64 s[0:1], 0
	global_store_byte v[0:1], v5, off
.LBB111_697:
	s_mov_b64 s[10:11], 0
.LBB111_698:
	s_and_b64 vcc, exec, s[10:11]
	s_cbranch_vccz .LBB111_701
; %bb.699:
	s_cmp_eq_u32 s15, 29
	s_mov_b64 s[0:1], -1
	s_cbranch_scc0 .LBB111_701
; %bb.700:
	v_bfe_i32 v2, v4, 0, 16
	v_ashrrev_i32_e32 v3, 31, v2
	global_store_dwordx2 v[0:1], v[2:3], off
	s_mov_b64 s[8:9], -1
	s_mov_b64 s[0:1], 0
.LBB111_701:
	s_mov_b64 s[10:11], 0
.LBB111_702:
	s_and_b64 vcc, exec, s[10:11]
	s_cbranch_vccz .LBB111_718
; %bb.703:
	s_cmp_lt_i32 s15, 27
	s_mov_b64 s[8:9], -1
	s_cbranch_scc1 .LBB111_709
; %bb.704:
	s_cmp_gt_i32 s15, 27
	s_cbranch_scc0 .LBB111_706
; %bb.705:
	v_bfe_i32 v2, v4, 0, 16
	s_mov_b64 s[8:9], 0
	global_store_dword v[0:1], v2, off
.LBB111_706:
	s_andn2_b64 vcc, exec, s[8:9]
	s_cbranch_vccnz .LBB111_708
; %bb.707:
	global_store_short v[0:1], v4, off
.LBB111_708:
	s_mov_b64 s[8:9], 0
.LBB111_709:
	s_andn2_b64 vcc, exec, s[8:9]
	s_cbranch_vccnz .LBB111_717
; %bb.710:
	v_cvt_f32_i32_sdwa v2, sext(v4) dst_sel:DWORD dst_unused:UNUSED_PAD src0_sel:WORD_0
	s_mov_b32 s8, 0x43800000
	v_mov_b32_e32 v5, 0x80
	v_and_b32_e32 v3, 0x7fffffff, v2
	v_cmp_gt_u32_e32 vcc, s8, v3
	s_and_saveexec_b64 s[8:9], vcc
	s_cbranch_execz .LBB111_716
; %bb.711:
	s_mov_b32 s10, 0x3bffffff
	v_cmp_lt_u32_e32 vcc, s10, v3
	s_mov_b64 s[10:11], 0
                                        ; implicit-def: $vgpr3
	s_and_saveexec_b64 s[12:13], vcc
	s_xor_b64 s[12:13], exec, s[12:13]
	s_cbranch_execz .LBB111_833
; %bb.712:
	v_bfe_u32 v3, v2, 20, 1
	s_mov_b32 s16, 0x487ffff
	v_add3_u32 v3, v2, v3, s16
	s_mov_b64 s[10:11], exec
	v_lshrrev_b32_e32 v3, 20, v3
	s_andn2_saveexec_b64 s[12:13], s[12:13]
	s_cbranch_execnz .LBB111_834
.LBB111_713:
	s_or_b64 exec, exec, s[12:13]
	v_mov_b32_e32 v5, 0
	s_and_saveexec_b64 s[12:13], s[10:11]
.LBB111_714:
	v_lshrrev_b32_e32 v2, 24, v2
	s_movk_i32 s10, 0x80
	v_and_or_b32 v5, v2, s10, v3
.LBB111_715:
	s_or_b64 exec, exec, s[12:13]
.LBB111_716:
	s_or_b64 exec, exec, s[8:9]
	global_store_byte v[0:1], v5, off
.LBB111_717:
	s_mov_b64 s[8:9], -1
.LBB111_718:
	s_mov_b64 s[10:11], 0
.LBB111_719:
	s_and_b64 vcc, exec, s[10:11]
	s_cbranch_vccz .LBB111_760
; %bb.720:
	s_cmp_gt_i32 s15, 22
	s_mov_b64 s[10:11], -1
	s_cbranch_scc0 .LBB111_752
; %bb.721:
	s_cmp_lt_i32 s15, 24
	s_mov_b64 s[8:9], -1
	s_cbranch_scc1 .LBB111_741
; %bb.722:
	s_cmp_gt_i32 s15, 24
	s_cbranch_scc0 .LBB111_730
; %bb.723:
	v_cvt_f32_i32_sdwa v2, sext(v4) dst_sel:DWORD dst_unused:UNUSED_PAD src0_sel:WORD_0
	s_mov_b32 s8, 0x47800000
	v_mov_b32_e32 v5, 0x80
	v_and_b32_e32 v3, 0x7fffffff, v2
	v_cmp_gt_u32_e32 vcc, s8, v3
	s_and_saveexec_b64 s[8:9], vcc
	s_cbranch_execz .LBB111_729
; %bb.724:
	s_mov_b32 s10, 0x37ffffff
	v_cmp_lt_u32_e32 vcc, s10, v3
	s_mov_b64 s[10:11], 0
                                        ; implicit-def: $vgpr3
	s_and_saveexec_b64 s[12:13], vcc
	s_xor_b64 s[12:13], exec, s[12:13]
	s_cbranch_execz .LBB111_836
; %bb.725:
	v_bfe_u32 v3, v2, 21, 1
	s_mov_b32 s16, 0x88fffff
	v_add3_u32 v3, v2, v3, s16
	s_mov_b64 s[10:11], exec
	v_lshrrev_b32_e32 v3, 21, v3
	s_andn2_saveexec_b64 s[12:13], s[12:13]
	s_cbranch_execnz .LBB111_837
.LBB111_726:
	s_or_b64 exec, exec, s[12:13]
	v_mov_b32_e32 v5, 0
	s_and_saveexec_b64 s[12:13], s[10:11]
.LBB111_727:
	v_lshrrev_b32_e32 v2, 24, v2
	s_movk_i32 s10, 0x80
	v_and_or_b32 v5, v2, s10, v3
.LBB111_728:
	s_or_b64 exec, exec, s[12:13]
.LBB111_729:
	s_or_b64 exec, exec, s[8:9]
	s_mov_b64 s[8:9], 0
	global_store_byte v[0:1], v5, off
.LBB111_730:
	s_and_b64 vcc, exec, s[8:9]
	s_cbranch_vccz .LBB111_740
; %bb.731:
	v_cvt_f32_i32_sdwa v2, sext(v4) dst_sel:DWORD dst_unused:UNUSED_PAD src0_sel:WORD_0
	s_mov_b32 s8, 0x43f00000
                                        ; implicit-def: $vgpr3
	v_and_b32_e32 v5, 0x7fffffff, v2
	v_cmp_gt_u32_e32 vcc, s8, v5
	s_and_saveexec_b64 s[8:9], vcc
	s_xor_b64 s[8:9], exec, s[8:9]
	s_cbranch_execz .LBB111_737
; %bb.732:
	s_mov_b32 s10, 0x3c7fffff
	v_cmp_lt_u32_e32 vcc, s10, v5
                                        ; implicit-def: $vgpr3
	s_and_saveexec_b64 s[10:11], vcc
	s_xor_b64 s[10:11], exec, s[10:11]
; %bb.733:
	v_bfe_u32 v3, v2, 20, 1
	s_mov_b32 s12, 0x407ffff
	v_add3_u32 v3, v2, v3, s12
	v_lshrrev_b32_e32 v5, 20, v3
	v_and_b32_e32 v3, 0xff00000, v3
	s_mov_b32 s12, 0x7f00000
	v_mov_b32_e32 v6, 0x7e
	v_cmp_ne_u32_e32 vcc, s12, v3
	v_cndmask_b32_e32 v3, v6, v5, vcc
; %bb.734:
	s_andn2_saveexec_b64 s[10:11], s[10:11]
; %bb.735:
	s_mov_b32 s12, 0x46800000
	v_add_f32_e64 v3, |v2|, s12
; %bb.736:
	s_or_b64 exec, exec, s[10:11]
                                        ; implicit-def: $vgpr5
.LBB111_737:
	s_andn2_saveexec_b64 s[8:9], s[8:9]
; %bb.738:
	s_mov_b32 s10, 0x7f800000
	v_mov_b32_e32 v3, 0x7e
	v_mov_b32_e32 v6, 0x7f
	v_cmp_lt_u32_e32 vcc, s10, v5
	v_cndmask_b32_e32 v3, v3, v6, vcc
; %bb.739:
	s_or_b64 exec, exec, s[8:9]
	v_lshrrev_b32_e32 v2, 24, v2
	s_movk_i32 s8, 0x80
	v_and_or_b32 v2, v2, s8, v3
	global_store_byte v[0:1], v2, off
.LBB111_740:
	s_mov_b64 s[8:9], 0
.LBB111_741:
	s_andn2_b64 vcc, exec, s[8:9]
	s_cbranch_vccnz .LBB111_751
; %bb.742:
	v_cvt_f32_i32_sdwa v2, sext(v4) dst_sel:DWORD dst_unused:UNUSED_PAD src0_sel:WORD_0
	s_mov_b32 s8, 0x47800000
                                        ; implicit-def: $vgpr3
	v_and_b32_e32 v5, 0x7fffffff, v2
	v_cmp_gt_u32_e32 vcc, s8, v5
	s_and_saveexec_b64 s[8:9], vcc
	s_xor_b64 s[8:9], exec, s[8:9]
	s_cbranch_execz .LBB111_748
; %bb.743:
	s_mov_b32 s10, 0x387fffff
	v_cmp_lt_u32_e32 vcc, s10, v5
                                        ; implicit-def: $vgpr3
	s_and_saveexec_b64 s[10:11], vcc
	s_xor_b64 s[10:11], exec, s[10:11]
; %bb.744:
	v_bfe_u32 v3, v2, 21, 1
	s_mov_b32 s12, 0x80fffff
	v_add3_u32 v3, v2, v3, s12
	v_lshrrev_b32_e32 v3, 21, v3
; %bb.745:
	s_andn2_saveexec_b64 s[10:11], s[10:11]
; %bb.746:
	s_mov_b32 s12, 0x43000000
	v_add_f32_e64 v3, |v2|, s12
; %bb.747:
	s_or_b64 exec, exec, s[10:11]
                                        ; implicit-def: $vgpr5
.LBB111_748:
	s_andn2_saveexec_b64 s[8:9], s[8:9]
; %bb.749:
	s_mov_b32 s10, 0x7f800000
	v_mov_b32_e32 v3, 0x7c
	v_mov_b32_e32 v6, 0x7f
	v_cmp_lt_u32_e32 vcc, s10, v5
	v_cndmask_b32_e32 v3, v3, v6, vcc
; %bb.750:
	s_or_b64 exec, exec, s[8:9]
	v_lshrrev_b32_e32 v2, 24, v2
	s_movk_i32 s8, 0x80
	v_and_or_b32 v2, v2, s8, v3
	global_store_byte v[0:1], v2, off
.LBB111_751:
	s_mov_b64 s[10:11], 0
	s_mov_b64 s[8:9], -1
.LBB111_752:
	s_andn2_b64 vcc, exec, s[10:11]
	s_cbranch_vccnz .LBB111_760
; %bb.753:
	s_cmp_gt_i32 s15, 14
	s_mov_b64 s[10:11], -1
	s_cbranch_scc0 .LBB111_757
; %bb.754:
	s_cmp_eq_u32 s15, 15
	s_mov_b64 s[0:1], -1
	s_cbranch_scc0 .LBB111_756
; %bb.755:
	v_cvt_f32_i32_sdwa v2, sext(v4) dst_sel:DWORD dst_unused:UNUSED_PAD src0_sel:WORD_0
	s_movk_i32 s0, 0x7fff
	s_mov_b64 s[8:9], -1
	v_bfe_u32 v3, v2, 16, 1
	v_add3_u32 v2, v2, v3, s0
	global_store_short_d16_hi v[0:1], v2, off
	s_mov_b64 s[0:1], 0
.LBB111_756:
	s_mov_b64 s[10:11], 0
.LBB111_757:
	s_and_b64 vcc, exec, s[10:11]
	s_cbranch_vccz .LBB111_760
; %bb.758:
	s_cmp_eq_u32 s15, 11
	s_mov_b64 s[0:1], -1
	s_cbranch_scc0 .LBB111_760
; %bb.759:
	v_cmp_ne_u16_e32 vcc, 0, v4
	v_cndmask_b32_e64 v2, 0, 1, vcc
	s_mov_b64 s[8:9], -1
	s_mov_b64 s[0:1], 0
	global_store_byte v[0:1], v2, off
.LBB111_760:
	s_mov_b64 s[10:11], 0
.LBB111_761:
	s_and_b64 vcc, exec, s[10:11]
	s_cbranch_vccz .LBB111_800
; %bb.762:
	s_and_b32 s10, 0xffff, s14
	s_cmp_lt_i32 s10, 5
	s_mov_b64 s[8:9], -1
	s_cbranch_scc1 .LBB111_783
; %bb.763:
	s_cmp_lt_i32 s10, 8
	s_cbranch_scc1 .LBB111_773
; %bb.764:
	s_cmp_lt_i32 s10, 9
	s_cbranch_scc1 .LBB111_770
; %bb.765:
	s_cmp_gt_i32 s10, 9
	s_cbranch_scc0 .LBB111_767
; %bb.766:
	v_bfe_i32 v2, v4, 0, 16
	v_cvt_f64_i32_e32 v[9:10], v2
	v_mov_b32_e32 v11, 0
	v_mov_b32_e32 v12, v11
	s_mov_b64 s[8:9], 0
	global_store_dwordx4 v[0:1], v[9:12], off
.LBB111_767:
	s_andn2_b64 vcc, exec, s[8:9]
	s_cbranch_vccnz .LBB111_769
; %bb.768:
	v_cvt_f32_i32_sdwa v2, sext(v4) dst_sel:DWORD dst_unused:UNUSED_PAD src0_sel:WORD_0
	v_mov_b32_e32 v3, 0
	global_store_dwordx2 v[0:1], v[2:3], off
.LBB111_769:
	s_mov_b64 s[8:9], 0
.LBB111_770:
	s_andn2_b64 vcc, exec, s[8:9]
	s_cbranch_vccnz .LBB111_772
; %bb.771:
	v_cvt_f16_i16_e32 v2, v4
	global_store_dword v[0:1], v2, off
.LBB111_772:
	s_mov_b64 s[8:9], 0
.LBB111_773:
	s_andn2_b64 vcc, exec, s[8:9]
	s_cbranch_vccnz .LBB111_782
; %bb.774:
	s_cmp_lt_i32 s10, 6
	s_mov_b64 s[8:9], -1
	s_cbranch_scc1 .LBB111_780
; %bb.775:
	s_cmp_gt_i32 s10, 6
	s_cbranch_scc0 .LBB111_777
; %bb.776:
	v_bfe_i32 v2, v4, 0, 16
	v_cvt_f64_i32_e32 v[2:3], v2
	s_mov_b64 s[8:9], 0
	global_store_dwordx2 v[0:1], v[2:3], off
.LBB111_777:
	s_andn2_b64 vcc, exec, s[8:9]
	s_cbranch_vccnz .LBB111_779
; %bb.778:
	v_cvt_f32_i32_sdwa v2, sext(v4) dst_sel:DWORD dst_unused:UNUSED_PAD src0_sel:WORD_0
	global_store_dword v[0:1], v2, off
.LBB111_779:
	s_mov_b64 s[8:9], 0
.LBB111_780:
	s_andn2_b64 vcc, exec, s[8:9]
	s_cbranch_vccnz .LBB111_782
; %bb.781:
	v_cvt_f16_i16_e32 v2, v4
	global_store_short v[0:1], v2, off
.LBB111_782:
	s_mov_b64 s[8:9], 0
.LBB111_783:
	s_andn2_b64 vcc, exec, s[8:9]
	s_cbranch_vccnz .LBB111_799
; %bb.784:
	s_cmp_lt_i32 s10, 2
	s_mov_b64 s[8:9], -1
	s_cbranch_scc1 .LBB111_794
; %bb.785:
	s_cmp_lt_i32 s10, 3
	s_cbranch_scc1 .LBB111_791
; %bb.786:
	s_cmp_gt_i32 s10, 3
	v_bfe_i32 v2, v4, 0, 16
	s_cbranch_scc0 .LBB111_788
; %bb.787:
	v_ashrrev_i32_e32 v3, 31, v2
	s_mov_b64 s[8:9], 0
	global_store_dwordx2 v[0:1], v[2:3], off
.LBB111_788:
	s_andn2_b64 vcc, exec, s[8:9]
	s_cbranch_vccnz .LBB111_790
; %bb.789:
	global_store_dword v[0:1], v2, off
.LBB111_790:
	s_mov_b64 s[8:9], 0
.LBB111_791:
	s_andn2_b64 vcc, exec, s[8:9]
	s_cbranch_vccnz .LBB111_793
; %bb.792:
	global_store_short v[0:1], v4, off
.LBB111_793:
	s_mov_b64 s[8:9], 0
.LBB111_794:
	s_andn2_b64 vcc, exec, s[8:9]
	s_cbranch_vccnz .LBB111_799
; %bb.795:
	s_cmp_gt_i32 s10, 0
	s_mov_b64 s[8:9], -1
	s_cbranch_scc0 .LBB111_797
; %bb.796:
	s_mov_b64 s[8:9], 0
	global_store_byte v[0:1], v4, off
.LBB111_797:
	s_andn2_b64 vcc, exec, s[8:9]
	s_cbranch_vccnz .LBB111_799
; %bb.798:
	global_store_byte v[0:1], v4, off
.LBB111_799:
	s_mov_b64 s[8:9], -1
.LBB111_800:
	s_andn2_b64 vcc, exec, s[8:9]
	s_cbranch_vccnz .LBB111_802
; %bb.801:
	v_add_u32_e32 v8, 0x80, v8
	s_mov_b64 s[8:9], -1
	s_branch .LBB111_804
.LBB111_802:
	s_mov_b64 s[8:9], 0
.LBB111_803:
                                        ; implicit-def: $vgpr8
.LBB111_804:
	s_andn2_b64 s[10:11], s[62:63], exec
	s_and_b64 s[0:1], s[0:1], exec
	s_or_b64 s[70:71], s[10:11], s[0:1]
	s_andn2_b64 s[0:1], s[60:61], exec
	s_and_b64 s[2:3], s[2:3], exec
	s_or_b64 s[68:69], s[0:1], s[2:3]
	s_orn2_b64 s[2:3], s[8:9], exec
.LBB111_805:
	s_or_b64 exec, exec, s[66:67]
	s_mov_b64 s[0:1], 0
	s_mov_b64 s[8:9], 0
	;; [unrolled: 1-line block ×3, first 2 shown]
                                        ; implicit-def: $vgpr1_vgpr2
                                        ; implicit-def: $vgpr0
                                        ; implicit-def: $vgpr3
	s_and_saveexec_b64 s[66:67], s[2:3]
	s_cbranch_execz .LBB111_900
; %bb.806:
	v_cmp_gt_i32_e32 vcc, s72, v8
	s_mov_b64 s[2:3], 0
	s_mov_b64 s[12:13], s[68:69]
                                        ; implicit-def: $vgpr1_vgpr2
                                        ; implicit-def: $vgpr0
                                        ; implicit-def: $vgpr3
	s_and_saveexec_b64 s[72:73], vcc
	s_cbranch_execz .LBB111_899
; %bb.807:
	s_andn2_b64 vcc, exec, s[40:41]
	s_cbranch_vccnz .LBB111_812
; %bb.808:
	s_andn2_b64 vcc, exec, s[52:53]
	s_cbranch_vccnz .LBB111_813
; %bb.809:
	s_add_i32 s79, s78, 1
	s_cmp_eq_u32 s74, 2
	s_cbranch_scc1 .LBB111_814
; %bb.810:
	s_and_b32 s78, s79, 28
	v_mov_b32_e32 v2, 0
	s_mov_b32 s80, 0
	s_mov_b64 s[52:53], s[34:35]
	v_mov_b32_e32 v0, 0
	v_mov_b32_e32 v1, v8
.LBB111_811:                            ; =>This Inner Loop Header: Depth=1
	s_load_dwordx8 s[16:23], s[52:53], 0x4
	s_load_dwordx4 s[0:3], s[52:53], 0x24
	s_load_dwordx8 s[8:15], s[50:51], 0x0
	s_add_u32 s52, s52, 48
	s_addc_u32 s53, s53, 0
	s_waitcnt vmcnt(0) lgkmcnt(0)
	v_mul_hi_u32 v3, s17, v1
	s_add_i32 s80, s80, 4
	s_add_u32 s50, s50, 32
	s_addc_u32 s51, s51, 0
	v_add_u32_e32 v3, v1, v3
	v_lshrrev_b32_e32 v3, s18, v3
	v_mul_lo_u32 v4, v3, s16
	v_mul_hi_u32 v5, s20, v3
	s_cmp_eq_u32 s78, s80
	v_sub_u32_e32 v1, v1, v4
	v_add_u32_e32 v4, v3, v5
	v_mul_lo_u32 v5, v1, s8
	v_mul_lo_u32 v6, v1, s9
	v_lshrrev_b32_e32 v1, s21, v4
	v_mul_lo_u32 v4, v1, s19
	v_mul_hi_u32 v7, s23, v1
	v_sub_u32_e32 v3, v3, v4
	v_add_u32_e32 v4, v1, v7
	v_lshrrev_b32_e32 v4, s0, v4
	v_mul_hi_u32 v9, s2, v4
	v_mul_lo_u32 v10, v4, s22
	v_mul_lo_u32 v7, v3, s10
	;; [unrolled: 1-line block ×3, first 2 shown]
	v_sub_u32_e32 v10, v1, v10
	v_add_u32_e32 v1, v4, v9
	v_lshrrev_b32_e32 v1, s3, v1
	v_mul_lo_u32 v9, v1, s1
	v_mul_lo_u32 v11, v10, s12
	;; [unrolled: 1-line block ×3, first 2 shown]
	v_add3_u32 v0, v5, v0, v7
	v_sub_u32_e32 v4, v4, v9
	v_mul_lo_u32 v9, v4, s14
	v_mul_lo_u32 v4, v4, s15
	v_add3_u32 v2, v6, v2, v3
	v_add3_u32 v0, v11, v0, v9
	;; [unrolled: 1-line block ×3, first 2 shown]
	s_cbranch_scc0 .LBB111_811
	s_branch .LBB111_815
.LBB111_812:
	s_mov_b64 s[0:1], -1
                                        ; implicit-def: $vgpr0
                                        ; implicit-def: $vgpr2
	s_branch .LBB111_819
.LBB111_813:
	v_mov_b32_e32 v0, 0
	v_mov_b32_e32 v2, 0
	s_branch .LBB111_818
.LBB111_814:
	s_mov_b32 s78, 0
	v_mov_b32_e32 v0, 0
	v_mov_b32_e32 v2, 0
	;; [unrolled: 1-line block ×3, first 2 shown]
.LBB111_815:
	s_and_b32 s8, s79, 3
	s_cmp_eq_u32 s8, 0
	s_cbranch_scc1 .LBB111_818
; %bb.816:
	s_lshl_b32 s0, s78, 3
	s_add_u32 s0, s34, s0
	s_addc_u32 s1, s35, 0
	s_add_u32 s0, s0, 0xc4
	s_addc_u32 s1, s1, 0
	s_mul_i32 s2, s78, 12
	s_add_u32 s2, s34, s2
	s_addc_u32 s3, s35, 0
.LBB111_817:                            ; =>This Inner Loop Header: Depth=1
	s_load_dwordx2 s[10:11], s[2:3], 0x4
	s_load_dword s9, s[2:3], 0xc
	s_load_dwordx2 s[12:13], s[0:1], 0x0
	s_add_u32 s2, s2, 12
	s_addc_u32 s3, s3, 0
	s_waitcnt vmcnt(0) lgkmcnt(0)
	v_mul_hi_u32 v3, s11, v1
	s_add_u32 s0, s0, 8
	s_addc_u32 s1, s1, 0
	s_add_i32 s8, s8, -1
	v_add_u32_e32 v3, v1, v3
	v_lshrrev_b32_e32 v4, s9, v3
	v_mul_lo_u32 v3, v4, s10
	s_cmp_lg_u32 s8, 0
	v_sub_u32_e32 v3, v1, v3
	v_mad_u64_u32 v[0:1], s[10:11], v3, s12, v[0:1]
	v_mad_u64_u32 v[2:3], s[10:11], v3, s13, v[2:3]
	v_mov_b32_e32 v1, v4
	s_cbranch_scc1 .LBB111_817
.LBB111_818:
	s_mov_b64 s[0:1], 0
.LBB111_819:
	s_andn2_b64 vcc, exec, s[0:1]
	s_cbranch_vccnz .LBB111_822
; %bb.820:
	v_mul_hi_u32 v0, s29, v8
	s_andn2_b64 vcc, exec, s[48:49]
	v_add_u32_e32 v0, v8, v0
	v_lshrrev_b32_e32 v1, s30, v0
	v_mul_lo_u32 v0, v1, s28
	v_sub_u32_e32 v2, v8, v0
	v_mul_lo_u32 v0, v2, s36
	v_mul_lo_u32 v2, v2, s37
	s_cbranch_vccnz .LBB111_822
; %bb.821:
	s_waitcnt vmcnt(0)
	v_mul_hi_u32 v3, s46, v1
	v_add_u32_e32 v3, v1, v3
	v_lshrrev_b32_e32 v3, s47, v3
	v_mul_lo_u32 v3, v3, s31
	v_sub_u32_e32 v3, v1, v3
	v_mad_u64_u32 v[0:1], s[0:1], v3, s38, v[0:1]
	v_mad_u64_u32 v[2:3], s[0:1], v3, s39, v[2:3]
.LBB111_822:
	s_waitcnt vmcnt(0)
	v_mov_b32_e32 v3, s27
	s_and_b32 s12, 0xffff, s77
	v_add_co_u32_e32 v1, vcc, s26, v2
	s_cmp_lt_i32 s12, 11
	v_addc_co_u32_e32 v2, vcc, 0, v3, vcc
	s_cbranch_scc1 .LBB111_829
; %bb.823:
	s_cmp_gt_i32 s12, 25
	s_mov_b64 s[2:3], 0
	s_cbranch_scc0 .LBB111_830
; %bb.824:
	s_cmp_gt_i32 s12, 28
	s_cbranch_scc0 .LBB111_831
; %bb.825:
	s_cmp_gt_i32 s12, 43
	s_cbranch_scc0 .LBB111_832
; %bb.826:
	s_cmp_gt_i32 s12, 45
	s_cbranch_scc0 .LBB111_835
; %bb.827:
	s_cmp_eq_u32 s12, 46
	s_mov_b64 s[10:11], 0
	s_cbranch_scc0 .LBB111_838
; %bb.828:
	global_load_dword v3, v[1:2], off
	s_mov_b64 s[0:1], 0
	s_mov_b64 s[8:9], -1
	s_waitcnt vmcnt(0)
	v_lshlrev_b32_e32 v3, 16, v3
	v_cvt_i32_f32_e32 v3, v3
	s_branch .LBB111_839
.LBB111_829:
	s_mov_b64 s[12:13], -1
	s_mov_b64 s[8:9], 0
	s_mov_b64 s[2:3], 0
	;; [unrolled: 1-line block ×3, first 2 shown]
                                        ; implicit-def: $vgpr3
	s_branch .LBB111_898
.LBB111_830:
	s_mov_b64 s[10:11], -1
	s_mov_b64 s[8:9], 0
	s_mov_b64 s[0:1], s[68:69]
                                        ; implicit-def: $vgpr3
	s_branch .LBB111_866
.LBB111_831:
	s_mov_b64 s[10:11], -1
	s_mov_b64 s[8:9], 0
	s_mov_b64 s[0:1], s[68:69]
                                        ; implicit-def: $vgpr3
	s_branch .LBB111_849
.LBB111_832:
	s_mov_b64 s[10:11], -1
	s_mov_b64 s[8:9], 0
	s_mov_b64 s[0:1], s[68:69]
                                        ; implicit-def: $vgpr3
	s_branch .LBB111_844
.LBB111_833:
	s_andn2_saveexec_b64 s[12:13], s[12:13]
	s_cbranch_execz .LBB111_713
.LBB111_834:
	s_mov_b32 s16, 0x46000000
	v_add_f32_e64 v3, |v2|, s16
	v_and_b32_e32 v3, 0xff, v3
	v_cmp_ne_u32_e32 vcc, 0, v3
	s_andn2_b64 s[10:11], s[10:11], exec
	s_and_b64 s[16:17], vcc, exec
	s_or_b64 s[10:11], s[10:11], s[16:17]
	s_or_b64 exec, exec, s[12:13]
	v_mov_b32_e32 v5, 0
	s_and_saveexec_b64 s[12:13], s[10:11]
	s_cbranch_execnz .LBB111_714
	s_branch .LBB111_715
.LBB111_835:
	s_mov_b64 s[10:11], -1
	s_mov_b64 s[8:9], 0
	s_mov_b64 s[0:1], s[68:69]
                                        ; implicit-def: $vgpr3
	s_branch .LBB111_839
.LBB111_836:
	s_andn2_saveexec_b64 s[12:13], s[12:13]
	s_cbranch_execz .LBB111_726
.LBB111_837:
	s_mov_b32 s16, 0x42800000
	v_add_f32_e64 v3, |v2|, s16
	v_and_b32_e32 v3, 0xff, v3
	v_cmp_ne_u32_e32 vcc, 0, v3
	s_andn2_b64 s[10:11], s[10:11], exec
	s_and_b64 s[16:17], vcc, exec
	s_or_b64 s[10:11], s[10:11], s[16:17]
	s_or_b64 exec, exec, s[12:13]
	v_mov_b32_e32 v5, 0
	s_and_saveexec_b64 s[12:13], s[10:11]
	s_cbranch_execnz .LBB111_727
	s_branch .LBB111_728
.LBB111_838:
	s_mov_b64 s[0:1], -1
                                        ; implicit-def: $vgpr3
	s_mov_b64 s[8:9], 0
.LBB111_839:
	s_and_b64 vcc, exec, s[10:11]
	s_cbranch_vccz .LBB111_843
; %bb.840:
	s_cmp_eq_u32 s12, 44
	s_cbranch_scc0 .LBB111_842
; %bb.841:
	global_load_ubyte v3, v[1:2], off
	s_mov_b64 s[0:1], 0
	s_mov_b64 s[8:9], -1
	s_waitcnt vmcnt(0)
	v_lshlrev_b32_e32 v4, 23, v3
	v_cvt_i32_f32_e32 v4, v4
	v_cmp_ne_u32_e32 vcc, 0, v3
	v_cndmask_b32_e32 v3, 0, v4, vcc
	s_branch .LBB111_843
.LBB111_842:
	s_mov_b64 s[0:1], -1
                                        ; implicit-def: $vgpr3
.LBB111_843:
	s_mov_b64 s[10:11], 0
.LBB111_844:
	s_and_b64 vcc, exec, s[10:11]
	s_cbranch_vccz .LBB111_848
; %bb.845:
	s_cmp_eq_u32 s12, 29
	s_cbranch_scc0 .LBB111_847
; %bb.846:
	global_load_dwordx2 v[3:4], v[1:2], off
	s_mov_b64 s[0:1], 0
	s_mov_b64 s[8:9], -1
	s_branch .LBB111_848
.LBB111_847:
	s_mov_b64 s[0:1], -1
                                        ; implicit-def: $vgpr3
.LBB111_848:
	s_mov_b64 s[10:11], 0
.LBB111_849:
	s_and_b64 vcc, exec, s[10:11]
	s_cbranch_vccz .LBB111_865
; %bb.850:
	s_cmp_lt_i32 s12, 27
	s_cbranch_scc1 .LBB111_853
; %bb.851:
	s_cmp_gt_i32 s12, 27
	s_cbranch_scc0 .LBB111_854
; %bb.852:
	global_load_dword v3, v[1:2], off
	s_mov_b64 s[8:9], 0
	s_branch .LBB111_855
.LBB111_853:
	s_mov_b64 s[8:9], -1
                                        ; implicit-def: $vgpr3
	s_branch .LBB111_858
.LBB111_854:
	s_mov_b64 s[8:9], -1
                                        ; implicit-def: $vgpr3
.LBB111_855:
	s_andn2_b64 vcc, exec, s[8:9]
	s_cbranch_vccnz .LBB111_857
; %bb.856:
	global_load_ushort v3, v[1:2], off
.LBB111_857:
	s_mov_b64 s[8:9], 0
.LBB111_858:
	s_andn2_b64 vcc, exec, s[8:9]
	s_cbranch_vccnz .LBB111_864
; %bb.859:
	global_load_ubyte v4, v[1:2], off
	s_movk_i32 s8, 0x7f
	s_mov_b64 s[10:11], 0
	s_waitcnt vmcnt(0)
	v_cmp_lt_i16_e32 vcc, s8, v4
	s_and_saveexec_b64 s[8:9], vcc
	s_xor_b64 s[8:9], exec, s[8:9]
	s_cbranch_execz .LBB111_876
; %bb.860:
	s_movk_i32 s10, 0x80
	v_cmp_ne_u16_e32 vcc, s10, v4
	s_and_b64 s[10:11], vcc, exec
	s_andn2_saveexec_b64 s[8:9], s[8:9]
	s_cbranch_execnz .LBB111_877
.LBB111_861:
	s_or_b64 exec, exec, s[8:9]
	v_mov_b32_e32 v3, 0
	s_and_saveexec_b64 s[8:9], s[10:11]
	s_cbranch_execz .LBB111_863
.LBB111_862:
	v_lshlrev_b32_e32 v3, 24, v4
	v_and_b32_e32 v4, 0xffff, v4
	v_and_b32_e32 v5, 7, v4
	v_ffbh_u32_e32 v7, v5
	v_min_u32_e32 v7, 32, v7
	v_subrev_u32_e32 v8, 28, v7
	v_bfe_u32 v6, v4, 3, 4
	v_lshlrev_b32_e32 v4, v8, v4
	v_sub_u32_e32 v7, 29, v7
	v_and_b32_e32 v4, 7, v4
	v_cmp_eq_u32_e32 vcc, 0, v6
	v_cndmask_b32_e32 v6, v6, v7, vcc
	v_cndmask_b32_e32 v4, v5, v4, vcc
	v_mov_b32_e32 v5, 0x3b800000
	v_lshlrev_b32_e32 v4, 20, v4
	v_and_b32_e32 v3, 0x80000000, v3
	v_lshl_add_u32 v5, v6, 23, v5
	v_or3_b32 v3, v3, v5, v4
	v_cvt_i32_f32_e32 v3, v3
.LBB111_863:
	s_or_b64 exec, exec, s[8:9]
.LBB111_864:
	s_mov_b64 s[8:9], -1
.LBB111_865:
	s_mov_b64 s[10:11], 0
.LBB111_866:
	s_and_b64 vcc, exec, s[10:11]
	s_cbranch_vccz .LBB111_897
; %bb.867:
	s_cmp_gt_i32 s12, 22
	s_cbranch_scc0 .LBB111_875
; %bb.868:
	s_cmp_lt_i32 s12, 24
	s_cbranch_scc1 .LBB111_878
; %bb.869:
	s_cmp_gt_i32 s12, 24
	s_cbranch_scc0 .LBB111_879
; %bb.870:
	global_load_ubyte v4, v[1:2], off
	s_movk_i32 s2, 0x7f
	s_mov_b64 s[8:9], 0
	s_waitcnt vmcnt(0)
	v_cmp_lt_i16_e32 vcc, s2, v4
	s_and_saveexec_b64 s[2:3], vcc
	s_xor_b64 s[2:3], exec, s[2:3]
	s_cbranch_execz .LBB111_891
; %bb.871:
	s_movk_i32 s8, 0x80
	v_cmp_ne_u16_e32 vcc, s8, v4
	s_and_b64 s[8:9], vcc, exec
	s_andn2_saveexec_b64 s[2:3], s[2:3]
	s_cbranch_execnz .LBB111_892
.LBB111_872:
	s_or_b64 exec, exec, s[2:3]
	v_mov_b32_e32 v3, 0
	s_and_saveexec_b64 s[2:3], s[8:9]
	s_cbranch_execz .LBB111_874
.LBB111_873:
	v_lshlrev_b32_e32 v3, 24, v4
	v_and_b32_e32 v4, 0xffff, v4
	v_and_b32_e32 v5, 3, v4
	v_ffbh_u32_e32 v7, v5
	v_min_u32_e32 v7, 32, v7
	v_subrev_u32_e32 v8, 29, v7
	v_bfe_u32 v6, v4, 2, 5
	v_lshlrev_b32_e32 v4, v8, v4
	v_sub_u32_e32 v7, 30, v7
	v_and_b32_e32 v4, 3, v4
	v_cmp_eq_u32_e32 vcc, 0, v6
	v_cndmask_b32_e32 v6, v6, v7, vcc
	v_cndmask_b32_e32 v4, v5, v4, vcc
	v_mov_b32_e32 v5, 0x37800000
	v_lshlrev_b32_e32 v4, 21, v4
	v_and_b32_e32 v3, 0x80000000, v3
	v_lshl_add_u32 v5, v6, 23, v5
	v_or3_b32 v3, v3, v5, v4
	v_cvt_i32_f32_e32 v3, v3
.LBB111_874:
	s_or_b64 exec, exec, s[2:3]
	s_mov_b64 s[2:3], 0
	s_branch .LBB111_880
.LBB111_875:
	s_mov_b64 s[2:3], -1
                                        ; implicit-def: $vgpr3
	s_branch .LBB111_886
.LBB111_876:
	s_andn2_saveexec_b64 s[8:9], s[8:9]
	s_cbranch_execz .LBB111_861
.LBB111_877:
	v_cmp_ne_u16_e32 vcc, 0, v4
	s_andn2_b64 s[10:11], s[10:11], exec
	s_and_b64 s[14:15], vcc, exec
	s_or_b64 s[10:11], s[10:11], s[14:15]
	s_or_b64 exec, exec, s[8:9]
	v_mov_b32_e32 v3, 0
	s_and_saveexec_b64 s[8:9], s[10:11]
	s_cbranch_execnz .LBB111_862
	s_branch .LBB111_863
.LBB111_878:
	s_mov_b64 s[2:3], -1
                                        ; implicit-def: $vgpr3
	s_branch .LBB111_883
.LBB111_879:
	s_mov_b64 s[2:3], -1
                                        ; implicit-def: $vgpr3
.LBB111_880:
	s_and_b64 vcc, exec, s[2:3]
	s_cbranch_vccz .LBB111_882
; %bb.881:
	global_load_ubyte v3, v[1:2], off
	s_mov_b32 s2, 0x7f800000
	s_waitcnt vmcnt(0)
	v_lshlrev_b32_e32 v3, 24, v3
	v_and_b32_e32 v4, 0x7f000000, v3
	v_ffbh_u32_e32 v5, v4
	v_min_u32_e32 v5, 32, v5
	v_sub_u32_e64 v5, v5, 4 clamp
	v_lshlrev_b32_e32 v7, v5, v4
	v_lshlrev_b32_e32 v5, 23, v5
	v_lshrrev_b32_e32 v7, 4, v7
	v_add_u32_e32 v6, 0x1000000, v4
	v_sub_u32_e32 v5, v7, v5
	v_ashrrev_i32_e32 v6, 8, v6
	v_add_u32_e32 v5, 0x3c000000, v5
	v_and_or_b32 v5, v6, s2, v5
	v_cmp_ne_u32_e32 vcc, 0, v4
	v_cndmask_b32_e32 v4, 0, v5, vcc
	s_brev_b32 s2, 1
	v_and_or_b32 v3, v3, s2, v4
	v_cvt_i32_f32_e32 v3, v3
.LBB111_882:
	s_mov_b64 s[2:3], 0
.LBB111_883:
	s_andn2_b64 vcc, exec, s[2:3]
	s_cbranch_vccnz .LBB111_885
; %bb.884:
	global_load_ubyte v3, v[1:2], off
	s_movk_i32 s2, 0x7f00
	s_brev_b32 s3, 16
	s_waitcnt vmcnt(0)
	v_lshlrev_b16_e32 v4, 8, v3
	v_lshlrev_b32_e32 v3, 25, v3
	v_lshrrev_b32_e32 v5, 4, v3
	v_and_or_b32 v6, v4, s2, 0.5
	v_or_b32_e32 v5, 0x70000000, v5
	v_add_f32_e32 v6, -0.5, v6
	v_mul_f32_e32 v5, 0x7800000, v5
	v_cmp_gt_u32_e32 vcc, s3, v3
	v_bfe_i32 v4, v4, 0, 16
	v_cndmask_b32_e32 v3, v5, v6, vcc
	s_brev_b32 s2, 1
	v_and_or_b32 v3, v4, s2, v3
	v_cvt_i32_f32_e32 v3, v3
.LBB111_885:
	s_mov_b64 s[2:3], 0
	s_mov_b64 s[8:9], -1
.LBB111_886:
	s_andn2_b64 vcc, exec, s[2:3]
	s_mov_b64 s[2:3], 0
	s_cbranch_vccnz .LBB111_897
; %bb.887:
	s_cmp_gt_i32 s12, 14
	s_cbranch_scc0 .LBB111_890
; %bb.888:
	s_cmp_eq_u32 s12, 15
	s_cbranch_scc0 .LBB111_893
; %bb.889:
	global_load_ushort v3, v[1:2], off
	s_mov_b64 s[0:1], 0
	s_mov_b64 s[8:9], -1
	s_waitcnt vmcnt(0)
	v_lshlrev_b32_e32 v3, 16, v3
	v_cvt_i32_f32_e32 v3, v3
	s_branch .LBB111_894
.LBB111_890:
	s_mov_b64 s[10:11], -1
                                        ; implicit-def: $vgpr3
	s_branch .LBB111_895
.LBB111_891:
	s_andn2_saveexec_b64 s[2:3], s[2:3]
	s_cbranch_execz .LBB111_872
.LBB111_892:
	v_cmp_ne_u16_e32 vcc, 0, v4
	s_andn2_b64 s[8:9], s[8:9], exec
	s_and_b64 s[10:11], vcc, exec
	s_or_b64 s[8:9], s[8:9], s[10:11]
	s_or_b64 exec, exec, s[2:3]
	v_mov_b32_e32 v3, 0
	s_and_saveexec_b64 s[2:3], s[8:9]
	s_cbranch_execnz .LBB111_873
	s_branch .LBB111_874
.LBB111_893:
	s_mov_b64 s[0:1], -1
                                        ; implicit-def: $vgpr3
.LBB111_894:
	s_mov_b64 s[10:11], 0
.LBB111_895:
	s_and_b64 vcc, exec, s[10:11]
	s_cbranch_vccz .LBB111_897
; %bb.896:
	s_cmp_lg_u32 s12, 11
	s_cselect_b64 s[10:11], -1, 0
	s_andn2_b64 s[0:1], s[0:1], exec
	s_and_b64 s[10:11], s[10:11], exec
	s_mov_b64 s[2:3], -1
	s_or_b64 s[0:1], s[0:1], s[10:11]
.LBB111_897:
	s_mov_b64 s[12:13], 0
.LBB111_898:
	s_and_b64 s[10:11], s[8:9], exec
	s_and_b64 s[8:9], s[12:13], exec
	s_andn2_b64 s[12:13], s[68:69], exec
	s_and_b64 s[0:1], s[0:1], exec
	s_and_b64 s[2:3], s[2:3], exec
	s_or_b64 s[12:13], s[12:13], s[0:1]
.LBB111_899:
	s_or_b64 exec, exec, s[72:73]
	s_and_b64 s[0:1], s[2:3], exec
	s_andn2_b64 s[2:3], s[68:69], exec
	s_and_b64 s[12:13], s[12:13], exec
	s_and_b64 s[10:11], s[10:11], exec
	;; [unrolled: 1-line block ×3, first 2 shown]
	s_or_b64 s[68:69], s[2:3], s[12:13]
.LBB111_900:
	s_or_b64 exec, exec, s[66:67]
	s_andn2_b64 s[2:3], s[62:63], exec
	s_and_b64 s[12:13], s[70:71], exec
	s_or_b64 s[62:63], s[2:3], s[12:13]
	s_and_b64 s[2:3], s[0:1], exec
	s_andn2_b64 s[0:1], s[60:61], exec
	s_and_b64 s[12:13], s[68:69], exec
	s_and_b64 s[10:11], s[10:11], exec
	;; [unrolled: 1-line block ×3, first 2 shown]
	s_or_b64 s[60:61], s[0:1], s[12:13]
.LBB111_901:
	s_or_b64 exec, exec, s[64:65]
	s_andn2_b64 s[0:1], s[54:55], exec
	s_and_b64 s[12:13], s[62:63], exec
	s_or_b64 s[54:55], s[0:1], s[12:13]
	s_and_b64 s[0:1], s[10:11], exec
	s_and_b64 s[10:11], s[8:9], exec
	;; [unrolled: 1-line block ×3, first 2 shown]
	s_andn2_b64 s[2:3], s[56:57], exec
	s_and_b64 s[8:9], s[60:61], exec
	s_or_b64 s[56:57], s[2:3], s[8:9]
	s_or_b64 exec, exec, s[58:59]
	s_mov_b64 s[2:3], 0
	s_and_saveexec_b64 s[8:9], s[56:57]
	s_cbranch_execz .LBB111_270
.LBB111_902:
	s_mov_b64 s[2:3], exec
	s_andn2_b64 s[62:63], s[62:63], exec
	s_trap 2
	s_or_b64 exec, exec, s[8:9]
	s_and_saveexec_b64 s[8:9], s[62:63]
	s_xor_b64 s[8:9], exec, s[8:9]
	s_cbranch_execnz .LBB111_271
.LBB111_903:
	s_or_b64 exec, exec, s[8:9]
	s_and_saveexec_b64 s[8:9], s[10:11]
	s_cbranch_execz .LBB111_949
.LBB111_904:
	s_sext_i32_i16 s10, s77
	s_cmp_lt_i32 s10, 5
	s_cbranch_scc1 .LBB111_909
; %bb.905:
	s_cmp_lt_i32 s10, 8
	s_cbranch_scc1 .LBB111_910
; %bb.906:
	;; [unrolled: 3-line block ×3, first 2 shown]
	s_cmp_gt_i32 s10, 9
	s_cbranch_scc0 .LBB111_912
; %bb.908:
	global_load_dwordx2 v[3:4], v[1:2], off
	s_mov_b64 s[10:11], 0
	s_waitcnt vmcnt(0)
	v_cvt_i32_f64_e32 v3, v[3:4]
	s_branch .LBB111_913
.LBB111_909:
                                        ; implicit-def: $vgpr3
	s_branch .LBB111_930
.LBB111_910:
                                        ; implicit-def: $vgpr3
	s_branch .LBB111_919
.LBB111_911:
	s_mov_b64 s[10:11], -1
                                        ; implicit-def: $vgpr3
	s_branch .LBB111_916
.LBB111_912:
	s_mov_b64 s[10:11], -1
                                        ; implicit-def: $vgpr3
.LBB111_913:
	s_andn2_b64 vcc, exec, s[10:11]
	s_cbranch_vccnz .LBB111_915
; %bb.914:
	global_load_dword v3, v[1:2], off
	s_waitcnt vmcnt(0)
	v_cvt_i32_f32_e32 v3, v3
.LBB111_915:
	s_mov_b64 s[10:11], 0
.LBB111_916:
	s_andn2_b64 vcc, exec, s[10:11]
	s_cbranch_vccnz .LBB111_918
; %bb.917:
	global_load_dword v3, v[1:2], off
	s_waitcnt vmcnt(0)
	v_cvt_i16_f16_e32 v3, v3
.LBB111_918:
	s_cbranch_execnz .LBB111_929
.LBB111_919:
	s_sext_i32_i16 s10, s77
	s_cmp_lt_i32 s10, 6
	s_cbranch_scc1 .LBB111_922
; %bb.920:
	s_cmp_gt_i32 s10, 6
	s_cbranch_scc0 .LBB111_923
; %bb.921:
	global_load_dwordx2 v[3:4], v[1:2], off
	s_mov_b64 s[10:11], 0
	s_waitcnt vmcnt(0)
	v_cvt_i32_f64_e32 v3, v[3:4]
	s_branch .LBB111_924
.LBB111_922:
	s_mov_b64 s[10:11], -1
                                        ; implicit-def: $vgpr3
	s_branch .LBB111_927
.LBB111_923:
	s_mov_b64 s[10:11], -1
                                        ; implicit-def: $vgpr3
.LBB111_924:
	s_andn2_b64 vcc, exec, s[10:11]
	s_cbranch_vccnz .LBB111_926
; %bb.925:
	global_load_dword v3, v[1:2], off
	s_waitcnt vmcnt(0)
	v_cvt_i32_f32_e32 v3, v3
.LBB111_926:
	s_mov_b64 s[10:11], 0
.LBB111_927:
	s_andn2_b64 vcc, exec, s[10:11]
	s_cbranch_vccnz .LBB111_929
; %bb.928:
	global_load_ushort v3, v[1:2], off
	s_waitcnt vmcnt(0)
	v_cvt_i16_f16_e32 v3, v3
.LBB111_929:
	s_cbranch_execnz .LBB111_948
.LBB111_930:
	s_sext_i32_i16 s10, s77
	s_cmp_lt_i32 s10, 2
	s_cbranch_scc1 .LBB111_934
; %bb.931:
	s_cmp_lt_i32 s10, 3
	s_cbranch_scc1 .LBB111_935
; %bb.932:
	s_cmp_gt_i32 s10, 3
	s_cbranch_scc0 .LBB111_936
; %bb.933:
	global_load_dwordx2 v[3:4], v[1:2], off
	s_mov_b64 s[10:11], 0
	s_branch .LBB111_937
.LBB111_934:
                                        ; implicit-def: $vgpr3
	s_branch .LBB111_943
.LBB111_935:
	s_mov_b64 s[10:11], -1
                                        ; implicit-def: $vgpr3
	s_branch .LBB111_940
.LBB111_936:
	s_mov_b64 s[10:11], -1
                                        ; implicit-def: $vgpr3
.LBB111_937:
	s_andn2_b64 vcc, exec, s[10:11]
	s_cbranch_vccnz .LBB111_939
; %bb.938:
	global_load_dword v3, v[1:2], off
.LBB111_939:
	s_mov_b64 s[10:11], 0
.LBB111_940:
	s_andn2_b64 vcc, exec, s[10:11]
	s_cbranch_vccnz .LBB111_942
; %bb.941:
	global_load_ushort v3, v[1:2], off
.LBB111_942:
	s_cbranch_execnz .LBB111_948
.LBB111_943:
	s_sext_i32_i16 s10, s77
	s_cmp_gt_i32 s10, 0
	s_cbranch_scc0 .LBB111_945
; %bb.944:
	global_load_sbyte v3, v[1:2], off
	s_mov_b64 s[10:11], 0
	s_branch .LBB111_946
.LBB111_945:
	s_mov_b64 s[10:11], -1
                                        ; implicit-def: $vgpr3
.LBB111_946:
	s_andn2_b64 vcc, exec, s[10:11]
	s_cbranch_vccnz .LBB111_948
; %bb.947:
	global_load_ubyte v3, v[1:2], off
.LBB111_948:
	s_or_b64 s[0:1], s[0:1], exec
.LBB111_949:
	s_or_b64 exec, exec, s[8:9]
	s_mov_b64 s[12:13], 0
	s_mov_b64 s[10:11], 0
                                        ; implicit-def: $sgpr18
                                        ; implicit-def: $vgpr1_vgpr2
                                        ; implicit-def: $vgpr4
	s_and_saveexec_b64 s[8:9], s[0:1]
	s_cbranch_execz .LBB111_957
; %bb.950:
	v_mov_b32_e32 v1, s76
	v_mov_b32_e32 v2, s45
	s_waitcnt vmcnt(0)
	v_cmp_lt_i16_e32 vcc, s44, v3
	v_cndmask_b32_e32 v4, v1, v2, vcc
	v_mov_b32_e32 v2, s25
	s_and_b32 s18, s75, 0xff
	v_add_co_u32_e32 v1, vcc, s24, v0
	s_cmp_lt_i32 s18, 11
	v_addc_co_u32_e32 v2, vcc, 0, v2, vcc
	s_cbranch_scc1 .LBB111_960
; %bb.951:
	s_and_b32 s19, 0xffff, s18
	s_mov_b64 s[12:13], -1
	s_cmp_gt_i32 s19, 25
	s_mov_b64 s[0:1], s[54:55]
	s_cbranch_scc0 .LBB111_988
; %bb.952:
	s_mov_b64 s[10:11], -1
	s_cmp_gt_i32 s19, 28
	s_mov_b64 s[0:1], s[54:55]
	s_cbranch_scc0 .LBB111_972
; %bb.953:
	s_cmp_gt_i32 s19, 43
	s_mov_b64 s[0:1], s[54:55]
	s_cbranch_scc0 .LBB111_968
; %bb.954:
	;; [unrolled: 4-line block ×3, first 2 shown]
	s_cmp_eq_u32 s19, 46
	s_mov_b64 s[0:1], -1
	s_cbranch_scc0 .LBB111_961
; %bb.956:
	v_cvt_f32_i32_sdwa v0, sext(v4) dst_sel:DWORD dst_unused:UNUSED_PAD src0_sel:WORD_0
	s_movk_i32 s0, 0x7fff
	s_mov_b64 s[10:11], 0
	v_bfe_u32 v3, v0, 16, 1
	v_add3_u32 v0, v0, v3, s0
	v_lshrrev_b32_e32 v0, 16, v0
	global_store_dword v[1:2], v0, off
	s_mov_b64 s[0:1], 0
	s_branch .LBB111_962
.LBB111_957:
	s_or_b64 exec, exec, s[8:9]
	s_and_saveexec_b64 s[0:1], s[54:55]
	s_cbranch_execnz .LBB111_1030
.LBB111_958:
	s_or_b64 exec, exec, s[0:1]
	s_and_saveexec_b64 s[0:1], s[12:13]
	s_xor_b64 s[0:1], exec, s[0:1]
	s_cbranch_execz .LBB111_1031
.LBB111_959:
	s_waitcnt vmcnt(0)
	v_cmp_ne_u16_e32 vcc, 0, v4
	v_cndmask_b32_e64 v0, 0, 1, vcc
	global_store_byte v[1:2], v0, off
	s_or_b64 exec, exec, s[0:1]
	s_and_saveexec_b64 s[0:1], s[10:11]
	s_xor_b64 s[0:1], exec, s[0:1]
	s_cbranch_execz .LBB111_1069
	s_branch .LBB111_1032
.LBB111_960:
	s_mov_b64 s[10:11], -1
	s_mov_b64 s[0:1], s[54:55]
	s_branch .LBB111_1029
.LBB111_961:
	s_mov_b64 s[10:11], 0
.LBB111_962:
	s_and_b64 vcc, exec, s[10:11]
	s_cbranch_vccz .LBB111_967
; %bb.963:
	s_cmp_eq_u32 s19, 44
	s_mov_b64 s[0:1], -1
	s_cbranch_scc0 .LBB111_967
; %bb.964:
	v_cvt_f32_i32_sdwa v0, sext(v4) dst_sel:DWORD dst_unused:UNUSED_PAD src0_sel:WORD_0
	s_movk_i32 s0, 0xff
	v_mov_b32_e32 v5, 0xff
	v_bfe_u32 v3, v0, 23, 8
	v_cmp_ne_u32_e32 vcc, s0, v3
	s_and_saveexec_b64 s[10:11], vcc
; %bb.965:
	s_mov_b32 s0, 0x3fffff
	v_lshrrev_b32_e32 v5, 23, v0
	v_and_b32_e32 v6, 0x400000, v0
	v_and_or_b32 v0, v0, s0, v3
	v_cmp_ne_u32_e32 vcc, 0, v6
	v_cmp_ne_u32_e64 s[0:1], 0, v0
	s_and_b64 s[0:1], vcc, s[0:1]
	v_cndmask_b32_e64 v0, 0, 1, s[0:1]
	v_add_u32_e32 v5, v5, v0
; %bb.966:
	s_or_b64 exec, exec, s[10:11]
	s_mov_b64 s[0:1], 0
	global_store_byte v[1:2], v5, off
.LBB111_967:
	s_mov_b64 s[10:11], 0
.LBB111_968:
	s_and_b64 vcc, exec, s[10:11]
	s_cbranch_vccz .LBB111_971
; %bb.969:
	s_cmp_eq_u32 s19, 29
	s_mov_b64 s[0:1], -1
	s_cbranch_scc0 .LBB111_971
; %bb.970:
	v_bfe_i32 v5, v4, 0, 16
	v_ashrrev_i32_e32 v6, 31, v5
	global_store_dwordx2 v[1:2], v[5:6], off
	s_mov_b64 s[0:1], 0
.LBB111_971:
	s_mov_b64 s[10:11], 0
.LBB111_972:
	s_and_b64 vcc, exec, s[10:11]
	s_cbranch_vccz .LBB111_987
; %bb.973:
	s_cmp_lt_i32 s19, 27
	s_mov_b64 s[10:11], -1
	s_cbranch_scc1 .LBB111_979
; %bb.974:
	s_cmp_gt_i32 s19, 27
	s_cbranch_scc0 .LBB111_976
; %bb.975:
	v_bfe_i32 v0, v4, 0, 16
	s_mov_b64 s[10:11], 0
	global_store_dword v[1:2], v0, off
.LBB111_976:
	s_andn2_b64 vcc, exec, s[10:11]
	s_cbranch_vccnz .LBB111_978
; %bb.977:
	global_store_short v[1:2], v4, off
.LBB111_978:
	s_mov_b64 s[10:11], 0
.LBB111_979:
	s_andn2_b64 vcc, exec, s[10:11]
	s_cbranch_vccnz .LBB111_987
; %bb.980:
	v_cvt_f32_i32_sdwa v0, sext(v4) dst_sel:DWORD dst_unused:UNUSED_PAD src0_sel:WORD_0
	s_mov_b32 s10, 0x43800000
	v_mov_b32_e32 v5, 0x80
	v_and_b32_e32 v3, 0x7fffffff, v0
	v_cmp_gt_u32_e32 vcc, s10, v3
	s_and_saveexec_b64 s[10:11], vcc
	s_cbranch_execz .LBB111_986
; %bb.981:
	s_mov_b32 s12, 0x3bffffff
	v_cmp_lt_u32_e32 vcc, s12, v3
	s_mov_b64 s[12:13], 0
                                        ; implicit-def: $vgpr3
	s_and_saveexec_b64 s[14:15], vcc
	s_xor_b64 s[14:15], exec, s[14:15]
	s_cbranch_execz .LBB111_1140
; %bb.982:
	v_bfe_u32 v3, v0, 20, 1
	s_mov_b32 s16, 0x487ffff
	v_add3_u32 v3, v0, v3, s16
	s_mov_b64 s[12:13], exec
	v_lshrrev_b32_e32 v3, 20, v3
	s_andn2_saveexec_b64 s[14:15], s[14:15]
	s_cbranch_execnz .LBB111_1141
.LBB111_983:
	s_or_b64 exec, exec, s[14:15]
	v_mov_b32_e32 v5, 0
	s_and_saveexec_b64 s[14:15], s[12:13]
.LBB111_984:
	v_lshrrev_b32_e32 v0, 24, v0
	s_movk_i32 s12, 0x80
	v_and_or_b32 v5, v0, s12, v3
.LBB111_985:
	s_or_b64 exec, exec, s[14:15]
.LBB111_986:
	s_or_b64 exec, exec, s[10:11]
	global_store_byte v[1:2], v5, off
.LBB111_987:
	s_mov_b64 s[12:13], 0
.LBB111_988:
	s_mov_b64 s[10:11], 0
	s_and_b64 vcc, exec, s[12:13]
	s_cbranch_vccz .LBB111_1028
; %bb.989:
	s_cmp_gt_i32 s19, 22
	s_mov_b64 s[12:13], -1
	s_cbranch_scc0 .LBB111_1021
; %bb.990:
	s_cmp_lt_i32 s19, 24
	s_cbranch_scc1 .LBB111_1010
; %bb.991:
	s_cmp_gt_i32 s19, 24
	s_cbranch_scc0 .LBB111_999
; %bb.992:
	v_cvt_f32_i32_sdwa v0, sext(v4) dst_sel:DWORD dst_unused:UNUSED_PAD src0_sel:WORD_0
	s_mov_b32 s12, 0x47800000
	v_mov_b32_e32 v5, 0x80
	v_and_b32_e32 v3, 0x7fffffff, v0
	v_cmp_gt_u32_e32 vcc, s12, v3
	s_and_saveexec_b64 s[12:13], vcc
	s_cbranch_execz .LBB111_998
; %bb.993:
	s_mov_b32 s14, 0x37ffffff
	v_cmp_lt_u32_e32 vcc, s14, v3
	s_mov_b64 s[14:15], 0
                                        ; implicit-def: $vgpr3
	s_and_saveexec_b64 s[16:17], vcc
	s_xor_b64 s[16:17], exec, s[16:17]
	s_cbranch_execz .LBB111_1260
; %bb.994:
	v_bfe_u32 v3, v0, 21, 1
	s_mov_b32 s20, 0x88fffff
	v_add3_u32 v3, v0, v3, s20
	s_mov_b64 s[14:15], exec
	v_lshrrev_b32_e32 v3, 21, v3
	s_andn2_saveexec_b64 s[16:17], s[16:17]
	s_cbranch_execnz .LBB111_1261
.LBB111_995:
	s_or_b64 exec, exec, s[16:17]
	v_mov_b32_e32 v5, 0
	s_and_saveexec_b64 s[16:17], s[14:15]
.LBB111_996:
	v_lshrrev_b32_e32 v0, 24, v0
	s_movk_i32 s14, 0x80
	v_and_or_b32 v5, v0, s14, v3
.LBB111_997:
	s_or_b64 exec, exec, s[16:17]
.LBB111_998:
	s_or_b64 exec, exec, s[12:13]
	s_mov_b64 s[12:13], 0
	global_store_byte v[1:2], v5, off
.LBB111_999:
	s_and_b64 vcc, exec, s[12:13]
	s_cbranch_vccz .LBB111_1009
; %bb.1000:
	v_cvt_f32_i32_sdwa v0, sext(v4) dst_sel:DWORD dst_unused:UNUSED_PAD src0_sel:WORD_0
	s_mov_b32 s12, 0x43f00000
                                        ; implicit-def: $vgpr3
	v_and_b32_e32 v5, 0x7fffffff, v0
	v_cmp_gt_u32_e32 vcc, s12, v5
	s_and_saveexec_b64 s[12:13], vcc
	s_xor_b64 s[12:13], exec, s[12:13]
	s_cbranch_execz .LBB111_1006
; %bb.1001:
	s_mov_b32 s14, 0x3c7fffff
	v_cmp_lt_u32_e32 vcc, s14, v5
                                        ; implicit-def: $vgpr3
	s_and_saveexec_b64 s[14:15], vcc
	s_xor_b64 s[14:15], exec, s[14:15]
; %bb.1002:
	v_bfe_u32 v3, v0, 20, 1
	s_mov_b32 s16, 0x407ffff
	v_add3_u32 v3, v0, v3, s16
	v_lshrrev_b32_e32 v5, 20, v3
	v_and_b32_e32 v3, 0xff00000, v3
	s_mov_b32 s16, 0x7f00000
	v_mov_b32_e32 v6, 0x7e
	v_cmp_ne_u32_e32 vcc, s16, v3
	v_cndmask_b32_e32 v3, v6, v5, vcc
; %bb.1003:
	s_andn2_saveexec_b64 s[14:15], s[14:15]
; %bb.1004:
	s_mov_b32 s16, 0x46800000
	v_add_f32_e64 v3, |v0|, s16
; %bb.1005:
	s_or_b64 exec, exec, s[14:15]
                                        ; implicit-def: $vgpr5
.LBB111_1006:
	s_andn2_saveexec_b64 s[12:13], s[12:13]
; %bb.1007:
	s_mov_b32 s14, 0x7f800000
	v_mov_b32_e32 v3, 0x7e
	v_mov_b32_e32 v6, 0x7f
	v_cmp_lt_u32_e32 vcc, s14, v5
	v_cndmask_b32_e32 v3, v3, v6, vcc
; %bb.1008:
	s_or_b64 exec, exec, s[12:13]
	v_lshrrev_b32_e32 v0, 24, v0
	s_movk_i32 s12, 0x80
	v_and_or_b32 v0, v0, s12, v3
	global_store_byte v[1:2], v0, off
.LBB111_1009:
	s_mov_b64 s[12:13], 0
.LBB111_1010:
	s_andn2_b64 vcc, exec, s[12:13]
	s_cbranch_vccnz .LBB111_1020
; %bb.1011:
	v_cvt_f32_i32_sdwa v0, sext(v4) dst_sel:DWORD dst_unused:UNUSED_PAD src0_sel:WORD_0
	s_mov_b32 s12, 0x47800000
                                        ; implicit-def: $vgpr3
	v_and_b32_e32 v5, 0x7fffffff, v0
	v_cmp_gt_u32_e32 vcc, s12, v5
	s_and_saveexec_b64 s[12:13], vcc
	s_xor_b64 s[12:13], exec, s[12:13]
	s_cbranch_execz .LBB111_1017
; %bb.1012:
	s_mov_b32 s14, 0x387fffff
	v_cmp_lt_u32_e32 vcc, s14, v5
                                        ; implicit-def: $vgpr3
	s_and_saveexec_b64 s[14:15], vcc
	s_xor_b64 s[14:15], exec, s[14:15]
; %bb.1013:
	v_bfe_u32 v3, v0, 21, 1
	s_mov_b32 s16, 0x80fffff
	v_add3_u32 v3, v0, v3, s16
	v_lshrrev_b32_e32 v3, 21, v3
; %bb.1014:
	s_andn2_saveexec_b64 s[14:15], s[14:15]
; %bb.1015:
	s_mov_b32 s16, 0x43000000
	v_add_f32_e64 v3, |v0|, s16
; %bb.1016:
	s_or_b64 exec, exec, s[14:15]
                                        ; implicit-def: $vgpr5
.LBB111_1017:
	s_andn2_saveexec_b64 s[12:13], s[12:13]
; %bb.1018:
	s_mov_b32 s14, 0x7f800000
	v_mov_b32_e32 v3, 0x7c
	v_mov_b32_e32 v6, 0x7f
	v_cmp_lt_u32_e32 vcc, s14, v5
	v_cndmask_b32_e32 v3, v3, v6, vcc
; %bb.1019:
	s_or_b64 exec, exec, s[12:13]
	v_lshrrev_b32_e32 v0, 24, v0
	s_movk_i32 s12, 0x80
	v_and_or_b32 v0, v0, s12, v3
	global_store_byte v[1:2], v0, off
.LBB111_1020:
	s_mov_b64 s[12:13], 0
.LBB111_1021:
	s_andn2_b64 vcc, exec, s[12:13]
	s_mov_b64 s[12:13], 0
	s_cbranch_vccnz .LBB111_1029
; %bb.1022:
	s_cmp_gt_i32 s19, 14
	s_mov_b64 s[14:15], -1
	s_cbranch_scc0 .LBB111_1026
; %bb.1023:
	s_cmp_eq_u32 s19, 15
	s_mov_b64 s[0:1], -1
	s_cbranch_scc0 .LBB111_1025
; %bb.1024:
	v_cvt_f32_i32_sdwa v0, sext(v4) dst_sel:DWORD dst_unused:UNUSED_PAD src0_sel:WORD_0
	s_movk_i32 s0, 0x7fff
	v_bfe_u32 v3, v0, 16, 1
	v_add3_u32 v0, v0, v3, s0
	global_store_short_d16_hi v[1:2], v0, off
	s_mov_b64 s[0:1], 0
.LBB111_1025:
	s_mov_b64 s[14:15], 0
.LBB111_1026:
	s_and_b64 vcc, exec, s[14:15]
	s_cbranch_vccz .LBB111_1029
; %bb.1027:
	s_cmp_lg_u32 s19, 11
	s_cselect_b64 s[14:15], -1, 0
	s_andn2_b64 s[0:1], s[0:1], exec
	s_and_b64 s[14:15], s[14:15], exec
	s_mov_b64 s[12:13], -1
	s_or_b64 s[0:1], s[0:1], s[14:15]
	s_branch .LBB111_1029
.LBB111_1028:
	s_mov_b64 s[12:13], 0
.LBB111_1029:
	s_andn2_b64 s[14:15], s[54:55], exec
	s_and_b64 s[0:1], s[0:1], exec
	s_and_b64 s[10:11], s[10:11], exec
	s_and_b64 s[12:13], s[12:13], exec
	s_or_b64 s[54:55], s[14:15], s[0:1]
	s_or_b64 exec, exec, s[8:9]
	s_and_saveexec_b64 s[0:1], s[54:55]
	s_cbranch_execz .LBB111_958
.LBB111_1030:
	s_or_b64 s[2:3], s[2:3], exec
	s_andn2_b64 s[12:13], s[12:13], exec
	s_trap 2
	s_or_b64 exec, exec, s[0:1]
	s_and_saveexec_b64 s[0:1], s[12:13]
	s_xor_b64 s[0:1], exec, s[0:1]
	s_cbranch_execnz .LBB111_959
.LBB111_1031:
	s_or_b64 exec, exec, s[0:1]
	s_and_saveexec_b64 s[0:1], s[10:11]
	s_xor_b64 s[0:1], exec, s[0:1]
	s_cbranch_execz .LBB111_1069
.LBB111_1032:
	s_sext_i32_i16 s10, s18
	s_cmp_lt_i32 s10, 5
	s_mov_b64 s[8:9], -1
	s_cbranch_scc1 .LBB111_1053
; %bb.1033:
	s_cmp_lt_i32 s10, 8
	s_cbranch_scc1 .LBB111_1043
; %bb.1034:
	s_cmp_lt_i32 s10, 9
	s_cbranch_scc1 .LBB111_1040
; %bb.1035:
	s_cmp_gt_i32 s10, 9
	s_cbranch_scc0 .LBB111_1037
; %bb.1036:
	s_waitcnt vmcnt(0)
	v_bfe_i32 v0, v4, 0, 16
	v_cvt_f64_i32_e32 v[5:6], v0
	v_mov_b32_e32 v7, 0
	v_mov_b32_e32 v8, v7
	s_mov_b64 s[8:9], 0
	global_store_dwordx4 v[1:2], v[5:8], off
.LBB111_1037:
	s_andn2_b64 vcc, exec, s[8:9]
	s_cbranch_vccnz .LBB111_1039
; %bb.1038:
	s_waitcnt vmcnt(0)
	v_cvt_f32_i32_sdwa v5, sext(v4) dst_sel:DWORD dst_unused:UNUSED_PAD src0_sel:WORD_0
	v_mov_b32_e32 v6, 0
	global_store_dwordx2 v[1:2], v[5:6], off
.LBB111_1039:
	s_mov_b64 s[8:9], 0
.LBB111_1040:
	s_andn2_b64 vcc, exec, s[8:9]
	s_cbranch_vccnz .LBB111_1042
; %bb.1041:
	s_waitcnt vmcnt(0)
	v_cvt_f16_i16_e32 v0, v4
	global_store_dword v[1:2], v0, off
.LBB111_1042:
	s_mov_b64 s[8:9], 0
.LBB111_1043:
	s_andn2_b64 vcc, exec, s[8:9]
	s_cbranch_vccnz .LBB111_1052
; %bb.1044:
	s_sext_i32_i16 s10, s18
	s_cmp_lt_i32 s10, 6
	s_mov_b64 s[8:9], -1
	s_cbranch_scc1 .LBB111_1050
; %bb.1045:
	s_cmp_gt_i32 s10, 6
	s_cbranch_scc0 .LBB111_1047
; %bb.1046:
	s_waitcnt vmcnt(0)
	v_bfe_i32 v0, v4, 0, 16
	v_cvt_f64_i32_e32 v[5:6], v0
	s_mov_b64 s[8:9], 0
	global_store_dwordx2 v[1:2], v[5:6], off
.LBB111_1047:
	s_andn2_b64 vcc, exec, s[8:9]
	s_cbranch_vccnz .LBB111_1049
; %bb.1048:
	s_waitcnt vmcnt(0)
	v_cvt_f32_i32_sdwa v0, sext(v4) dst_sel:DWORD dst_unused:UNUSED_PAD src0_sel:WORD_0
	global_store_dword v[1:2], v0, off
.LBB111_1049:
	s_mov_b64 s[8:9], 0
.LBB111_1050:
	s_andn2_b64 vcc, exec, s[8:9]
	s_cbranch_vccnz .LBB111_1052
; %bb.1051:
	s_waitcnt vmcnt(0)
	v_cvt_f16_i16_e32 v0, v4
	global_store_short v[1:2], v0, off
.LBB111_1052:
	s_mov_b64 s[8:9], 0
.LBB111_1053:
	s_andn2_b64 vcc, exec, s[8:9]
	s_cbranch_vccnz .LBB111_1069
; %bb.1054:
	s_sext_i32_i16 s10, s18
	s_cmp_lt_i32 s10, 2
	s_mov_b64 s[8:9], -1
	s_cbranch_scc1 .LBB111_1064
; %bb.1055:
	s_cmp_lt_i32 s10, 3
	s_cbranch_scc1 .LBB111_1061
; %bb.1056:
	s_cmp_gt_i32 s10, 3
	s_cbranch_scc0 .LBB111_1058
; %bb.1057:
	s_waitcnt vmcnt(0)
	v_bfe_i32 v5, v4, 0, 16
	v_ashrrev_i32_e32 v6, 31, v5
	s_mov_b64 s[8:9], 0
	global_store_dwordx2 v[1:2], v[5:6], off
.LBB111_1058:
	s_andn2_b64 vcc, exec, s[8:9]
	s_cbranch_vccnz .LBB111_1060
; %bb.1059:
	s_waitcnt vmcnt(0)
	v_bfe_i32 v0, v4, 0, 16
	global_store_dword v[1:2], v0, off
.LBB111_1060:
	s_mov_b64 s[8:9], 0
.LBB111_1061:
	s_andn2_b64 vcc, exec, s[8:9]
	s_cbranch_vccnz .LBB111_1063
; %bb.1062:
	s_waitcnt vmcnt(0)
	global_store_short v[1:2], v4, off
.LBB111_1063:
	s_mov_b64 s[8:9], 0
.LBB111_1064:
	s_andn2_b64 vcc, exec, s[8:9]
	s_cbranch_vccnz .LBB111_1069
; %bb.1065:
	s_sext_i32_i16 s8, s18
	s_cmp_gt_i32 s8, 0
	s_mov_b64 s[8:9], -1
	s_cbranch_scc0 .LBB111_1067
; %bb.1066:
	s_mov_b64 s[8:9], 0
	s_waitcnt vmcnt(0)
	global_store_byte v[1:2], v4, off
.LBB111_1067:
	s_andn2_b64 vcc, exec, s[8:9]
	s_cbranch_vccnz .LBB111_1069
; %bb.1068:
	s_waitcnt vmcnt(0)
	global_store_byte v[1:2], v4, off
.LBB111_1069:
	s_or_b64 exec, exec, s[0:1]
	s_and_b64 s[28:29], s[2:3], exec
                                        ; implicit-def: $vgpr15
                                        ; implicit-def: $vgpr8
.LBB111_1070:
	s_or_saveexec_b64 s[30:31], s[42:43]
	s_mov_b64 s[0:1], 0
                                        ; implicit-def: $vgpr0_vgpr1
                                        ; implicit-def: $sgpr16
                                        ; implicit-def: $vgpr2
	s_xor_b64 exec, exec, s[30:31]
	s_cbranch_execz .LBB111_2057
; %bb.1071:
	v_cndmask_b32_e64 v0, 0, 1, s[40:41]
	v_cmp_ne_u32_e64 s[0:1], 1, v0
	s_andn2_b64 vcc, exec, s[40:41]
	s_cbranch_vccnz .LBB111_1077
; %bb.1072:
	s_cmp_lg_u32 s33, 0
	s_mov_b32 s36, 0
	s_cbranch_scc0 .LBB111_1078
; %bb.1073:
	s_min_u32 s37, s74, 15
	s_add_i32 s37, s37, 1
	s_cmp_eq_u32 s74, 2
	s_cbranch_scc1 .LBB111_1079
; %bb.1074:
	s_and_b32 s36, s37, 28
	s_add_u32 s2, s34, 0xc4
	s_addc_u32 s3, s35, 0
	v_mov_b32_e32 v13, 0
	s_mov_b32 s38, 0
	s_mov_b64 s[6:7], s[34:35]
	v_mov_b32_e32 v6, 0
	v_mov_b32_e32 v0, v8
.LBB111_1075:                           ; =>This Inner Loop Header: Depth=1
	s_load_dwordx8 s[16:23], s[6:7], 0x4
	s_load_dwordx4 s[24:27], s[6:7], 0x24
	s_load_dwordx8 s[8:15], s[2:3], 0x0
	s_add_u32 s6, s6, 48
	s_addc_u32 s7, s7, 0
	s_waitcnt lgkmcnt(0)
	v_mul_hi_u32 v1, s17, v0
	s_add_i32 s38, s38, 4
	s_add_u32 s2, s2, 32
	s_addc_u32 s3, s3, 0
	v_add_u32_e32 v1, v0, v1
	v_lshrrev_b32_e32 v1, s18, v1
	v_mul_lo_u32 v2, v1, s16
	s_waitcnt vmcnt(0)
	v_mul_hi_u32 v3, s20, v1
	s_cmp_lg_u32 s36, s38
	v_sub_u32_e32 v0, v0, v2
	v_add_u32_e32 v2, v1, v3
	v_mul_lo_u32 v3, v0, s8
	v_mul_lo_u32 v4, v0, s9
	v_lshrrev_b32_e32 v0, s21, v2
	v_mul_lo_u32 v2, v0, s19
	v_mul_hi_u32 v5, s23, v0
	v_sub_u32_e32 v1, v1, v2
	v_add_u32_e32 v2, v0, v5
	v_lshrrev_b32_e32 v2, s24, v2
	v_mul_hi_u32 v7, s26, v2
	v_mul_lo_u32 v9, v2, s22
	v_mul_lo_u32 v5, v1, s10
	;; [unrolled: 1-line block ×3, first 2 shown]
	v_sub_u32_e32 v9, v0, v9
	v_add_u32_e32 v0, v2, v7
	v_lshrrev_b32_e32 v0, s27, v0
	v_mul_lo_u32 v7, v0, s25
	v_mul_lo_u32 v10, v9, s12
	;; [unrolled: 1-line block ×3, first 2 shown]
	v_add3_u32 v3, v3, v6, v5
	v_sub_u32_e32 v2, v2, v7
	v_mul_lo_u32 v7, v2, s14
	v_mul_lo_u32 v2, v2, s15
	v_add3_u32 v1, v4, v13, v1
	v_add3_u32 v6, v10, v3, v7
	;; [unrolled: 1-line block ×3, first 2 shown]
	s_cbranch_scc1 .LBB111_1075
; %bb.1076:
	s_and_b32 s8, s37, 3
	s_cmp_eq_u32 s8, 0
	s_cbranch_scc0 .LBB111_1080
	s_branch .LBB111_1082
.LBB111_1077:
                                        ; implicit-def: $vgpr6
                                        ; implicit-def: $vgpr13
	s_branch .LBB111_1083
.LBB111_1078:
	v_mov_b32_e32 v6, 0
	v_mov_b32_e32 v13, 0
	s_branch .LBB111_1082
.LBB111_1079:
	v_mov_b32_e32 v6, 0
	v_mov_b32_e32 v13, 0
	;; [unrolled: 1-line block ×3, first 2 shown]
	s_and_b32 s8, s37, 3
	s_cmp_eq_u32 s8, 0
	s_cbranch_scc1 .LBB111_1082
.LBB111_1080:
	s_lshl_b32 s2, s36, 3
	s_add_u32 s2, s34, s2
	s_addc_u32 s3, s35, 0
	s_add_u32 s2, s2, 0xc4
	s_addc_u32 s3, s3, 0
	s_mul_i32 s6, s36, 12
	s_add_u32 s6, s34, s6
	s_addc_u32 s7, s35, 0
.LBB111_1081:                           ; =>This Inner Loop Header: Depth=1
	s_load_dwordx2 s[10:11], s[6:7], 0x4
	s_load_dword s9, s[6:7], 0xc
	s_load_dwordx2 s[12:13], s[2:3], 0x0
	s_add_u32 s6, s6, 12
	s_addc_u32 s7, s7, 0
	s_waitcnt lgkmcnt(0)
	v_mul_hi_u32 v1, s11, v0
	s_add_u32 s2, s2, 8
	s_addc_u32 s3, s3, 0
	s_add_i32 s8, s8, -1
	v_add_u32_e32 v1, v0, v1
	v_lshrrev_b32_e32 v1, s9, v1
	v_mul_lo_u32 v2, v1, s10
	s_cmp_lg_u32 s8, 0
	v_sub_u32_e32 v0, v0, v2
	v_mad_u64_u32 v[6:7], s[10:11], v0, s12, v[6:7]
	v_mad_u64_u32 v[13:14], s[10:11], v0, s13, v[13:14]
	v_mov_b32_e32 v0, v1
	s_cbranch_scc1 .LBB111_1081
.LBB111_1082:
	s_cbranch_execnz .LBB111_1085
.LBB111_1083:
	s_load_dwordx4 s[8:11], s[34:35], 0x4
	s_load_dwordx2 s[2:3], s[34:35], 0xc4
	s_cmp_lt_u32 s33, 2
	s_waitcnt lgkmcnt(0)
	v_mul_hi_u32 v0, s9, v8
	v_add_u32_e32 v0, v8, v0
	v_lshrrev_b32_e32 v0, s10, v0
	v_mul_lo_u32 v1, v0, s8
	v_sub_u32_e32 v1, v8, v1
	v_mul_lo_u32 v6, v1, s2
	v_mul_lo_u32 v13, v1, s3
	s_cbranch_scc1 .LBB111_1085
; %bb.1084:
	s_load_dwordx4 s[8:11], s[34:35], 0x10
	s_load_dwordx2 s[2:3], s[34:35], 0xcc
	s_waitcnt lgkmcnt(0)
	v_mul_hi_u32 v1, s9, v0
	v_add_u32_e32 v1, v0, v1
	v_lshrrev_b32_e32 v1, s10, v1
	v_mul_lo_u32 v1, v1, s8
	v_sub_u32_e32 v0, v0, v1
	v_mad_u64_u32 v[6:7], s[6:7], v0, s2, v[6:7]
	v_mad_u64_u32 v[13:14], s[2:3], v0, s3, v[13:14]
.LBB111_1085:
	s_and_b64 vcc, exec, s[0:1]
	v_add_u32_e32 v0, 0x80, v8
	s_cbranch_vccnz .LBB111_1091
; %bb.1086:
	s_cmp_lg_u32 s33, 0
	s_mov_b32 s36, 0
	s_cbranch_scc0 .LBB111_1092
; %bb.1087:
	s_min_u32 s37, s74, 15
	s_add_i32 s37, s37, 1
	s_cmp_eq_u32 s74, 2
	s_cbranch_scc1 .LBB111_1093
; %bb.1088:
	s_and_b32 s36, s37, 28
	s_add_u32 s2, s34, 0xc4
	s_addc_u32 s3, s35, 0
	v_mov_b32_e32 v11, 0
	s_mov_b32 s38, 0
	s_mov_b64 s[6:7], s[34:35]
	s_waitcnt vmcnt(0)
	v_mov_b32_e32 v4, 0
	v_mov_b32_e32 v1, v0
.LBB111_1089:                           ; =>This Inner Loop Header: Depth=1
	s_load_dwordx8 s[16:23], s[6:7], 0x4
	s_load_dwordx4 s[24:27], s[6:7], 0x24
	s_load_dwordx8 s[8:15], s[2:3], 0x0
	s_add_u32 s6, s6, 48
	s_addc_u32 s7, s7, 0
	s_waitcnt lgkmcnt(0)
	v_mul_hi_u32 v2, s17, v1
	s_add_i32 s38, s38, 4
	s_add_u32 s2, s2, 32
	s_addc_u32 s3, s3, 0
	v_add_u32_e32 v2, v1, v2
	v_lshrrev_b32_e32 v2, s18, v2
	v_mul_lo_u32 v3, v2, s16
	v_mul_hi_u32 v5, s20, v2
	s_cmp_lg_u32 s36, s38
	v_sub_u32_e32 v1, v1, v3
	v_add_u32_e32 v3, v2, v5
	v_mul_lo_u32 v5, v1, s8
	v_mul_lo_u32 v7, v1, s9
	v_lshrrev_b32_e32 v1, s21, v3
	v_mul_lo_u32 v3, v1, s19
	v_mul_hi_u32 v9, s23, v1
	v_sub_u32_e32 v2, v2, v3
	v_add_u32_e32 v3, v1, v9
	v_lshrrev_b32_e32 v3, s24, v3
	v_mul_hi_u32 v10, s26, v3
	v_mul_lo_u32 v12, v3, s22
	v_mul_lo_u32 v9, v2, s10
	;; [unrolled: 1-line block ×3, first 2 shown]
	v_sub_u32_e32 v12, v1, v12
	v_add_u32_e32 v1, v3, v10
	v_lshrrev_b32_e32 v1, s27, v1
	v_mul_lo_u32 v10, v1, s25
	v_mul_lo_u32 v14, v12, s12
	;; [unrolled: 1-line block ×3, first 2 shown]
	v_add3_u32 v4, v5, v4, v9
	v_sub_u32_e32 v3, v3, v10
	v_mul_lo_u32 v10, v3, s14
	v_mul_lo_u32 v3, v3, s15
	v_add3_u32 v2, v7, v11, v2
	v_add3_u32 v4, v14, v4, v10
	;; [unrolled: 1-line block ×3, first 2 shown]
	s_cbranch_scc1 .LBB111_1089
; %bb.1090:
	s_and_b32 s8, s37, 3
	s_cmp_eq_u32 s8, 0
	s_cbranch_scc0 .LBB111_1094
	s_branch .LBB111_1096
.LBB111_1091:
                                        ; implicit-def: $vgpr4
                                        ; implicit-def: $vgpr11
	s_branch .LBB111_1097
.LBB111_1092:
	s_waitcnt vmcnt(0)
	v_mov_b32_e32 v4, 0
	v_mov_b32_e32 v11, 0
	s_branch .LBB111_1096
.LBB111_1093:
	s_waitcnt vmcnt(0)
	v_mov_b32_e32 v4, 0
	v_mov_b32_e32 v11, 0
	;; [unrolled: 1-line block ×3, first 2 shown]
	s_and_b32 s8, s37, 3
	s_cmp_eq_u32 s8, 0
	s_cbranch_scc1 .LBB111_1096
.LBB111_1094:
	s_lshl_b32 s2, s36, 3
	s_add_u32 s2, s34, s2
	s_addc_u32 s3, s35, 0
	s_add_u32 s2, s2, 0xc4
	s_addc_u32 s3, s3, 0
	s_mul_i32 s6, s36, 12
	s_add_u32 s6, s34, s6
	s_addc_u32 s7, s35, 0
.LBB111_1095:                           ; =>This Inner Loop Header: Depth=1
	s_load_dwordx2 s[10:11], s[6:7], 0x4
	s_load_dword s9, s[6:7], 0xc
	s_load_dwordx2 s[12:13], s[2:3], 0x0
	s_add_u32 s6, s6, 12
	s_addc_u32 s7, s7, 0
	s_waitcnt lgkmcnt(0)
	v_mul_hi_u32 v2, s11, v1
	s_add_u32 s2, s2, 8
	s_addc_u32 s3, s3, 0
	s_add_i32 s8, s8, -1
	v_add_u32_e32 v2, v1, v2
	v_lshrrev_b32_e32 v2, s9, v2
	v_mul_lo_u32 v3, v2, s10
	s_cmp_lg_u32 s8, 0
	v_sub_u32_e32 v1, v1, v3
	v_mad_u64_u32 v[4:5], s[10:11], v1, s12, v[4:5]
	v_mad_u64_u32 v[11:12], s[10:11], v1, s13, v[11:12]
	v_mov_b32_e32 v1, v2
	s_cbranch_scc1 .LBB111_1095
.LBB111_1096:
	s_cbranch_execnz .LBB111_1099
.LBB111_1097:
	s_load_dwordx4 s[8:11], s[34:35], 0x4
	s_load_dwordx2 s[2:3], s[34:35], 0xc4
	s_cmp_lt_u32 s33, 2
	s_waitcnt lgkmcnt(0)
	v_mul_hi_u32 v1, s9, v0
	v_add_u32_e32 v1, v0, v1
	v_lshrrev_b32_e32 v1, s10, v1
	v_mul_lo_u32 v2, v1, s8
	v_sub_u32_e32 v0, v0, v2
	s_waitcnt vmcnt(0)
	v_mul_lo_u32 v4, v0, s2
	v_mul_lo_u32 v11, v0, s3
	s_cbranch_scc1 .LBB111_1099
; %bb.1098:
	s_load_dwordx4 s[8:11], s[34:35], 0x10
	s_load_dwordx2 s[2:3], s[34:35], 0xcc
	s_waitcnt lgkmcnt(0)
	v_mul_hi_u32 v0, s9, v1
	v_add_u32_e32 v0, v1, v0
	v_lshrrev_b32_e32 v0, s10, v0
	v_mul_lo_u32 v0, v0, s8
	v_sub_u32_e32 v0, v1, v0
	v_mad_u64_u32 v[4:5], s[6:7], v0, s2, v[4:5]
	v_mad_u64_u32 v[11:12], s[2:3], v0, s3, v[11:12]
.LBB111_1099:
	s_and_b64 vcc, exec, s[0:1]
	v_add_u32_e32 v0, 0x100, v8
	s_cbranch_vccnz .LBB111_1105
; %bb.1100:
	s_cmp_lg_u32 s33, 0
	s_mov_b32 s36, 0
	s_cbranch_scc0 .LBB111_1106
; %bb.1101:
	s_min_u32 s37, s74, 15
	s_add_i32 s37, s37, 1
	s_cmp_eq_u32 s74, 2
	s_cbranch_scc1 .LBB111_1107
; %bb.1102:
	s_and_b32 s36, s37, 28
	s_add_u32 s2, s34, 0xc4
	s_addc_u32 s3, s35, 0
	v_mov_b32_e32 v9, 0
	s_mov_b32 s38, 0
	s_mov_b64 s[6:7], s[34:35]
	v_mov_b32_e32 v2, 0
	v_mov_b32_e32 v1, v0
.LBB111_1103:                           ; =>This Inner Loop Header: Depth=1
	s_load_dwordx8 s[16:23], s[6:7], 0x4
	s_load_dwordx4 s[24:27], s[6:7], 0x24
	s_load_dwordx8 s[8:15], s[2:3], 0x0
	s_add_u32 s6, s6, 48
	s_addc_u32 s7, s7, 0
	s_waitcnt vmcnt(0) lgkmcnt(0)
	v_mul_hi_u32 v3, s17, v1
	s_add_i32 s38, s38, 4
	s_add_u32 s2, s2, 32
	s_addc_u32 s3, s3, 0
	v_add_u32_e32 v3, v1, v3
	v_lshrrev_b32_e32 v3, s18, v3
	v_mul_lo_u32 v5, v3, s16
	v_mul_hi_u32 v7, s20, v3
	s_cmp_lg_u32 s36, s38
	v_sub_u32_e32 v1, v1, v5
	v_add_u32_e32 v5, v3, v7
	v_mul_lo_u32 v7, v1, s8
	v_mul_lo_u32 v8, v1, s9
	v_lshrrev_b32_e32 v1, s21, v5
	v_mul_lo_u32 v5, v1, s19
	v_mul_hi_u32 v10, s23, v1
	v_sub_u32_e32 v3, v3, v5
	v_add_u32_e32 v5, v1, v10
	v_lshrrev_b32_e32 v5, s24, v5
	v_mul_hi_u32 v12, s26, v5
	v_mul_lo_u32 v14, v5, s22
	v_mul_lo_u32 v10, v3, s10
	v_mul_lo_u32 v3, v3, s11
	v_sub_u32_e32 v14, v1, v14
	v_add_u32_e32 v1, v5, v12
	v_lshrrev_b32_e32 v1, s27, v1
	v_mul_lo_u32 v12, v1, s25
	v_mul_lo_u32 v16, v14, s12
	;; [unrolled: 1-line block ×3, first 2 shown]
	v_add3_u32 v2, v7, v2, v10
	v_sub_u32_e32 v5, v5, v12
	v_mul_lo_u32 v12, v5, s14
	v_mul_lo_u32 v5, v5, s15
	v_add3_u32 v3, v8, v9, v3
	v_add3_u32 v2, v16, v2, v12
	;; [unrolled: 1-line block ×3, first 2 shown]
	s_cbranch_scc1 .LBB111_1103
; %bb.1104:
	s_and_b32 s8, s37, 3
	s_cmp_eq_u32 s8, 0
	s_cbranch_scc0 .LBB111_1108
	s_branch .LBB111_1110
.LBB111_1105:
                                        ; implicit-def: $vgpr2
                                        ; implicit-def: $vgpr9
	s_branch .LBB111_1111
.LBB111_1106:
	v_mov_b32_e32 v2, 0
	v_mov_b32_e32 v9, 0
	s_branch .LBB111_1110
.LBB111_1107:
	v_mov_b32_e32 v2, 0
	v_mov_b32_e32 v9, 0
	;; [unrolled: 1-line block ×3, first 2 shown]
	s_and_b32 s8, s37, 3
	s_cmp_eq_u32 s8, 0
	s_cbranch_scc1 .LBB111_1110
.LBB111_1108:
	s_lshl_b32 s2, s36, 3
	s_add_u32 s2, s34, s2
	s_addc_u32 s3, s35, 0
	s_add_u32 s2, s2, 0xc4
	s_addc_u32 s3, s3, 0
	s_mul_i32 s6, s36, 12
	s_add_u32 s6, s34, s6
	s_addc_u32 s7, s35, 0
.LBB111_1109:                           ; =>This Inner Loop Header: Depth=1
	s_load_dwordx2 s[10:11], s[6:7], 0x4
	s_load_dword s9, s[6:7], 0xc
	s_load_dwordx2 s[12:13], s[2:3], 0x0
	s_add_u32 s6, s6, 12
	s_addc_u32 s7, s7, 0
	s_waitcnt vmcnt(0) lgkmcnt(0)
	v_mul_hi_u32 v3, s11, v1
	s_add_u32 s2, s2, 8
	s_addc_u32 s3, s3, 0
	s_add_i32 s8, s8, -1
	v_add_u32_e32 v3, v1, v3
	v_lshrrev_b32_e32 v5, s9, v3
	v_mul_lo_u32 v3, v5, s10
	s_cmp_lg_u32 s8, 0
	v_sub_u32_e32 v1, v1, v3
	v_mad_u64_u32 v[2:3], s[10:11], v1, s12, v[2:3]
	v_mad_u64_u32 v[9:10], s[10:11], v1, s13, v[9:10]
	v_mov_b32_e32 v1, v5
	s_cbranch_scc1 .LBB111_1109
.LBB111_1110:
	s_cbranch_execnz .LBB111_1113
.LBB111_1111:
	s_load_dwordx4 s[8:11], s[34:35], 0x4
	s_load_dwordx2 s[2:3], s[34:35], 0xc4
	s_cmp_lt_u32 s33, 2
	s_waitcnt lgkmcnt(0)
	v_mul_hi_u32 v1, s9, v0
	v_add_u32_e32 v1, v0, v1
	v_lshrrev_b32_e32 v1, s10, v1
	v_mul_lo_u32 v2, v1, s8
	v_sub_u32_e32 v0, v0, v2
	v_mul_lo_u32 v2, v0, s2
	v_mul_lo_u32 v9, v0, s3
	s_cbranch_scc1 .LBB111_1113
; %bb.1112:
	s_load_dwordx4 s[8:11], s[34:35], 0x10
	s_load_dwordx2 s[2:3], s[34:35], 0xcc
	s_waitcnt lgkmcnt(0)
	v_mul_hi_u32 v0, s9, v1
	v_add_u32_e32 v0, v1, v0
	v_lshrrev_b32_e32 v0, s10, v0
	v_mul_lo_u32 v0, v0, s8
	v_sub_u32_e32 v0, v1, v0
	s_waitcnt vmcnt(0)
	v_mad_u64_u32 v[2:3], s[6:7], v0, s2, v[2:3]
	v_mad_u64_u32 v[9:10], s[2:3], v0, s3, v[9:10]
.LBB111_1113:
	s_and_b64 vcc, exec, s[0:1]
	s_cbranch_vccnz .LBB111_1119
; %bb.1114:
	s_cmp_lg_u32 s33, 0
	s_mov_b32 s26, 0
	s_cbranch_scc0 .LBB111_1120
; %bb.1115:
	s_min_u32 s27, s74, 15
	s_add_i32 s27, s27, 1
	s_cmp_eq_u32 s74, 2
	s_cbranch_scc1 .LBB111_1121
; %bb.1116:
	s_and_b32 s26, s27, 28
	s_add_u32 s6, s34, 0xc4
	s_addc_u32 s7, s35, 0
	v_mov_b32_e32 v7, 0
	s_mov_b32 s36, 0
	s_mov_b64 s[24:25], s[34:35]
	v_mov_b32_e32 v0, 0
	v_mov_b32_e32 v1, v15
.LBB111_1117:                           ; =>This Inner Loop Header: Depth=1
	s_load_dwordx8 s[16:23], s[24:25], 0x4
	s_load_dwordx4 s[0:3], s[24:25], 0x24
	s_load_dwordx8 s[8:15], s[6:7], 0x0
	s_add_u32 s24, s24, 48
	s_addc_u32 s25, s25, 0
	s_waitcnt vmcnt(0) lgkmcnt(0)
	v_mul_hi_u32 v3, s17, v1
	s_add_i32 s36, s36, 4
	s_add_u32 s6, s6, 32
	s_addc_u32 s7, s7, 0
	v_add_u32_e32 v3, v1, v3
	v_lshrrev_b32_e32 v3, s18, v3
	v_mul_lo_u32 v5, v3, s16
	v_mul_hi_u32 v8, s20, v3
	s_cmp_lg_u32 s26, s36
	v_sub_u32_e32 v1, v1, v5
	v_add_u32_e32 v5, v3, v8
	v_mul_lo_u32 v8, v1, s8
	v_mul_lo_u32 v10, v1, s9
	v_lshrrev_b32_e32 v1, s21, v5
	v_mul_lo_u32 v5, v1, s19
	v_mul_hi_u32 v12, s23, v1
	v_sub_u32_e32 v3, v3, v5
	v_add_u32_e32 v5, v1, v12
	v_lshrrev_b32_e32 v5, s0, v5
	v_mul_hi_u32 v14, s2, v5
	v_mul_lo_u32 v16, v5, s22
	v_mul_lo_u32 v12, v3, s10
	;; [unrolled: 1-line block ×3, first 2 shown]
	v_sub_u32_e32 v16, v1, v16
	v_add_u32_e32 v1, v5, v14
	v_lshrrev_b32_e32 v1, s3, v1
	v_mul_lo_u32 v14, v1, s1
	v_mul_lo_u32 v17, v16, s12
	;; [unrolled: 1-line block ×3, first 2 shown]
	v_add3_u32 v0, v8, v0, v12
	v_sub_u32_e32 v5, v5, v14
	v_mul_lo_u32 v14, v5, s14
	v_mul_lo_u32 v5, v5, s15
	v_add3_u32 v3, v10, v7, v3
	v_add3_u32 v0, v17, v0, v14
	;; [unrolled: 1-line block ×3, first 2 shown]
	s_cbranch_scc1 .LBB111_1117
; %bb.1118:
	s_and_b32 s6, s27, 3
	s_cmp_eq_u32 s6, 0
	s_cbranch_scc0 .LBB111_1122
	s_branch .LBB111_1124
.LBB111_1119:
                                        ; implicit-def: $vgpr0
                                        ; implicit-def: $vgpr7
	s_branch .LBB111_1125
.LBB111_1120:
	v_mov_b32_e32 v0, 0
	v_mov_b32_e32 v7, 0
	s_branch .LBB111_1124
.LBB111_1121:
	v_mov_b32_e32 v0, 0
	v_mov_b32_e32 v7, 0
	;; [unrolled: 1-line block ×3, first 2 shown]
	s_and_b32 s6, s27, 3
	s_cmp_eq_u32 s6, 0
	s_cbranch_scc1 .LBB111_1124
.LBB111_1122:
	s_lshl_b32 s0, s26, 3
	s_add_u32 s0, s34, s0
	s_addc_u32 s1, s35, 0
	s_add_u32 s0, s0, 0xc4
	s_addc_u32 s1, s1, 0
	s_mul_i32 s2, s26, 12
	s_add_u32 s2, s34, s2
	s_addc_u32 s3, s35, 0
.LBB111_1123:                           ; =>This Inner Loop Header: Depth=1
	s_load_dwordx2 s[8:9], s[2:3], 0x4
	s_load_dword s7, s[2:3], 0xc
	s_load_dwordx2 s[10:11], s[0:1], 0x0
	s_add_u32 s2, s2, 12
	s_addc_u32 s3, s3, 0
	s_waitcnt vmcnt(0) lgkmcnt(0)
	v_mul_hi_u32 v3, s9, v1
	s_add_u32 s0, s0, 8
	s_addc_u32 s1, s1, 0
	s_add_i32 s6, s6, -1
	v_add_u32_e32 v3, v1, v3
	v_lshrrev_b32_e32 v3, s7, v3
	v_mul_lo_u32 v5, v3, s8
	s_cmp_lg_u32 s6, 0
	v_sub_u32_e32 v5, v1, v5
	v_mad_u64_u32 v[0:1], s[8:9], v5, s10, v[0:1]
	v_mad_u64_u32 v[7:8], s[8:9], v5, s11, v[7:8]
	v_mov_b32_e32 v1, v3
	s_cbranch_scc1 .LBB111_1123
.LBB111_1124:
	s_cbranch_execnz .LBB111_1127
.LBB111_1125:
	s_load_dwordx4 s[0:3], s[34:35], 0x4
	s_load_dwordx2 s[6:7], s[34:35], 0xc4
	s_cmp_lt_u32 s33, 2
	s_waitcnt lgkmcnt(0)
	v_mul_hi_u32 v0, s1, v15
	v_add_u32_e32 v0, v15, v0
	v_lshrrev_b32_e32 v1, s2, v0
	v_mul_lo_u32 v0, v1, s0
	s_waitcnt vmcnt(0)
	v_sub_u32_e32 v3, v15, v0
	v_mul_lo_u32 v0, v3, s6
	v_mul_lo_u32 v7, v3, s7
	s_cbranch_scc1 .LBB111_1127
; %bb.1126:
	s_load_dwordx4 s[0:3], s[34:35], 0x10
	s_load_dwordx2 s[6:7], s[34:35], 0xcc
	s_waitcnt lgkmcnt(0)
	v_mul_hi_u32 v3, s1, v1
	v_add_u32_e32 v3, v1, v3
	v_lshrrev_b32_e32 v3, s2, v3
	v_mul_lo_u32 v3, v3, s0
	v_sub_u32_e32 v3, v1, v3
	v_mad_u64_u32 v[0:1], s[0:1], v3, s6, v[0:1]
	v_mad_u64_u32 v[7:8], s[0:1], v3, s7, v[7:8]
.LBB111_1127:
	s_load_dword s16, s[4:5], 0x164
	s_load_dwordx4 s[8:11], s[34:35], 0x148
	s_waitcnt lgkmcnt(0)
	s_lshr_b32 s12, s16, 24
	v_mov_b32_e32 v1, s11
	v_add_co_u32_e32 v15, vcc, s10, v13
	s_cmp_lt_i32 s12, 11
	v_addc_co_u32_e32 v16, vcc, 0, v1, vcc
	s_cbranch_scc1 .LBB111_1134
; %bb.1128:
	s_and_b32 s13, 0xffff, s12
	s_cmp_gt_i32 s13, 25
	s_mov_b64 s[4:5], 0
	s_cbranch_scc0 .LBB111_1136
; %bb.1129:
	s_cmp_gt_i32 s13, 28
	s_cbranch_scc0 .LBB111_1137
; %bb.1130:
	s_cmp_gt_i32 s13, 43
	;; [unrolled: 3-line block ×3, first 2 shown]
	s_cbranch_scc0 .LBB111_1139
; %bb.1132:
	s_cmp_eq_u32 s13, 46
	s_mov_b64 s[2:3], 0
	s_cbranch_scc0 .LBB111_1142
; %bb.1133:
	global_load_dword v1, v[15:16], off
	s_mov_b64 s[0:1], 0
	s_mov_b64 s[6:7], -1
	s_waitcnt vmcnt(0)
	v_lshlrev_b32_e32 v1, 16, v1
	v_cvt_i32_f32_e32 v13, v1
	s_branch .LBB111_1143
.LBB111_1134:
	s_mov_b64 s[6:7], 0
                                        ; implicit-def: $vgpr13
	s_mov_b64 s[2:3], s[28:29]
	s_cbranch_execnz .LBB111_1201
.LBB111_1135:
	s_andn2_b64 vcc, exec, s[6:7]
	s_cbranch_vccz .LBB111_1246
	s_branch .LBB111_2055
.LBB111_1136:
	s_mov_b64 s[6:7], 0
	s_mov_b64 s[0:1], 0
                                        ; implicit-def: $vgpr13
	s_cbranch_execnz .LBB111_1168
	s_branch .LBB111_1197
.LBB111_1137:
	s_mov_b64 s[6:7], 0
	s_mov_b64 s[0:1], 0
                                        ; implicit-def: $vgpr13
	s_cbranch_execz .LBB111_1167
	s_branch .LBB111_1152
.LBB111_1138:
	s_mov_b64 s[6:7], 0
	s_mov_b64 s[0:1], 0
                                        ; implicit-def: $vgpr13
	s_cbranch_execnz .LBB111_1148
	s_branch .LBB111_1151
.LBB111_1139:
	s_mov_b64 s[2:3], -1
	s_mov_b64 s[6:7], 0
	s_mov_b64 s[0:1], 0
                                        ; implicit-def: $vgpr13
	s_branch .LBB111_1143
.LBB111_1140:
	s_andn2_saveexec_b64 s[14:15], s[14:15]
	s_cbranch_execz .LBB111_983
.LBB111_1141:
	s_mov_b32 s16, 0x46000000
	v_add_f32_e64 v3, |v0|, s16
	v_and_b32_e32 v3, 0xff, v3
	v_cmp_ne_u32_e32 vcc, 0, v3
	s_andn2_b64 s[12:13], s[12:13], exec
	s_and_b64 s[16:17], vcc, exec
	s_or_b64 s[12:13], s[12:13], s[16:17]
	s_or_b64 exec, exec, s[14:15]
	v_mov_b32_e32 v5, 0
	s_and_saveexec_b64 s[14:15], s[12:13]
	s_cbranch_execnz .LBB111_984
	s_branch .LBB111_985
.LBB111_1142:
	s_mov_b64 s[0:1], -1
                                        ; implicit-def: $vgpr13
	s_mov_b64 s[6:7], 0
.LBB111_1143:
	s_and_b64 vcc, exec, s[2:3]
	s_cbranch_vccz .LBB111_1146
; %bb.1144:
	s_cmp_eq_u32 s13, 44
	s_cbranch_scc0 .LBB111_1147
; %bb.1145:
	global_load_ubyte v1, v[15:16], off
	s_mov_b64 s[0:1], 0
	s_mov_b64 s[6:7], -1
	s_waitcnt vmcnt(0)
	v_lshlrev_b32_e32 v3, 23, v1
	v_cvt_i32_f32_e32 v3, v3
	v_cmp_ne_u32_e32 vcc, 0, v1
	v_cndmask_b32_e32 v13, 0, v3, vcc
.LBB111_1146:
	s_branch .LBB111_1151
.LBB111_1147:
	s_mov_b64 s[0:1], -1
                                        ; implicit-def: $vgpr13
	s_branch .LBB111_1151
.LBB111_1148:
	s_cmp_eq_u32 s13, 29
	s_cbranch_scc0 .LBB111_1150
; %bb.1149:
	global_load_dwordx2 v[13:14], v[15:16], off
	s_mov_b64 s[0:1], 0
	s_mov_b64 s[6:7], -1
	s_branch .LBB111_1151
.LBB111_1150:
	s_mov_b64 s[0:1], -1
                                        ; implicit-def: $vgpr13
.LBB111_1151:
	s_branch .LBB111_1167
.LBB111_1152:
	s_cmp_lt_i32 s13, 27
	s_cbranch_scc1 .LBB111_1155
; %bb.1153:
	s_cmp_gt_i32 s13, 27
	s_cbranch_scc0 .LBB111_1156
; %bb.1154:
	global_load_dword v13, v[15:16], off
	s_mov_b64 s[2:3], 0
	s_branch .LBB111_1157
.LBB111_1155:
	s_mov_b64 s[2:3], -1
                                        ; implicit-def: $vgpr13
	s_branch .LBB111_1160
.LBB111_1156:
	s_mov_b64 s[2:3], -1
                                        ; implicit-def: $vgpr13
.LBB111_1157:
	s_andn2_b64 vcc, exec, s[2:3]
	s_cbranch_vccnz .LBB111_1159
; %bb.1158:
	global_load_ushort v13, v[15:16], off
.LBB111_1159:
	s_mov_b64 s[2:3], 0
.LBB111_1160:
	s_andn2_b64 vcc, exec, s[2:3]
	s_cbranch_vccnz .LBB111_1166
; %bb.1161:
	global_load_ubyte v1, v[15:16], off
	s_movk_i32 s2, 0x7f
	s_mov_b64 s[6:7], 0
	s_waitcnt vmcnt(0)
	v_cmp_lt_i16_e32 vcc, s2, v1
	s_and_saveexec_b64 s[2:3], vcc
	s_xor_b64 s[2:3], exec, s[2:3]
	s_cbranch_execz .LBB111_1177
; %bb.1162:
	s_movk_i32 s6, 0x80
	v_cmp_ne_u16_e32 vcc, s6, v1
	s_and_b64 s[6:7], vcc, exec
	s_andn2_saveexec_b64 s[2:3], s[2:3]
	s_cbranch_execnz .LBB111_1178
.LBB111_1163:
	s_or_b64 exec, exec, s[2:3]
	v_mov_b32_e32 v13, 0
	s_and_saveexec_b64 s[2:3], s[6:7]
	s_cbranch_execz .LBB111_1165
.LBB111_1164:
	v_lshlrev_b32_e32 v3, 24, v1
	v_and_b32_e32 v1, 0xffff, v1
	v_and_b32_e32 v5, 7, v1
	v_ffbh_u32_e32 v10, v5
	v_min_u32_e32 v10, 32, v10
	v_subrev_u32_e32 v12, 28, v10
	v_bfe_u32 v8, v1, 3, 4
	v_lshlrev_b32_e32 v1, v12, v1
	v_sub_u32_e32 v10, 29, v10
	v_and_b32_e32 v1, 7, v1
	v_cmp_eq_u32_e32 vcc, 0, v8
	v_cndmask_b32_e32 v8, v8, v10, vcc
	v_cndmask_b32_e32 v1, v5, v1, vcc
	v_mov_b32_e32 v5, 0x3b800000
	v_lshlrev_b32_e32 v1, 20, v1
	v_and_b32_e32 v3, 0x80000000, v3
	v_lshl_add_u32 v5, v8, 23, v5
	v_or3_b32 v1, v3, v5, v1
	v_cvt_i32_f32_e32 v13, v1
.LBB111_1165:
	s_or_b64 exec, exec, s[2:3]
.LBB111_1166:
	s_mov_b64 s[6:7], -1
.LBB111_1167:
	s_branch .LBB111_1197
.LBB111_1168:
	s_cmp_gt_i32 s13, 22
	s_cbranch_scc0 .LBB111_1176
; %bb.1169:
	s_cmp_lt_i32 s13, 24
	s_cbranch_scc1 .LBB111_1179
; %bb.1170:
	s_cmp_gt_i32 s13, 24
	s_cbranch_scc0 .LBB111_1180
; %bb.1171:
	global_load_ubyte v1, v[15:16], off
	s_movk_i32 s2, 0x7f
	s_waitcnt vmcnt(0)
	v_cmp_lt_i16_e32 vcc, s2, v1
	s_and_saveexec_b64 s[2:3], vcc
	s_xor_b64 s[2:3], exec, s[2:3]
	s_cbranch_execz .LBB111_1191
; %bb.1172:
	s_movk_i32 s4, 0x80
	v_cmp_ne_u16_e32 vcc, s4, v1
	s_and_b64 s[4:5], vcc, exec
	s_andn2_saveexec_b64 s[2:3], s[2:3]
	s_cbranch_execnz .LBB111_1192
.LBB111_1173:
	s_or_b64 exec, exec, s[2:3]
	v_mov_b32_e32 v13, 0
	s_and_saveexec_b64 s[2:3], s[4:5]
	s_cbranch_execz .LBB111_1175
.LBB111_1174:
	v_lshlrev_b32_e32 v3, 24, v1
	v_and_b32_e32 v1, 0xffff, v1
	v_and_b32_e32 v5, 3, v1
	v_ffbh_u32_e32 v10, v5
	v_min_u32_e32 v10, 32, v10
	v_subrev_u32_e32 v12, 29, v10
	v_bfe_u32 v8, v1, 2, 5
	v_lshlrev_b32_e32 v1, v12, v1
	v_sub_u32_e32 v10, 30, v10
	v_and_b32_e32 v1, 3, v1
	v_cmp_eq_u32_e32 vcc, 0, v8
	v_cndmask_b32_e32 v8, v8, v10, vcc
	v_cndmask_b32_e32 v1, v5, v1, vcc
	v_mov_b32_e32 v5, 0x37800000
	v_lshlrev_b32_e32 v1, 21, v1
	v_and_b32_e32 v3, 0x80000000, v3
	v_lshl_add_u32 v5, v8, 23, v5
	v_or3_b32 v1, v3, v5, v1
	v_cvt_i32_f32_e32 v13, v1
.LBB111_1175:
	s_or_b64 exec, exec, s[2:3]
	s_mov_b64 s[2:3], 0
	s_branch .LBB111_1181
.LBB111_1176:
                                        ; implicit-def: $vgpr13
	s_mov_b64 s[4:5], 0
	s_branch .LBB111_1187
.LBB111_1177:
	s_andn2_saveexec_b64 s[2:3], s[2:3]
	s_cbranch_execz .LBB111_1163
.LBB111_1178:
	v_cmp_ne_u16_e32 vcc, 0, v1
	s_andn2_b64 s[6:7], s[6:7], exec
	s_and_b64 s[14:15], vcc, exec
	s_or_b64 s[6:7], s[6:7], s[14:15]
	s_or_b64 exec, exec, s[2:3]
	v_mov_b32_e32 v13, 0
	s_and_saveexec_b64 s[2:3], s[6:7]
	s_cbranch_execnz .LBB111_1164
	s_branch .LBB111_1165
.LBB111_1179:
	s_mov_b64 s[2:3], -1
                                        ; implicit-def: $vgpr13
	s_branch .LBB111_1184
.LBB111_1180:
	s_mov_b64 s[2:3], -1
                                        ; implicit-def: $vgpr13
.LBB111_1181:
	s_and_b64 vcc, exec, s[2:3]
	s_cbranch_vccz .LBB111_1183
; %bb.1182:
	global_load_ubyte v1, v[15:16], off
	s_mov_b32 s2, 0x7f800000
	s_waitcnt vmcnt(0)
	v_lshlrev_b32_e32 v1, 24, v1
	v_and_b32_e32 v3, 0x7f000000, v1
	v_ffbh_u32_e32 v5, v3
	v_min_u32_e32 v5, 32, v5
	v_sub_u32_e64 v5, v5, 4 clamp
	v_lshlrev_b32_e32 v10, v5, v3
	v_lshlrev_b32_e32 v5, 23, v5
	v_lshrrev_b32_e32 v10, 4, v10
	v_add_u32_e32 v8, 0x1000000, v3
	v_sub_u32_e32 v5, v10, v5
	v_ashrrev_i32_e32 v8, 8, v8
	v_add_u32_e32 v5, 0x3c000000, v5
	v_and_or_b32 v5, v8, s2, v5
	v_cmp_ne_u32_e32 vcc, 0, v3
	v_cndmask_b32_e32 v3, 0, v5, vcc
	s_brev_b32 s2, 1
	v_and_or_b32 v1, v1, s2, v3
	v_cvt_i32_f32_e32 v13, v1
.LBB111_1183:
	s_mov_b64 s[2:3], 0
.LBB111_1184:
	s_andn2_b64 vcc, exec, s[2:3]
	s_cbranch_vccnz .LBB111_1186
; %bb.1185:
	global_load_ubyte v1, v[15:16], off
	s_movk_i32 s2, 0x7f00
	s_brev_b32 s3, 16
	s_waitcnt vmcnt(0)
	v_lshlrev_b16_e32 v3, 8, v1
	v_lshlrev_b32_e32 v1, 25, v1
	v_lshrrev_b32_e32 v5, 4, v1
	v_and_or_b32 v8, v3, s2, 0.5
	v_or_b32_e32 v5, 0x70000000, v5
	v_add_f32_e32 v8, -0.5, v8
	v_mul_f32_e32 v5, 0x7800000, v5
	v_cmp_gt_u32_e32 vcc, s3, v1
	v_bfe_i32 v3, v3, 0, 16
	v_cndmask_b32_e32 v1, v5, v8, vcc
	s_brev_b32 s2, 1
	v_and_or_b32 v1, v3, s2, v1
	v_cvt_i32_f32_e32 v13, v1
.LBB111_1186:
	s_mov_b64 s[6:7], -1
	s_mov_b64 s[4:5], 0
	s_cbranch_execnz .LBB111_1197
.LBB111_1187:
	s_cmp_gt_i32 s13, 14
	s_cbranch_scc0 .LBB111_1190
; %bb.1188:
	s_cmp_eq_u32 s13, 15
	s_cbranch_scc0 .LBB111_1193
; %bb.1189:
	global_load_ushort v1, v[15:16], off
	s_mov_b64 s[0:1], 0
	s_mov_b64 s[6:7], -1
	s_waitcnt vmcnt(0)
	v_lshlrev_b32_e32 v1, 16, v1
	v_cvt_i32_f32_e32 v13, v1
	s_branch .LBB111_1194
.LBB111_1190:
	s_mov_b64 s[2:3], -1
                                        ; implicit-def: $vgpr13
	s_branch .LBB111_1195
.LBB111_1191:
	s_andn2_saveexec_b64 s[2:3], s[2:3]
	s_cbranch_execz .LBB111_1173
.LBB111_1192:
	v_cmp_ne_u16_e32 vcc, 0, v1
	s_andn2_b64 s[4:5], s[4:5], exec
	s_and_b64 s[6:7], vcc, exec
	s_or_b64 s[4:5], s[4:5], s[6:7]
	s_or_b64 exec, exec, s[2:3]
	v_mov_b32_e32 v13, 0
	s_and_saveexec_b64 s[2:3], s[4:5]
	s_cbranch_execnz .LBB111_1174
	s_branch .LBB111_1175
.LBB111_1193:
	s_mov_b64 s[0:1], -1
                                        ; implicit-def: $vgpr13
.LBB111_1194:
	s_mov_b64 s[2:3], 0
.LBB111_1195:
	s_and_b64 vcc, exec, s[2:3]
	s_cbranch_vccz .LBB111_1197
; %bb.1196:
	s_cmp_lg_u32 s13, 11
	s_mov_b64 s[4:5], -1
	s_cselect_b64 s[0:1], -1, 0
.LBB111_1197:
	s_and_b64 vcc, exec, s[0:1]
	s_mov_b64 s[2:3], s[28:29]
	s_cbranch_vccnz .LBB111_1258
; %bb.1198:
	s_andn2_b64 vcc, exec, s[4:5]
	s_cbranch_vccnz .LBB111_1200
.LBB111_1199:
	global_load_ubyte v1, v[15:16], off
	s_mov_b64 s[6:7], -1
	s_waitcnt vmcnt(0)
	v_cmp_ne_u16_e32 vcc, 0, v1
	v_cndmask_b32_e64 v13, 0, 1, vcc
.LBB111_1200:
	s_branch .LBB111_1135
.LBB111_1201:
	s_and_b32 s4, 0xffff, s12
	s_cmp_lt_i32 s4, 5
	s_cbranch_scc1 .LBB111_1206
; %bb.1202:
	s_cmp_lt_i32 s4, 8
	s_cbranch_scc1 .LBB111_1207
; %bb.1203:
	;; [unrolled: 3-line block ×3, first 2 shown]
	s_cmp_gt_i32 s4, 9
	s_cbranch_scc0 .LBB111_1209
; %bb.1205:
	global_load_dwordx2 v[12:13], v[15:16], off
	s_mov_b64 s[0:1], 0
	s_waitcnt vmcnt(0)
	v_cvt_i32_f64_e32 v13, v[12:13]
	s_branch .LBB111_1210
.LBB111_1206:
                                        ; implicit-def: $vgpr13
	s_branch .LBB111_1227
.LBB111_1207:
                                        ; implicit-def: $vgpr13
	s_branch .LBB111_1216
.LBB111_1208:
	s_mov_b64 s[0:1], -1
                                        ; implicit-def: $vgpr13
	s_branch .LBB111_1213
.LBB111_1209:
	s_mov_b64 s[0:1], -1
                                        ; implicit-def: $vgpr13
.LBB111_1210:
	s_andn2_b64 vcc, exec, s[0:1]
	s_cbranch_vccnz .LBB111_1212
; %bb.1211:
	global_load_dword v1, v[15:16], off
	s_waitcnt vmcnt(0)
	v_cvt_i32_f32_e32 v13, v1
.LBB111_1212:
	s_mov_b64 s[0:1], 0
.LBB111_1213:
	s_andn2_b64 vcc, exec, s[0:1]
	s_cbranch_vccnz .LBB111_1215
; %bb.1214:
	global_load_dword v1, v[15:16], off
	s_waitcnt vmcnt(0)
	v_cvt_i16_f16_e32 v13, v1
.LBB111_1215:
	s_cbranch_execnz .LBB111_1226
.LBB111_1216:
	s_cmp_lt_i32 s4, 6
	s_cbranch_scc1 .LBB111_1219
; %bb.1217:
	s_cmp_gt_i32 s4, 6
	s_cbranch_scc0 .LBB111_1220
; %bb.1218:
	global_load_dwordx2 v[12:13], v[15:16], off
	s_mov_b64 s[0:1], 0
	s_waitcnt vmcnt(0)
	v_cvt_i32_f64_e32 v13, v[12:13]
	s_branch .LBB111_1221
.LBB111_1219:
	s_mov_b64 s[0:1], -1
                                        ; implicit-def: $vgpr13
	s_branch .LBB111_1224
.LBB111_1220:
	s_mov_b64 s[0:1], -1
                                        ; implicit-def: $vgpr13
.LBB111_1221:
	s_andn2_b64 vcc, exec, s[0:1]
	s_cbranch_vccnz .LBB111_1223
; %bb.1222:
	global_load_dword v1, v[15:16], off
	s_waitcnt vmcnt(0)
	v_cvt_i32_f32_e32 v13, v1
.LBB111_1223:
	s_mov_b64 s[0:1], 0
.LBB111_1224:
	s_andn2_b64 vcc, exec, s[0:1]
	s_cbranch_vccnz .LBB111_1226
; %bb.1225:
	global_load_ushort v1, v[15:16], off
	s_waitcnt vmcnt(0)
	v_cvt_i16_f16_e32 v13, v1
.LBB111_1226:
	s_cbranch_execnz .LBB111_1245
.LBB111_1227:
	s_cmp_lt_i32 s4, 2
	s_cbranch_scc1 .LBB111_1231
; %bb.1228:
	s_cmp_lt_i32 s4, 3
	s_cbranch_scc1 .LBB111_1232
; %bb.1229:
	s_cmp_gt_i32 s4, 3
	s_cbranch_scc0 .LBB111_1233
; %bb.1230:
	global_load_dwordx2 v[13:14], v[15:16], off
	s_mov_b64 s[0:1], 0
	s_branch .LBB111_1234
.LBB111_1231:
                                        ; implicit-def: $vgpr13
	s_branch .LBB111_1240
.LBB111_1232:
	s_mov_b64 s[0:1], -1
                                        ; implicit-def: $vgpr13
	s_branch .LBB111_1237
.LBB111_1233:
	s_mov_b64 s[0:1], -1
                                        ; implicit-def: $vgpr13
.LBB111_1234:
	s_andn2_b64 vcc, exec, s[0:1]
	s_cbranch_vccnz .LBB111_1236
; %bb.1235:
	global_load_dword v13, v[15:16], off
.LBB111_1236:
	s_mov_b64 s[0:1], 0
.LBB111_1237:
	s_andn2_b64 vcc, exec, s[0:1]
	s_cbranch_vccnz .LBB111_1239
; %bb.1238:
	global_load_ushort v13, v[15:16], off
.LBB111_1239:
	s_cbranch_execnz .LBB111_1245
.LBB111_1240:
	s_cmp_gt_i32 s4, 0
	s_cbranch_scc0 .LBB111_1242
; %bb.1241:
	global_load_sbyte v13, v[15:16], off
	s_mov_b64 s[0:1], 0
	s_branch .LBB111_1243
.LBB111_1242:
	s_mov_b64 s[0:1], -1
                                        ; implicit-def: $vgpr13
.LBB111_1243:
	s_andn2_b64 vcc, exec, s[0:1]
	s_cbranch_vccnz .LBB111_1245
; %bb.1244:
	global_load_ubyte v13, v[15:16], off
.LBB111_1245:
.LBB111_1246:
	v_mov_b32_e32 v1, s11
	s_and_b32 s14, 0xffff, s12
	s_waitcnt vmcnt(0)
	v_add_co_u32_e32 v14, vcc, s10, v11
	s_cmp_lt_i32 s14, 11
	v_addc_co_u32_e32 v15, vcc, 0, v1, vcc
	s_cbranch_scc1 .LBB111_1253
; %bb.1247:
	s_cmp_gt_i32 s14, 25
	s_mov_b64 s[4:5], 0
	s_cbranch_scc0 .LBB111_1255
; %bb.1248:
	s_cmp_gt_i32 s14, 28
	s_cbranch_scc0 .LBB111_1256
; %bb.1249:
	s_cmp_gt_i32 s14, 43
	;; [unrolled: 3-line block ×3, first 2 shown]
	s_cbranch_scc0 .LBB111_1259
; %bb.1251:
	s_cmp_eq_u32 s14, 46
	s_mov_b64 s[12:13], 0
	s_cbranch_scc0 .LBB111_1262
; %bb.1252:
	global_load_dword v1, v[14:15], off
	s_mov_b64 s[0:1], 0
	s_mov_b64 s[6:7], -1
	s_waitcnt vmcnt(0)
	v_lshlrev_b32_e32 v1, 16, v1
	v_cvt_i32_f32_e32 v11, v1
	s_branch .LBB111_1263
.LBB111_1253:
	s_mov_b64 s[6:7], 0
                                        ; implicit-def: $vgpr11
	s_cbranch_execnz .LBB111_1324
.LBB111_1254:
	s_andn2_b64 vcc, exec, s[6:7]
	s_cbranch_vccnz .LBB111_2055
	s_branch .LBB111_1371
.LBB111_1255:
	s_mov_b64 s[6:7], 0
	s_mov_b64 s[0:1], 0
                                        ; implicit-def: $vgpr11
	s_cbranch_execnz .LBB111_1290
	s_branch .LBB111_1320
.LBB111_1256:
	s_mov_b64 s[12:13], -1
	s_mov_b64 s[6:7], 0
	s_mov_b64 s[0:1], 0
                                        ; implicit-def: $vgpr11
	s_branch .LBB111_1273
.LBB111_1257:
	s_mov_b64 s[12:13], -1
	s_mov_b64 s[6:7], 0
	s_mov_b64 s[0:1], 0
                                        ; implicit-def: $vgpr11
	s_branch .LBB111_1268
.LBB111_1258:
	s_or_b64 s[2:3], s[28:29], exec
	s_trap 2
	s_cbranch_execz .LBB111_1199
	s_branch .LBB111_1200
.LBB111_1259:
	s_mov_b64 s[12:13], -1
	s_mov_b64 s[6:7], 0
	s_mov_b64 s[0:1], 0
                                        ; implicit-def: $vgpr11
	s_branch .LBB111_1263
.LBB111_1260:
	s_andn2_saveexec_b64 s[16:17], s[16:17]
	s_cbranch_execz .LBB111_995
.LBB111_1261:
	s_mov_b32 s20, 0x42800000
	v_add_f32_e64 v3, |v0|, s20
	v_and_b32_e32 v3, 0xff, v3
	v_cmp_ne_u32_e32 vcc, 0, v3
	s_andn2_b64 s[14:15], s[14:15], exec
	s_and_b64 s[20:21], vcc, exec
	s_or_b64 s[14:15], s[14:15], s[20:21]
	s_or_b64 exec, exec, s[16:17]
	v_mov_b32_e32 v5, 0
	s_and_saveexec_b64 s[16:17], s[14:15]
	s_cbranch_execnz .LBB111_996
	s_branch .LBB111_997
.LBB111_1262:
	s_mov_b64 s[0:1], -1
                                        ; implicit-def: $vgpr11
	s_mov_b64 s[6:7], 0
.LBB111_1263:
	s_and_b64 vcc, exec, s[12:13]
	s_cbranch_vccz .LBB111_1267
; %bb.1264:
	s_cmp_eq_u32 s14, 44
	s_cbranch_scc0 .LBB111_1266
; %bb.1265:
	global_load_ubyte v1, v[14:15], off
	s_mov_b64 s[0:1], 0
	s_mov_b64 s[6:7], -1
	s_waitcnt vmcnt(0)
	v_lshlrev_b32_e32 v3, 23, v1
	v_cvt_i32_f32_e32 v3, v3
	v_cmp_ne_u32_e32 vcc, 0, v1
	v_cndmask_b32_e32 v11, 0, v3, vcc
	s_branch .LBB111_1267
.LBB111_1266:
	s_mov_b64 s[0:1], -1
                                        ; implicit-def: $vgpr11
.LBB111_1267:
	s_mov_b64 s[12:13], 0
.LBB111_1268:
	s_and_b64 vcc, exec, s[12:13]
	s_cbranch_vccz .LBB111_1272
; %bb.1269:
	s_cmp_eq_u32 s14, 29
	s_cbranch_scc0 .LBB111_1271
; %bb.1270:
	global_load_dwordx2 v[11:12], v[14:15], off
	s_mov_b64 s[0:1], 0
	s_mov_b64 s[6:7], -1
	s_branch .LBB111_1272
.LBB111_1271:
	s_mov_b64 s[0:1], -1
                                        ; implicit-def: $vgpr11
.LBB111_1272:
	s_mov_b64 s[12:13], 0
.LBB111_1273:
	s_and_b64 vcc, exec, s[12:13]
	s_cbranch_vccz .LBB111_1289
; %bb.1274:
	s_cmp_lt_i32 s14, 27
	s_cbranch_scc1 .LBB111_1277
; %bb.1275:
	s_cmp_gt_i32 s14, 27
	s_cbranch_scc0 .LBB111_1278
; %bb.1276:
	global_load_dword v11, v[14:15], off
	s_mov_b64 s[6:7], 0
	s_branch .LBB111_1279
.LBB111_1277:
	s_mov_b64 s[6:7], -1
                                        ; implicit-def: $vgpr11
	s_branch .LBB111_1282
.LBB111_1278:
	s_mov_b64 s[6:7], -1
                                        ; implicit-def: $vgpr11
.LBB111_1279:
	s_andn2_b64 vcc, exec, s[6:7]
	s_cbranch_vccnz .LBB111_1281
; %bb.1280:
	global_load_ushort v11, v[14:15], off
.LBB111_1281:
	s_mov_b64 s[6:7], 0
.LBB111_1282:
	s_andn2_b64 vcc, exec, s[6:7]
	s_cbranch_vccnz .LBB111_1288
; %bb.1283:
	global_load_ubyte v1, v[14:15], off
	s_movk_i32 s6, 0x7f
	s_mov_b64 s[12:13], 0
	s_waitcnt vmcnt(0)
	v_cmp_lt_i16_e32 vcc, s6, v1
	s_and_saveexec_b64 s[6:7], vcc
	s_xor_b64 s[6:7], exec, s[6:7]
	s_cbranch_execz .LBB111_1299
; %bb.1284:
	s_movk_i32 s12, 0x80
	v_cmp_ne_u16_e32 vcc, s12, v1
	s_and_b64 s[12:13], vcc, exec
	s_andn2_saveexec_b64 s[6:7], s[6:7]
	s_cbranch_execnz .LBB111_1300
.LBB111_1285:
	s_or_b64 exec, exec, s[6:7]
	v_mov_b32_e32 v11, 0
	s_and_saveexec_b64 s[6:7], s[12:13]
	s_cbranch_execz .LBB111_1287
.LBB111_1286:
	v_lshlrev_b32_e32 v3, 24, v1
	v_and_b32_e32 v1, 0xffff, v1
	v_and_b32_e32 v5, 7, v1
	v_ffbh_u32_e32 v10, v5
	v_min_u32_e32 v10, 32, v10
	v_subrev_u32_e32 v11, 28, v10
	v_bfe_u32 v8, v1, 3, 4
	v_lshlrev_b32_e32 v1, v11, v1
	v_sub_u32_e32 v10, 29, v10
	v_and_b32_e32 v1, 7, v1
	v_cmp_eq_u32_e32 vcc, 0, v8
	v_cndmask_b32_e32 v8, v8, v10, vcc
	v_cndmask_b32_e32 v1, v5, v1, vcc
	v_mov_b32_e32 v5, 0x3b800000
	v_lshlrev_b32_e32 v1, 20, v1
	v_and_b32_e32 v3, 0x80000000, v3
	v_lshl_add_u32 v5, v8, 23, v5
	v_or3_b32 v1, v3, v5, v1
	v_cvt_i32_f32_e32 v11, v1
.LBB111_1287:
	s_or_b64 exec, exec, s[6:7]
.LBB111_1288:
	s_mov_b64 s[6:7], -1
.LBB111_1289:
	s_branch .LBB111_1320
.LBB111_1290:
	s_cmp_gt_i32 s14, 22
	s_cbranch_scc0 .LBB111_1298
; %bb.1291:
	s_cmp_lt_i32 s14, 24
	s_cbranch_scc1 .LBB111_1301
; %bb.1292:
	s_cmp_gt_i32 s14, 24
	s_cbranch_scc0 .LBB111_1302
; %bb.1293:
	global_load_ubyte v1, v[14:15], off
	s_movk_i32 s4, 0x7f
	s_mov_b64 s[6:7], 0
	s_waitcnt vmcnt(0)
	v_cmp_lt_i16_e32 vcc, s4, v1
	s_and_saveexec_b64 s[4:5], vcc
	s_xor_b64 s[4:5], exec, s[4:5]
	s_cbranch_execz .LBB111_1314
; %bb.1294:
	s_movk_i32 s6, 0x80
	v_cmp_ne_u16_e32 vcc, s6, v1
	s_and_b64 s[6:7], vcc, exec
	s_andn2_saveexec_b64 s[4:5], s[4:5]
	s_cbranch_execnz .LBB111_1315
.LBB111_1295:
	s_or_b64 exec, exec, s[4:5]
	v_mov_b32_e32 v11, 0
	s_and_saveexec_b64 s[4:5], s[6:7]
	s_cbranch_execz .LBB111_1297
.LBB111_1296:
	v_lshlrev_b32_e32 v3, 24, v1
	v_and_b32_e32 v1, 0xffff, v1
	v_and_b32_e32 v5, 3, v1
	v_ffbh_u32_e32 v10, v5
	v_min_u32_e32 v10, 32, v10
	v_subrev_u32_e32 v11, 29, v10
	v_bfe_u32 v8, v1, 2, 5
	v_lshlrev_b32_e32 v1, v11, v1
	v_sub_u32_e32 v10, 30, v10
	v_and_b32_e32 v1, 3, v1
	v_cmp_eq_u32_e32 vcc, 0, v8
	v_cndmask_b32_e32 v8, v8, v10, vcc
	v_cndmask_b32_e32 v1, v5, v1, vcc
	v_mov_b32_e32 v5, 0x37800000
	v_lshlrev_b32_e32 v1, 21, v1
	v_and_b32_e32 v3, 0x80000000, v3
	v_lshl_add_u32 v5, v8, 23, v5
	v_or3_b32 v1, v3, v5, v1
	v_cvt_i32_f32_e32 v11, v1
.LBB111_1297:
	s_or_b64 exec, exec, s[4:5]
	s_mov_b64 s[4:5], 0
	s_branch .LBB111_1303
.LBB111_1298:
	s_mov_b64 s[4:5], -1
                                        ; implicit-def: $vgpr11
	s_branch .LBB111_1309
.LBB111_1299:
	s_andn2_saveexec_b64 s[6:7], s[6:7]
	s_cbranch_execz .LBB111_1285
.LBB111_1300:
	v_cmp_ne_u16_e32 vcc, 0, v1
	s_andn2_b64 s[12:13], s[12:13], exec
	s_and_b64 s[18:19], vcc, exec
	s_or_b64 s[12:13], s[12:13], s[18:19]
	s_or_b64 exec, exec, s[6:7]
	v_mov_b32_e32 v11, 0
	s_and_saveexec_b64 s[6:7], s[12:13]
	s_cbranch_execnz .LBB111_1286
	s_branch .LBB111_1287
.LBB111_1301:
	s_mov_b64 s[4:5], -1
                                        ; implicit-def: $vgpr11
	s_branch .LBB111_1306
.LBB111_1302:
	s_mov_b64 s[4:5], -1
                                        ; implicit-def: $vgpr11
.LBB111_1303:
	s_and_b64 vcc, exec, s[4:5]
	s_cbranch_vccz .LBB111_1305
; %bb.1304:
	global_load_ubyte v1, v[14:15], off
	s_mov_b32 s4, 0x7f800000
	s_waitcnt vmcnt(0)
	v_lshlrev_b32_e32 v1, 24, v1
	v_and_b32_e32 v3, 0x7f000000, v1
	v_ffbh_u32_e32 v5, v3
	v_min_u32_e32 v5, 32, v5
	v_sub_u32_e64 v5, v5, 4 clamp
	v_lshlrev_b32_e32 v10, v5, v3
	v_lshlrev_b32_e32 v5, 23, v5
	v_lshrrev_b32_e32 v10, 4, v10
	v_add_u32_e32 v8, 0x1000000, v3
	v_sub_u32_e32 v5, v10, v5
	v_ashrrev_i32_e32 v8, 8, v8
	v_add_u32_e32 v5, 0x3c000000, v5
	v_and_or_b32 v5, v8, s4, v5
	v_cmp_ne_u32_e32 vcc, 0, v3
	v_cndmask_b32_e32 v3, 0, v5, vcc
	s_brev_b32 s4, 1
	v_and_or_b32 v1, v1, s4, v3
	v_cvt_i32_f32_e32 v11, v1
.LBB111_1305:
	s_mov_b64 s[4:5], 0
.LBB111_1306:
	s_andn2_b64 vcc, exec, s[4:5]
	s_cbranch_vccnz .LBB111_1308
; %bb.1307:
	global_load_ubyte v1, v[14:15], off
	s_movk_i32 s4, 0x7f00
	s_brev_b32 s5, 16
	s_waitcnt vmcnt(0)
	v_lshlrev_b16_e32 v3, 8, v1
	v_lshlrev_b32_e32 v1, 25, v1
	v_lshrrev_b32_e32 v5, 4, v1
	v_and_or_b32 v8, v3, s4, 0.5
	v_or_b32_e32 v5, 0x70000000, v5
	v_add_f32_e32 v8, -0.5, v8
	v_mul_f32_e32 v5, 0x7800000, v5
	v_cmp_gt_u32_e32 vcc, s5, v1
	v_bfe_i32 v3, v3, 0, 16
	v_cndmask_b32_e32 v1, v5, v8, vcc
	s_brev_b32 s4, 1
	v_and_or_b32 v1, v3, s4, v1
	v_cvt_i32_f32_e32 v11, v1
.LBB111_1308:
	s_mov_b64 s[4:5], 0
	s_mov_b64 s[6:7], -1
.LBB111_1309:
	s_andn2_b64 vcc, exec, s[4:5]
	s_mov_b64 s[4:5], 0
	s_cbranch_vccnz .LBB111_1320
; %bb.1310:
	s_cmp_gt_i32 s14, 14
	s_cbranch_scc0 .LBB111_1313
; %bb.1311:
	s_cmp_eq_u32 s14, 15
	s_cbranch_scc0 .LBB111_1316
; %bb.1312:
	global_load_ushort v1, v[14:15], off
	s_mov_b64 s[0:1], 0
	s_mov_b64 s[6:7], -1
	s_waitcnt vmcnt(0)
	v_lshlrev_b32_e32 v1, 16, v1
	v_cvt_i32_f32_e32 v11, v1
	s_branch .LBB111_1317
.LBB111_1313:
	s_mov_b64 s[12:13], -1
                                        ; implicit-def: $vgpr11
	s_branch .LBB111_1318
.LBB111_1314:
	s_andn2_saveexec_b64 s[4:5], s[4:5]
	s_cbranch_execz .LBB111_1295
.LBB111_1315:
	v_cmp_ne_u16_e32 vcc, 0, v1
	s_andn2_b64 s[6:7], s[6:7], exec
	s_and_b64 s[12:13], vcc, exec
	s_or_b64 s[6:7], s[6:7], s[12:13]
	s_or_b64 exec, exec, s[4:5]
	v_mov_b32_e32 v11, 0
	s_and_saveexec_b64 s[4:5], s[6:7]
	s_cbranch_execnz .LBB111_1296
	s_branch .LBB111_1297
.LBB111_1316:
	s_mov_b64 s[0:1], -1
                                        ; implicit-def: $vgpr11
.LBB111_1317:
	s_mov_b64 s[12:13], 0
.LBB111_1318:
	s_and_b64 vcc, exec, s[12:13]
	s_cbranch_vccz .LBB111_1320
; %bb.1319:
	s_cmp_lg_u32 s14, 11
	s_mov_b64 s[4:5], -1
	s_cselect_b64 s[0:1], -1, 0
.LBB111_1320:
	s_and_b64 vcc, exec, s[0:1]
	s_cbranch_vccnz .LBB111_1383
; %bb.1321:
	s_andn2_b64 vcc, exec, s[4:5]
	s_cbranch_vccnz .LBB111_1323
.LBB111_1322:
	global_load_ubyte v1, v[14:15], off
	s_mov_b64 s[6:7], -1
	s_waitcnt vmcnt(0)
	v_cmp_ne_u16_e32 vcc, 0, v1
	v_cndmask_b32_e64 v11, 0, 1, vcc
.LBB111_1323:
	s_branch .LBB111_1254
.LBB111_1324:
	s_cmp_lt_i32 s14, 5
	s_cbranch_scc1 .LBB111_1329
; %bb.1325:
	s_cmp_lt_i32 s14, 8
	s_cbranch_scc1 .LBB111_1330
; %bb.1326:
	;; [unrolled: 3-line block ×3, first 2 shown]
	s_cmp_gt_i32 s14, 9
	s_cbranch_scc0 .LBB111_1332
; %bb.1328:
	global_load_dwordx2 v[10:11], v[14:15], off
	s_mov_b64 s[0:1], 0
	s_waitcnt vmcnt(0)
	v_cvt_i32_f64_e32 v11, v[10:11]
	s_branch .LBB111_1333
.LBB111_1329:
                                        ; implicit-def: $vgpr11
	s_branch .LBB111_1351
.LBB111_1330:
	s_mov_b64 s[0:1], -1
                                        ; implicit-def: $vgpr11
	s_branch .LBB111_1339
.LBB111_1331:
	s_mov_b64 s[0:1], -1
                                        ; implicit-def: $vgpr11
	s_branch .LBB111_1336
.LBB111_1332:
	s_mov_b64 s[0:1], -1
                                        ; implicit-def: $vgpr11
.LBB111_1333:
	s_andn2_b64 vcc, exec, s[0:1]
	s_cbranch_vccnz .LBB111_1335
; %bb.1334:
	global_load_dword v1, v[14:15], off
	s_waitcnt vmcnt(0)
	v_cvt_i32_f32_e32 v11, v1
.LBB111_1335:
	s_mov_b64 s[0:1], 0
.LBB111_1336:
	s_andn2_b64 vcc, exec, s[0:1]
	s_cbranch_vccnz .LBB111_1338
; %bb.1337:
	global_load_dword v1, v[14:15], off
	s_waitcnt vmcnt(0)
	v_cvt_i16_f16_e32 v11, v1
.LBB111_1338:
	s_mov_b64 s[0:1], 0
.LBB111_1339:
	s_andn2_b64 vcc, exec, s[0:1]
	s_cbranch_vccnz .LBB111_1350
; %bb.1340:
	s_cmp_lt_i32 s14, 6
	s_cbranch_scc1 .LBB111_1343
; %bb.1341:
	s_cmp_gt_i32 s14, 6
	s_cbranch_scc0 .LBB111_1344
; %bb.1342:
	global_load_dwordx2 v[10:11], v[14:15], off
	s_mov_b64 s[0:1], 0
	s_waitcnt vmcnt(0)
	v_cvt_i32_f64_e32 v11, v[10:11]
	s_branch .LBB111_1345
.LBB111_1343:
	s_mov_b64 s[0:1], -1
                                        ; implicit-def: $vgpr11
	s_branch .LBB111_1348
.LBB111_1344:
	s_mov_b64 s[0:1], -1
                                        ; implicit-def: $vgpr11
.LBB111_1345:
	s_andn2_b64 vcc, exec, s[0:1]
	s_cbranch_vccnz .LBB111_1347
; %bb.1346:
	global_load_dword v1, v[14:15], off
	s_waitcnt vmcnt(0)
	v_cvt_i32_f32_e32 v11, v1
.LBB111_1347:
	s_mov_b64 s[0:1], 0
.LBB111_1348:
	s_andn2_b64 vcc, exec, s[0:1]
	s_cbranch_vccnz .LBB111_1350
; %bb.1349:
	global_load_ushort v1, v[14:15], off
	s_waitcnt vmcnt(0)
	v_cvt_i16_f16_e32 v11, v1
.LBB111_1350:
	s_cbranch_execnz .LBB111_1370
.LBB111_1351:
	s_cmp_lt_i32 s14, 2
	s_cbranch_scc1 .LBB111_1355
; %bb.1352:
	s_cmp_lt_i32 s14, 3
	s_cbranch_scc1 .LBB111_1356
; %bb.1353:
	s_cmp_gt_i32 s14, 3
	s_cbranch_scc0 .LBB111_1357
; %bb.1354:
	global_load_dwordx2 v[11:12], v[14:15], off
	s_mov_b64 s[0:1], 0
	s_branch .LBB111_1358
.LBB111_1355:
	s_mov_b64 s[0:1], -1
                                        ; implicit-def: $vgpr11
	s_branch .LBB111_1364
.LBB111_1356:
	s_mov_b64 s[0:1], -1
                                        ; implicit-def: $vgpr11
	s_branch .LBB111_1361
.LBB111_1357:
	s_mov_b64 s[0:1], -1
                                        ; implicit-def: $vgpr11
.LBB111_1358:
	s_andn2_b64 vcc, exec, s[0:1]
	s_cbranch_vccnz .LBB111_1360
; %bb.1359:
	global_load_dword v11, v[14:15], off
.LBB111_1360:
	s_mov_b64 s[0:1], 0
.LBB111_1361:
	s_andn2_b64 vcc, exec, s[0:1]
	s_cbranch_vccnz .LBB111_1363
; %bb.1362:
	global_load_ushort v11, v[14:15], off
.LBB111_1363:
	s_mov_b64 s[0:1], 0
.LBB111_1364:
	s_andn2_b64 vcc, exec, s[0:1]
	s_cbranch_vccnz .LBB111_1370
; %bb.1365:
	s_cmp_gt_i32 s14, 0
	s_cbranch_scc0 .LBB111_1367
; %bb.1366:
	global_load_sbyte v11, v[14:15], off
	s_mov_b64 s[0:1], 0
	s_branch .LBB111_1368
.LBB111_1367:
	s_mov_b64 s[0:1], -1
                                        ; implicit-def: $vgpr11
.LBB111_1368:
	s_andn2_b64 vcc, exec, s[0:1]
	s_cbranch_vccnz .LBB111_1370
; %bb.1369:
	global_load_ubyte v11, v[14:15], off
.LBB111_1370:
.LBB111_1371:
	v_mov_b32_e32 v1, s11
	v_add_co_u32_e32 v14, vcc, s10, v9
	s_cmp_lt_i32 s14, 11
	v_addc_co_u32_e32 v15, vcc, 0, v1, vcc
	s_cbranch_scc1 .LBB111_1378
; %bb.1372:
	s_cmp_gt_i32 s14, 25
	s_mov_b64 s[4:5], 0
	s_cbranch_scc0 .LBB111_1380
; %bb.1373:
	s_cmp_gt_i32 s14, 28
	s_cbranch_scc0 .LBB111_1381
; %bb.1374:
	s_cmp_gt_i32 s14, 43
	;; [unrolled: 3-line block ×3, first 2 shown]
	s_cbranch_scc0 .LBB111_1384
; %bb.1376:
	s_cmp_eq_u32 s14, 46
	s_mov_b64 s[12:13], 0
	s_cbranch_scc0 .LBB111_1385
; %bb.1377:
	global_load_dword v1, v[14:15], off
	s_mov_b64 s[0:1], 0
	s_mov_b64 s[6:7], -1
	s_waitcnt vmcnt(0)
	v_lshlrev_b32_e32 v1, 16, v1
	v_cvt_i32_f32_e32 v9, v1
	s_branch .LBB111_1386
.LBB111_1378:
	s_mov_b64 s[6:7], 0
                                        ; implicit-def: $vgpr9
	s_cbranch_execnz .LBB111_1448
.LBB111_1379:
	s_andn2_b64 vcc, exec, s[6:7]
	s_cbranch_vccnz .LBB111_2055
	s_branch .LBB111_1496
.LBB111_1380:
	s_mov_b64 s[12:13], -1
	s_mov_b64 s[6:7], 0
	s_mov_b64 s[0:1], 0
                                        ; implicit-def: $vgpr9
	s_branch .LBB111_1413
.LBB111_1381:
	s_mov_b64 s[12:13], -1
	s_mov_b64 s[6:7], 0
	s_mov_b64 s[0:1], 0
                                        ; implicit-def: $vgpr9
	s_branch .LBB111_1396
.LBB111_1382:
	s_mov_b64 s[12:13], -1
	s_mov_b64 s[6:7], 0
	s_mov_b64 s[0:1], 0
                                        ; implicit-def: $vgpr9
	s_branch .LBB111_1391
.LBB111_1383:
	s_trap 2
	s_or_b64 s[2:3], s[2:3], exec
	s_cbranch_execz .LBB111_1322
	s_branch .LBB111_1323
.LBB111_1384:
	s_mov_b64 s[12:13], -1
	s_mov_b64 s[6:7], 0
	s_mov_b64 s[0:1], 0
                                        ; implicit-def: $vgpr9
	s_branch .LBB111_1386
.LBB111_1385:
	s_mov_b64 s[0:1], -1
                                        ; implicit-def: $vgpr9
	s_mov_b64 s[6:7], 0
.LBB111_1386:
	s_and_b64 vcc, exec, s[12:13]
	s_cbranch_vccz .LBB111_1390
; %bb.1387:
	s_cmp_eq_u32 s14, 44
	s_cbranch_scc0 .LBB111_1389
; %bb.1388:
	global_load_ubyte v1, v[14:15], off
	s_mov_b64 s[0:1], 0
	s_mov_b64 s[6:7], -1
	s_waitcnt vmcnt(0)
	v_lshlrev_b32_e32 v3, 23, v1
	v_cvt_i32_f32_e32 v3, v3
	v_cmp_ne_u32_e32 vcc, 0, v1
	v_cndmask_b32_e32 v9, 0, v3, vcc
	s_branch .LBB111_1390
.LBB111_1389:
	s_mov_b64 s[0:1], -1
                                        ; implicit-def: $vgpr9
.LBB111_1390:
	s_mov_b64 s[12:13], 0
.LBB111_1391:
	s_and_b64 vcc, exec, s[12:13]
	s_cbranch_vccz .LBB111_1395
; %bb.1392:
	s_cmp_eq_u32 s14, 29
	s_cbranch_scc0 .LBB111_1394
; %bb.1393:
	global_load_dwordx2 v[9:10], v[14:15], off
	s_mov_b64 s[0:1], 0
	s_mov_b64 s[6:7], -1
	s_branch .LBB111_1395
.LBB111_1394:
	s_mov_b64 s[0:1], -1
                                        ; implicit-def: $vgpr9
.LBB111_1395:
	s_mov_b64 s[12:13], 0
.LBB111_1396:
	s_and_b64 vcc, exec, s[12:13]
	s_cbranch_vccz .LBB111_1412
; %bb.1397:
	s_cmp_lt_i32 s14, 27
	s_cbranch_scc1 .LBB111_1400
; %bb.1398:
	s_cmp_gt_i32 s14, 27
	s_cbranch_scc0 .LBB111_1401
; %bb.1399:
	global_load_dword v9, v[14:15], off
	s_mov_b64 s[6:7], 0
	s_branch .LBB111_1402
.LBB111_1400:
	s_mov_b64 s[6:7], -1
                                        ; implicit-def: $vgpr9
	s_branch .LBB111_1405
.LBB111_1401:
	s_mov_b64 s[6:7], -1
                                        ; implicit-def: $vgpr9
.LBB111_1402:
	s_andn2_b64 vcc, exec, s[6:7]
	s_cbranch_vccnz .LBB111_1404
; %bb.1403:
	global_load_ushort v9, v[14:15], off
.LBB111_1404:
	s_mov_b64 s[6:7], 0
.LBB111_1405:
	s_andn2_b64 vcc, exec, s[6:7]
	s_cbranch_vccnz .LBB111_1411
; %bb.1406:
	global_load_ubyte v1, v[14:15], off
	s_movk_i32 s6, 0x7f
	s_mov_b64 s[12:13], 0
	s_waitcnt vmcnt(0)
	v_cmp_lt_i16_e32 vcc, s6, v1
	s_and_saveexec_b64 s[6:7], vcc
	s_xor_b64 s[6:7], exec, s[6:7]
	s_cbranch_execz .LBB111_1423
; %bb.1407:
	s_movk_i32 s12, 0x80
	v_cmp_ne_u16_e32 vcc, s12, v1
	s_and_b64 s[12:13], vcc, exec
	s_andn2_saveexec_b64 s[6:7], s[6:7]
	s_cbranch_execnz .LBB111_1424
.LBB111_1408:
	s_or_b64 exec, exec, s[6:7]
	v_mov_b32_e32 v9, 0
	s_and_saveexec_b64 s[6:7], s[12:13]
	s_cbranch_execz .LBB111_1410
.LBB111_1409:
	v_lshlrev_b32_e32 v3, 24, v1
	v_and_b32_e32 v1, 0xffff, v1
	v_and_b32_e32 v5, 7, v1
	v_ffbh_u32_e32 v9, v5
	v_min_u32_e32 v9, 32, v9
	v_subrev_u32_e32 v10, 28, v9
	v_bfe_u32 v8, v1, 3, 4
	v_lshlrev_b32_e32 v1, v10, v1
	v_sub_u32_e32 v9, 29, v9
	v_and_b32_e32 v1, 7, v1
	v_cmp_eq_u32_e32 vcc, 0, v8
	v_cndmask_b32_e32 v8, v8, v9, vcc
	v_cndmask_b32_e32 v1, v5, v1, vcc
	v_mov_b32_e32 v5, 0x3b800000
	v_lshlrev_b32_e32 v1, 20, v1
	v_and_b32_e32 v3, 0x80000000, v3
	v_lshl_add_u32 v5, v8, 23, v5
	v_or3_b32 v1, v3, v5, v1
	v_cvt_i32_f32_e32 v9, v1
.LBB111_1410:
	s_or_b64 exec, exec, s[6:7]
.LBB111_1411:
	s_mov_b64 s[6:7], -1
.LBB111_1412:
	s_mov_b64 s[12:13], 0
.LBB111_1413:
	s_and_b64 vcc, exec, s[12:13]
	s_cbranch_vccz .LBB111_1444
; %bb.1414:
	s_cmp_gt_i32 s14, 22
	s_cbranch_scc0 .LBB111_1422
; %bb.1415:
	s_cmp_lt_i32 s14, 24
	s_cbranch_scc1 .LBB111_1425
; %bb.1416:
	s_cmp_gt_i32 s14, 24
	s_cbranch_scc0 .LBB111_1426
; %bb.1417:
	global_load_ubyte v1, v[14:15], off
	s_movk_i32 s4, 0x7f
	s_mov_b64 s[6:7], 0
	s_waitcnt vmcnt(0)
	v_cmp_lt_i16_e32 vcc, s4, v1
	s_and_saveexec_b64 s[4:5], vcc
	s_xor_b64 s[4:5], exec, s[4:5]
	s_cbranch_execz .LBB111_1438
; %bb.1418:
	s_movk_i32 s6, 0x80
	v_cmp_ne_u16_e32 vcc, s6, v1
	s_and_b64 s[6:7], vcc, exec
	s_andn2_saveexec_b64 s[4:5], s[4:5]
	s_cbranch_execnz .LBB111_1439
.LBB111_1419:
	s_or_b64 exec, exec, s[4:5]
	v_mov_b32_e32 v9, 0
	s_and_saveexec_b64 s[4:5], s[6:7]
	s_cbranch_execz .LBB111_1421
.LBB111_1420:
	v_lshlrev_b32_e32 v3, 24, v1
	v_and_b32_e32 v1, 0xffff, v1
	v_and_b32_e32 v5, 3, v1
	v_ffbh_u32_e32 v9, v5
	v_min_u32_e32 v9, 32, v9
	v_subrev_u32_e32 v10, 29, v9
	v_bfe_u32 v8, v1, 2, 5
	v_lshlrev_b32_e32 v1, v10, v1
	v_sub_u32_e32 v9, 30, v9
	v_and_b32_e32 v1, 3, v1
	v_cmp_eq_u32_e32 vcc, 0, v8
	v_cndmask_b32_e32 v8, v8, v9, vcc
	v_cndmask_b32_e32 v1, v5, v1, vcc
	v_mov_b32_e32 v5, 0x37800000
	v_lshlrev_b32_e32 v1, 21, v1
	v_and_b32_e32 v3, 0x80000000, v3
	v_lshl_add_u32 v5, v8, 23, v5
	v_or3_b32 v1, v3, v5, v1
	v_cvt_i32_f32_e32 v9, v1
.LBB111_1421:
	s_or_b64 exec, exec, s[4:5]
	s_mov_b64 s[4:5], 0
	s_branch .LBB111_1427
.LBB111_1422:
	s_mov_b64 s[4:5], -1
                                        ; implicit-def: $vgpr9
	s_branch .LBB111_1433
.LBB111_1423:
	s_andn2_saveexec_b64 s[6:7], s[6:7]
	s_cbranch_execz .LBB111_1408
.LBB111_1424:
	v_cmp_ne_u16_e32 vcc, 0, v1
	s_andn2_b64 s[12:13], s[12:13], exec
	s_and_b64 s[18:19], vcc, exec
	s_or_b64 s[12:13], s[12:13], s[18:19]
	s_or_b64 exec, exec, s[6:7]
	v_mov_b32_e32 v9, 0
	s_and_saveexec_b64 s[6:7], s[12:13]
	s_cbranch_execnz .LBB111_1409
	s_branch .LBB111_1410
.LBB111_1425:
	s_mov_b64 s[4:5], -1
                                        ; implicit-def: $vgpr9
	s_branch .LBB111_1430
.LBB111_1426:
	s_mov_b64 s[4:5], -1
                                        ; implicit-def: $vgpr9
.LBB111_1427:
	s_and_b64 vcc, exec, s[4:5]
	s_cbranch_vccz .LBB111_1429
; %bb.1428:
	global_load_ubyte v1, v[14:15], off
	s_mov_b32 s4, 0x7f800000
	s_waitcnt vmcnt(0)
	v_lshlrev_b32_e32 v1, 24, v1
	v_and_b32_e32 v3, 0x7f000000, v1
	v_ffbh_u32_e32 v5, v3
	v_min_u32_e32 v5, 32, v5
	v_sub_u32_e64 v5, v5, 4 clamp
	v_lshlrev_b32_e32 v9, v5, v3
	v_lshlrev_b32_e32 v5, 23, v5
	v_lshrrev_b32_e32 v9, 4, v9
	v_add_u32_e32 v8, 0x1000000, v3
	v_sub_u32_e32 v5, v9, v5
	v_ashrrev_i32_e32 v8, 8, v8
	v_add_u32_e32 v5, 0x3c000000, v5
	v_and_or_b32 v5, v8, s4, v5
	v_cmp_ne_u32_e32 vcc, 0, v3
	v_cndmask_b32_e32 v3, 0, v5, vcc
	s_brev_b32 s4, 1
	v_and_or_b32 v1, v1, s4, v3
	v_cvt_i32_f32_e32 v9, v1
.LBB111_1429:
	s_mov_b64 s[4:5], 0
.LBB111_1430:
	s_andn2_b64 vcc, exec, s[4:5]
	s_cbranch_vccnz .LBB111_1432
; %bb.1431:
	global_load_ubyte v1, v[14:15], off
	s_movk_i32 s4, 0x7f00
	s_brev_b32 s5, 16
	s_waitcnt vmcnt(0)
	v_lshlrev_b16_e32 v3, 8, v1
	v_lshlrev_b32_e32 v1, 25, v1
	v_lshrrev_b32_e32 v5, 4, v1
	v_and_or_b32 v8, v3, s4, 0.5
	v_or_b32_e32 v5, 0x70000000, v5
	v_add_f32_e32 v8, -0.5, v8
	v_mul_f32_e32 v5, 0x7800000, v5
	v_cmp_gt_u32_e32 vcc, s5, v1
	v_bfe_i32 v3, v3, 0, 16
	v_cndmask_b32_e32 v1, v5, v8, vcc
	s_brev_b32 s4, 1
	v_and_or_b32 v1, v3, s4, v1
	v_cvt_i32_f32_e32 v9, v1
.LBB111_1432:
	s_mov_b64 s[4:5], 0
	s_mov_b64 s[6:7], -1
.LBB111_1433:
	s_andn2_b64 vcc, exec, s[4:5]
	s_mov_b64 s[4:5], 0
	s_cbranch_vccnz .LBB111_1444
; %bb.1434:
	s_cmp_gt_i32 s14, 14
	s_cbranch_scc0 .LBB111_1437
; %bb.1435:
	s_cmp_eq_u32 s14, 15
	s_cbranch_scc0 .LBB111_1440
; %bb.1436:
	global_load_ushort v1, v[14:15], off
	s_mov_b64 s[0:1], 0
	s_mov_b64 s[6:7], -1
	s_waitcnt vmcnt(0)
	v_lshlrev_b32_e32 v1, 16, v1
	v_cvt_i32_f32_e32 v9, v1
	s_branch .LBB111_1441
.LBB111_1437:
	s_mov_b64 s[12:13], -1
                                        ; implicit-def: $vgpr9
	s_branch .LBB111_1442
.LBB111_1438:
	s_andn2_saveexec_b64 s[4:5], s[4:5]
	s_cbranch_execz .LBB111_1419
.LBB111_1439:
	v_cmp_ne_u16_e32 vcc, 0, v1
	s_andn2_b64 s[6:7], s[6:7], exec
	s_and_b64 s[12:13], vcc, exec
	s_or_b64 s[6:7], s[6:7], s[12:13]
	s_or_b64 exec, exec, s[4:5]
	v_mov_b32_e32 v9, 0
	s_and_saveexec_b64 s[4:5], s[6:7]
	s_cbranch_execnz .LBB111_1420
	s_branch .LBB111_1421
.LBB111_1440:
	s_mov_b64 s[0:1], -1
                                        ; implicit-def: $vgpr9
.LBB111_1441:
	s_mov_b64 s[12:13], 0
.LBB111_1442:
	s_and_b64 vcc, exec, s[12:13]
	s_cbranch_vccz .LBB111_1444
; %bb.1443:
	s_cmp_lg_u32 s14, 11
	s_mov_b64 s[4:5], -1
	s_cselect_b64 s[0:1], -1, 0
.LBB111_1444:
	s_and_b64 vcc, exec, s[0:1]
	s_cbranch_vccnz .LBB111_1507
; %bb.1445:
	s_andn2_b64 vcc, exec, s[4:5]
	s_cbranch_vccnz .LBB111_1447
.LBB111_1446:
	global_load_ubyte v1, v[14:15], off
	s_mov_b64 s[6:7], -1
	s_waitcnt vmcnt(0)
	v_cmp_ne_u16_e32 vcc, 0, v1
	v_cndmask_b32_e64 v9, 0, 1, vcc
.LBB111_1447:
	s_branch .LBB111_1379
.LBB111_1448:
	s_cmp_lt_i32 s14, 5
	s_cbranch_scc1 .LBB111_1453
; %bb.1449:
	s_cmp_lt_i32 s14, 8
	s_cbranch_scc1 .LBB111_1454
; %bb.1450:
	;; [unrolled: 3-line block ×3, first 2 shown]
	s_cmp_gt_i32 s14, 9
	s_cbranch_scc0 .LBB111_1456
; %bb.1452:
	global_load_dwordx2 v[8:9], v[14:15], off
	s_mov_b64 s[0:1], 0
	s_waitcnt vmcnt(0)
	v_cvt_i32_f64_e32 v9, v[8:9]
	s_branch .LBB111_1457
.LBB111_1453:
	s_mov_b64 s[0:1], -1
                                        ; implicit-def: $vgpr9
	s_branch .LBB111_1475
.LBB111_1454:
	s_mov_b64 s[0:1], -1
                                        ; implicit-def: $vgpr9
	s_branch .LBB111_1463
.LBB111_1455:
	s_mov_b64 s[0:1], -1
                                        ; implicit-def: $vgpr9
	s_branch .LBB111_1460
.LBB111_1456:
	s_mov_b64 s[0:1], -1
                                        ; implicit-def: $vgpr9
.LBB111_1457:
	s_andn2_b64 vcc, exec, s[0:1]
	s_cbranch_vccnz .LBB111_1459
; %bb.1458:
	global_load_dword v1, v[14:15], off
	s_waitcnt vmcnt(0)
	v_cvt_i32_f32_e32 v9, v1
.LBB111_1459:
	s_mov_b64 s[0:1], 0
.LBB111_1460:
	s_andn2_b64 vcc, exec, s[0:1]
	s_cbranch_vccnz .LBB111_1462
; %bb.1461:
	global_load_dword v1, v[14:15], off
	s_waitcnt vmcnt(0)
	v_cvt_i16_f16_e32 v9, v1
.LBB111_1462:
	s_mov_b64 s[0:1], 0
.LBB111_1463:
	s_andn2_b64 vcc, exec, s[0:1]
	s_cbranch_vccnz .LBB111_1474
; %bb.1464:
	s_cmp_lt_i32 s14, 6
	s_cbranch_scc1 .LBB111_1467
; %bb.1465:
	s_cmp_gt_i32 s14, 6
	s_cbranch_scc0 .LBB111_1468
; %bb.1466:
	global_load_dwordx2 v[8:9], v[14:15], off
	s_mov_b64 s[0:1], 0
	s_waitcnt vmcnt(0)
	v_cvt_i32_f64_e32 v9, v[8:9]
	s_branch .LBB111_1469
.LBB111_1467:
	s_mov_b64 s[0:1], -1
                                        ; implicit-def: $vgpr9
	s_branch .LBB111_1472
.LBB111_1468:
	s_mov_b64 s[0:1], -1
                                        ; implicit-def: $vgpr9
.LBB111_1469:
	s_andn2_b64 vcc, exec, s[0:1]
	s_cbranch_vccnz .LBB111_1471
; %bb.1470:
	global_load_dword v1, v[14:15], off
	s_waitcnt vmcnt(0)
	v_cvt_i32_f32_e32 v9, v1
.LBB111_1471:
	s_mov_b64 s[0:1], 0
.LBB111_1472:
	s_andn2_b64 vcc, exec, s[0:1]
	s_cbranch_vccnz .LBB111_1474
; %bb.1473:
	global_load_ushort v1, v[14:15], off
	s_waitcnt vmcnt(0)
	v_cvt_i16_f16_e32 v9, v1
.LBB111_1474:
	s_mov_b64 s[0:1], 0
.LBB111_1475:
	s_andn2_b64 vcc, exec, s[0:1]
	s_cbranch_vccnz .LBB111_1495
; %bb.1476:
	s_cmp_lt_i32 s14, 2
	s_cbranch_scc1 .LBB111_1480
; %bb.1477:
	s_cmp_lt_i32 s14, 3
	s_cbranch_scc1 .LBB111_1481
; %bb.1478:
	s_cmp_gt_i32 s14, 3
	s_cbranch_scc0 .LBB111_1482
; %bb.1479:
	global_load_dwordx2 v[9:10], v[14:15], off
	s_mov_b64 s[0:1], 0
	s_branch .LBB111_1483
.LBB111_1480:
	s_mov_b64 s[0:1], -1
                                        ; implicit-def: $vgpr9
	s_branch .LBB111_1489
.LBB111_1481:
	s_mov_b64 s[0:1], -1
                                        ; implicit-def: $vgpr9
	s_branch .LBB111_1486
.LBB111_1482:
	s_mov_b64 s[0:1], -1
                                        ; implicit-def: $vgpr9
.LBB111_1483:
	s_andn2_b64 vcc, exec, s[0:1]
	s_cbranch_vccnz .LBB111_1485
; %bb.1484:
	global_load_dword v9, v[14:15], off
.LBB111_1485:
	s_mov_b64 s[0:1], 0
.LBB111_1486:
	s_andn2_b64 vcc, exec, s[0:1]
	s_cbranch_vccnz .LBB111_1488
; %bb.1487:
	global_load_ushort v9, v[14:15], off
.LBB111_1488:
	s_mov_b64 s[0:1], 0
.LBB111_1489:
	s_andn2_b64 vcc, exec, s[0:1]
	s_cbranch_vccnz .LBB111_1495
; %bb.1490:
	s_cmp_gt_i32 s14, 0
	s_cbranch_scc0 .LBB111_1492
; %bb.1491:
	global_load_sbyte v9, v[14:15], off
	s_mov_b64 s[0:1], 0
	s_branch .LBB111_1493
.LBB111_1492:
	s_mov_b64 s[0:1], -1
                                        ; implicit-def: $vgpr9
.LBB111_1493:
	s_andn2_b64 vcc, exec, s[0:1]
	s_cbranch_vccnz .LBB111_1495
; %bb.1494:
	global_load_ubyte v9, v[14:15], off
.LBB111_1495:
.LBB111_1496:
	v_mov_b32_e32 v1, s11
	v_add_co_u32_e32 v14, vcc, s10, v7
	s_cmp_lt_i32 s14, 11
	v_addc_co_u32_e32 v15, vcc, 0, v1, vcc
	s_cbranch_scc1 .LBB111_1503
; %bb.1497:
	s_cmp_gt_i32 s14, 25
	s_mov_b64 s[4:5], 0
	s_cbranch_scc0 .LBB111_1504
; %bb.1498:
	s_cmp_gt_i32 s14, 28
	s_cbranch_scc0 .LBB111_1505
; %bb.1499:
	s_cmp_gt_i32 s14, 43
	s_cbranch_scc0 .LBB111_1506
; %bb.1500:
	s_cmp_gt_i32 s14, 45
	s_cbranch_scc0 .LBB111_1508
; %bb.1501:
	s_cmp_eq_u32 s14, 46
	s_mov_b64 s[10:11], 0
	s_cbranch_scc0 .LBB111_1509
; %bb.1502:
	global_load_dword v1, v[14:15], off
	s_mov_b64 s[0:1], 0
	s_mov_b64 s[6:7], -1
	s_waitcnt vmcnt(0)
	v_lshlrev_b32_e32 v1, 16, v1
	v_cvt_i32_f32_e32 v7, v1
	s_branch .LBB111_1510
.LBB111_1503:
	s_mov_b64 s[0:1], -1
	s_mov_b64 s[6:7], 0
                                        ; implicit-def: $vgpr7
	s_branch .LBB111_1572
.LBB111_1504:
	s_mov_b64 s[10:11], -1
	s_mov_b64 s[6:7], 0
	s_mov_b64 s[0:1], 0
                                        ; implicit-def: $vgpr7
	s_branch .LBB111_1537
.LBB111_1505:
	s_mov_b64 s[10:11], -1
	s_mov_b64 s[6:7], 0
	s_mov_b64 s[0:1], 0
                                        ; implicit-def: $vgpr7
	s_branch .LBB111_1520
.LBB111_1506:
	s_mov_b64 s[10:11], -1
	s_mov_b64 s[6:7], 0
	s_mov_b64 s[0:1], 0
                                        ; implicit-def: $vgpr7
	s_branch .LBB111_1515
.LBB111_1507:
	s_trap 2
	s_or_b64 s[2:3], s[2:3], exec
	s_cbranch_execz .LBB111_1446
	s_branch .LBB111_1447
.LBB111_1508:
	s_mov_b64 s[10:11], -1
	s_mov_b64 s[6:7], 0
	s_mov_b64 s[0:1], 0
                                        ; implicit-def: $vgpr7
	s_branch .LBB111_1510
.LBB111_1509:
	s_mov_b64 s[0:1], -1
                                        ; implicit-def: $vgpr7
	s_mov_b64 s[6:7], 0
.LBB111_1510:
	s_and_b64 vcc, exec, s[10:11]
	s_cbranch_vccz .LBB111_1514
; %bb.1511:
	s_cmp_eq_u32 s14, 44
	s_cbranch_scc0 .LBB111_1513
; %bb.1512:
	global_load_ubyte v1, v[14:15], off
	s_mov_b64 s[0:1], 0
	s_mov_b64 s[6:7], -1
	s_waitcnt vmcnt(0)
	v_lshlrev_b32_e32 v3, 23, v1
	v_cvt_i32_f32_e32 v3, v3
	v_cmp_ne_u32_e32 vcc, 0, v1
	v_cndmask_b32_e32 v7, 0, v3, vcc
	s_branch .LBB111_1514
.LBB111_1513:
	s_mov_b64 s[0:1], -1
                                        ; implicit-def: $vgpr7
.LBB111_1514:
	s_mov_b64 s[10:11], 0
.LBB111_1515:
	s_and_b64 vcc, exec, s[10:11]
	s_cbranch_vccz .LBB111_1519
; %bb.1516:
	s_cmp_eq_u32 s14, 29
	s_cbranch_scc0 .LBB111_1518
; %bb.1517:
	global_load_dwordx2 v[7:8], v[14:15], off
	s_mov_b64 s[0:1], 0
	s_mov_b64 s[6:7], -1
	s_branch .LBB111_1519
.LBB111_1518:
	s_mov_b64 s[0:1], -1
                                        ; implicit-def: $vgpr7
.LBB111_1519:
	s_mov_b64 s[10:11], 0
.LBB111_1520:
	s_and_b64 vcc, exec, s[10:11]
	s_cbranch_vccz .LBB111_1536
; %bb.1521:
	s_cmp_lt_i32 s14, 27
	s_cbranch_scc1 .LBB111_1524
; %bb.1522:
	s_cmp_gt_i32 s14, 27
	s_cbranch_scc0 .LBB111_1525
; %bb.1523:
	global_load_dword v7, v[14:15], off
	s_mov_b64 s[6:7], 0
	s_branch .LBB111_1526
.LBB111_1524:
	s_mov_b64 s[6:7], -1
                                        ; implicit-def: $vgpr7
	s_branch .LBB111_1529
.LBB111_1525:
	s_mov_b64 s[6:7], -1
                                        ; implicit-def: $vgpr7
.LBB111_1526:
	s_andn2_b64 vcc, exec, s[6:7]
	s_cbranch_vccnz .LBB111_1528
; %bb.1527:
	global_load_ushort v7, v[14:15], off
.LBB111_1528:
	s_mov_b64 s[6:7], 0
.LBB111_1529:
	s_andn2_b64 vcc, exec, s[6:7]
	s_cbranch_vccnz .LBB111_1535
; %bb.1530:
	global_load_ubyte v1, v[14:15], off
	s_movk_i32 s6, 0x7f
	s_mov_b64 s[10:11], 0
	s_waitcnt vmcnt(0)
	v_cmp_lt_i16_e32 vcc, s6, v1
	s_and_saveexec_b64 s[6:7], vcc
	s_xor_b64 s[6:7], exec, s[6:7]
	s_cbranch_execz .LBB111_1547
; %bb.1531:
	s_movk_i32 s10, 0x80
	v_cmp_ne_u16_e32 vcc, s10, v1
	s_and_b64 s[10:11], vcc, exec
	s_andn2_saveexec_b64 s[6:7], s[6:7]
	s_cbranch_execnz .LBB111_1548
.LBB111_1532:
	s_or_b64 exec, exec, s[6:7]
	v_mov_b32_e32 v7, 0
	s_and_saveexec_b64 s[6:7], s[10:11]
	s_cbranch_execz .LBB111_1534
.LBB111_1533:
	v_lshlrev_b32_e32 v3, 24, v1
	v_and_b32_e32 v1, 0xffff, v1
	v_and_b32_e32 v5, 7, v1
	v_ffbh_u32_e32 v8, v5
	v_min_u32_e32 v8, 32, v8
	v_subrev_u32_e32 v10, 28, v8
	v_bfe_u32 v7, v1, 3, 4
	v_lshlrev_b32_e32 v1, v10, v1
	v_sub_u32_e32 v8, 29, v8
	v_and_b32_e32 v1, 7, v1
	v_cmp_eq_u32_e32 vcc, 0, v7
	v_cndmask_b32_e32 v7, v7, v8, vcc
	v_cndmask_b32_e32 v1, v5, v1, vcc
	v_mov_b32_e32 v5, 0x3b800000
	v_lshlrev_b32_e32 v1, 20, v1
	v_and_b32_e32 v3, 0x80000000, v3
	v_lshl_add_u32 v5, v7, 23, v5
	v_or3_b32 v1, v3, v5, v1
	v_cvt_i32_f32_e32 v7, v1
.LBB111_1534:
	s_or_b64 exec, exec, s[6:7]
.LBB111_1535:
	s_mov_b64 s[6:7], -1
.LBB111_1536:
	s_mov_b64 s[10:11], 0
.LBB111_1537:
	s_and_b64 vcc, exec, s[10:11]
	s_cbranch_vccz .LBB111_1568
; %bb.1538:
	s_cmp_gt_i32 s14, 22
	s_cbranch_scc0 .LBB111_1546
; %bb.1539:
	s_cmp_lt_i32 s14, 24
	s_cbranch_scc1 .LBB111_1549
; %bb.1540:
	s_cmp_gt_i32 s14, 24
	s_cbranch_scc0 .LBB111_1550
; %bb.1541:
	global_load_ubyte v1, v[14:15], off
	s_movk_i32 s4, 0x7f
	s_mov_b64 s[6:7], 0
	s_waitcnt vmcnt(0)
	v_cmp_lt_i16_e32 vcc, s4, v1
	s_and_saveexec_b64 s[4:5], vcc
	s_xor_b64 s[4:5], exec, s[4:5]
	s_cbranch_execz .LBB111_1562
; %bb.1542:
	s_movk_i32 s6, 0x80
	v_cmp_ne_u16_e32 vcc, s6, v1
	s_and_b64 s[6:7], vcc, exec
	s_andn2_saveexec_b64 s[4:5], s[4:5]
	s_cbranch_execnz .LBB111_1563
.LBB111_1543:
	s_or_b64 exec, exec, s[4:5]
	v_mov_b32_e32 v7, 0
	s_and_saveexec_b64 s[4:5], s[6:7]
	s_cbranch_execz .LBB111_1545
.LBB111_1544:
	v_lshlrev_b32_e32 v3, 24, v1
	v_and_b32_e32 v1, 0xffff, v1
	v_and_b32_e32 v5, 3, v1
	v_ffbh_u32_e32 v8, v5
	v_min_u32_e32 v8, 32, v8
	v_subrev_u32_e32 v10, 29, v8
	v_bfe_u32 v7, v1, 2, 5
	v_lshlrev_b32_e32 v1, v10, v1
	v_sub_u32_e32 v8, 30, v8
	v_and_b32_e32 v1, 3, v1
	v_cmp_eq_u32_e32 vcc, 0, v7
	v_cndmask_b32_e32 v7, v7, v8, vcc
	v_cndmask_b32_e32 v1, v5, v1, vcc
	v_mov_b32_e32 v5, 0x37800000
	v_lshlrev_b32_e32 v1, 21, v1
	v_and_b32_e32 v3, 0x80000000, v3
	v_lshl_add_u32 v5, v7, 23, v5
	v_or3_b32 v1, v3, v5, v1
	v_cvt_i32_f32_e32 v7, v1
.LBB111_1545:
	s_or_b64 exec, exec, s[4:5]
	s_mov_b64 s[4:5], 0
	s_branch .LBB111_1551
.LBB111_1546:
	s_mov_b64 s[4:5], -1
                                        ; implicit-def: $vgpr7
	s_branch .LBB111_1557
.LBB111_1547:
	s_andn2_saveexec_b64 s[6:7], s[6:7]
	s_cbranch_execz .LBB111_1532
.LBB111_1548:
	v_cmp_ne_u16_e32 vcc, 0, v1
	s_andn2_b64 s[10:11], s[10:11], exec
	s_and_b64 s[12:13], vcc, exec
	s_or_b64 s[10:11], s[10:11], s[12:13]
	s_or_b64 exec, exec, s[6:7]
	v_mov_b32_e32 v7, 0
	s_and_saveexec_b64 s[6:7], s[10:11]
	s_cbranch_execnz .LBB111_1533
	s_branch .LBB111_1534
.LBB111_1549:
	s_mov_b64 s[4:5], -1
                                        ; implicit-def: $vgpr7
	s_branch .LBB111_1554
.LBB111_1550:
	s_mov_b64 s[4:5], -1
                                        ; implicit-def: $vgpr7
.LBB111_1551:
	s_and_b64 vcc, exec, s[4:5]
	s_cbranch_vccz .LBB111_1553
; %bb.1552:
	global_load_ubyte v1, v[14:15], off
	s_mov_b32 s4, 0x7f800000
	s_waitcnt vmcnt(0)
	v_lshlrev_b32_e32 v1, 24, v1
	v_and_b32_e32 v3, 0x7f000000, v1
	v_ffbh_u32_e32 v5, v3
	v_min_u32_e32 v5, 32, v5
	v_sub_u32_e64 v5, v5, 4 clamp
	v_lshlrev_b32_e32 v8, v5, v3
	v_lshlrev_b32_e32 v5, 23, v5
	v_lshrrev_b32_e32 v8, 4, v8
	v_add_u32_e32 v7, 0x1000000, v3
	v_sub_u32_e32 v5, v8, v5
	v_ashrrev_i32_e32 v7, 8, v7
	v_add_u32_e32 v5, 0x3c000000, v5
	v_and_or_b32 v5, v7, s4, v5
	v_cmp_ne_u32_e32 vcc, 0, v3
	v_cndmask_b32_e32 v3, 0, v5, vcc
	s_brev_b32 s4, 1
	v_and_or_b32 v1, v1, s4, v3
	v_cvt_i32_f32_e32 v7, v1
.LBB111_1553:
	s_mov_b64 s[4:5], 0
.LBB111_1554:
	s_andn2_b64 vcc, exec, s[4:5]
	s_cbranch_vccnz .LBB111_1556
; %bb.1555:
	global_load_ubyte v1, v[14:15], off
	s_movk_i32 s4, 0x7f00
	s_brev_b32 s5, 16
	s_waitcnt vmcnt(0)
	v_lshlrev_b16_e32 v3, 8, v1
	v_lshlrev_b32_e32 v1, 25, v1
	v_lshrrev_b32_e32 v5, 4, v1
	v_and_or_b32 v7, v3, s4, 0.5
	v_or_b32_e32 v5, 0x70000000, v5
	v_add_f32_e32 v7, -0.5, v7
	v_mul_f32_e32 v5, 0x7800000, v5
	v_cmp_gt_u32_e32 vcc, s5, v1
	v_bfe_i32 v3, v3, 0, 16
	v_cndmask_b32_e32 v1, v5, v7, vcc
	s_brev_b32 s4, 1
	v_and_or_b32 v1, v3, s4, v1
	v_cvt_i32_f32_e32 v7, v1
.LBB111_1556:
	s_mov_b64 s[4:5], 0
	s_mov_b64 s[6:7], -1
.LBB111_1557:
	s_andn2_b64 vcc, exec, s[4:5]
	s_mov_b64 s[4:5], 0
	s_cbranch_vccnz .LBB111_1568
; %bb.1558:
	s_cmp_gt_i32 s14, 14
	s_cbranch_scc0 .LBB111_1561
; %bb.1559:
	s_cmp_eq_u32 s14, 15
	s_cbranch_scc0 .LBB111_1564
; %bb.1560:
	global_load_ushort v1, v[14:15], off
	s_mov_b64 s[0:1], 0
	s_mov_b64 s[6:7], -1
	s_waitcnt vmcnt(0)
	v_lshlrev_b32_e32 v1, 16, v1
	v_cvt_i32_f32_e32 v7, v1
	s_branch .LBB111_1565
.LBB111_1561:
	s_mov_b64 s[10:11], -1
                                        ; implicit-def: $vgpr7
	s_branch .LBB111_1566
.LBB111_1562:
	s_andn2_saveexec_b64 s[4:5], s[4:5]
	s_cbranch_execz .LBB111_1543
.LBB111_1563:
	v_cmp_ne_u16_e32 vcc, 0, v1
	s_andn2_b64 s[6:7], s[6:7], exec
	s_and_b64 s[10:11], vcc, exec
	s_or_b64 s[6:7], s[6:7], s[10:11]
	s_or_b64 exec, exec, s[4:5]
	v_mov_b32_e32 v7, 0
	s_and_saveexec_b64 s[4:5], s[6:7]
	s_cbranch_execnz .LBB111_1544
	s_branch .LBB111_1545
.LBB111_1564:
	s_mov_b64 s[0:1], -1
                                        ; implicit-def: $vgpr7
.LBB111_1565:
	s_mov_b64 s[10:11], 0
.LBB111_1566:
	s_and_b64 vcc, exec, s[10:11]
	s_cbranch_vccz .LBB111_1568
; %bb.1567:
	s_cmp_lg_u32 s14, 11
	s_mov_b64 s[4:5], -1
	s_cselect_b64 s[0:1], -1, 0
.LBB111_1568:
	s_and_b64 vcc, exec, s[0:1]
	s_cbranch_vccnz .LBB111_2101
; %bb.1569:
	s_andn2_b64 vcc, exec, s[4:5]
	s_cbranch_vccnz .LBB111_1571
.LBB111_1570:
	global_load_ubyte v1, v[14:15], off
	s_mov_b64 s[6:7], -1
	s_waitcnt vmcnt(0)
	v_cmp_ne_u16_e32 vcc, 0, v1
	v_cndmask_b32_e64 v7, 0, 1, vcc
.LBB111_1571:
	s_mov_b64 s[0:1], 0
.LBB111_1572:
	s_and_b64 vcc, exec, s[0:1]
	s_cbranch_vccz .LBB111_1621
; %bb.1573:
	s_cmp_lt_i32 s14, 5
	s_cbranch_scc1 .LBB111_1578
; %bb.1574:
	s_cmp_lt_i32 s14, 8
	s_cbranch_scc1 .LBB111_1579
	;; [unrolled: 3-line block ×3, first 2 shown]
; %bb.1576:
	s_cmp_gt_i32 s14, 9
	s_cbranch_scc0 .LBB111_1581
; %bb.1577:
	global_load_dwordx2 v[7:8], v[14:15], off
	s_mov_b64 s[0:1], 0
	s_waitcnt vmcnt(0)
	v_cvt_i32_f64_e32 v7, v[7:8]
	s_branch .LBB111_1582
.LBB111_1578:
	s_mov_b64 s[0:1], -1
                                        ; implicit-def: $vgpr7
	s_branch .LBB111_1600
.LBB111_1579:
	s_mov_b64 s[0:1], -1
                                        ; implicit-def: $vgpr7
	s_branch .LBB111_1588
.LBB111_1580:
	s_mov_b64 s[0:1], -1
                                        ; implicit-def: $vgpr7
	s_branch .LBB111_1585
.LBB111_1581:
	s_mov_b64 s[0:1], -1
                                        ; implicit-def: $vgpr7
.LBB111_1582:
	s_andn2_b64 vcc, exec, s[0:1]
	s_cbranch_vccnz .LBB111_1584
; %bb.1583:
	global_load_dword v1, v[14:15], off
	s_waitcnt vmcnt(0)
	v_cvt_i32_f32_e32 v7, v1
.LBB111_1584:
	s_mov_b64 s[0:1], 0
.LBB111_1585:
	s_andn2_b64 vcc, exec, s[0:1]
	s_cbranch_vccnz .LBB111_1587
; %bb.1586:
	global_load_dword v1, v[14:15], off
	s_waitcnt vmcnt(0)
	v_cvt_i16_f16_e32 v7, v1
.LBB111_1587:
	s_mov_b64 s[0:1], 0
.LBB111_1588:
	s_andn2_b64 vcc, exec, s[0:1]
	s_cbranch_vccnz .LBB111_1599
; %bb.1589:
	s_cmp_lt_i32 s14, 6
	s_cbranch_scc1 .LBB111_1592
; %bb.1590:
	s_cmp_gt_i32 s14, 6
	s_cbranch_scc0 .LBB111_1593
; %bb.1591:
	global_load_dwordx2 v[7:8], v[14:15], off
	s_mov_b64 s[0:1], 0
	s_waitcnt vmcnt(0)
	v_cvt_i32_f64_e32 v7, v[7:8]
	s_branch .LBB111_1594
.LBB111_1592:
	s_mov_b64 s[0:1], -1
                                        ; implicit-def: $vgpr7
	s_branch .LBB111_1597
.LBB111_1593:
	s_mov_b64 s[0:1], -1
                                        ; implicit-def: $vgpr7
.LBB111_1594:
	s_andn2_b64 vcc, exec, s[0:1]
	s_cbranch_vccnz .LBB111_1596
; %bb.1595:
	global_load_dword v1, v[14:15], off
	s_waitcnt vmcnt(0)
	v_cvt_i32_f32_e32 v7, v1
.LBB111_1596:
	s_mov_b64 s[0:1], 0
.LBB111_1597:
	s_andn2_b64 vcc, exec, s[0:1]
	s_cbranch_vccnz .LBB111_1599
; %bb.1598:
	global_load_ushort v1, v[14:15], off
	s_waitcnt vmcnt(0)
	v_cvt_i16_f16_e32 v7, v1
.LBB111_1599:
	s_mov_b64 s[0:1], 0
.LBB111_1600:
	s_andn2_b64 vcc, exec, s[0:1]
	s_cbranch_vccnz .LBB111_1620
; %bb.1601:
	s_cmp_lt_i32 s14, 2
	s_cbranch_scc1 .LBB111_1605
; %bb.1602:
	s_cmp_lt_i32 s14, 3
	s_cbranch_scc1 .LBB111_1606
; %bb.1603:
	s_cmp_gt_i32 s14, 3
	s_cbranch_scc0 .LBB111_1607
; %bb.1604:
	global_load_dwordx2 v[7:8], v[14:15], off
	s_mov_b64 s[0:1], 0
	s_branch .LBB111_1608
.LBB111_1605:
	s_mov_b64 s[0:1], -1
                                        ; implicit-def: $vgpr7
	s_branch .LBB111_1614
.LBB111_1606:
	s_mov_b64 s[0:1], -1
                                        ; implicit-def: $vgpr7
	s_branch .LBB111_1611
.LBB111_1607:
	s_mov_b64 s[0:1], -1
                                        ; implicit-def: $vgpr7
.LBB111_1608:
	s_andn2_b64 vcc, exec, s[0:1]
	s_cbranch_vccnz .LBB111_1610
; %bb.1609:
	global_load_dword v7, v[14:15], off
.LBB111_1610:
	s_mov_b64 s[0:1], 0
.LBB111_1611:
	s_andn2_b64 vcc, exec, s[0:1]
	s_cbranch_vccnz .LBB111_1613
; %bb.1612:
	global_load_ushort v7, v[14:15], off
.LBB111_1613:
	s_mov_b64 s[0:1], 0
.LBB111_1614:
	s_andn2_b64 vcc, exec, s[0:1]
	s_cbranch_vccnz .LBB111_1620
; %bb.1615:
	s_cmp_gt_i32 s14, 0
	s_cbranch_scc0 .LBB111_1617
; %bb.1616:
	global_load_sbyte v7, v[14:15], off
	s_mov_b64 s[0:1], 0
	s_branch .LBB111_1618
.LBB111_1617:
	s_mov_b64 s[0:1], -1
                                        ; implicit-def: $vgpr7
.LBB111_1618:
	s_andn2_b64 vcc, exec, s[0:1]
	s_cbranch_vccnz .LBB111_1620
; %bb.1619:
	global_load_ubyte v7, v[14:15], off
.LBB111_1620:
	s_mov_b64 s[6:7], -1
.LBB111_1621:
	s_andn2_b64 vcc, exec, s[6:7]
	s_cbranch_vccnz .LBB111_2055
; %bb.1622:
	s_load_dwordx2 s[4:5], s[34:35], 0x158
	s_bfe_u32 s18, s16, 0x80010
	v_mov_b32_e32 v3, s9
	s_waitcnt lgkmcnt(0)
	s_lshr_b32 s17, s4, 16
	v_mov_b32_e32 v1, s5
	v_mov_b32_e32 v5, s17
	v_cmp_lt_i16_e32 vcc, s4, v13
	v_cndmask_b32_e32 v1, v5, v1, vcc
	v_add_co_u32_e32 v5, vcc, s8, v6
	s_cmp_lt_i32 s18, 11
	v_addc_co_u32_e32 v6, vcc, 0, v3, vcc
	s_cbranch_scc1 .LBB111_1700
; %bb.1623:
	s_and_b32 s19, 0xffff, s18
	s_mov_b64 s[12:13], -1
	s_mov_b64 s[6:7], 0
	s_cmp_gt_i32 s19, 25
	s_mov_b64 s[10:11], 0
	s_mov_b64 s[0:1], 0
	s_cbranch_scc0 .LBB111_1656
; %bb.1624:
	s_cmp_gt_i32 s19, 28
	s_cbranch_scc0 .LBB111_1639
; %bb.1625:
	s_cmp_gt_i32 s19, 43
	s_cbranch_scc0 .LBB111_1635
; %bb.1626:
	s_cmp_gt_i32 s19, 45
	s_cbranch_scc0 .LBB111_1629
; %bb.1627:
	s_mov_b64 s[0:1], -1
	s_mov_b64 s[12:13], 0
	s_cmp_eq_u32 s19, 46
	s_cbranch_scc0 .LBB111_1629
; %bb.1628:
	v_cvt_f32_i32_sdwa v3, sext(v1) dst_sel:DWORD dst_unused:UNUSED_PAD src0_sel:WORD_0
	s_movk_i32 s10, 0x7fff
	s_mov_b64 s[0:1], 0
	s_waitcnt vmcnt(0)
	v_bfe_u32 v8, v3, 16, 1
	v_add3_u32 v3, v3, v8, s10
	v_lshrrev_b32_e32 v3, 16, v3
	global_store_dword v[5:6], v3, off
	s_mov_b64 s[10:11], -1
.LBB111_1629:
	s_and_b64 vcc, exec, s[12:13]
	s_cbranch_vccz .LBB111_1634
; %bb.1630:
	s_cmp_eq_u32 s19, 44
	s_mov_b64 s[0:1], -1
	s_cbranch_scc0 .LBB111_1634
; %bb.1631:
	v_cvt_f32_i32_sdwa v3, sext(v1) dst_sel:DWORD dst_unused:UNUSED_PAD src0_sel:WORD_0
	s_movk_i32 s0, 0xff
	s_waitcnt vmcnt(0)
	v_mov_b32_e32 v10, 0xff
	v_bfe_u32 v8, v3, 23, 8
	v_cmp_ne_u32_e32 vcc, s0, v8
	s_and_saveexec_b64 s[10:11], vcc
; %bb.1632:
	s_mov_b32 s0, 0x3fffff
	v_lshrrev_b32_e32 v10, 23, v3
	v_and_b32_e32 v12, 0x400000, v3
	v_and_or_b32 v3, v3, s0, v8
	v_cmp_ne_u32_e32 vcc, 0, v12
	v_cmp_ne_u32_e64 s[0:1], 0, v3
	s_and_b64 s[0:1], vcc, s[0:1]
	v_cndmask_b32_e64 v3, 0, 1, s[0:1]
	v_add_u32_e32 v10, v10, v3
; %bb.1633:
	s_or_b64 exec, exec, s[10:11]
	s_mov_b64 s[0:1], 0
	s_mov_b64 s[10:11], -1
	global_store_byte v[5:6], v10, off
.LBB111_1634:
	s_mov_b64 s[12:13], 0
.LBB111_1635:
	s_and_b64 vcc, exec, s[12:13]
	s_cbranch_vccz .LBB111_1638
; %bb.1636:
	s_cmp_eq_u32 s19, 29
	s_mov_b64 s[0:1], -1
	s_cbranch_scc0 .LBB111_1638
; %bb.1637:
	s_waitcnt vmcnt(0)
	v_bfe_i32 v12, v1, 0, 16
	v_ashrrev_i32_e32 v13, 31, v12
	global_store_dwordx2 v[5:6], v[12:13], off
	s_mov_b64 s[0:1], 0
	s_mov_b64 s[10:11], -1
.LBB111_1638:
	s_mov_b64 s[12:13], 0
.LBB111_1639:
	s_and_b64 vcc, exec, s[12:13]
	s_cbranch_vccz .LBB111_1655
; %bb.1640:
	s_cmp_lt_i32 s19, 27
	s_mov_b64 s[10:11], -1
	s_cbranch_scc1 .LBB111_1646
; %bb.1641:
	s_cmp_gt_i32 s19, 27
	s_cbranch_scc0 .LBB111_1643
; %bb.1642:
	v_bfe_i32 v3, v1, 0, 16
	s_mov_b64 s[10:11], 0
	global_store_dword v[5:6], v3, off
.LBB111_1643:
	s_andn2_b64 vcc, exec, s[10:11]
	s_cbranch_vccnz .LBB111_1645
; %bb.1644:
	global_store_short v[5:6], v1, off
.LBB111_1645:
	s_mov_b64 s[10:11], 0
.LBB111_1646:
	s_andn2_b64 vcc, exec, s[10:11]
	s_cbranch_vccnz .LBB111_1654
; %bb.1647:
	v_cvt_f32_i32_sdwa v3, sext(v1) dst_sel:DWORD dst_unused:UNUSED_PAD src0_sel:WORD_0
	s_mov_b32 s10, 0x43800000
	s_waitcnt vmcnt(0)
	v_mov_b32_e32 v10, 0x80
	v_and_b32_e32 v8, 0x7fffffff, v3
	v_cmp_gt_u32_e32 vcc, s10, v8
	s_and_saveexec_b64 s[10:11], vcc
	s_cbranch_execz .LBB111_1653
; %bb.1648:
	s_mov_b32 s12, 0x3bffffff
	v_cmp_lt_u32_e32 vcc, s12, v8
	s_mov_b64 s[12:13], 0
                                        ; implicit-def: $vgpr8
	s_and_saveexec_b64 s[14:15], vcc
	s_xor_b64 s[14:15], exec, s[14:15]
	s_cbranch_execz .LBB111_2102
; %bb.1649:
	v_bfe_u32 v8, v3, 20, 1
	s_mov_b32 s20, 0x487ffff
	v_add3_u32 v8, v3, v8, s20
	s_mov_b64 s[12:13], exec
	v_lshrrev_b32_e32 v8, 20, v8
	s_andn2_saveexec_b64 s[14:15], s[14:15]
	s_cbranch_execnz .LBB111_2103
.LBB111_1650:
	s_or_b64 exec, exec, s[14:15]
	v_mov_b32_e32 v10, 0
	s_and_saveexec_b64 s[14:15], s[12:13]
.LBB111_1651:
	v_lshrrev_b32_e32 v3, 24, v3
	s_movk_i32 s12, 0x80
	v_and_or_b32 v10, v3, s12, v8
.LBB111_1652:
	s_or_b64 exec, exec, s[14:15]
.LBB111_1653:
	s_or_b64 exec, exec, s[10:11]
	global_store_byte v[5:6], v10, off
.LBB111_1654:
	s_mov_b64 s[10:11], -1
.LBB111_1655:
	s_mov_b64 s[12:13], 0
.LBB111_1656:
	s_and_b64 vcc, exec, s[12:13]
	s_cbranch_vccz .LBB111_1696
; %bb.1657:
	s_cmp_gt_i32 s19, 22
	s_mov_b64 s[6:7], -1
	s_cbranch_scc0 .LBB111_1689
; %bb.1658:
	s_cmp_lt_i32 s19, 24
	s_cbranch_scc1 .LBB111_1678
; %bb.1659:
	s_cmp_gt_i32 s19, 24
	s_cbranch_scc0 .LBB111_1667
; %bb.1660:
	v_cvt_f32_i32_sdwa v3, sext(v1) dst_sel:DWORD dst_unused:UNUSED_PAD src0_sel:WORD_0
	s_mov_b32 s6, 0x47800000
	s_waitcnt vmcnt(0)
	v_mov_b32_e32 v10, 0x80
	v_and_b32_e32 v8, 0x7fffffff, v3
	v_cmp_gt_u32_e32 vcc, s6, v8
	s_and_saveexec_b64 s[6:7], vcc
	s_cbranch_execz .LBB111_1666
; %bb.1661:
	s_mov_b32 s10, 0x37ffffff
	v_cmp_lt_u32_e32 vcc, s10, v8
	s_mov_b64 s[10:11], 0
                                        ; implicit-def: $vgpr8
	s_and_saveexec_b64 s[12:13], vcc
	s_xor_b64 s[12:13], exec, s[12:13]
	s_cbranch_execz .LBB111_2105
; %bb.1662:
	v_bfe_u32 v8, v3, 21, 1
	s_mov_b32 s14, 0x88fffff
	v_add3_u32 v8, v3, v8, s14
	s_mov_b64 s[10:11], exec
	v_lshrrev_b32_e32 v8, 21, v8
	s_andn2_saveexec_b64 s[12:13], s[12:13]
	s_cbranch_execnz .LBB111_2106
.LBB111_1663:
	s_or_b64 exec, exec, s[12:13]
	v_mov_b32_e32 v10, 0
	s_and_saveexec_b64 s[12:13], s[10:11]
.LBB111_1664:
	v_lshrrev_b32_e32 v3, 24, v3
	s_movk_i32 s10, 0x80
	v_and_or_b32 v10, v3, s10, v8
.LBB111_1665:
	s_or_b64 exec, exec, s[12:13]
.LBB111_1666:
	s_or_b64 exec, exec, s[6:7]
	s_mov_b64 s[6:7], 0
	global_store_byte v[5:6], v10, off
.LBB111_1667:
	s_and_b64 vcc, exec, s[6:7]
	s_cbranch_vccz .LBB111_1677
; %bb.1668:
	v_cvt_f32_i32_sdwa v3, sext(v1) dst_sel:DWORD dst_unused:UNUSED_PAD src0_sel:WORD_0
	s_mov_b32 s6, 0x43f00000
                                        ; implicit-def: $vgpr8
	s_waitcnt vmcnt(0)
	v_and_b32_e32 v10, 0x7fffffff, v3
	v_cmp_gt_u32_e32 vcc, s6, v10
	s_and_saveexec_b64 s[6:7], vcc
	s_xor_b64 s[6:7], exec, s[6:7]
	s_cbranch_execz .LBB111_1674
; %bb.1669:
	s_mov_b32 s10, 0x3c7fffff
	v_cmp_lt_u32_e32 vcc, s10, v10
                                        ; implicit-def: $vgpr8
	s_and_saveexec_b64 s[10:11], vcc
	s_xor_b64 s[10:11], exec, s[10:11]
; %bb.1670:
	v_bfe_u32 v8, v3, 20, 1
	s_mov_b32 s12, 0x407ffff
	v_add3_u32 v8, v3, v8, s12
	v_lshrrev_b32_e32 v10, 20, v8
	v_and_b32_e32 v8, 0xff00000, v8
	s_mov_b32 s12, 0x7f00000
	v_mov_b32_e32 v12, 0x7e
	v_cmp_ne_u32_e32 vcc, s12, v8
	v_cndmask_b32_e32 v8, v12, v10, vcc
; %bb.1671:
	s_andn2_saveexec_b64 s[10:11], s[10:11]
; %bb.1672:
	s_mov_b32 s12, 0x46800000
	v_add_f32_e64 v8, |v3|, s12
; %bb.1673:
	s_or_b64 exec, exec, s[10:11]
                                        ; implicit-def: $vgpr10
.LBB111_1674:
	s_andn2_saveexec_b64 s[6:7], s[6:7]
; %bb.1675:
	s_mov_b32 s10, 0x7f800000
	v_mov_b32_e32 v8, 0x7e
	v_mov_b32_e32 v12, 0x7f
	v_cmp_lt_u32_e32 vcc, s10, v10
	v_cndmask_b32_e32 v8, v8, v12, vcc
; %bb.1676:
	s_or_b64 exec, exec, s[6:7]
	v_lshrrev_b32_e32 v3, 24, v3
	s_movk_i32 s6, 0x80
	v_and_or_b32 v3, v3, s6, v8
	global_store_byte v[5:6], v3, off
.LBB111_1677:
	s_mov_b64 s[6:7], 0
.LBB111_1678:
	s_andn2_b64 vcc, exec, s[6:7]
	s_cbranch_vccnz .LBB111_1688
; %bb.1679:
	v_cvt_f32_i32_sdwa v3, sext(v1) dst_sel:DWORD dst_unused:UNUSED_PAD src0_sel:WORD_0
	s_mov_b32 s6, 0x47800000
                                        ; implicit-def: $vgpr8
	s_waitcnt vmcnt(0)
	v_and_b32_e32 v10, 0x7fffffff, v3
	v_cmp_gt_u32_e32 vcc, s6, v10
	s_and_saveexec_b64 s[6:7], vcc
	s_xor_b64 s[6:7], exec, s[6:7]
	s_cbranch_execz .LBB111_1685
; %bb.1680:
	s_mov_b32 s10, 0x387fffff
	v_cmp_lt_u32_e32 vcc, s10, v10
                                        ; implicit-def: $vgpr8
	s_and_saveexec_b64 s[10:11], vcc
	s_xor_b64 s[10:11], exec, s[10:11]
; %bb.1681:
	v_bfe_u32 v8, v3, 21, 1
	s_mov_b32 s12, 0x80fffff
	v_add3_u32 v8, v3, v8, s12
	v_lshrrev_b32_e32 v8, 21, v8
; %bb.1682:
	s_andn2_saveexec_b64 s[10:11], s[10:11]
; %bb.1683:
	s_mov_b32 s12, 0x43000000
	v_add_f32_e64 v8, |v3|, s12
; %bb.1684:
	s_or_b64 exec, exec, s[10:11]
                                        ; implicit-def: $vgpr10
.LBB111_1685:
	s_andn2_saveexec_b64 s[6:7], s[6:7]
; %bb.1686:
	s_mov_b32 s10, 0x7f800000
	v_mov_b32_e32 v8, 0x7c
	v_mov_b32_e32 v12, 0x7f
	v_cmp_lt_u32_e32 vcc, s10, v10
	v_cndmask_b32_e32 v8, v8, v12, vcc
; %bb.1687:
	s_or_b64 exec, exec, s[6:7]
	v_lshrrev_b32_e32 v3, 24, v3
	s_movk_i32 s6, 0x80
	v_and_or_b32 v3, v3, s6, v8
	global_store_byte v[5:6], v3, off
.LBB111_1688:
	s_mov_b64 s[6:7], 0
	s_mov_b64 s[10:11], -1
.LBB111_1689:
	s_andn2_b64 vcc, exec, s[6:7]
	s_mov_b64 s[6:7], 0
	s_cbranch_vccnz .LBB111_1696
; %bb.1690:
	s_cmp_gt_i32 s19, 14
	s_mov_b64 s[12:13], -1
	s_cbranch_scc0 .LBB111_1694
; %bb.1691:
	s_cmp_eq_u32 s19, 15
	s_mov_b64 s[0:1], -1
	s_cbranch_scc0 .LBB111_1693
; %bb.1692:
	v_cvt_f32_i32_sdwa v3, sext(v1) dst_sel:DWORD dst_unused:UNUSED_PAD src0_sel:WORD_0
	s_movk_i32 s6, 0x7fff
	s_mov_b64 s[0:1], 0
	s_mov_b64 s[10:11], -1
	s_waitcnt vmcnt(0)
	v_bfe_u32 v8, v3, 16, 1
	v_add3_u32 v3, v3, v8, s6
	global_store_short_d16_hi v[5:6], v3, off
.LBB111_1693:
	s_mov_b64 s[12:13], 0
.LBB111_1694:
	s_mov_b64 s[6:7], 0
	s_and_b64 vcc, exec, s[12:13]
	s_cbranch_vccz .LBB111_1696
; %bb.1695:
	s_cmp_lg_u32 s19, 11
	s_mov_b64 s[6:7], -1
	s_cselect_b64 s[0:1], -1, 0
.LBB111_1696:
	s_and_b64 vcc, exec, s[0:1]
	s_cbranch_vccnz .LBB111_2104
; %bb.1697:
	s_andn2_b64 vcc, exec, s[6:7]
	s_cbranch_vccnz .LBB111_1699
.LBB111_1698:
	v_cmp_ne_u16_e32 vcc, 0, v1
	v_cndmask_b32_e64 v3, 0, 1, vcc
	s_mov_b64 s[10:11], -1
	global_store_byte v[5:6], v3, off
.LBB111_1699:
	s_mov_b64 s[0:1], 0
	s_branch .LBB111_1701
.LBB111_1700:
	s_mov_b64 s[0:1], -1
	s_mov_b64 s[10:11], 0
.LBB111_1701:
	s_and_b64 vcc, exec, s[0:1]
	s_cbranch_vccz .LBB111_1740
; %bb.1702:
	s_and_b32 s6, 0xffff, s18
	s_cmp_lt_i32 s6, 5
	s_mov_b64 s[0:1], -1
	s_cbranch_scc1 .LBB111_1723
; %bb.1703:
	s_cmp_lt_i32 s6, 8
	s_cbranch_scc1 .LBB111_1713
; %bb.1704:
	s_cmp_lt_i32 s6, 9
	s_cbranch_scc1 .LBB111_1710
; %bb.1705:
	s_cmp_gt_i32 s6, 9
	s_cbranch_scc0 .LBB111_1707
; %bb.1706:
	v_bfe_i32 v3, v1, 0, 16
	s_waitcnt vmcnt(0)
	v_cvt_f64_i32_e32 v[12:13], v3
	v_mov_b32_e32 v14, 0
	v_mov_b32_e32 v15, v14
	s_mov_b64 s[0:1], 0
	global_store_dwordx4 v[5:6], v[12:15], off
.LBB111_1707:
	s_andn2_b64 vcc, exec, s[0:1]
	s_cbranch_vccnz .LBB111_1709
; %bb.1708:
	s_waitcnt vmcnt(0)
	v_cvt_f32_i32_sdwa v12, sext(v1) dst_sel:DWORD dst_unused:UNUSED_PAD src0_sel:WORD_0
	v_mov_b32_e32 v13, 0
	global_store_dwordx2 v[5:6], v[12:13], off
.LBB111_1709:
	s_mov_b64 s[0:1], 0
.LBB111_1710:
	s_andn2_b64 vcc, exec, s[0:1]
	s_cbranch_vccnz .LBB111_1712
; %bb.1711:
	v_cvt_f16_i16_e32 v3, v1
	global_store_dword v[5:6], v3, off
.LBB111_1712:
	s_mov_b64 s[0:1], 0
.LBB111_1713:
	s_andn2_b64 vcc, exec, s[0:1]
	s_cbranch_vccnz .LBB111_1722
; %bb.1714:
	s_cmp_lt_i32 s6, 6
	s_mov_b64 s[0:1], -1
	s_cbranch_scc1 .LBB111_1720
; %bb.1715:
	s_cmp_gt_i32 s6, 6
	s_cbranch_scc0 .LBB111_1717
; %bb.1716:
	v_bfe_i32 v3, v1, 0, 16
	s_waitcnt vmcnt(0)
	v_cvt_f64_i32_e32 v[12:13], v3
	s_mov_b64 s[0:1], 0
	global_store_dwordx2 v[5:6], v[12:13], off
.LBB111_1717:
	s_andn2_b64 vcc, exec, s[0:1]
	s_cbranch_vccnz .LBB111_1719
; %bb.1718:
	v_cvt_f32_i32_sdwa v3, sext(v1) dst_sel:DWORD dst_unused:UNUSED_PAD src0_sel:WORD_0
	global_store_dword v[5:6], v3, off
.LBB111_1719:
	s_mov_b64 s[0:1], 0
.LBB111_1720:
	s_andn2_b64 vcc, exec, s[0:1]
	s_cbranch_vccnz .LBB111_1722
; %bb.1721:
	v_cvt_f16_i16_e32 v3, v1
	global_store_short v[5:6], v3, off
.LBB111_1722:
	s_mov_b64 s[0:1], 0
.LBB111_1723:
	s_andn2_b64 vcc, exec, s[0:1]
	s_cbranch_vccnz .LBB111_1739
; %bb.1724:
	s_cmp_lt_i32 s6, 2
	s_mov_b64 s[0:1], -1
	s_cbranch_scc1 .LBB111_1734
; %bb.1725:
	s_cmp_lt_i32 s6, 3
	s_cbranch_scc1 .LBB111_1731
; %bb.1726:
	s_cmp_gt_i32 s6, 3
	s_waitcnt vmcnt(0)
	v_bfe_i32 v12, v1, 0, 16
	s_cbranch_scc0 .LBB111_1728
; %bb.1727:
	v_ashrrev_i32_e32 v13, 31, v12
	global_store_dwordx2 v[5:6], v[12:13], off
	s_mov_b64 s[0:1], 0
.LBB111_1728:
	s_andn2_b64 vcc, exec, s[0:1]
	s_cbranch_vccnz .LBB111_1730
; %bb.1729:
	global_store_dword v[5:6], v12, off
.LBB111_1730:
	s_mov_b64 s[0:1], 0
.LBB111_1731:
	s_andn2_b64 vcc, exec, s[0:1]
	s_cbranch_vccnz .LBB111_1733
; %bb.1732:
	global_store_short v[5:6], v1, off
.LBB111_1733:
	s_mov_b64 s[0:1], 0
.LBB111_1734:
	s_andn2_b64 vcc, exec, s[0:1]
	s_cbranch_vccnz .LBB111_1739
; %bb.1735:
	s_cmp_gt_i32 s6, 0
	s_mov_b64 s[0:1], -1
	s_cbranch_scc0 .LBB111_1737
; %bb.1736:
	global_store_byte v[5:6], v1, off
	s_mov_b64 s[0:1], 0
.LBB111_1737:
	s_andn2_b64 vcc, exec, s[0:1]
	s_cbranch_vccnz .LBB111_1739
; %bb.1738:
	global_store_byte v[5:6], v1, off
.LBB111_1739:
	s_mov_b64 s[10:11], -1
.LBB111_1740:
	s_andn2_b64 vcc, exec, s[10:11]
	s_cbranch_vccnz .LBB111_2055
; %bb.1741:
	s_lshr_b32 s0, s16, 16
	v_mov_b32_e32 v1, s17
	v_mov_b32_e32 v3, s5
	s_waitcnt vmcnt(0)
	v_cmp_lt_i16_e32 vcc, s4, v11
	s_and_b32 s16, s0, 0xff
	v_cndmask_b32_e32 v1, v1, v3, vcc
	v_mov_b32_e32 v5, s9
	v_add_co_u32_e32 v3, vcc, s8, v4
	s_cmp_lt_i32 s16, 11
	v_addc_co_u32_e32 v4, vcc, 0, v5, vcc
	s_cbranch_scc1 .LBB111_1819
; %bb.1742:
	s_and_b32 s18, 0xffff, s16
	s_mov_b64 s[12:13], -1
	s_mov_b64 s[6:7], 0
	s_cmp_gt_i32 s18, 25
	s_mov_b64 s[10:11], 0
	s_mov_b64 s[0:1], 0
	s_cbranch_scc0 .LBB111_1775
; %bb.1743:
	s_cmp_gt_i32 s18, 28
	s_cbranch_scc0 .LBB111_1758
; %bb.1744:
	s_cmp_gt_i32 s18, 43
	;; [unrolled: 3-line block ×3, first 2 shown]
	s_cbranch_scc0 .LBB111_1748
; %bb.1746:
	s_mov_b64 s[0:1], -1
	s_mov_b64 s[12:13], 0
	s_cmp_eq_u32 s18, 46
	s_cbranch_scc0 .LBB111_1748
; %bb.1747:
	v_cvt_f32_i32_sdwa v5, sext(v1) dst_sel:DWORD dst_unused:UNUSED_PAD src0_sel:WORD_0
	s_movk_i32 s10, 0x7fff
	s_mov_b64 s[0:1], 0
	v_bfe_u32 v6, v5, 16, 1
	v_add3_u32 v5, v5, v6, s10
	v_lshrrev_b32_e32 v5, 16, v5
	global_store_dword v[3:4], v5, off
	s_mov_b64 s[10:11], -1
.LBB111_1748:
	s_and_b64 vcc, exec, s[12:13]
	s_cbranch_vccz .LBB111_1753
; %bb.1749:
	s_cmp_eq_u32 s18, 44
	s_mov_b64 s[0:1], -1
	s_cbranch_scc0 .LBB111_1753
; %bb.1750:
	v_cvt_f32_i32_sdwa v5, sext(v1) dst_sel:DWORD dst_unused:UNUSED_PAD src0_sel:WORD_0
	s_movk_i32 s0, 0xff
	v_mov_b32_e32 v8, 0xff
	v_bfe_u32 v6, v5, 23, 8
	v_cmp_ne_u32_e32 vcc, s0, v6
	s_and_saveexec_b64 s[10:11], vcc
; %bb.1751:
	s_mov_b32 s0, 0x3fffff
	v_lshrrev_b32_e32 v8, 23, v5
	v_and_b32_e32 v10, 0x400000, v5
	v_and_or_b32 v5, v5, s0, v6
	v_cmp_ne_u32_e32 vcc, 0, v10
	v_cmp_ne_u32_e64 s[0:1], 0, v5
	s_and_b64 s[0:1], vcc, s[0:1]
	v_cndmask_b32_e64 v5, 0, 1, s[0:1]
	v_add_u32_e32 v8, v8, v5
; %bb.1752:
	s_or_b64 exec, exec, s[10:11]
	s_mov_b64 s[0:1], 0
	s_mov_b64 s[10:11], -1
	global_store_byte v[3:4], v8, off
.LBB111_1753:
	s_mov_b64 s[12:13], 0
.LBB111_1754:
	s_and_b64 vcc, exec, s[12:13]
	s_cbranch_vccz .LBB111_1757
; %bb.1755:
	s_cmp_eq_u32 s18, 29
	s_mov_b64 s[0:1], -1
	s_cbranch_scc0 .LBB111_1757
; %bb.1756:
	v_bfe_i32 v5, v1, 0, 16
	v_ashrrev_i32_e32 v6, 31, v5
	global_store_dwordx2 v[3:4], v[5:6], off
	s_mov_b64 s[0:1], 0
	s_mov_b64 s[10:11], -1
.LBB111_1757:
	s_mov_b64 s[12:13], 0
.LBB111_1758:
	s_and_b64 vcc, exec, s[12:13]
	s_cbranch_vccz .LBB111_1774
; %bb.1759:
	s_cmp_lt_i32 s18, 27
	s_mov_b64 s[10:11], -1
	s_cbranch_scc1 .LBB111_1765
; %bb.1760:
	s_cmp_gt_i32 s18, 27
	s_cbranch_scc0 .LBB111_1762
; %bb.1761:
	v_bfe_i32 v5, v1, 0, 16
	s_mov_b64 s[10:11], 0
	global_store_dword v[3:4], v5, off
.LBB111_1762:
	s_andn2_b64 vcc, exec, s[10:11]
	s_cbranch_vccnz .LBB111_1764
; %bb.1763:
	global_store_short v[3:4], v1, off
.LBB111_1764:
	s_mov_b64 s[10:11], 0
.LBB111_1765:
	s_andn2_b64 vcc, exec, s[10:11]
	s_cbranch_vccnz .LBB111_1773
; %bb.1766:
	v_cvt_f32_i32_sdwa v5, sext(v1) dst_sel:DWORD dst_unused:UNUSED_PAD src0_sel:WORD_0
	s_mov_b32 s10, 0x43800000
	v_mov_b32_e32 v8, 0x80
	v_and_b32_e32 v6, 0x7fffffff, v5
	v_cmp_gt_u32_e32 vcc, s10, v6
	s_and_saveexec_b64 s[10:11], vcc
	s_cbranch_execz .LBB111_1772
; %bb.1767:
	s_mov_b32 s12, 0x3bffffff
	v_cmp_lt_u32_e32 vcc, s12, v6
	s_mov_b64 s[12:13], 0
                                        ; implicit-def: $vgpr6
	s_and_saveexec_b64 s[14:15], vcc
	s_xor_b64 s[14:15], exec, s[14:15]
	s_cbranch_execz .LBB111_2107
; %bb.1768:
	v_bfe_u32 v6, v5, 20, 1
	s_mov_b32 s19, 0x487ffff
	v_add3_u32 v6, v5, v6, s19
	s_mov_b64 s[12:13], exec
	v_lshrrev_b32_e32 v6, 20, v6
	s_andn2_saveexec_b64 s[14:15], s[14:15]
	s_cbranch_execnz .LBB111_2108
.LBB111_1769:
	s_or_b64 exec, exec, s[14:15]
	v_mov_b32_e32 v8, 0
	s_and_saveexec_b64 s[14:15], s[12:13]
.LBB111_1770:
	v_lshrrev_b32_e32 v5, 24, v5
	s_movk_i32 s12, 0x80
	v_and_or_b32 v8, v5, s12, v6
.LBB111_1771:
	s_or_b64 exec, exec, s[14:15]
.LBB111_1772:
	s_or_b64 exec, exec, s[10:11]
	global_store_byte v[3:4], v8, off
.LBB111_1773:
	s_mov_b64 s[10:11], -1
.LBB111_1774:
	s_mov_b64 s[12:13], 0
.LBB111_1775:
	s_and_b64 vcc, exec, s[12:13]
	s_cbranch_vccz .LBB111_1815
; %bb.1776:
	s_cmp_gt_i32 s18, 22
	s_mov_b64 s[6:7], -1
	s_cbranch_scc0 .LBB111_1808
; %bb.1777:
	s_cmp_lt_i32 s18, 24
	s_cbranch_scc1 .LBB111_1797
; %bb.1778:
	s_cmp_gt_i32 s18, 24
	s_cbranch_scc0 .LBB111_1786
; %bb.1779:
	v_cvt_f32_i32_sdwa v5, sext(v1) dst_sel:DWORD dst_unused:UNUSED_PAD src0_sel:WORD_0
	s_mov_b32 s6, 0x47800000
	v_mov_b32_e32 v8, 0x80
	v_and_b32_e32 v6, 0x7fffffff, v5
	v_cmp_gt_u32_e32 vcc, s6, v6
	s_and_saveexec_b64 s[6:7], vcc
	s_cbranch_execz .LBB111_1785
; %bb.1780:
	s_mov_b32 s10, 0x37ffffff
	v_cmp_lt_u32_e32 vcc, s10, v6
	s_mov_b64 s[10:11], 0
                                        ; implicit-def: $vgpr6
	s_and_saveexec_b64 s[12:13], vcc
	s_xor_b64 s[12:13], exec, s[12:13]
	s_cbranch_execz .LBB111_2110
; %bb.1781:
	v_bfe_u32 v6, v5, 21, 1
	s_mov_b32 s14, 0x88fffff
	v_add3_u32 v6, v5, v6, s14
	s_mov_b64 s[10:11], exec
	v_lshrrev_b32_e32 v6, 21, v6
	s_andn2_saveexec_b64 s[12:13], s[12:13]
	s_cbranch_execnz .LBB111_2111
.LBB111_1782:
	s_or_b64 exec, exec, s[12:13]
	v_mov_b32_e32 v8, 0
	s_and_saveexec_b64 s[12:13], s[10:11]
.LBB111_1783:
	v_lshrrev_b32_e32 v5, 24, v5
	s_movk_i32 s10, 0x80
	v_and_or_b32 v8, v5, s10, v6
.LBB111_1784:
	s_or_b64 exec, exec, s[12:13]
.LBB111_1785:
	s_or_b64 exec, exec, s[6:7]
	s_mov_b64 s[6:7], 0
	global_store_byte v[3:4], v8, off
.LBB111_1786:
	s_and_b64 vcc, exec, s[6:7]
	s_cbranch_vccz .LBB111_1796
; %bb.1787:
	v_cvt_f32_i32_sdwa v5, sext(v1) dst_sel:DWORD dst_unused:UNUSED_PAD src0_sel:WORD_0
	s_mov_b32 s6, 0x43f00000
                                        ; implicit-def: $vgpr6
	v_and_b32_e32 v8, 0x7fffffff, v5
	v_cmp_gt_u32_e32 vcc, s6, v8
	s_and_saveexec_b64 s[6:7], vcc
	s_xor_b64 s[6:7], exec, s[6:7]
	s_cbranch_execz .LBB111_1793
; %bb.1788:
	s_mov_b32 s10, 0x3c7fffff
	v_cmp_lt_u32_e32 vcc, s10, v8
                                        ; implicit-def: $vgpr6
	s_and_saveexec_b64 s[10:11], vcc
	s_xor_b64 s[10:11], exec, s[10:11]
; %bb.1789:
	v_bfe_u32 v6, v5, 20, 1
	s_mov_b32 s12, 0x407ffff
	v_add3_u32 v6, v5, v6, s12
	v_lshrrev_b32_e32 v8, 20, v6
	v_and_b32_e32 v6, 0xff00000, v6
	s_mov_b32 s12, 0x7f00000
	v_mov_b32_e32 v10, 0x7e
	v_cmp_ne_u32_e32 vcc, s12, v6
	v_cndmask_b32_e32 v6, v10, v8, vcc
; %bb.1790:
	s_andn2_saveexec_b64 s[10:11], s[10:11]
; %bb.1791:
	s_mov_b32 s12, 0x46800000
	v_add_f32_e64 v6, |v5|, s12
; %bb.1792:
	s_or_b64 exec, exec, s[10:11]
                                        ; implicit-def: $vgpr8
.LBB111_1793:
	s_andn2_saveexec_b64 s[6:7], s[6:7]
; %bb.1794:
	s_mov_b32 s10, 0x7f800000
	v_mov_b32_e32 v6, 0x7e
	v_mov_b32_e32 v10, 0x7f
	v_cmp_lt_u32_e32 vcc, s10, v8
	v_cndmask_b32_e32 v6, v6, v10, vcc
; %bb.1795:
	s_or_b64 exec, exec, s[6:7]
	v_lshrrev_b32_e32 v5, 24, v5
	s_movk_i32 s6, 0x80
	v_and_or_b32 v5, v5, s6, v6
	global_store_byte v[3:4], v5, off
.LBB111_1796:
	s_mov_b64 s[6:7], 0
.LBB111_1797:
	s_andn2_b64 vcc, exec, s[6:7]
	s_cbranch_vccnz .LBB111_1807
; %bb.1798:
	v_cvt_f32_i32_sdwa v5, sext(v1) dst_sel:DWORD dst_unused:UNUSED_PAD src0_sel:WORD_0
	s_mov_b32 s6, 0x47800000
                                        ; implicit-def: $vgpr6
	v_and_b32_e32 v8, 0x7fffffff, v5
	v_cmp_gt_u32_e32 vcc, s6, v8
	s_and_saveexec_b64 s[6:7], vcc
	s_xor_b64 s[6:7], exec, s[6:7]
	s_cbranch_execz .LBB111_1804
; %bb.1799:
	s_mov_b32 s10, 0x387fffff
	v_cmp_lt_u32_e32 vcc, s10, v8
                                        ; implicit-def: $vgpr6
	s_and_saveexec_b64 s[10:11], vcc
	s_xor_b64 s[10:11], exec, s[10:11]
; %bb.1800:
	v_bfe_u32 v6, v5, 21, 1
	s_mov_b32 s12, 0x80fffff
	v_add3_u32 v6, v5, v6, s12
	v_lshrrev_b32_e32 v6, 21, v6
; %bb.1801:
	s_andn2_saveexec_b64 s[10:11], s[10:11]
; %bb.1802:
	s_mov_b32 s12, 0x43000000
	v_add_f32_e64 v6, |v5|, s12
; %bb.1803:
	s_or_b64 exec, exec, s[10:11]
                                        ; implicit-def: $vgpr8
.LBB111_1804:
	s_andn2_saveexec_b64 s[6:7], s[6:7]
; %bb.1805:
	s_mov_b32 s10, 0x7f800000
	v_mov_b32_e32 v6, 0x7c
	v_mov_b32_e32 v10, 0x7f
	v_cmp_lt_u32_e32 vcc, s10, v8
	v_cndmask_b32_e32 v6, v6, v10, vcc
; %bb.1806:
	s_or_b64 exec, exec, s[6:7]
	v_lshrrev_b32_e32 v5, 24, v5
	s_movk_i32 s6, 0x80
	v_and_or_b32 v5, v5, s6, v6
	global_store_byte v[3:4], v5, off
.LBB111_1807:
	s_mov_b64 s[6:7], 0
	s_mov_b64 s[10:11], -1
.LBB111_1808:
	s_andn2_b64 vcc, exec, s[6:7]
	s_mov_b64 s[6:7], 0
	s_cbranch_vccnz .LBB111_1815
; %bb.1809:
	s_cmp_gt_i32 s18, 14
	s_mov_b64 s[12:13], -1
	s_cbranch_scc0 .LBB111_1813
; %bb.1810:
	s_cmp_eq_u32 s18, 15
	s_mov_b64 s[0:1], -1
	s_cbranch_scc0 .LBB111_1812
; %bb.1811:
	v_cvt_f32_i32_sdwa v5, sext(v1) dst_sel:DWORD dst_unused:UNUSED_PAD src0_sel:WORD_0
	s_movk_i32 s6, 0x7fff
	s_mov_b64 s[0:1], 0
	s_mov_b64 s[10:11], -1
	v_bfe_u32 v6, v5, 16, 1
	v_add3_u32 v5, v5, v6, s6
	global_store_short_d16_hi v[3:4], v5, off
.LBB111_1812:
	s_mov_b64 s[12:13], 0
.LBB111_1813:
	s_mov_b64 s[6:7], 0
	s_and_b64 vcc, exec, s[12:13]
	s_cbranch_vccz .LBB111_1815
; %bb.1814:
	s_cmp_lg_u32 s18, 11
	s_mov_b64 s[6:7], -1
	s_cselect_b64 s[0:1], -1, 0
.LBB111_1815:
	s_and_b64 vcc, exec, s[0:1]
	s_cbranch_vccnz .LBB111_2109
; %bb.1816:
	s_andn2_b64 vcc, exec, s[6:7]
	s_cbranch_vccnz .LBB111_1818
.LBB111_1817:
	v_cmp_ne_u16_e32 vcc, 0, v1
	v_cndmask_b32_e64 v5, 0, 1, vcc
	s_mov_b64 s[10:11], -1
	global_store_byte v[3:4], v5, off
.LBB111_1818:
	s_mov_b64 s[0:1], 0
	s_branch .LBB111_1820
.LBB111_1819:
	s_mov_b64 s[0:1], -1
	s_mov_b64 s[10:11], 0
.LBB111_1820:
	s_and_b64 vcc, exec, s[0:1]
	s_cbranch_vccz .LBB111_1859
; %bb.1821:
	s_and_b32 s6, 0xffff, s16
	s_cmp_lt_i32 s6, 5
	s_mov_b64 s[0:1], -1
	s_cbranch_scc1 .LBB111_1842
; %bb.1822:
	s_cmp_lt_i32 s6, 8
	s_cbranch_scc1 .LBB111_1832
; %bb.1823:
	s_cmp_lt_i32 s6, 9
	s_cbranch_scc1 .LBB111_1829
; %bb.1824:
	s_cmp_gt_i32 s6, 9
	s_cbranch_scc0 .LBB111_1826
; %bb.1825:
	v_bfe_i32 v5, v1, 0, 16
	v_cvt_f64_i32_e32 v[10:11], v5
	v_mov_b32_e32 v12, 0
	v_mov_b32_e32 v13, v12
	s_mov_b64 s[0:1], 0
	global_store_dwordx4 v[3:4], v[10:13], off
.LBB111_1826:
	s_andn2_b64 vcc, exec, s[0:1]
	s_cbranch_vccnz .LBB111_1828
; %bb.1827:
	v_cvt_f32_i32_sdwa v5, sext(v1) dst_sel:DWORD dst_unused:UNUSED_PAD src0_sel:WORD_0
	v_mov_b32_e32 v6, 0
	global_store_dwordx2 v[3:4], v[5:6], off
.LBB111_1828:
	s_mov_b64 s[0:1], 0
.LBB111_1829:
	s_andn2_b64 vcc, exec, s[0:1]
	s_cbranch_vccnz .LBB111_1831
; %bb.1830:
	v_cvt_f16_i16_e32 v5, v1
	global_store_dword v[3:4], v5, off
.LBB111_1831:
	s_mov_b64 s[0:1], 0
.LBB111_1832:
	s_andn2_b64 vcc, exec, s[0:1]
	s_cbranch_vccnz .LBB111_1841
; %bb.1833:
	s_cmp_lt_i32 s6, 6
	s_mov_b64 s[0:1], -1
	s_cbranch_scc1 .LBB111_1839
; %bb.1834:
	s_cmp_gt_i32 s6, 6
	s_cbranch_scc0 .LBB111_1836
; %bb.1835:
	v_bfe_i32 v5, v1, 0, 16
	v_cvt_f64_i32_e32 v[5:6], v5
	s_mov_b64 s[0:1], 0
	global_store_dwordx2 v[3:4], v[5:6], off
.LBB111_1836:
	s_andn2_b64 vcc, exec, s[0:1]
	s_cbranch_vccnz .LBB111_1838
; %bb.1837:
	v_cvt_f32_i32_sdwa v5, sext(v1) dst_sel:DWORD dst_unused:UNUSED_PAD src0_sel:WORD_0
	global_store_dword v[3:4], v5, off
.LBB111_1838:
	s_mov_b64 s[0:1], 0
.LBB111_1839:
	s_andn2_b64 vcc, exec, s[0:1]
	s_cbranch_vccnz .LBB111_1841
; %bb.1840:
	v_cvt_f16_i16_e32 v5, v1
	global_store_short v[3:4], v5, off
.LBB111_1841:
	s_mov_b64 s[0:1], 0
.LBB111_1842:
	s_andn2_b64 vcc, exec, s[0:1]
	s_cbranch_vccnz .LBB111_1858
; %bb.1843:
	s_cmp_lt_i32 s6, 2
	s_mov_b64 s[0:1], -1
	s_cbranch_scc1 .LBB111_1853
; %bb.1844:
	s_cmp_lt_i32 s6, 3
	s_cbranch_scc1 .LBB111_1850
; %bb.1845:
	s_cmp_gt_i32 s6, 3
	s_cbranch_scc0 .LBB111_1847
; %bb.1846:
	v_bfe_i32 v5, v1, 0, 16
	v_ashrrev_i32_e32 v6, 31, v5
	global_store_dwordx2 v[3:4], v[5:6], off
	s_mov_b64 s[0:1], 0
.LBB111_1847:
	s_andn2_b64 vcc, exec, s[0:1]
	s_cbranch_vccnz .LBB111_1849
; %bb.1848:
	v_bfe_i32 v5, v1, 0, 16
	global_store_dword v[3:4], v5, off
.LBB111_1849:
	s_mov_b64 s[0:1], 0
.LBB111_1850:
	s_andn2_b64 vcc, exec, s[0:1]
	s_cbranch_vccnz .LBB111_1852
; %bb.1851:
	global_store_short v[3:4], v1, off
.LBB111_1852:
	s_mov_b64 s[0:1], 0
.LBB111_1853:
	s_andn2_b64 vcc, exec, s[0:1]
	s_cbranch_vccnz .LBB111_1858
; %bb.1854:
	s_cmp_gt_i32 s6, 0
	s_mov_b64 s[0:1], -1
	s_cbranch_scc0 .LBB111_1856
; %bb.1855:
	global_store_byte v[3:4], v1, off
	s_mov_b64 s[0:1], 0
.LBB111_1856:
	s_andn2_b64 vcc, exec, s[0:1]
	s_cbranch_vccnz .LBB111_1858
; %bb.1857:
	global_store_byte v[3:4], v1, off
.LBB111_1858:
	s_mov_b64 s[10:11], -1
.LBB111_1859:
	s_andn2_b64 vcc, exec, s[10:11]
	s_cbranch_vccnz .LBB111_2055
; %bb.1860:
	v_mov_b32_e32 v1, s17
	v_mov_b32_e32 v3, s5
	v_cmp_lt_i16_e32 vcc, s4, v9
	v_cndmask_b32_e32 v5, v1, v3, vcc
	v_mov_b32_e32 v3, s9
	v_add_co_u32_e32 v1, vcc, s8, v2
	s_cmp_lt_i32 s16, 11
	v_addc_co_u32_e32 v2, vcc, 0, v3, vcc
	s_cbranch_scc1 .LBB111_1938
; %bb.1861:
	s_and_b32 s18, 0xffff, s16
	s_mov_b64 s[12:13], -1
	s_mov_b64 s[6:7], 0
	s_cmp_gt_i32 s18, 25
	s_mov_b64 s[10:11], 0
	s_mov_b64 s[0:1], 0
	s_cbranch_scc0 .LBB111_1894
; %bb.1862:
	s_cmp_gt_i32 s18, 28
	s_cbranch_scc0 .LBB111_1877
; %bb.1863:
	s_cmp_gt_i32 s18, 43
	;; [unrolled: 3-line block ×3, first 2 shown]
	s_cbranch_scc0 .LBB111_1867
; %bb.1865:
	s_mov_b64 s[0:1], -1
	s_mov_b64 s[12:13], 0
	s_cmp_eq_u32 s18, 46
	s_cbranch_scc0 .LBB111_1867
; %bb.1866:
	v_cvt_f32_i32_sdwa v3, sext(v5) dst_sel:DWORD dst_unused:UNUSED_PAD src0_sel:WORD_0
	s_movk_i32 s10, 0x7fff
	s_mov_b64 s[0:1], 0
	v_bfe_u32 v4, v3, 16, 1
	v_add3_u32 v3, v3, v4, s10
	v_lshrrev_b32_e32 v3, 16, v3
	global_store_dword v[1:2], v3, off
	s_mov_b64 s[10:11], -1
.LBB111_1867:
	s_and_b64 vcc, exec, s[12:13]
	s_cbranch_vccz .LBB111_1872
; %bb.1868:
	s_cmp_eq_u32 s18, 44
	s_mov_b64 s[0:1], -1
	s_cbranch_scc0 .LBB111_1872
; %bb.1869:
	v_cvt_f32_i32_sdwa v3, sext(v5) dst_sel:DWORD dst_unused:UNUSED_PAD src0_sel:WORD_0
	s_movk_i32 s0, 0xff
	v_mov_b32_e32 v6, 0xff
	v_bfe_u32 v4, v3, 23, 8
	v_cmp_ne_u32_e32 vcc, s0, v4
	s_and_saveexec_b64 s[10:11], vcc
; %bb.1870:
	s_mov_b32 s0, 0x3fffff
	v_lshrrev_b32_e32 v6, 23, v3
	v_and_b32_e32 v8, 0x400000, v3
	v_and_or_b32 v3, v3, s0, v4
	v_cmp_ne_u32_e32 vcc, 0, v8
	v_cmp_ne_u32_e64 s[0:1], 0, v3
	s_and_b64 s[0:1], vcc, s[0:1]
	v_cndmask_b32_e64 v3, 0, 1, s[0:1]
	v_add_u32_e32 v6, v6, v3
; %bb.1871:
	s_or_b64 exec, exec, s[10:11]
	s_mov_b64 s[0:1], 0
	s_mov_b64 s[10:11], -1
	global_store_byte v[1:2], v6, off
.LBB111_1872:
	s_mov_b64 s[12:13], 0
.LBB111_1873:
	s_and_b64 vcc, exec, s[12:13]
	s_cbranch_vccz .LBB111_1876
; %bb.1874:
	s_cmp_eq_u32 s18, 29
	s_mov_b64 s[0:1], -1
	s_cbranch_scc0 .LBB111_1876
; %bb.1875:
	v_bfe_i32 v3, v5, 0, 16
	v_ashrrev_i32_e32 v4, 31, v3
	global_store_dwordx2 v[1:2], v[3:4], off
	s_mov_b64 s[0:1], 0
	s_mov_b64 s[10:11], -1
.LBB111_1876:
	s_mov_b64 s[12:13], 0
.LBB111_1877:
	s_and_b64 vcc, exec, s[12:13]
	s_cbranch_vccz .LBB111_1893
; %bb.1878:
	s_cmp_lt_i32 s18, 27
	s_mov_b64 s[10:11], -1
	s_cbranch_scc1 .LBB111_1884
; %bb.1879:
	s_cmp_gt_i32 s18, 27
	s_cbranch_scc0 .LBB111_1881
; %bb.1880:
	v_bfe_i32 v3, v5, 0, 16
	s_mov_b64 s[10:11], 0
	global_store_dword v[1:2], v3, off
.LBB111_1881:
	s_andn2_b64 vcc, exec, s[10:11]
	s_cbranch_vccnz .LBB111_1883
; %bb.1882:
	global_store_short v[1:2], v5, off
.LBB111_1883:
	s_mov_b64 s[10:11], 0
.LBB111_1884:
	s_andn2_b64 vcc, exec, s[10:11]
	s_cbranch_vccnz .LBB111_1892
; %bb.1885:
	v_cvt_f32_i32_sdwa v3, sext(v5) dst_sel:DWORD dst_unused:UNUSED_PAD src0_sel:WORD_0
	s_mov_b32 s10, 0x43800000
	v_mov_b32_e32 v6, 0x80
	v_and_b32_e32 v4, 0x7fffffff, v3
	v_cmp_gt_u32_e32 vcc, s10, v4
	s_and_saveexec_b64 s[10:11], vcc
	s_cbranch_execz .LBB111_1891
; %bb.1886:
	s_mov_b32 s12, 0x3bffffff
	v_cmp_lt_u32_e32 vcc, s12, v4
	s_mov_b64 s[12:13], 0
                                        ; implicit-def: $vgpr4
	s_and_saveexec_b64 s[14:15], vcc
	s_xor_b64 s[14:15], exec, s[14:15]
	s_cbranch_execz .LBB111_2112
; %bb.1887:
	v_bfe_u32 v4, v3, 20, 1
	s_mov_b32 s19, 0x487ffff
	v_add3_u32 v4, v3, v4, s19
	s_mov_b64 s[12:13], exec
	v_lshrrev_b32_e32 v4, 20, v4
	s_andn2_saveexec_b64 s[14:15], s[14:15]
	s_cbranch_execnz .LBB111_2113
.LBB111_1888:
	s_or_b64 exec, exec, s[14:15]
	v_mov_b32_e32 v6, 0
	s_and_saveexec_b64 s[14:15], s[12:13]
.LBB111_1889:
	v_lshrrev_b32_e32 v3, 24, v3
	s_movk_i32 s12, 0x80
	v_and_or_b32 v6, v3, s12, v4
.LBB111_1890:
	s_or_b64 exec, exec, s[14:15]
.LBB111_1891:
	s_or_b64 exec, exec, s[10:11]
	global_store_byte v[1:2], v6, off
.LBB111_1892:
	s_mov_b64 s[10:11], -1
.LBB111_1893:
	s_mov_b64 s[12:13], 0
.LBB111_1894:
	s_and_b64 vcc, exec, s[12:13]
	s_cbranch_vccz .LBB111_1934
; %bb.1895:
	s_cmp_gt_i32 s18, 22
	s_mov_b64 s[6:7], -1
	s_cbranch_scc0 .LBB111_1927
; %bb.1896:
	s_cmp_lt_i32 s18, 24
	s_cbranch_scc1 .LBB111_1916
; %bb.1897:
	s_cmp_gt_i32 s18, 24
	s_cbranch_scc0 .LBB111_1905
; %bb.1898:
	v_cvt_f32_i32_sdwa v3, sext(v5) dst_sel:DWORD dst_unused:UNUSED_PAD src0_sel:WORD_0
	s_mov_b32 s6, 0x47800000
	v_mov_b32_e32 v6, 0x80
	v_and_b32_e32 v4, 0x7fffffff, v3
	v_cmp_gt_u32_e32 vcc, s6, v4
	s_and_saveexec_b64 s[6:7], vcc
	s_cbranch_execz .LBB111_1904
; %bb.1899:
	s_mov_b32 s10, 0x37ffffff
	v_cmp_lt_u32_e32 vcc, s10, v4
	s_mov_b64 s[10:11], 0
                                        ; implicit-def: $vgpr4
	s_and_saveexec_b64 s[12:13], vcc
	s_xor_b64 s[12:13], exec, s[12:13]
	s_cbranch_execz .LBB111_2115
; %bb.1900:
	v_bfe_u32 v4, v3, 21, 1
	s_mov_b32 s14, 0x88fffff
	v_add3_u32 v4, v3, v4, s14
	s_mov_b64 s[10:11], exec
	v_lshrrev_b32_e32 v4, 21, v4
	s_andn2_saveexec_b64 s[12:13], s[12:13]
	s_cbranch_execnz .LBB111_2116
.LBB111_1901:
	s_or_b64 exec, exec, s[12:13]
	v_mov_b32_e32 v6, 0
	s_and_saveexec_b64 s[12:13], s[10:11]
.LBB111_1902:
	v_lshrrev_b32_e32 v3, 24, v3
	s_movk_i32 s10, 0x80
	v_and_or_b32 v6, v3, s10, v4
.LBB111_1903:
	s_or_b64 exec, exec, s[12:13]
.LBB111_1904:
	s_or_b64 exec, exec, s[6:7]
	s_mov_b64 s[6:7], 0
	global_store_byte v[1:2], v6, off
.LBB111_1905:
	s_and_b64 vcc, exec, s[6:7]
	s_cbranch_vccz .LBB111_1915
; %bb.1906:
	v_cvt_f32_i32_sdwa v3, sext(v5) dst_sel:DWORD dst_unused:UNUSED_PAD src0_sel:WORD_0
	s_mov_b32 s6, 0x43f00000
                                        ; implicit-def: $vgpr4
	v_and_b32_e32 v6, 0x7fffffff, v3
	v_cmp_gt_u32_e32 vcc, s6, v6
	s_and_saveexec_b64 s[6:7], vcc
	s_xor_b64 s[6:7], exec, s[6:7]
	s_cbranch_execz .LBB111_1912
; %bb.1907:
	s_mov_b32 s10, 0x3c7fffff
	v_cmp_lt_u32_e32 vcc, s10, v6
                                        ; implicit-def: $vgpr4
	s_and_saveexec_b64 s[10:11], vcc
	s_xor_b64 s[10:11], exec, s[10:11]
; %bb.1908:
	v_bfe_u32 v4, v3, 20, 1
	s_mov_b32 s12, 0x407ffff
	v_add3_u32 v4, v3, v4, s12
	v_lshrrev_b32_e32 v6, 20, v4
	v_and_b32_e32 v4, 0xff00000, v4
	s_mov_b32 s12, 0x7f00000
	v_mov_b32_e32 v8, 0x7e
	v_cmp_ne_u32_e32 vcc, s12, v4
	v_cndmask_b32_e32 v4, v8, v6, vcc
; %bb.1909:
	s_andn2_saveexec_b64 s[10:11], s[10:11]
; %bb.1910:
	s_mov_b32 s12, 0x46800000
	v_add_f32_e64 v4, |v3|, s12
; %bb.1911:
	s_or_b64 exec, exec, s[10:11]
                                        ; implicit-def: $vgpr6
.LBB111_1912:
	s_andn2_saveexec_b64 s[6:7], s[6:7]
; %bb.1913:
	s_mov_b32 s10, 0x7f800000
	v_mov_b32_e32 v4, 0x7e
	v_mov_b32_e32 v8, 0x7f
	v_cmp_lt_u32_e32 vcc, s10, v6
	v_cndmask_b32_e32 v4, v4, v8, vcc
; %bb.1914:
	s_or_b64 exec, exec, s[6:7]
	v_lshrrev_b32_e32 v3, 24, v3
	s_movk_i32 s6, 0x80
	v_and_or_b32 v3, v3, s6, v4
	global_store_byte v[1:2], v3, off
.LBB111_1915:
	s_mov_b64 s[6:7], 0
.LBB111_1916:
	s_andn2_b64 vcc, exec, s[6:7]
	s_cbranch_vccnz .LBB111_1926
; %bb.1917:
	v_cvt_f32_i32_sdwa v3, sext(v5) dst_sel:DWORD dst_unused:UNUSED_PAD src0_sel:WORD_0
	s_mov_b32 s6, 0x47800000
                                        ; implicit-def: $vgpr4
	v_and_b32_e32 v6, 0x7fffffff, v3
	v_cmp_gt_u32_e32 vcc, s6, v6
	s_and_saveexec_b64 s[6:7], vcc
	s_xor_b64 s[6:7], exec, s[6:7]
	s_cbranch_execz .LBB111_1923
; %bb.1918:
	s_mov_b32 s10, 0x387fffff
	v_cmp_lt_u32_e32 vcc, s10, v6
                                        ; implicit-def: $vgpr4
	s_and_saveexec_b64 s[10:11], vcc
	s_xor_b64 s[10:11], exec, s[10:11]
; %bb.1919:
	v_bfe_u32 v4, v3, 21, 1
	s_mov_b32 s12, 0x80fffff
	v_add3_u32 v4, v3, v4, s12
	v_lshrrev_b32_e32 v4, 21, v4
; %bb.1920:
	s_andn2_saveexec_b64 s[10:11], s[10:11]
; %bb.1921:
	s_mov_b32 s12, 0x43000000
	v_add_f32_e64 v4, |v3|, s12
; %bb.1922:
	s_or_b64 exec, exec, s[10:11]
                                        ; implicit-def: $vgpr6
.LBB111_1923:
	s_andn2_saveexec_b64 s[6:7], s[6:7]
; %bb.1924:
	s_mov_b32 s10, 0x7f800000
	v_mov_b32_e32 v4, 0x7c
	v_mov_b32_e32 v8, 0x7f
	v_cmp_lt_u32_e32 vcc, s10, v6
	v_cndmask_b32_e32 v4, v4, v8, vcc
; %bb.1925:
	s_or_b64 exec, exec, s[6:7]
	v_lshrrev_b32_e32 v3, 24, v3
	s_movk_i32 s6, 0x80
	v_and_or_b32 v3, v3, s6, v4
	global_store_byte v[1:2], v3, off
.LBB111_1926:
	s_mov_b64 s[6:7], 0
	s_mov_b64 s[10:11], -1
.LBB111_1927:
	s_andn2_b64 vcc, exec, s[6:7]
	s_mov_b64 s[6:7], 0
	s_cbranch_vccnz .LBB111_1934
; %bb.1928:
	s_cmp_gt_i32 s18, 14
	s_mov_b64 s[12:13], -1
	s_cbranch_scc0 .LBB111_1932
; %bb.1929:
	s_cmp_eq_u32 s18, 15
	s_mov_b64 s[0:1], -1
	s_cbranch_scc0 .LBB111_1931
; %bb.1930:
	v_cvt_f32_i32_sdwa v3, sext(v5) dst_sel:DWORD dst_unused:UNUSED_PAD src0_sel:WORD_0
	s_movk_i32 s6, 0x7fff
	s_mov_b64 s[0:1], 0
	s_mov_b64 s[10:11], -1
	v_bfe_u32 v4, v3, 16, 1
	v_add3_u32 v3, v3, v4, s6
	global_store_short_d16_hi v[1:2], v3, off
.LBB111_1931:
	s_mov_b64 s[12:13], 0
.LBB111_1932:
	s_mov_b64 s[6:7], 0
	s_and_b64 vcc, exec, s[12:13]
	s_cbranch_vccz .LBB111_1934
; %bb.1933:
	s_cmp_lg_u32 s18, 11
	s_mov_b64 s[6:7], -1
	s_cselect_b64 s[0:1], -1, 0
.LBB111_1934:
	s_and_b64 vcc, exec, s[0:1]
	s_cbranch_vccnz .LBB111_2114
; %bb.1935:
	s_andn2_b64 vcc, exec, s[6:7]
	s_cbranch_vccnz .LBB111_1937
.LBB111_1936:
	v_cmp_ne_u16_e32 vcc, 0, v5
	v_cndmask_b32_e64 v3, 0, 1, vcc
	s_mov_b64 s[10:11], -1
	global_store_byte v[1:2], v3, off
.LBB111_1937:
	s_mov_b64 s[0:1], 0
	s_branch .LBB111_1939
.LBB111_1938:
	s_mov_b64 s[0:1], -1
	s_mov_b64 s[10:11], 0
.LBB111_1939:
	s_and_b64 vcc, exec, s[0:1]
	s_cbranch_vccz .LBB111_1978
; %bb.1940:
	s_and_b32 s6, 0xffff, s16
	s_cmp_lt_i32 s6, 5
	s_mov_b64 s[0:1], -1
	s_cbranch_scc1 .LBB111_1961
; %bb.1941:
	s_cmp_lt_i32 s6, 8
	s_cbranch_scc1 .LBB111_1951
; %bb.1942:
	s_cmp_lt_i32 s6, 9
	s_cbranch_scc1 .LBB111_1948
; %bb.1943:
	s_cmp_gt_i32 s6, 9
	s_cbranch_scc0 .LBB111_1945
; %bb.1944:
	v_bfe_i32 v3, v5, 0, 16
	v_cvt_f64_i32_e32 v[8:9], v3
	v_mov_b32_e32 v10, 0
	v_mov_b32_e32 v11, v10
	s_mov_b64 s[0:1], 0
	global_store_dwordx4 v[1:2], v[8:11], off
.LBB111_1945:
	s_andn2_b64 vcc, exec, s[0:1]
	s_cbranch_vccnz .LBB111_1947
; %bb.1946:
	v_cvt_f32_i32_sdwa v3, sext(v5) dst_sel:DWORD dst_unused:UNUSED_PAD src0_sel:WORD_0
	v_mov_b32_e32 v4, 0
	global_store_dwordx2 v[1:2], v[3:4], off
.LBB111_1947:
	s_mov_b64 s[0:1], 0
.LBB111_1948:
	s_andn2_b64 vcc, exec, s[0:1]
	s_cbranch_vccnz .LBB111_1950
; %bb.1949:
	v_cvt_f16_i16_e32 v3, v5
	global_store_dword v[1:2], v3, off
.LBB111_1950:
	s_mov_b64 s[0:1], 0
.LBB111_1951:
	s_andn2_b64 vcc, exec, s[0:1]
	s_cbranch_vccnz .LBB111_1960
; %bb.1952:
	s_cmp_lt_i32 s6, 6
	s_mov_b64 s[0:1], -1
	s_cbranch_scc1 .LBB111_1958
; %bb.1953:
	s_cmp_gt_i32 s6, 6
	s_cbranch_scc0 .LBB111_1955
; %bb.1954:
	v_bfe_i32 v3, v5, 0, 16
	v_cvt_f64_i32_e32 v[3:4], v3
	s_mov_b64 s[0:1], 0
	global_store_dwordx2 v[1:2], v[3:4], off
.LBB111_1955:
	s_andn2_b64 vcc, exec, s[0:1]
	s_cbranch_vccnz .LBB111_1957
; %bb.1956:
	v_cvt_f32_i32_sdwa v3, sext(v5) dst_sel:DWORD dst_unused:UNUSED_PAD src0_sel:WORD_0
	global_store_dword v[1:2], v3, off
.LBB111_1957:
	s_mov_b64 s[0:1], 0
.LBB111_1958:
	s_andn2_b64 vcc, exec, s[0:1]
	s_cbranch_vccnz .LBB111_1960
; %bb.1959:
	v_cvt_f16_i16_e32 v3, v5
	global_store_short v[1:2], v3, off
.LBB111_1960:
	s_mov_b64 s[0:1], 0
.LBB111_1961:
	s_andn2_b64 vcc, exec, s[0:1]
	s_cbranch_vccnz .LBB111_1977
; %bb.1962:
	s_cmp_lt_i32 s6, 2
	s_mov_b64 s[0:1], -1
	s_cbranch_scc1 .LBB111_1972
; %bb.1963:
	s_cmp_lt_i32 s6, 3
	s_cbranch_scc1 .LBB111_1969
; %bb.1964:
	s_cmp_gt_i32 s6, 3
	v_bfe_i32 v3, v5, 0, 16
	s_cbranch_scc0 .LBB111_1966
; %bb.1965:
	v_ashrrev_i32_e32 v4, 31, v3
	global_store_dwordx2 v[1:2], v[3:4], off
	s_mov_b64 s[0:1], 0
.LBB111_1966:
	s_andn2_b64 vcc, exec, s[0:1]
	s_cbranch_vccnz .LBB111_1968
; %bb.1967:
	global_store_dword v[1:2], v3, off
.LBB111_1968:
	s_mov_b64 s[0:1], 0
.LBB111_1969:
	s_andn2_b64 vcc, exec, s[0:1]
	s_cbranch_vccnz .LBB111_1971
; %bb.1970:
	global_store_short v[1:2], v5, off
.LBB111_1971:
	s_mov_b64 s[0:1], 0
.LBB111_1972:
	s_andn2_b64 vcc, exec, s[0:1]
	s_cbranch_vccnz .LBB111_1977
; %bb.1973:
	s_cmp_gt_i32 s6, 0
	s_mov_b64 s[0:1], -1
	s_cbranch_scc0 .LBB111_1975
; %bb.1974:
	global_store_byte v[1:2], v5, off
	s_mov_b64 s[0:1], 0
.LBB111_1975:
	s_andn2_b64 vcc, exec, s[0:1]
	s_cbranch_vccnz .LBB111_1977
; %bb.1976:
	global_store_byte v[1:2], v5, off
.LBB111_1977:
	s_mov_b64 s[10:11], -1
.LBB111_1978:
	s_andn2_b64 vcc, exec, s[10:11]
	s_cbranch_vccnz .LBB111_2055
; %bb.1979:
	v_mov_b32_e32 v1, s17
	v_mov_b32_e32 v2, s5
	v_cmp_lt_i16_e32 vcc, s4, v7
	v_cndmask_b32_e32 v2, v1, v2, vcc
	v_mov_b32_e32 v1, s9
	v_add_co_u32_e32 v0, vcc, s8, v0
	s_cmp_lt_i32 s16, 11
	v_addc_co_u32_e32 v1, vcc, 0, v1, vcc
	s_cbranch_scc1 .LBB111_2100
; %bb.1980:
	s_and_b32 s12, 0xffff, s16
	s_mov_b64 s[6:7], -1
	s_mov_b64 s[4:5], 0
	s_cmp_gt_i32 s12, 25
	s_mov_b64 s[0:1], 0
	s_cbranch_scc0 .LBB111_2013
; %bb.1981:
	s_cmp_gt_i32 s12, 28
	s_cbranch_scc0 .LBB111_1997
; %bb.1982:
	s_cmp_gt_i32 s12, 43
	;; [unrolled: 3-line block ×3, first 2 shown]
	s_cbranch_scc0 .LBB111_1987
; %bb.1984:
	s_cmp_eq_u32 s12, 46
	s_mov_b64 s[0:1], -1
	s_cbranch_scc0 .LBB111_1986
; %bb.1985:
	v_cvt_f32_i32_sdwa v3, sext(v2) dst_sel:DWORD dst_unused:UNUSED_PAD src0_sel:WORD_0
	s_movk_i32 s0, 0x7fff
	v_bfe_u32 v4, v3, 16, 1
	v_add3_u32 v3, v3, v4, s0
	v_lshrrev_b32_e32 v3, 16, v3
	global_store_dword v[0:1], v3, off
	s_mov_b64 s[0:1], 0
.LBB111_1986:
	s_mov_b64 s[6:7], 0
.LBB111_1987:
	s_and_b64 vcc, exec, s[6:7]
	s_cbranch_vccz .LBB111_1992
; %bb.1988:
	s_cmp_eq_u32 s12, 44
	s_mov_b64 s[0:1], -1
	s_cbranch_scc0 .LBB111_1992
; %bb.1989:
	v_cvt_f32_i32_sdwa v3, sext(v2) dst_sel:DWORD dst_unused:UNUSED_PAD src0_sel:WORD_0
	s_movk_i32 s0, 0xff
	v_mov_b32_e32 v5, 0xff
	v_bfe_u32 v4, v3, 23, 8
	v_cmp_ne_u32_e32 vcc, s0, v4
	s_and_saveexec_b64 s[6:7], vcc
; %bb.1990:
	s_mov_b32 s0, 0x3fffff
	v_lshrrev_b32_e32 v5, 23, v3
	v_and_b32_e32 v6, 0x400000, v3
	v_and_or_b32 v3, v3, s0, v4
	v_cmp_ne_u32_e32 vcc, 0, v6
	v_cmp_ne_u32_e64 s[0:1], 0, v3
	s_and_b64 s[0:1], vcc, s[0:1]
	v_cndmask_b32_e64 v3, 0, 1, s[0:1]
	v_add_u32_e32 v5, v5, v3
; %bb.1991:
	s_or_b64 exec, exec, s[6:7]
	s_mov_b64 s[0:1], 0
	global_store_byte v[0:1], v5, off
.LBB111_1992:
	s_mov_b64 s[6:7], 0
.LBB111_1993:
	s_and_b64 vcc, exec, s[6:7]
	s_cbranch_vccz .LBB111_1996
; %bb.1994:
	s_cmp_eq_u32 s12, 29
	s_mov_b64 s[0:1], -1
	s_cbranch_scc0 .LBB111_1996
; %bb.1995:
	v_bfe_i32 v3, v2, 0, 16
	v_ashrrev_i32_e32 v4, 31, v3
	global_store_dwordx2 v[0:1], v[3:4], off
	s_mov_b64 s[0:1], 0
.LBB111_1996:
	s_mov_b64 s[6:7], 0
.LBB111_1997:
	s_and_b64 vcc, exec, s[6:7]
	s_cbranch_vccz .LBB111_2012
; %bb.1998:
	s_cmp_lt_i32 s12, 27
	s_mov_b64 s[6:7], -1
	s_cbranch_scc1 .LBB111_2004
; %bb.1999:
	s_cmp_gt_i32 s12, 27
	s_cbranch_scc0 .LBB111_2001
; %bb.2000:
	v_bfe_i32 v3, v2, 0, 16
	global_store_dword v[0:1], v3, off
	s_mov_b64 s[6:7], 0
.LBB111_2001:
	s_andn2_b64 vcc, exec, s[6:7]
	s_cbranch_vccnz .LBB111_2003
; %bb.2002:
	global_store_short v[0:1], v2, off
.LBB111_2003:
	s_mov_b64 s[6:7], 0
.LBB111_2004:
	s_andn2_b64 vcc, exec, s[6:7]
	s_cbranch_vccnz .LBB111_2012
; %bb.2005:
	v_cvt_f32_i32_sdwa v3, sext(v2) dst_sel:DWORD dst_unused:UNUSED_PAD src0_sel:WORD_0
	s_mov_b32 s6, 0x43800000
	v_mov_b32_e32 v5, 0x80
	v_and_b32_e32 v4, 0x7fffffff, v3
	v_cmp_gt_u32_e32 vcc, s6, v4
	s_and_saveexec_b64 s[6:7], vcc
	s_cbranch_execz .LBB111_2011
; %bb.2006:
	s_mov_b32 s8, 0x3bffffff
	v_cmp_lt_u32_e32 vcc, s8, v4
	s_mov_b64 s[8:9], 0
                                        ; implicit-def: $vgpr4
	s_and_saveexec_b64 s[10:11], vcc
	s_xor_b64 s[10:11], exec, s[10:11]
	s_cbranch_execz .LBB111_2117
; %bb.2007:
	v_bfe_u32 v4, v3, 20, 1
	s_mov_b32 s13, 0x487ffff
	v_add3_u32 v4, v3, v4, s13
	s_mov_b64 s[8:9], exec
	v_lshrrev_b32_e32 v4, 20, v4
	s_andn2_saveexec_b64 s[10:11], s[10:11]
	s_cbranch_execnz .LBB111_2118
.LBB111_2008:
	s_or_b64 exec, exec, s[10:11]
	v_mov_b32_e32 v5, 0
	s_and_saveexec_b64 s[10:11], s[8:9]
.LBB111_2009:
	v_lshrrev_b32_e32 v3, 24, v3
	s_movk_i32 s8, 0x80
	v_and_or_b32 v5, v3, s8, v4
.LBB111_2010:
	s_or_b64 exec, exec, s[10:11]
.LBB111_2011:
	s_or_b64 exec, exec, s[6:7]
	global_store_byte v[0:1], v5, off
.LBB111_2012:
	s_mov_b64 s[6:7], 0
.LBB111_2013:
	s_and_b64 vcc, exec, s[6:7]
	s_cbranch_vccz .LBB111_2053
; %bb.2014:
	s_cmp_gt_i32 s12, 22
	s_mov_b64 s[4:5], -1
	s_cbranch_scc0 .LBB111_2046
; %bb.2015:
	s_cmp_lt_i32 s12, 24
	s_cbranch_scc1 .LBB111_2035
; %bb.2016:
	s_cmp_gt_i32 s12, 24
	s_cbranch_scc0 .LBB111_2024
; %bb.2017:
	v_cvt_f32_i32_sdwa v3, sext(v2) dst_sel:DWORD dst_unused:UNUSED_PAD src0_sel:WORD_0
	s_mov_b32 s4, 0x47800000
	v_mov_b32_e32 v5, 0x80
	v_and_b32_e32 v4, 0x7fffffff, v3
	v_cmp_gt_u32_e32 vcc, s4, v4
	s_and_saveexec_b64 s[4:5], vcc
	s_cbranch_execz .LBB111_2023
; %bb.2018:
	s_mov_b32 s6, 0x37ffffff
	v_cmp_lt_u32_e32 vcc, s6, v4
	s_mov_b64 s[6:7], 0
                                        ; implicit-def: $vgpr4
	s_and_saveexec_b64 s[8:9], vcc
	s_xor_b64 s[8:9], exec, s[8:9]
	s_cbranch_execz .LBB111_2120
; %bb.2019:
	v_bfe_u32 v4, v3, 21, 1
	s_mov_b32 s10, 0x88fffff
	v_add3_u32 v4, v3, v4, s10
	s_mov_b64 s[6:7], exec
	v_lshrrev_b32_e32 v4, 21, v4
	s_andn2_saveexec_b64 s[8:9], s[8:9]
	s_cbranch_execnz .LBB111_2121
.LBB111_2020:
	s_or_b64 exec, exec, s[8:9]
	v_mov_b32_e32 v5, 0
	s_and_saveexec_b64 s[8:9], s[6:7]
.LBB111_2021:
	v_lshrrev_b32_e32 v3, 24, v3
	s_movk_i32 s6, 0x80
	v_and_or_b32 v5, v3, s6, v4
.LBB111_2022:
	s_or_b64 exec, exec, s[8:9]
.LBB111_2023:
	s_or_b64 exec, exec, s[4:5]
	s_mov_b64 s[4:5], 0
	global_store_byte v[0:1], v5, off
.LBB111_2024:
	s_and_b64 vcc, exec, s[4:5]
	s_cbranch_vccz .LBB111_2034
; %bb.2025:
	v_cvt_f32_i32_sdwa v3, sext(v2) dst_sel:DWORD dst_unused:UNUSED_PAD src0_sel:WORD_0
	s_mov_b32 s4, 0x43f00000
                                        ; implicit-def: $vgpr4
	v_and_b32_e32 v5, 0x7fffffff, v3
	v_cmp_gt_u32_e32 vcc, s4, v5
	s_and_saveexec_b64 s[4:5], vcc
	s_xor_b64 s[4:5], exec, s[4:5]
	s_cbranch_execz .LBB111_2031
; %bb.2026:
	s_mov_b32 s6, 0x3c7fffff
	v_cmp_lt_u32_e32 vcc, s6, v5
                                        ; implicit-def: $vgpr4
	s_and_saveexec_b64 s[6:7], vcc
	s_xor_b64 s[6:7], exec, s[6:7]
; %bb.2027:
	v_bfe_u32 v4, v3, 20, 1
	s_mov_b32 s8, 0x407ffff
	v_add3_u32 v4, v3, v4, s8
	v_lshrrev_b32_e32 v5, 20, v4
	v_and_b32_e32 v4, 0xff00000, v4
	s_mov_b32 s8, 0x7f00000
	v_mov_b32_e32 v6, 0x7e
	v_cmp_ne_u32_e32 vcc, s8, v4
	v_cndmask_b32_e32 v4, v6, v5, vcc
; %bb.2028:
	s_andn2_saveexec_b64 s[6:7], s[6:7]
; %bb.2029:
	s_mov_b32 s8, 0x46800000
	v_add_f32_e64 v4, |v3|, s8
; %bb.2030:
	s_or_b64 exec, exec, s[6:7]
                                        ; implicit-def: $vgpr5
.LBB111_2031:
	s_andn2_saveexec_b64 s[4:5], s[4:5]
; %bb.2032:
	s_mov_b32 s6, 0x7f800000
	v_mov_b32_e32 v4, 0x7e
	v_mov_b32_e32 v6, 0x7f
	v_cmp_lt_u32_e32 vcc, s6, v5
	v_cndmask_b32_e32 v4, v4, v6, vcc
; %bb.2033:
	s_or_b64 exec, exec, s[4:5]
	v_lshrrev_b32_e32 v3, 24, v3
	s_movk_i32 s4, 0x80
	v_and_or_b32 v3, v3, s4, v4
	global_store_byte v[0:1], v3, off
.LBB111_2034:
	s_mov_b64 s[4:5], 0
.LBB111_2035:
	s_andn2_b64 vcc, exec, s[4:5]
	s_cbranch_vccnz .LBB111_2045
; %bb.2036:
	v_cvt_f32_i32_sdwa v3, sext(v2) dst_sel:DWORD dst_unused:UNUSED_PAD src0_sel:WORD_0
	s_mov_b32 s4, 0x47800000
                                        ; implicit-def: $vgpr4
	v_and_b32_e32 v5, 0x7fffffff, v3
	v_cmp_gt_u32_e32 vcc, s4, v5
	s_and_saveexec_b64 s[4:5], vcc
	s_xor_b64 s[4:5], exec, s[4:5]
	s_cbranch_execz .LBB111_2042
; %bb.2037:
	s_mov_b32 s6, 0x387fffff
	v_cmp_lt_u32_e32 vcc, s6, v5
                                        ; implicit-def: $vgpr4
	s_and_saveexec_b64 s[6:7], vcc
	s_xor_b64 s[6:7], exec, s[6:7]
; %bb.2038:
	v_bfe_u32 v4, v3, 21, 1
	s_mov_b32 s8, 0x80fffff
	v_add3_u32 v4, v3, v4, s8
	v_lshrrev_b32_e32 v4, 21, v4
; %bb.2039:
	s_andn2_saveexec_b64 s[6:7], s[6:7]
; %bb.2040:
	s_mov_b32 s8, 0x43000000
	v_add_f32_e64 v4, |v3|, s8
; %bb.2041:
	s_or_b64 exec, exec, s[6:7]
                                        ; implicit-def: $vgpr5
.LBB111_2042:
	s_andn2_saveexec_b64 s[4:5], s[4:5]
; %bb.2043:
	s_mov_b32 s6, 0x7f800000
	v_mov_b32_e32 v4, 0x7c
	v_mov_b32_e32 v6, 0x7f
	v_cmp_lt_u32_e32 vcc, s6, v5
	v_cndmask_b32_e32 v4, v4, v6, vcc
; %bb.2044:
	s_or_b64 exec, exec, s[4:5]
	v_lshrrev_b32_e32 v3, 24, v3
	s_movk_i32 s4, 0x80
	v_and_or_b32 v3, v3, s4, v4
	global_store_byte v[0:1], v3, off
.LBB111_2045:
	s_mov_b64 s[4:5], 0
.LBB111_2046:
	s_andn2_b64 vcc, exec, s[4:5]
	s_mov_b64 s[4:5], 0
	s_cbranch_vccnz .LBB111_2053
; %bb.2047:
	s_cmp_gt_i32 s12, 14
	s_mov_b64 s[6:7], -1
	s_cbranch_scc0 .LBB111_2051
; %bb.2048:
	s_cmp_eq_u32 s12, 15
	s_mov_b64 s[0:1], -1
	s_cbranch_scc0 .LBB111_2050
; %bb.2049:
	v_cvt_f32_i32_sdwa v3, sext(v2) dst_sel:DWORD dst_unused:UNUSED_PAD src0_sel:WORD_0
	s_movk_i32 s0, 0x7fff
	v_bfe_u32 v4, v3, 16, 1
	v_add3_u32 v3, v3, v4, s0
	global_store_short_d16_hi v[0:1], v3, off
	s_mov_b64 s[0:1], 0
.LBB111_2050:
	s_mov_b64 s[6:7], 0
.LBB111_2051:
	s_and_b64 vcc, exec, s[6:7]
	s_cbranch_vccz .LBB111_2053
; %bb.2052:
	s_cmp_lg_u32 s12, 11
	s_mov_b64 s[4:5], -1
	s_cselect_b64 s[0:1], -1, 0
.LBB111_2053:
	s_and_b64 vcc, exec, s[0:1]
	s_cbranch_vccnz .LBB111_2119
.LBB111_2054:
	s_mov_b64 s[0:1], 0
	s_branch .LBB111_2056
.LBB111_2055:
	s_mov_b64 s[0:1], 0
	s_mov_b64 s[4:5], 0
                                        ; implicit-def: $vgpr0_vgpr1
                                        ; implicit-def: $sgpr16
                                        ; implicit-def: $vgpr2
.LBB111_2056:
	s_and_b64 s[6:7], s[4:5], exec
	s_andn2_b64 s[4:5], s[28:29], exec
	s_and_b64 s[2:3], s[2:3], exec
	s_and_b64 s[0:1], s[0:1], exec
	s_or_b64 s[28:29], s[4:5], s[2:3]
.LBB111_2057:
	s_or_b64 exec, exec, s[30:31]
	s_and_saveexec_b64 s[2:3], s[28:29]
	s_cbranch_execz .LBB111_2060
; %bb.2058:
	; divergent unreachable
	s_or_b64 exec, exec, s[2:3]
	s_and_saveexec_b64 s[2:3], s[6:7]
	s_xor_b64 s[2:3], exec, s[2:3]
	s_cbranch_execnz .LBB111_2061
.LBB111_2059:
	s_or_b64 exec, exec, s[2:3]
	s_and_saveexec_b64 s[2:3], s[0:1]
	s_cbranch_execnz .LBB111_2062
	s_branch .LBB111_2099
.LBB111_2060:
	s_or_b64 exec, exec, s[2:3]
	s_and_saveexec_b64 s[2:3], s[6:7]
	s_xor_b64 s[2:3], exec, s[2:3]
	s_cbranch_execz .LBB111_2059
.LBB111_2061:
	v_cmp_ne_u16_e32 vcc, 0, v2
	s_waitcnt vmcnt(0)
	v_cndmask_b32_e64 v3, 0, 1, vcc
	global_store_byte v[0:1], v3, off
	s_or_b64 exec, exec, s[2:3]
	s_and_saveexec_b64 s[2:3], s[0:1]
	s_cbranch_execz .LBB111_2099
.LBB111_2062:
	s_sext_i32_i16 s2, s16
	s_cmp_lt_i32 s2, 5
	s_mov_b64 s[0:1], -1
	s_cbranch_scc1 .LBB111_2083
; %bb.2063:
	s_cmp_lt_i32 s2, 8
	s_cbranch_scc1 .LBB111_2073
; %bb.2064:
	s_cmp_lt_i32 s2, 9
	s_cbranch_scc1 .LBB111_2070
; %bb.2065:
	s_cmp_gt_i32 s2, 9
	s_cbranch_scc0 .LBB111_2067
; %bb.2066:
	s_waitcnt vmcnt(0)
	v_bfe_i32 v3, v2, 0, 16
	v_cvt_f64_i32_e32 v[3:4], v3
	v_mov_b32_e32 v5, 0
	v_mov_b32_e32 v6, v5
	s_mov_b64 s[0:1], 0
	global_store_dwordx4 v[0:1], v[3:6], off
.LBB111_2067:
	s_andn2_b64 vcc, exec, s[0:1]
	s_cbranch_vccnz .LBB111_2069
; %bb.2068:
	s_waitcnt vmcnt(0)
	v_cvt_f32_i32_sdwa v3, sext(v2) dst_sel:DWORD dst_unused:UNUSED_PAD src0_sel:WORD_0
	v_mov_b32_e32 v4, 0
	global_store_dwordx2 v[0:1], v[3:4], off
.LBB111_2069:
	s_mov_b64 s[0:1], 0
.LBB111_2070:
	s_andn2_b64 vcc, exec, s[0:1]
	s_cbranch_vccnz .LBB111_2072
; %bb.2071:
	s_waitcnt vmcnt(0)
	v_cvt_f16_i16_e32 v3, v2
	global_store_dword v[0:1], v3, off
.LBB111_2072:
	s_mov_b64 s[0:1], 0
.LBB111_2073:
	s_andn2_b64 vcc, exec, s[0:1]
	s_cbranch_vccnz .LBB111_2082
; %bb.2074:
	s_sext_i32_i16 s2, s16
	s_cmp_lt_i32 s2, 6
	s_mov_b64 s[0:1], -1
	s_cbranch_scc1 .LBB111_2080
; %bb.2075:
	s_cmp_gt_i32 s2, 6
	s_cbranch_scc0 .LBB111_2077
; %bb.2076:
	s_waitcnt vmcnt(0)
	v_bfe_i32 v3, v2, 0, 16
	v_cvt_f64_i32_e32 v[3:4], v3
	s_mov_b64 s[0:1], 0
	global_store_dwordx2 v[0:1], v[3:4], off
.LBB111_2077:
	s_andn2_b64 vcc, exec, s[0:1]
	s_cbranch_vccnz .LBB111_2079
; %bb.2078:
	s_waitcnt vmcnt(0)
	v_cvt_f32_i32_sdwa v3, sext(v2) dst_sel:DWORD dst_unused:UNUSED_PAD src0_sel:WORD_0
	global_store_dword v[0:1], v3, off
.LBB111_2079:
	s_mov_b64 s[0:1], 0
.LBB111_2080:
	s_andn2_b64 vcc, exec, s[0:1]
	s_cbranch_vccnz .LBB111_2082
; %bb.2081:
	s_waitcnt vmcnt(0)
	v_cvt_f16_i16_e32 v3, v2
	global_store_short v[0:1], v3, off
.LBB111_2082:
	s_mov_b64 s[0:1], 0
.LBB111_2083:
	s_andn2_b64 vcc, exec, s[0:1]
	s_cbranch_vccnz .LBB111_2099
; %bb.2084:
	s_sext_i32_i16 s2, s16
	s_cmp_lt_i32 s2, 2
	s_mov_b64 s[0:1], -1
	s_cbranch_scc1 .LBB111_2094
; %bb.2085:
	s_cmp_lt_i32 s2, 3
	s_cbranch_scc1 .LBB111_2091
; %bb.2086:
	s_cmp_gt_i32 s2, 3
	s_cbranch_scc0 .LBB111_2088
; %bb.2087:
	s_waitcnt vmcnt(0)
	v_bfe_i32 v3, v2, 0, 16
	v_ashrrev_i32_e32 v4, 31, v3
	global_store_dwordx2 v[0:1], v[3:4], off
	s_mov_b64 s[0:1], 0
.LBB111_2088:
	s_andn2_b64 vcc, exec, s[0:1]
	s_cbranch_vccnz .LBB111_2090
; %bb.2089:
	s_waitcnt vmcnt(0)
	v_bfe_i32 v3, v2, 0, 16
	global_store_dword v[0:1], v3, off
.LBB111_2090:
	s_mov_b64 s[0:1], 0
.LBB111_2091:
	s_andn2_b64 vcc, exec, s[0:1]
	s_cbranch_vccnz .LBB111_2093
; %bb.2092:
	global_store_short v[0:1], v2, off
.LBB111_2093:
	s_mov_b64 s[0:1], 0
.LBB111_2094:
	s_andn2_b64 vcc, exec, s[0:1]
	s_cbranch_vccnz .LBB111_2099
; %bb.2095:
	s_sext_i32_i16 s0, s16
	s_cmp_gt_i32 s0, 0
	s_mov_b64 s[0:1], -1
	s_cbranch_scc0 .LBB111_2097
; %bb.2096:
	global_store_byte v[0:1], v2, off
	s_mov_b64 s[0:1], 0
.LBB111_2097:
	s_andn2_b64 vcc, exec, s[0:1]
	s_cbranch_vccnz .LBB111_2099
; %bb.2098:
	global_store_byte v[0:1], v2, off
	s_endpgm
.LBB111_2099:
	s_endpgm
.LBB111_2100:
	s_mov_b64 s[4:5], 0
	s_mov_b64 s[0:1], -1
	s_branch .LBB111_2056
.LBB111_2101:
	s_trap 2
	s_or_b64 s[2:3], s[2:3], exec
	s_cbranch_execz .LBB111_1570
	s_branch .LBB111_1571
.LBB111_2102:
	s_andn2_saveexec_b64 s[14:15], s[14:15]
	s_cbranch_execz .LBB111_1650
.LBB111_2103:
	s_mov_b32 s20, 0x46000000
	v_add_f32_e64 v8, |v3|, s20
	v_and_b32_e32 v8, 0xff, v8
	v_cmp_ne_u32_e32 vcc, 0, v8
	s_andn2_b64 s[12:13], s[12:13], exec
	s_and_b64 s[20:21], vcc, exec
	s_or_b64 s[12:13], s[12:13], s[20:21]
	s_or_b64 exec, exec, s[14:15]
	v_mov_b32_e32 v10, 0
	s_and_saveexec_b64 s[14:15], s[12:13]
	s_cbranch_execnz .LBB111_1651
	s_branch .LBB111_1652
.LBB111_2104:
	s_trap 2
	s_or_b64 s[2:3], s[2:3], exec
	s_cbranch_execz .LBB111_1698
	s_branch .LBB111_1699
.LBB111_2105:
	s_andn2_saveexec_b64 s[12:13], s[12:13]
	s_cbranch_execz .LBB111_1663
.LBB111_2106:
	s_mov_b32 s14, 0x42800000
	v_add_f32_e64 v8, |v3|, s14
	v_and_b32_e32 v8, 0xff, v8
	v_cmp_ne_u32_e32 vcc, 0, v8
	s_andn2_b64 s[10:11], s[10:11], exec
	s_and_b64 s[14:15], vcc, exec
	s_or_b64 s[10:11], s[10:11], s[14:15]
	s_or_b64 exec, exec, s[12:13]
	v_mov_b32_e32 v10, 0
	s_and_saveexec_b64 s[12:13], s[10:11]
	s_cbranch_execnz .LBB111_1664
	s_branch .LBB111_1665
.LBB111_2107:
	s_andn2_saveexec_b64 s[14:15], s[14:15]
	s_cbranch_execz .LBB111_1769
.LBB111_2108:
	s_mov_b32 s19, 0x46000000
	v_add_f32_e64 v6, |v5|, s19
	v_and_b32_e32 v6, 0xff, v6
	v_cmp_ne_u32_e32 vcc, 0, v6
	s_andn2_b64 s[12:13], s[12:13], exec
	s_and_b64 s[20:21], vcc, exec
	s_or_b64 s[12:13], s[12:13], s[20:21]
	s_or_b64 exec, exec, s[14:15]
	v_mov_b32_e32 v8, 0
	s_and_saveexec_b64 s[14:15], s[12:13]
	s_cbranch_execnz .LBB111_1770
	s_branch .LBB111_1771
.LBB111_2109:
	s_trap 2
	s_or_b64 s[2:3], s[2:3], exec
	s_cbranch_execz .LBB111_1817
	s_branch .LBB111_1818
.LBB111_2110:
	s_andn2_saveexec_b64 s[12:13], s[12:13]
	s_cbranch_execz .LBB111_1782
.LBB111_2111:
	s_mov_b32 s14, 0x42800000
	v_add_f32_e64 v6, |v5|, s14
	v_and_b32_e32 v6, 0xff, v6
	v_cmp_ne_u32_e32 vcc, 0, v6
	s_andn2_b64 s[10:11], s[10:11], exec
	s_and_b64 s[14:15], vcc, exec
	s_or_b64 s[10:11], s[10:11], s[14:15]
	s_or_b64 exec, exec, s[12:13]
	v_mov_b32_e32 v8, 0
	s_and_saveexec_b64 s[12:13], s[10:11]
	s_cbranch_execnz .LBB111_1783
	s_branch .LBB111_1784
.LBB111_2112:
	s_andn2_saveexec_b64 s[14:15], s[14:15]
	s_cbranch_execz .LBB111_1888
.LBB111_2113:
	s_mov_b32 s19, 0x46000000
	v_add_f32_e64 v4, |v3|, s19
	v_and_b32_e32 v4, 0xff, v4
	v_cmp_ne_u32_e32 vcc, 0, v4
	s_andn2_b64 s[12:13], s[12:13], exec
	s_and_b64 s[20:21], vcc, exec
	s_or_b64 s[12:13], s[12:13], s[20:21]
	s_or_b64 exec, exec, s[14:15]
	v_mov_b32_e32 v6, 0
	s_and_saveexec_b64 s[14:15], s[12:13]
	s_cbranch_execnz .LBB111_1889
	s_branch .LBB111_1890
.LBB111_2114:
	s_trap 2
	s_or_b64 s[2:3], s[2:3], exec
	s_cbranch_execz .LBB111_1936
	s_branch .LBB111_1937
.LBB111_2115:
	s_andn2_saveexec_b64 s[12:13], s[12:13]
	s_cbranch_execz .LBB111_1901
.LBB111_2116:
	s_mov_b32 s14, 0x42800000
	v_add_f32_e64 v4, |v3|, s14
	v_and_b32_e32 v4, 0xff, v4
	v_cmp_ne_u32_e32 vcc, 0, v4
	s_andn2_b64 s[10:11], s[10:11], exec
	s_and_b64 s[14:15], vcc, exec
	s_or_b64 s[10:11], s[10:11], s[14:15]
	s_or_b64 exec, exec, s[12:13]
	v_mov_b32_e32 v6, 0
	s_and_saveexec_b64 s[12:13], s[10:11]
	s_cbranch_execnz .LBB111_1902
	s_branch .LBB111_1903
.LBB111_2117:
	s_andn2_saveexec_b64 s[10:11], s[10:11]
	s_cbranch_execz .LBB111_2008
.LBB111_2118:
	s_mov_b32 s13, 0x46000000
	v_add_f32_e64 v4, |v3|, s13
	v_and_b32_e32 v4, 0xff, v4
	v_cmp_ne_u32_e32 vcc, 0, v4
	s_andn2_b64 s[8:9], s[8:9], exec
	s_and_b64 s[14:15], vcc, exec
	s_or_b64 s[8:9], s[8:9], s[14:15]
	s_or_b64 exec, exec, s[10:11]
	v_mov_b32_e32 v5, 0
	s_and_saveexec_b64 s[10:11], s[8:9]
	s_cbranch_execnz .LBB111_2009
	s_branch .LBB111_2010
.LBB111_2119:
	s_mov_b64 s[4:5], 0
	s_or_b64 s[2:3], s[2:3], exec
	s_trap 2
	s_branch .LBB111_2054
.LBB111_2120:
	s_andn2_saveexec_b64 s[8:9], s[8:9]
	s_cbranch_execz .LBB111_2020
.LBB111_2121:
	s_mov_b32 s10, 0x42800000
	v_add_f32_e64 v4, |v3|, s10
	v_and_b32_e32 v4, 0xff, v4
	v_cmp_ne_u32_e32 vcc, 0, v4
	s_andn2_b64 s[6:7], s[6:7], exec
	s_and_b64 s[10:11], vcc, exec
	s_or_b64 s[6:7], s[6:7], s[10:11]
	s_or_b64 exec, exec, s[8:9]
	v_mov_b32_e32 v5, 0
	s_and_saveexec_b64 s[8:9], s[6:7]
	s_cbranch_execnz .LBB111_2021
	s_branch .LBB111_2022
	.section	.rodata,"a",@progbits
	.p2align	6, 0x0
	.amdhsa_kernel _ZN2at6native32elementwise_kernel_manual_unrollILi128ELi4EZNS0_15gpu_kernel_implINS0_13BUnaryFunctorIsssZNS0_12_GLOBAL__N_121threshold_kernel_implIsEEvRNS_18TensorIteratorBaseET_S8_EUlssE_EEEEvS7_RKS8_EUlibE0_EEviT1_
		.amdhsa_group_segment_fixed_size 0
		.amdhsa_private_segment_fixed_size 0
		.amdhsa_kernarg_size 360
		.amdhsa_user_sgpr_count 6
		.amdhsa_user_sgpr_private_segment_buffer 1
		.amdhsa_user_sgpr_dispatch_ptr 0
		.amdhsa_user_sgpr_queue_ptr 0
		.amdhsa_user_sgpr_kernarg_segment_ptr 1
		.amdhsa_user_sgpr_dispatch_id 0
		.amdhsa_user_sgpr_flat_scratch_init 0
		.amdhsa_user_sgpr_private_segment_size 0
		.amdhsa_uses_dynamic_stack 0
		.amdhsa_system_sgpr_private_segment_wavefront_offset 0
		.amdhsa_system_sgpr_workgroup_id_x 1
		.amdhsa_system_sgpr_workgroup_id_y 0
		.amdhsa_system_sgpr_workgroup_id_z 0
		.amdhsa_system_sgpr_workgroup_info 0
		.amdhsa_system_vgpr_workitem_id 0
		.amdhsa_next_free_vgpr 18
		.amdhsa_next_free_sgpr 81
		.amdhsa_reserve_vcc 1
		.amdhsa_reserve_flat_scratch 0
		.amdhsa_float_round_mode_32 0
		.amdhsa_float_round_mode_16_64 0
		.amdhsa_float_denorm_mode_32 3
		.amdhsa_float_denorm_mode_16_64 3
		.amdhsa_dx10_clamp 1
		.amdhsa_ieee_mode 1
		.amdhsa_fp16_overflow 0
		.amdhsa_exception_fp_ieee_invalid_op 0
		.amdhsa_exception_fp_denorm_src 0
		.amdhsa_exception_fp_ieee_div_zero 0
		.amdhsa_exception_fp_ieee_overflow 0
		.amdhsa_exception_fp_ieee_underflow 0
		.amdhsa_exception_fp_ieee_inexact 0
		.amdhsa_exception_int_div_zero 0
	.end_amdhsa_kernel
	.section	.text._ZN2at6native32elementwise_kernel_manual_unrollILi128ELi4EZNS0_15gpu_kernel_implINS0_13BUnaryFunctorIsssZNS0_12_GLOBAL__N_121threshold_kernel_implIsEEvRNS_18TensorIteratorBaseET_S8_EUlssE_EEEEvS7_RKS8_EUlibE0_EEviT1_,"axG",@progbits,_ZN2at6native32elementwise_kernel_manual_unrollILi128ELi4EZNS0_15gpu_kernel_implINS0_13BUnaryFunctorIsssZNS0_12_GLOBAL__N_121threshold_kernel_implIsEEvRNS_18TensorIteratorBaseET_S8_EUlssE_EEEEvS7_RKS8_EUlibE0_EEviT1_,comdat
.Lfunc_end111:
	.size	_ZN2at6native32elementwise_kernel_manual_unrollILi128ELi4EZNS0_15gpu_kernel_implINS0_13BUnaryFunctorIsssZNS0_12_GLOBAL__N_121threshold_kernel_implIsEEvRNS_18TensorIteratorBaseET_S8_EUlssE_EEEEvS7_RKS8_EUlibE0_EEviT1_, .Lfunc_end111-_ZN2at6native32elementwise_kernel_manual_unrollILi128ELi4EZNS0_15gpu_kernel_implINS0_13BUnaryFunctorIsssZNS0_12_GLOBAL__N_121threshold_kernel_implIsEEvRNS_18TensorIteratorBaseET_S8_EUlssE_EEEEvS7_RKS8_EUlibE0_EEviT1_
                                        ; -- End function
	.set _ZN2at6native32elementwise_kernel_manual_unrollILi128ELi4EZNS0_15gpu_kernel_implINS0_13BUnaryFunctorIsssZNS0_12_GLOBAL__N_121threshold_kernel_implIsEEvRNS_18TensorIteratorBaseET_S8_EUlssE_EEEEvS7_RKS8_EUlibE0_EEviT1_.num_vgpr, 18
	.set _ZN2at6native32elementwise_kernel_manual_unrollILi128ELi4EZNS0_15gpu_kernel_implINS0_13BUnaryFunctorIsssZNS0_12_GLOBAL__N_121threshold_kernel_implIsEEvRNS_18TensorIteratorBaseET_S8_EUlssE_EEEEvS7_RKS8_EUlibE0_EEviT1_.num_agpr, 0
	.set _ZN2at6native32elementwise_kernel_manual_unrollILi128ELi4EZNS0_15gpu_kernel_implINS0_13BUnaryFunctorIsssZNS0_12_GLOBAL__N_121threshold_kernel_implIsEEvRNS_18TensorIteratorBaseET_S8_EUlssE_EEEEvS7_RKS8_EUlibE0_EEviT1_.numbered_sgpr, 81
	.set _ZN2at6native32elementwise_kernel_manual_unrollILi128ELi4EZNS0_15gpu_kernel_implINS0_13BUnaryFunctorIsssZNS0_12_GLOBAL__N_121threshold_kernel_implIsEEvRNS_18TensorIteratorBaseET_S8_EUlssE_EEEEvS7_RKS8_EUlibE0_EEviT1_.num_named_barrier, 0
	.set _ZN2at6native32elementwise_kernel_manual_unrollILi128ELi4EZNS0_15gpu_kernel_implINS0_13BUnaryFunctorIsssZNS0_12_GLOBAL__N_121threshold_kernel_implIsEEvRNS_18TensorIteratorBaseET_S8_EUlssE_EEEEvS7_RKS8_EUlibE0_EEviT1_.private_seg_size, 0
	.set _ZN2at6native32elementwise_kernel_manual_unrollILi128ELi4EZNS0_15gpu_kernel_implINS0_13BUnaryFunctorIsssZNS0_12_GLOBAL__N_121threshold_kernel_implIsEEvRNS_18TensorIteratorBaseET_S8_EUlssE_EEEEvS7_RKS8_EUlibE0_EEviT1_.uses_vcc, 1
	.set _ZN2at6native32elementwise_kernel_manual_unrollILi128ELi4EZNS0_15gpu_kernel_implINS0_13BUnaryFunctorIsssZNS0_12_GLOBAL__N_121threshold_kernel_implIsEEvRNS_18TensorIteratorBaseET_S8_EUlssE_EEEEvS7_RKS8_EUlibE0_EEviT1_.uses_flat_scratch, 0
	.set _ZN2at6native32elementwise_kernel_manual_unrollILi128ELi4EZNS0_15gpu_kernel_implINS0_13BUnaryFunctorIsssZNS0_12_GLOBAL__N_121threshold_kernel_implIsEEvRNS_18TensorIteratorBaseET_S8_EUlssE_EEEEvS7_RKS8_EUlibE0_EEviT1_.has_dyn_sized_stack, 0
	.set _ZN2at6native32elementwise_kernel_manual_unrollILi128ELi4EZNS0_15gpu_kernel_implINS0_13BUnaryFunctorIsssZNS0_12_GLOBAL__N_121threshold_kernel_implIsEEvRNS_18TensorIteratorBaseET_S8_EUlssE_EEEEvS7_RKS8_EUlibE0_EEviT1_.has_recursion, 0
	.set _ZN2at6native32elementwise_kernel_manual_unrollILi128ELi4EZNS0_15gpu_kernel_implINS0_13BUnaryFunctorIsssZNS0_12_GLOBAL__N_121threshold_kernel_implIsEEvRNS_18TensorIteratorBaseET_S8_EUlssE_EEEEvS7_RKS8_EUlibE0_EEviT1_.has_indirect_call, 0
	.section	.AMDGPU.csdata,"",@progbits
; Kernel info:
; codeLenInByte = 35228
; TotalNumSgprs: 85
; NumVgprs: 18
; ScratchSize: 0
; MemoryBound: 1
; FloatMode: 240
; IeeeMode: 1
; LDSByteSize: 0 bytes/workgroup (compile time only)
; SGPRBlocks: 10
; VGPRBlocks: 4
; NumSGPRsForWavesPerEU: 85
; NumVGPRsForWavesPerEU: 18
; Occupancy: 9
; WaveLimiterHint : 1
; COMPUTE_PGM_RSRC2:SCRATCH_EN: 0
; COMPUTE_PGM_RSRC2:USER_SGPR: 6
; COMPUTE_PGM_RSRC2:TRAP_HANDLER: 0
; COMPUTE_PGM_RSRC2:TGID_X_EN: 1
; COMPUTE_PGM_RSRC2:TGID_Y_EN: 0
; COMPUTE_PGM_RSRC2:TGID_Z_EN: 0
; COMPUTE_PGM_RSRC2:TIDIG_COMP_CNT: 0
	.section	.text._ZN2at6native29vectorized_elementwise_kernelILi16ENS0_13BinaryFunctorIsssZNS0_12_GLOBAL__N_121threshold_kernel_implIsEEvRNS_18TensorIteratorBaseET_S7_EUlssE_EESt5arrayIPcLm3EEEEviT0_T1_,"axG",@progbits,_ZN2at6native29vectorized_elementwise_kernelILi16ENS0_13BinaryFunctorIsssZNS0_12_GLOBAL__N_121threshold_kernel_implIsEEvRNS_18TensorIteratorBaseET_S7_EUlssE_EESt5arrayIPcLm3EEEEviT0_T1_,comdat
	.globl	_ZN2at6native29vectorized_elementwise_kernelILi16ENS0_13BinaryFunctorIsssZNS0_12_GLOBAL__N_121threshold_kernel_implIsEEvRNS_18TensorIteratorBaseET_S7_EUlssE_EESt5arrayIPcLm3EEEEviT0_T1_ ; -- Begin function _ZN2at6native29vectorized_elementwise_kernelILi16ENS0_13BinaryFunctorIsssZNS0_12_GLOBAL__N_121threshold_kernel_implIsEEvRNS_18TensorIteratorBaseET_S7_EUlssE_EESt5arrayIPcLm3EEEEviT0_T1_
	.p2align	8
	.type	_ZN2at6native29vectorized_elementwise_kernelILi16ENS0_13BinaryFunctorIsssZNS0_12_GLOBAL__N_121threshold_kernel_implIsEEvRNS_18TensorIteratorBaseET_S7_EUlssE_EESt5arrayIPcLm3EEEEviT0_T1_,@function
_ZN2at6native29vectorized_elementwise_kernelILi16ENS0_13BinaryFunctorIsssZNS0_12_GLOBAL__N_121threshold_kernel_implIsEEvRNS_18TensorIteratorBaseET_S7_EUlssE_EESt5arrayIPcLm3EEEEviT0_T1_: ; @_ZN2at6native29vectorized_elementwise_kernelILi16ENS0_13BinaryFunctorIsssZNS0_12_GLOBAL__N_121threshold_kernel_implIsEEvRNS_18TensorIteratorBaseET_S7_EUlssE_EESt5arrayIPcLm3EEEEviT0_T1_
; %bb.0:
	s_load_dwordx2 s[14:15], s[4:5], 0x0
	s_load_dwordx4 s[8:11], s[4:5], 0x8
	s_load_dwordx2 s[16:17], s[4:5], 0x18
	s_lshl_b32 s12, s6, 11
	s_mov_b64 s[0:1], -1
	s_waitcnt lgkmcnt(0)
	s_sub_i32 s14, s14, s12
	s_lshr_b32 s18, s15, 16
	s_cmpk_gt_i32 s14, 0x7ff
	s_cbranch_scc0 .LBB112_2
; %bb.1:
	s_ashr_i32 s13, s12, 31
	s_lshl_b64 s[0:1], s[12:13], 1
	s_add_u32 s2, s10, s0
	s_addc_u32 s3, s11, s1
	v_lshlrev_b32_e32 v9, 4, v0
	global_load_dwordx4 v[1:4], v9, s[2:3]
	s_add_u32 s2, s16, s0
	s_addc_u32 s3, s17, s1
	global_load_dwordx4 v[5:8], v9, s[2:3]
	v_mov_b32_e32 v10, s18
	s_add_u32 s20, s8, s0
	s_addc_u32 s21, s9, s1
	s_mov_b32 s13, 0x5040100
	s_waitcnt vmcnt(1)
	v_cmp_gt_i16_sdwa vcc, v1, s15 src0_sel:WORD_1 src1_sel:DWORD
	v_cmp_lt_i16_e64 s[6:7], s15, v1
	v_cmp_gt_i16_sdwa s[0:1], v2, s15 src0_sel:WORD_1 src1_sel:DWORD
	s_waitcnt vmcnt(0)
	v_cndmask_b32_e64 v1, v10, v5, s[6:7]
	v_cndmask_b32_sdwa v5, v10, v5, vcc dst_sel:DWORD dst_unused:UNUSED_PAD src0_sel:DWORD src1_sel:WORD_1
	v_cmp_lt_i16_e32 vcc, s15, v2
	v_cndmask_b32_e32 v2, v10, v6, vcc
	v_cmp_lt_i16_e32 vcc, s15, v3
	v_cmp_gt_i16_sdwa s[2:3], v3, s15 src0_sel:WORD_1 src1_sel:DWORD
	v_cndmask_b32_e32 v3, v10, v7, vcc
	v_cmp_lt_i16_e32 vcc, s15, v4
	v_cmp_gt_i16_sdwa s[4:5], v4, s15 src0_sel:WORD_1 src1_sel:DWORD
	v_cndmask_b32_e32 v4, v10, v8, vcc
	s_mov_b64 vcc, s[0:1]
	v_cndmask_b32_sdwa v6, v10, v6, vcc dst_sel:DWORD dst_unused:UNUSED_PAD src0_sel:DWORD src1_sel:WORD_1
	s_mov_b64 vcc, s[2:3]
	v_perm_b32 v1, v5, v1, s13
	v_cndmask_b32_sdwa v5, v10, v7, vcc dst_sel:DWORD dst_unused:UNUSED_PAD src0_sel:DWORD src1_sel:WORD_1
	s_mov_b64 vcc, s[4:5]
	v_perm_b32 v2, v6, v2, s13
	v_cndmask_b32_sdwa v6, v10, v8, vcc dst_sel:DWORD dst_unused:UNUSED_PAD src0_sel:DWORD src1_sel:WORD_1
	v_perm_b32 v3, v5, v3, s13
	v_perm_b32 v4, v6, v4, s13
	global_store_dwordx4 v9, v[1:4], s[20:21]
	s_mov_b64 s[0:1], 0
.LBB112_2:
	s_andn2_b64 vcc, exec, s[0:1]
	s_cbranch_vccnz .LBB112_28
; %bb.3:
	v_cmp_gt_i32_e64 s[0:1], s14, v0
	v_mov_b32_e32 v3, 0
	v_or_b32_e32 v1, s12, v0
	v_mov_b32_e32 v2, 0
	v_mov_b32_e32 v4, 0
	v_mov_b32_e32 v6, v0
	s_and_saveexec_b64 s[2:3], s[0:1]
	s_cbranch_execz .LBB112_5
; %bb.4:
	v_mov_b32_e32 v2, 0
	v_lshlrev_b64 v[4:5], 1, v[1:2]
	v_mov_b32_e32 v2, s17
	v_add_co_u32_e32 v6, vcc, s16, v4
	v_addc_co_u32_e32 v7, vcc, v2, v5, vcc
	v_mov_b32_e32 v2, s11
	v_add_co_u32_e32 v8, vcc, s10, v4
	v_addc_co_u32_e32 v9, vcc, v2, v5, vcc
	global_load_ushort v2, v[8:9], off
	global_load_ushort v4, v[6:7], off
	v_or_b32_e32 v6, 0x100, v0
.LBB112_5:
	s_or_b64 exec, exec, s[2:3]
	v_cmp_gt_i32_e32 vcc, s14, v6
	v_mov_b32_e32 v5, 0
	s_and_saveexec_b64 s[2:3], vcc
	s_cbranch_execz .LBB112_7
; %bb.6:
	v_add_u32_e32 v7, s12, v6
	v_mov_b32_e32 v8, 0
	v_lshlrev_b64 v[7:8], 1, v[7:8]
	v_mov_b32_e32 v3, s17
	v_add_co_u32_e32 v9, vcc, s16, v7
	v_addc_co_u32_e32 v10, vcc, v3, v8, vcc
	v_mov_b32_e32 v3, s11
	v_add_co_u32_e32 v7, vcc, s10, v7
	v_addc_co_u32_e32 v8, vcc, v3, v8, vcc
	global_load_ushort v3, v[7:8], off
	global_load_ushort v5, v[9:10], off
	v_add_u32_e32 v6, 0x100, v6
.LBB112_7:
	s_or_b64 exec, exec, s[2:3]
	v_cmp_gt_i32_e32 vcc, s14, v6
	v_mov_b32_e32 v7, 0
	v_mov_b32_e32 v8, 0
	v_mov_b32_e32 v9, 0
	s_and_saveexec_b64 s[2:3], vcc
	s_cbranch_execz .LBB112_9
; %bb.8:
	v_add_u32_e32 v8, s12, v6
	v_mov_b32_e32 v9, 0
	v_lshlrev_b64 v[8:9], 1, v[8:9]
	v_mov_b32_e32 v11, s17
	v_add_co_u32_e32 v10, vcc, s16, v8
	v_addc_co_u32_e32 v11, vcc, v11, v9, vcc
	v_mov_b32_e32 v13, s11
	v_add_co_u32_e32 v12, vcc, s10, v8
	v_addc_co_u32_e32 v13, vcc, v13, v9, vcc
	global_load_ushort v8, v[12:13], off
	global_load_ushort v9, v[10:11], off
	v_add_u32_e32 v6, 0x100, v6
.LBB112_9:
	s_or_b64 exec, exec, s[2:3]
	v_cmp_gt_i32_e32 vcc, s14, v6
	v_mov_b32_e32 v10, 0
	s_and_saveexec_b64 s[2:3], vcc
	s_cbranch_execz .LBB112_11
; %bb.10:
	v_add_u32_e32 v10, s12, v6
	v_mov_b32_e32 v11, 0
	v_lshlrev_b64 v[10:11], 1, v[10:11]
	v_mov_b32_e32 v7, s17
	v_add_co_u32_e32 v12, vcc, s16, v10
	v_addc_co_u32_e32 v13, vcc, v7, v11, vcc
	v_mov_b32_e32 v7, s11
	v_add_co_u32_e32 v14, vcc, s10, v10
	v_addc_co_u32_e32 v15, vcc, v7, v11, vcc
	global_load_ushort v7, v[14:15], off
	global_load_ushort v10, v[12:13], off
	v_add_u32_e32 v6, 0x100, v6
.LBB112_11:
	s_or_b64 exec, exec, s[2:3]
	v_cmp_gt_i32_e32 vcc, s14, v6
	v_mov_b32_e32 v11, 0
	v_mov_b32_e32 v12, 0
	v_mov_b32_e32 v13, 0
	s_and_saveexec_b64 s[2:3], vcc
	s_cbranch_execz .LBB112_13
; %bb.12:
	v_add_u32_e32 v12, s12, v6
	v_mov_b32_e32 v13, 0
	v_lshlrev_b64 v[12:13], 1, v[12:13]
	v_mov_b32_e32 v15, s17
	v_add_co_u32_e32 v14, vcc, s16, v12
	v_addc_co_u32_e32 v15, vcc, v15, v13, vcc
	v_mov_b32_e32 v17, s11
	v_add_co_u32_e32 v16, vcc, s10, v12
	v_addc_co_u32_e32 v17, vcc, v17, v13, vcc
	global_load_ushort v12, v[16:17], off
	global_load_ushort v13, v[14:15], off
	v_add_u32_e32 v6, 0x100, v6
.LBB112_13:
	s_or_b64 exec, exec, s[2:3]
	v_cmp_gt_i32_e32 vcc, s14, v6
	v_mov_b32_e32 v14, 0
	s_and_saveexec_b64 s[2:3], vcc
	s_cbranch_execz .LBB112_15
; %bb.14:
	v_add_u32_e32 v14, s12, v6
	v_mov_b32_e32 v15, 0
	v_lshlrev_b64 v[14:15], 1, v[14:15]
	v_mov_b32_e32 v11, s17
	v_add_co_u32_e32 v16, vcc, s16, v14
	v_addc_co_u32_e32 v17, vcc, v11, v15, vcc
	v_mov_b32_e32 v11, s11
	v_add_co_u32_e32 v18, vcc, s10, v14
	v_addc_co_u32_e32 v19, vcc, v11, v15, vcc
	global_load_ushort v11, v[18:19], off
	global_load_ushort v14, v[16:17], off
	v_add_u32_e32 v6, 0x100, v6
.LBB112_15:
	s_or_b64 exec, exec, s[2:3]
	v_cmp_gt_i32_e32 vcc, s14, v6
	v_mov_b32_e32 v15, 0
	v_mov_b32_e32 v16, 0
	v_mov_b32_e32 v17, 0
	s_and_saveexec_b64 s[2:3], vcc
	s_cbranch_execz .LBB112_17
; %bb.16:
	v_add_u32_e32 v16, s12, v6
	v_mov_b32_e32 v17, 0
	v_lshlrev_b64 v[16:17], 1, v[16:17]
	v_mov_b32_e32 v19, s17
	v_add_co_u32_e32 v18, vcc, s16, v16
	v_addc_co_u32_e32 v19, vcc, v19, v17, vcc
	v_mov_b32_e32 v21, s11
	v_add_co_u32_e32 v20, vcc, s10, v16
	v_addc_co_u32_e32 v21, vcc, v21, v17, vcc
	global_load_ushort v16, v[20:21], off
	global_load_ushort v17, v[18:19], off
	v_add_u32_e32 v6, 0x100, v6
.LBB112_17:
	s_or_b64 exec, exec, s[2:3]
	v_cmp_gt_i32_e32 vcc, s14, v6
	v_mov_b32_e32 v18, 0
	s_and_saveexec_b64 s[2:3], vcc
	s_cbranch_execz .LBB112_19
; %bb.18:
	v_add_u32_e32 v18, s12, v6
	v_mov_b32_e32 v19, 0
	v_lshlrev_b64 v[18:19], 1, v[18:19]
	v_mov_b32_e32 v6, s17
	v_add_co_u32_e32 v20, vcc, s16, v18
	v_addc_co_u32_e32 v21, vcc, v6, v19, vcc
	v_mov_b32_e32 v6, s11
	v_add_co_u32_e32 v22, vcc, s10, v18
	v_addc_co_u32_e32 v23, vcc, v6, v19, vcc
	global_load_ushort v15, v[22:23], off
	global_load_ushort v18, v[20:21], off
.LBB112_19:
	s_or_b64 exec, exec, s[2:3]
	v_mov_b32_e32 v20, s18
	s_waitcnt vmcnt(1)
	v_cmp_lt_i16_e64 s[2:3], s15, v2
	s_mov_b64 vcc, s[0:1]
	s_waitcnt vmcnt(0)
	v_cndmask_b32_e64 v4, v20, v4, s[2:3]
	v_mov_b32_e32 v2, 0
	v_cndmask_b32_sdwa v4, v2, v4, vcc dst_sel:DWORD dst_unused:UNUSED_PAD src0_sel:DWORD src1_sel:WORD_0
	v_cmp_lt_i16_e32 vcc, s15, v3
	v_or_b32_e32 v19, 0x100, v0
	v_cndmask_b32_e32 v3, v20, v5, vcc
	s_mov_b32 s4, 0x5040100
	v_perm_b32 v3, v3, v4, s4
	v_cmp_gt_i32_e32 vcc, s14, v19
	v_cndmask_b32_e32 v6, v4, v3, vcc
	v_cmp_lt_i16_e32 vcc, s15, v8
	v_or_b32_e32 v3, 0x200, v0
	v_cndmask_b32_e32 v4, v20, v9, vcc
	v_and_b32_e32 v4, 0xffff, v4
	v_cmp_gt_i32_e32 vcc, s14, v3
	v_cndmask_b32_e32 v3, 0, v4, vcc
	v_cmp_lt_i16_e32 vcc, s15, v7
	v_or_b32_e32 v4, 0x300, v0
	v_cndmask_b32_e32 v5, v20, v10, vcc
	v_perm_b32 v5, v5, v3, s4
	v_cmp_gt_i32_e32 vcc, s14, v4
	v_cndmask_b32_e32 v5, v3, v5, vcc
	v_cmp_lt_i16_e32 vcc, s15, v12
	v_or_b32_e32 v3, 0x400, v0
	v_cndmask_b32_e32 v4, v20, v13, vcc
	v_and_b32_e32 v4, 0xffff, v4
	v_cmp_gt_i32_e32 vcc, s14, v3
	v_cndmask_b32_e32 v3, 0, v4, vcc
	v_cmp_lt_i16_e32 vcc, s15, v11
	v_or_b32_e32 v4, 0x500, v0
	v_cndmask_b32_e32 v7, v20, v14, vcc
	v_perm_b32 v7, v7, v3, s4
	v_cmp_gt_i32_e32 vcc, s14, v4
	v_cndmask_b32_e32 v4, v3, v7, vcc
	v_or_b32_e32 v3, 0x600, v0
	v_cmp_lt_i16_e64 s[2:3], s15, v16
	v_cmp_gt_i32_e32 vcc, s14, v3
	v_cndmask_b32_e64 v3, v20, v17, s[2:3]
	v_cndmask_b32_sdwa v3, v2, v3, vcc dst_sel:DWORD dst_unused:UNUSED_PAD src0_sel:DWORD src1_sel:WORD_0
	v_cmp_lt_i16_e32 vcc, s15, v15
	v_or_b32_e32 v7, 0x700, v0
	v_cndmask_b32_e32 v8, v20, v18, vcc
	v_perm_b32 v8, v8, v3, s4
	v_cmp_gt_i32_e32 vcc, s14, v7
	v_cndmask_b32_e32 v3, v3, v8, vcc
	s_and_saveexec_b64 s[2:3], s[0:1]
	s_cbranch_execnz .LBB112_29
; %bb.20:
	s_or_b64 exec, exec, s[2:3]
	v_cmp_gt_i32_e32 vcc, s14, v0
	s_and_saveexec_b64 s[0:1], vcc
	s_cbranch_execnz .LBB112_30
.LBB112_21:
	s_or_b64 exec, exec, s[0:1]
	v_cmp_gt_i32_e32 vcc, s14, v0
	s_and_saveexec_b64 s[0:1], vcc
	s_cbranch_execnz .LBB112_31
.LBB112_22:
	s_or_b64 exec, exec, s[0:1]
	v_cmp_gt_i32_e32 vcc, s14, v0
	s_and_saveexec_b64 s[0:1], vcc
	s_cbranch_execnz .LBB112_32
.LBB112_23:
	s_or_b64 exec, exec, s[0:1]
	v_cmp_gt_i32_e32 vcc, s14, v0
	s_and_saveexec_b64 s[0:1], vcc
	s_cbranch_execnz .LBB112_33
.LBB112_24:
	s_or_b64 exec, exec, s[0:1]
	v_cmp_gt_i32_e32 vcc, s14, v0
	s_and_saveexec_b64 s[0:1], vcc
	s_cbranch_execnz .LBB112_34
.LBB112_25:
	s_or_b64 exec, exec, s[0:1]
	v_cmp_gt_i32_e32 vcc, s14, v0
	s_and_saveexec_b64 s[0:1], vcc
	s_cbranch_execnz .LBB112_35
.LBB112_26:
	s_or_b64 exec, exec, s[0:1]
	v_cmp_gt_i32_e32 vcc, s14, v0
	s_and_saveexec_b64 s[0:1], vcc
	s_cbranch_execz .LBB112_28
.LBB112_27:
	v_add_u32_e32 v0, s12, v0
	v_mov_b32_e32 v1, 0
	v_lshlrev_b64 v[0:1], 1, v[0:1]
	v_mov_b32_e32 v2, s9
	v_add_co_u32_e32 v0, vcc, s8, v0
	v_addc_co_u32_e32 v1, vcc, v2, v1, vcc
	global_store_short_d16_hi v[0:1], v3, off
.LBB112_28:
	s_endpgm
.LBB112_29:
	v_lshlrev_b64 v[0:1], 1, v[1:2]
	v_mov_b32_e32 v2, s9
	v_add_co_u32_e32 v0, vcc, s8, v0
	v_addc_co_u32_e32 v1, vcc, v2, v1, vcc
	global_store_short v[0:1], v6, off
	v_mov_b32_e32 v0, v19
	s_or_b64 exec, exec, s[2:3]
	v_cmp_gt_i32_e32 vcc, s14, v0
	s_and_saveexec_b64 s[0:1], vcc
	s_cbranch_execz .LBB112_21
.LBB112_30:
	v_add_u32_e32 v1, s12, v0
	v_mov_b32_e32 v2, 0
	v_lshlrev_b64 v[1:2], 1, v[1:2]
	v_mov_b32_e32 v7, s9
	v_add_co_u32_e32 v1, vcc, s8, v1
	v_addc_co_u32_e32 v2, vcc, v7, v2, vcc
	v_add_u32_e32 v0, 0x100, v0
	global_store_short_d16_hi v[1:2], v6, off
	s_or_b64 exec, exec, s[0:1]
	v_cmp_gt_i32_e32 vcc, s14, v0
	s_and_saveexec_b64 s[0:1], vcc
	s_cbranch_execz .LBB112_22
.LBB112_31:
	v_add_u32_e32 v1, s12, v0
	v_mov_b32_e32 v2, 0
	v_lshlrev_b64 v[1:2], 1, v[1:2]
	v_mov_b32_e32 v6, s9
	v_add_co_u32_e32 v1, vcc, s8, v1
	v_addc_co_u32_e32 v2, vcc, v6, v2, vcc
	v_add_u32_e32 v0, 0x100, v0
	global_store_short v[1:2], v5, off
	s_or_b64 exec, exec, s[0:1]
	v_cmp_gt_i32_e32 vcc, s14, v0
	s_and_saveexec_b64 s[0:1], vcc
	s_cbranch_execz .LBB112_23
.LBB112_32:
	v_add_u32_e32 v1, s12, v0
	v_mov_b32_e32 v2, 0
	v_lshlrev_b64 v[1:2], 1, v[1:2]
	v_mov_b32_e32 v6, s9
	v_add_co_u32_e32 v1, vcc, s8, v1
	v_addc_co_u32_e32 v2, vcc, v6, v2, vcc
	v_add_u32_e32 v0, 0x100, v0
	global_store_short_d16_hi v[1:2], v5, off
	s_or_b64 exec, exec, s[0:1]
	v_cmp_gt_i32_e32 vcc, s14, v0
	s_and_saveexec_b64 s[0:1], vcc
	s_cbranch_execz .LBB112_24
.LBB112_33:
	v_add_u32_e32 v1, s12, v0
	v_mov_b32_e32 v2, 0
	v_lshlrev_b64 v[1:2], 1, v[1:2]
	v_mov_b32_e32 v5, s9
	v_add_co_u32_e32 v1, vcc, s8, v1
	v_addc_co_u32_e32 v2, vcc, v5, v2, vcc
	v_add_u32_e32 v0, 0x100, v0
	global_store_short v[1:2], v4, off
	s_or_b64 exec, exec, s[0:1]
	v_cmp_gt_i32_e32 vcc, s14, v0
	s_and_saveexec_b64 s[0:1], vcc
	s_cbranch_execz .LBB112_25
.LBB112_34:
	v_add_u32_e32 v1, s12, v0
	v_mov_b32_e32 v2, 0
	v_lshlrev_b64 v[1:2], 1, v[1:2]
	v_mov_b32_e32 v5, s9
	v_add_co_u32_e32 v1, vcc, s8, v1
	v_addc_co_u32_e32 v2, vcc, v5, v2, vcc
	v_add_u32_e32 v0, 0x100, v0
	global_store_short_d16_hi v[1:2], v4, off
	s_or_b64 exec, exec, s[0:1]
	v_cmp_gt_i32_e32 vcc, s14, v0
	s_and_saveexec_b64 s[0:1], vcc
	s_cbranch_execz .LBB112_26
.LBB112_35:
	v_add_u32_e32 v1, s12, v0
	v_mov_b32_e32 v2, 0
	v_lshlrev_b64 v[1:2], 1, v[1:2]
	v_mov_b32_e32 v4, s9
	v_add_co_u32_e32 v1, vcc, s8, v1
	v_addc_co_u32_e32 v2, vcc, v4, v2, vcc
	v_add_u32_e32 v0, 0x100, v0
	global_store_short v[1:2], v3, off
	s_or_b64 exec, exec, s[0:1]
	v_cmp_gt_i32_e32 vcc, s14, v0
	s_and_saveexec_b64 s[0:1], vcc
	s_cbranch_execnz .LBB112_27
	s_branch .LBB112_28
	.section	.rodata,"a",@progbits
	.p2align	6, 0x0
	.amdhsa_kernel _ZN2at6native29vectorized_elementwise_kernelILi16ENS0_13BinaryFunctorIsssZNS0_12_GLOBAL__N_121threshold_kernel_implIsEEvRNS_18TensorIteratorBaseET_S7_EUlssE_EESt5arrayIPcLm3EEEEviT0_T1_
		.amdhsa_group_segment_fixed_size 0
		.amdhsa_private_segment_fixed_size 0
		.amdhsa_kernarg_size 32
		.amdhsa_user_sgpr_count 6
		.amdhsa_user_sgpr_private_segment_buffer 1
		.amdhsa_user_sgpr_dispatch_ptr 0
		.amdhsa_user_sgpr_queue_ptr 0
		.amdhsa_user_sgpr_kernarg_segment_ptr 1
		.amdhsa_user_sgpr_dispatch_id 0
		.amdhsa_user_sgpr_flat_scratch_init 0
		.amdhsa_user_sgpr_private_segment_size 0
		.amdhsa_uses_dynamic_stack 0
		.amdhsa_system_sgpr_private_segment_wavefront_offset 0
		.amdhsa_system_sgpr_workgroup_id_x 1
		.amdhsa_system_sgpr_workgroup_id_y 0
		.amdhsa_system_sgpr_workgroup_id_z 0
		.amdhsa_system_sgpr_workgroup_info 0
		.amdhsa_system_vgpr_workitem_id 0
		.amdhsa_next_free_vgpr 24
		.amdhsa_next_free_sgpr 22
		.amdhsa_reserve_vcc 1
		.amdhsa_reserve_flat_scratch 0
		.amdhsa_float_round_mode_32 0
		.amdhsa_float_round_mode_16_64 0
		.amdhsa_float_denorm_mode_32 3
		.amdhsa_float_denorm_mode_16_64 3
		.amdhsa_dx10_clamp 1
		.amdhsa_ieee_mode 1
		.amdhsa_fp16_overflow 0
		.amdhsa_exception_fp_ieee_invalid_op 0
		.amdhsa_exception_fp_denorm_src 0
		.amdhsa_exception_fp_ieee_div_zero 0
		.amdhsa_exception_fp_ieee_overflow 0
		.amdhsa_exception_fp_ieee_underflow 0
		.amdhsa_exception_fp_ieee_inexact 0
		.amdhsa_exception_int_div_zero 0
	.end_amdhsa_kernel
	.section	.text._ZN2at6native29vectorized_elementwise_kernelILi16ENS0_13BinaryFunctorIsssZNS0_12_GLOBAL__N_121threshold_kernel_implIsEEvRNS_18TensorIteratorBaseET_S7_EUlssE_EESt5arrayIPcLm3EEEEviT0_T1_,"axG",@progbits,_ZN2at6native29vectorized_elementwise_kernelILi16ENS0_13BinaryFunctorIsssZNS0_12_GLOBAL__N_121threshold_kernel_implIsEEvRNS_18TensorIteratorBaseET_S7_EUlssE_EESt5arrayIPcLm3EEEEviT0_T1_,comdat
.Lfunc_end112:
	.size	_ZN2at6native29vectorized_elementwise_kernelILi16ENS0_13BinaryFunctorIsssZNS0_12_GLOBAL__N_121threshold_kernel_implIsEEvRNS_18TensorIteratorBaseET_S7_EUlssE_EESt5arrayIPcLm3EEEEviT0_T1_, .Lfunc_end112-_ZN2at6native29vectorized_elementwise_kernelILi16ENS0_13BinaryFunctorIsssZNS0_12_GLOBAL__N_121threshold_kernel_implIsEEvRNS_18TensorIteratorBaseET_S7_EUlssE_EESt5arrayIPcLm3EEEEviT0_T1_
                                        ; -- End function
	.set _ZN2at6native29vectorized_elementwise_kernelILi16ENS0_13BinaryFunctorIsssZNS0_12_GLOBAL__N_121threshold_kernel_implIsEEvRNS_18TensorIteratorBaseET_S7_EUlssE_EESt5arrayIPcLm3EEEEviT0_T1_.num_vgpr, 24
	.set _ZN2at6native29vectorized_elementwise_kernelILi16ENS0_13BinaryFunctorIsssZNS0_12_GLOBAL__N_121threshold_kernel_implIsEEvRNS_18TensorIteratorBaseET_S7_EUlssE_EESt5arrayIPcLm3EEEEviT0_T1_.num_agpr, 0
	.set _ZN2at6native29vectorized_elementwise_kernelILi16ENS0_13BinaryFunctorIsssZNS0_12_GLOBAL__N_121threshold_kernel_implIsEEvRNS_18TensorIteratorBaseET_S7_EUlssE_EESt5arrayIPcLm3EEEEviT0_T1_.numbered_sgpr, 22
	.set _ZN2at6native29vectorized_elementwise_kernelILi16ENS0_13BinaryFunctorIsssZNS0_12_GLOBAL__N_121threshold_kernel_implIsEEvRNS_18TensorIteratorBaseET_S7_EUlssE_EESt5arrayIPcLm3EEEEviT0_T1_.num_named_barrier, 0
	.set _ZN2at6native29vectorized_elementwise_kernelILi16ENS0_13BinaryFunctorIsssZNS0_12_GLOBAL__N_121threshold_kernel_implIsEEvRNS_18TensorIteratorBaseET_S7_EUlssE_EESt5arrayIPcLm3EEEEviT0_T1_.private_seg_size, 0
	.set _ZN2at6native29vectorized_elementwise_kernelILi16ENS0_13BinaryFunctorIsssZNS0_12_GLOBAL__N_121threshold_kernel_implIsEEvRNS_18TensorIteratorBaseET_S7_EUlssE_EESt5arrayIPcLm3EEEEviT0_T1_.uses_vcc, 1
	.set _ZN2at6native29vectorized_elementwise_kernelILi16ENS0_13BinaryFunctorIsssZNS0_12_GLOBAL__N_121threshold_kernel_implIsEEvRNS_18TensorIteratorBaseET_S7_EUlssE_EESt5arrayIPcLm3EEEEviT0_T1_.uses_flat_scratch, 0
	.set _ZN2at6native29vectorized_elementwise_kernelILi16ENS0_13BinaryFunctorIsssZNS0_12_GLOBAL__N_121threshold_kernel_implIsEEvRNS_18TensorIteratorBaseET_S7_EUlssE_EESt5arrayIPcLm3EEEEviT0_T1_.has_dyn_sized_stack, 0
	.set _ZN2at6native29vectorized_elementwise_kernelILi16ENS0_13BinaryFunctorIsssZNS0_12_GLOBAL__N_121threshold_kernel_implIsEEvRNS_18TensorIteratorBaseET_S7_EUlssE_EESt5arrayIPcLm3EEEEviT0_T1_.has_recursion, 0
	.set _ZN2at6native29vectorized_elementwise_kernelILi16ENS0_13BinaryFunctorIsssZNS0_12_GLOBAL__N_121threshold_kernel_implIsEEvRNS_18TensorIteratorBaseET_S7_EUlssE_EESt5arrayIPcLm3EEEEviT0_T1_.has_indirect_call, 0
	.section	.AMDGPU.csdata,"",@progbits
; Kernel info:
; codeLenInByte = 1848
; TotalNumSgprs: 26
; NumVgprs: 24
; ScratchSize: 0
; MemoryBound: 0
; FloatMode: 240
; IeeeMode: 1
; LDSByteSize: 0 bytes/workgroup (compile time only)
; SGPRBlocks: 3
; VGPRBlocks: 5
; NumSGPRsForWavesPerEU: 26
; NumVGPRsForWavesPerEU: 24
; Occupancy: 10
; WaveLimiterHint : 0
; COMPUTE_PGM_RSRC2:SCRATCH_EN: 0
; COMPUTE_PGM_RSRC2:USER_SGPR: 6
; COMPUTE_PGM_RSRC2:TRAP_HANDLER: 0
; COMPUTE_PGM_RSRC2:TGID_X_EN: 1
; COMPUTE_PGM_RSRC2:TGID_Y_EN: 0
; COMPUTE_PGM_RSRC2:TGID_Z_EN: 0
; COMPUTE_PGM_RSRC2:TIDIG_COMP_CNT: 0
	.section	.text._ZN2at6native29vectorized_elementwise_kernelILi8ENS0_13BinaryFunctorIsssZNS0_12_GLOBAL__N_121threshold_kernel_implIsEEvRNS_18TensorIteratorBaseET_S7_EUlssE_EESt5arrayIPcLm3EEEEviT0_T1_,"axG",@progbits,_ZN2at6native29vectorized_elementwise_kernelILi8ENS0_13BinaryFunctorIsssZNS0_12_GLOBAL__N_121threshold_kernel_implIsEEvRNS_18TensorIteratorBaseET_S7_EUlssE_EESt5arrayIPcLm3EEEEviT0_T1_,comdat
	.globl	_ZN2at6native29vectorized_elementwise_kernelILi8ENS0_13BinaryFunctorIsssZNS0_12_GLOBAL__N_121threshold_kernel_implIsEEvRNS_18TensorIteratorBaseET_S7_EUlssE_EESt5arrayIPcLm3EEEEviT0_T1_ ; -- Begin function _ZN2at6native29vectorized_elementwise_kernelILi8ENS0_13BinaryFunctorIsssZNS0_12_GLOBAL__N_121threshold_kernel_implIsEEvRNS_18TensorIteratorBaseET_S7_EUlssE_EESt5arrayIPcLm3EEEEviT0_T1_
	.p2align	8
	.type	_ZN2at6native29vectorized_elementwise_kernelILi8ENS0_13BinaryFunctorIsssZNS0_12_GLOBAL__N_121threshold_kernel_implIsEEvRNS_18TensorIteratorBaseET_S7_EUlssE_EESt5arrayIPcLm3EEEEviT0_T1_,@function
_ZN2at6native29vectorized_elementwise_kernelILi8ENS0_13BinaryFunctorIsssZNS0_12_GLOBAL__N_121threshold_kernel_implIsEEvRNS_18TensorIteratorBaseET_S7_EUlssE_EESt5arrayIPcLm3EEEEviT0_T1_: ; @_ZN2at6native29vectorized_elementwise_kernelILi8ENS0_13BinaryFunctorIsssZNS0_12_GLOBAL__N_121threshold_kernel_implIsEEvRNS_18TensorIteratorBaseET_S7_EUlssE_EESt5arrayIPcLm3EEEEviT0_T1_
; %bb.0:
	s_load_dwordx2 s[14:15], s[4:5], 0x0
	s_load_dwordx4 s[8:11], s[4:5], 0x8
	s_load_dwordx2 s[16:17], s[4:5], 0x18
	s_lshl_b32 s12, s6, 11
	s_mov_b64 s[0:1], -1
	s_waitcnt lgkmcnt(0)
	s_sub_i32 s14, s14, s12
	s_lshr_b32 s18, s15, 16
	s_cmpk_gt_i32 s14, 0x7ff
	s_cbranch_scc0 .LBB113_2
; %bb.1:
	s_ashr_i32 s13, s12, 31
	s_lshl_b64 s[0:1], s[12:13], 1
	s_add_u32 s2, s10, s0
	s_addc_u32 s3, s11, s1
	v_lshlrev_b32_e32 v9, 4, v0
	global_load_dwordx4 v[1:4], v9, s[2:3]
	s_add_u32 s2, s16, s0
	s_addc_u32 s3, s17, s1
	global_load_dwordx4 v[5:8], v9, s[2:3]
	v_mov_b32_e32 v10, s18
	s_add_u32 s20, s8, s0
	s_addc_u32 s21, s9, s1
	s_mov_b32 s13, 0x5040100
	s_waitcnt vmcnt(1)
	v_cmp_gt_i16_sdwa vcc, v1, s15 src0_sel:WORD_1 src1_sel:DWORD
	v_cmp_lt_i16_e64 s[6:7], s15, v1
	v_cmp_gt_i16_sdwa s[0:1], v2, s15 src0_sel:WORD_1 src1_sel:DWORD
	s_waitcnt vmcnt(0)
	v_cndmask_b32_e64 v1, v10, v5, s[6:7]
	v_cndmask_b32_sdwa v5, v10, v5, vcc dst_sel:DWORD dst_unused:UNUSED_PAD src0_sel:DWORD src1_sel:WORD_1
	v_cmp_lt_i16_e32 vcc, s15, v2
	v_cndmask_b32_e32 v2, v10, v6, vcc
	v_cmp_lt_i16_e32 vcc, s15, v3
	v_cmp_gt_i16_sdwa s[2:3], v3, s15 src0_sel:WORD_1 src1_sel:DWORD
	v_cndmask_b32_e32 v3, v10, v7, vcc
	v_cmp_lt_i16_e32 vcc, s15, v4
	v_cmp_gt_i16_sdwa s[4:5], v4, s15 src0_sel:WORD_1 src1_sel:DWORD
	v_cndmask_b32_e32 v4, v10, v8, vcc
	s_mov_b64 vcc, s[0:1]
	v_cndmask_b32_sdwa v6, v10, v6, vcc dst_sel:DWORD dst_unused:UNUSED_PAD src0_sel:DWORD src1_sel:WORD_1
	s_mov_b64 vcc, s[2:3]
	v_perm_b32 v1, v5, v1, s13
	v_cndmask_b32_sdwa v5, v10, v7, vcc dst_sel:DWORD dst_unused:UNUSED_PAD src0_sel:DWORD src1_sel:WORD_1
	s_mov_b64 vcc, s[4:5]
	v_perm_b32 v2, v6, v2, s13
	v_cndmask_b32_sdwa v6, v10, v8, vcc dst_sel:DWORD dst_unused:UNUSED_PAD src0_sel:DWORD src1_sel:WORD_1
	v_perm_b32 v3, v5, v3, s13
	v_perm_b32 v4, v6, v4, s13
	global_store_dwordx4 v9, v[1:4], s[20:21]
	s_mov_b64 s[0:1], 0
.LBB113_2:
	s_andn2_b64 vcc, exec, s[0:1]
	s_cbranch_vccnz .LBB113_28
; %bb.3:
	v_cmp_gt_i32_e64 s[0:1], s14, v0
	v_mov_b32_e32 v3, 0
	v_or_b32_e32 v1, s12, v0
	v_mov_b32_e32 v2, 0
	v_mov_b32_e32 v4, 0
	;; [unrolled: 1-line block ×3, first 2 shown]
	s_and_saveexec_b64 s[2:3], s[0:1]
	s_cbranch_execz .LBB113_5
; %bb.4:
	v_mov_b32_e32 v2, 0
	v_lshlrev_b64 v[4:5], 1, v[1:2]
	v_mov_b32_e32 v2, s17
	v_add_co_u32_e32 v6, vcc, s16, v4
	v_addc_co_u32_e32 v7, vcc, v2, v5, vcc
	v_mov_b32_e32 v2, s11
	v_add_co_u32_e32 v8, vcc, s10, v4
	v_addc_co_u32_e32 v9, vcc, v2, v5, vcc
	global_load_ushort v2, v[8:9], off
	global_load_ushort v4, v[6:7], off
	v_or_b32_e32 v6, 0x100, v0
.LBB113_5:
	s_or_b64 exec, exec, s[2:3]
	v_cmp_gt_i32_e32 vcc, s14, v6
	v_mov_b32_e32 v5, 0
	s_and_saveexec_b64 s[2:3], vcc
	s_cbranch_execz .LBB113_7
; %bb.6:
	v_add_u32_e32 v7, s12, v6
	v_mov_b32_e32 v8, 0
	v_lshlrev_b64 v[7:8], 1, v[7:8]
	v_mov_b32_e32 v3, s17
	v_add_co_u32_e32 v9, vcc, s16, v7
	v_addc_co_u32_e32 v10, vcc, v3, v8, vcc
	v_mov_b32_e32 v3, s11
	v_add_co_u32_e32 v7, vcc, s10, v7
	v_addc_co_u32_e32 v8, vcc, v3, v8, vcc
	global_load_ushort v3, v[7:8], off
	global_load_ushort v5, v[9:10], off
	v_add_u32_e32 v6, 0x100, v6
.LBB113_7:
	s_or_b64 exec, exec, s[2:3]
	v_cmp_gt_i32_e32 vcc, s14, v6
	v_mov_b32_e32 v7, 0
	v_mov_b32_e32 v8, 0
	v_mov_b32_e32 v9, 0
	s_and_saveexec_b64 s[2:3], vcc
	s_cbranch_execz .LBB113_9
; %bb.8:
	v_add_u32_e32 v8, s12, v6
	v_mov_b32_e32 v9, 0
	v_lshlrev_b64 v[8:9], 1, v[8:9]
	v_mov_b32_e32 v11, s17
	v_add_co_u32_e32 v10, vcc, s16, v8
	v_addc_co_u32_e32 v11, vcc, v11, v9, vcc
	v_mov_b32_e32 v13, s11
	v_add_co_u32_e32 v12, vcc, s10, v8
	v_addc_co_u32_e32 v13, vcc, v13, v9, vcc
	global_load_ushort v8, v[12:13], off
	global_load_ushort v9, v[10:11], off
	v_add_u32_e32 v6, 0x100, v6
.LBB113_9:
	s_or_b64 exec, exec, s[2:3]
	v_cmp_gt_i32_e32 vcc, s14, v6
	v_mov_b32_e32 v10, 0
	s_and_saveexec_b64 s[2:3], vcc
	s_cbranch_execz .LBB113_11
; %bb.10:
	v_add_u32_e32 v10, s12, v6
	v_mov_b32_e32 v11, 0
	v_lshlrev_b64 v[10:11], 1, v[10:11]
	v_mov_b32_e32 v7, s17
	v_add_co_u32_e32 v12, vcc, s16, v10
	v_addc_co_u32_e32 v13, vcc, v7, v11, vcc
	v_mov_b32_e32 v7, s11
	v_add_co_u32_e32 v14, vcc, s10, v10
	v_addc_co_u32_e32 v15, vcc, v7, v11, vcc
	global_load_ushort v7, v[14:15], off
	global_load_ushort v10, v[12:13], off
	v_add_u32_e32 v6, 0x100, v6
.LBB113_11:
	s_or_b64 exec, exec, s[2:3]
	v_cmp_gt_i32_e32 vcc, s14, v6
	v_mov_b32_e32 v11, 0
	v_mov_b32_e32 v12, 0
	v_mov_b32_e32 v13, 0
	s_and_saveexec_b64 s[2:3], vcc
	s_cbranch_execz .LBB113_13
; %bb.12:
	v_add_u32_e32 v12, s12, v6
	v_mov_b32_e32 v13, 0
	v_lshlrev_b64 v[12:13], 1, v[12:13]
	v_mov_b32_e32 v15, s17
	v_add_co_u32_e32 v14, vcc, s16, v12
	v_addc_co_u32_e32 v15, vcc, v15, v13, vcc
	v_mov_b32_e32 v17, s11
	v_add_co_u32_e32 v16, vcc, s10, v12
	v_addc_co_u32_e32 v17, vcc, v17, v13, vcc
	global_load_ushort v12, v[16:17], off
	global_load_ushort v13, v[14:15], off
	v_add_u32_e32 v6, 0x100, v6
.LBB113_13:
	;; [unrolled: 40-line block ×3, first 2 shown]
	s_or_b64 exec, exec, s[2:3]
	v_cmp_gt_i32_e32 vcc, s14, v6
	v_mov_b32_e32 v18, 0
	s_and_saveexec_b64 s[2:3], vcc
	s_cbranch_execz .LBB113_19
; %bb.18:
	v_add_u32_e32 v18, s12, v6
	v_mov_b32_e32 v19, 0
	v_lshlrev_b64 v[18:19], 1, v[18:19]
	v_mov_b32_e32 v6, s17
	v_add_co_u32_e32 v20, vcc, s16, v18
	v_addc_co_u32_e32 v21, vcc, v6, v19, vcc
	v_mov_b32_e32 v6, s11
	v_add_co_u32_e32 v22, vcc, s10, v18
	v_addc_co_u32_e32 v23, vcc, v6, v19, vcc
	global_load_ushort v15, v[22:23], off
	global_load_ushort v18, v[20:21], off
.LBB113_19:
	s_or_b64 exec, exec, s[2:3]
	v_mov_b32_e32 v20, s18
	s_waitcnt vmcnt(1)
	v_cmp_lt_i16_e64 s[2:3], s15, v2
	s_mov_b64 vcc, s[0:1]
	s_waitcnt vmcnt(0)
	v_cndmask_b32_e64 v4, v20, v4, s[2:3]
	v_mov_b32_e32 v2, 0
	v_cndmask_b32_sdwa v4, v2, v4, vcc dst_sel:DWORD dst_unused:UNUSED_PAD src0_sel:DWORD src1_sel:WORD_0
	v_cmp_lt_i16_e32 vcc, s15, v3
	v_or_b32_e32 v19, 0x100, v0
	v_cndmask_b32_e32 v3, v20, v5, vcc
	s_mov_b32 s4, 0x5040100
	v_perm_b32 v3, v3, v4, s4
	v_cmp_gt_i32_e32 vcc, s14, v19
	v_cndmask_b32_e32 v6, v4, v3, vcc
	v_cmp_lt_i16_e32 vcc, s15, v8
	v_or_b32_e32 v3, 0x200, v0
	v_cndmask_b32_e32 v4, v20, v9, vcc
	v_and_b32_e32 v4, 0xffff, v4
	v_cmp_gt_i32_e32 vcc, s14, v3
	v_cndmask_b32_e32 v3, 0, v4, vcc
	v_cmp_lt_i16_e32 vcc, s15, v7
	v_or_b32_e32 v4, 0x300, v0
	v_cndmask_b32_e32 v5, v20, v10, vcc
	v_perm_b32 v5, v5, v3, s4
	v_cmp_gt_i32_e32 vcc, s14, v4
	v_cndmask_b32_e32 v5, v3, v5, vcc
	v_cmp_lt_i16_e32 vcc, s15, v12
	v_or_b32_e32 v3, 0x400, v0
	v_cndmask_b32_e32 v4, v20, v13, vcc
	v_and_b32_e32 v4, 0xffff, v4
	v_cmp_gt_i32_e32 vcc, s14, v3
	v_cndmask_b32_e32 v3, 0, v4, vcc
	v_cmp_lt_i16_e32 vcc, s15, v11
	v_or_b32_e32 v4, 0x500, v0
	v_cndmask_b32_e32 v7, v20, v14, vcc
	v_perm_b32 v7, v7, v3, s4
	v_cmp_gt_i32_e32 vcc, s14, v4
	v_cndmask_b32_e32 v4, v3, v7, vcc
	v_or_b32_e32 v3, 0x600, v0
	v_cmp_lt_i16_e64 s[2:3], s15, v16
	v_cmp_gt_i32_e32 vcc, s14, v3
	v_cndmask_b32_e64 v3, v20, v17, s[2:3]
	v_cndmask_b32_sdwa v3, v2, v3, vcc dst_sel:DWORD dst_unused:UNUSED_PAD src0_sel:DWORD src1_sel:WORD_0
	v_cmp_lt_i16_e32 vcc, s15, v15
	v_or_b32_e32 v7, 0x700, v0
	v_cndmask_b32_e32 v8, v20, v18, vcc
	v_perm_b32 v8, v8, v3, s4
	v_cmp_gt_i32_e32 vcc, s14, v7
	v_cndmask_b32_e32 v3, v3, v8, vcc
	s_and_saveexec_b64 s[2:3], s[0:1]
	s_cbranch_execnz .LBB113_29
; %bb.20:
	s_or_b64 exec, exec, s[2:3]
	v_cmp_gt_i32_e32 vcc, s14, v0
	s_and_saveexec_b64 s[0:1], vcc
	s_cbranch_execnz .LBB113_30
.LBB113_21:
	s_or_b64 exec, exec, s[0:1]
	v_cmp_gt_i32_e32 vcc, s14, v0
	s_and_saveexec_b64 s[0:1], vcc
	s_cbranch_execnz .LBB113_31
.LBB113_22:
	s_or_b64 exec, exec, s[0:1]
	v_cmp_gt_i32_e32 vcc, s14, v0
	s_and_saveexec_b64 s[0:1], vcc
	s_cbranch_execnz .LBB113_32
.LBB113_23:
	s_or_b64 exec, exec, s[0:1]
	v_cmp_gt_i32_e32 vcc, s14, v0
	s_and_saveexec_b64 s[0:1], vcc
	s_cbranch_execnz .LBB113_33
.LBB113_24:
	s_or_b64 exec, exec, s[0:1]
	v_cmp_gt_i32_e32 vcc, s14, v0
	s_and_saveexec_b64 s[0:1], vcc
	s_cbranch_execnz .LBB113_34
.LBB113_25:
	s_or_b64 exec, exec, s[0:1]
	v_cmp_gt_i32_e32 vcc, s14, v0
	s_and_saveexec_b64 s[0:1], vcc
	s_cbranch_execnz .LBB113_35
.LBB113_26:
	s_or_b64 exec, exec, s[0:1]
	v_cmp_gt_i32_e32 vcc, s14, v0
	s_and_saveexec_b64 s[0:1], vcc
	s_cbranch_execz .LBB113_28
.LBB113_27:
	v_add_u32_e32 v0, s12, v0
	v_mov_b32_e32 v1, 0
	v_lshlrev_b64 v[0:1], 1, v[0:1]
	v_mov_b32_e32 v2, s9
	v_add_co_u32_e32 v0, vcc, s8, v0
	v_addc_co_u32_e32 v1, vcc, v2, v1, vcc
	global_store_short_d16_hi v[0:1], v3, off
.LBB113_28:
	s_endpgm
.LBB113_29:
	v_lshlrev_b64 v[0:1], 1, v[1:2]
	v_mov_b32_e32 v2, s9
	v_add_co_u32_e32 v0, vcc, s8, v0
	v_addc_co_u32_e32 v1, vcc, v2, v1, vcc
	global_store_short v[0:1], v6, off
	v_mov_b32_e32 v0, v19
	s_or_b64 exec, exec, s[2:3]
	v_cmp_gt_i32_e32 vcc, s14, v0
	s_and_saveexec_b64 s[0:1], vcc
	s_cbranch_execz .LBB113_21
.LBB113_30:
	v_add_u32_e32 v1, s12, v0
	v_mov_b32_e32 v2, 0
	v_lshlrev_b64 v[1:2], 1, v[1:2]
	v_mov_b32_e32 v7, s9
	v_add_co_u32_e32 v1, vcc, s8, v1
	v_addc_co_u32_e32 v2, vcc, v7, v2, vcc
	v_add_u32_e32 v0, 0x100, v0
	global_store_short_d16_hi v[1:2], v6, off
	s_or_b64 exec, exec, s[0:1]
	v_cmp_gt_i32_e32 vcc, s14, v0
	s_and_saveexec_b64 s[0:1], vcc
	s_cbranch_execz .LBB113_22
.LBB113_31:
	v_add_u32_e32 v1, s12, v0
	v_mov_b32_e32 v2, 0
	v_lshlrev_b64 v[1:2], 1, v[1:2]
	v_mov_b32_e32 v6, s9
	v_add_co_u32_e32 v1, vcc, s8, v1
	v_addc_co_u32_e32 v2, vcc, v6, v2, vcc
	v_add_u32_e32 v0, 0x100, v0
	global_store_short v[1:2], v5, off
	s_or_b64 exec, exec, s[0:1]
	v_cmp_gt_i32_e32 vcc, s14, v0
	s_and_saveexec_b64 s[0:1], vcc
	s_cbranch_execz .LBB113_23
.LBB113_32:
	v_add_u32_e32 v1, s12, v0
	v_mov_b32_e32 v2, 0
	v_lshlrev_b64 v[1:2], 1, v[1:2]
	v_mov_b32_e32 v6, s9
	v_add_co_u32_e32 v1, vcc, s8, v1
	v_addc_co_u32_e32 v2, vcc, v6, v2, vcc
	v_add_u32_e32 v0, 0x100, v0
	global_store_short_d16_hi v[1:2], v5, off
	s_or_b64 exec, exec, s[0:1]
	v_cmp_gt_i32_e32 vcc, s14, v0
	s_and_saveexec_b64 s[0:1], vcc
	s_cbranch_execz .LBB113_24
.LBB113_33:
	v_add_u32_e32 v1, s12, v0
	v_mov_b32_e32 v2, 0
	v_lshlrev_b64 v[1:2], 1, v[1:2]
	v_mov_b32_e32 v5, s9
	v_add_co_u32_e32 v1, vcc, s8, v1
	v_addc_co_u32_e32 v2, vcc, v5, v2, vcc
	v_add_u32_e32 v0, 0x100, v0
	global_store_short v[1:2], v4, off
	s_or_b64 exec, exec, s[0:1]
	v_cmp_gt_i32_e32 vcc, s14, v0
	s_and_saveexec_b64 s[0:1], vcc
	s_cbranch_execz .LBB113_25
.LBB113_34:
	v_add_u32_e32 v1, s12, v0
	v_mov_b32_e32 v2, 0
	v_lshlrev_b64 v[1:2], 1, v[1:2]
	v_mov_b32_e32 v5, s9
	v_add_co_u32_e32 v1, vcc, s8, v1
	v_addc_co_u32_e32 v2, vcc, v5, v2, vcc
	v_add_u32_e32 v0, 0x100, v0
	global_store_short_d16_hi v[1:2], v4, off
	s_or_b64 exec, exec, s[0:1]
	v_cmp_gt_i32_e32 vcc, s14, v0
	s_and_saveexec_b64 s[0:1], vcc
	s_cbranch_execz .LBB113_26
.LBB113_35:
	v_add_u32_e32 v1, s12, v0
	v_mov_b32_e32 v2, 0
	v_lshlrev_b64 v[1:2], 1, v[1:2]
	v_mov_b32_e32 v4, s9
	v_add_co_u32_e32 v1, vcc, s8, v1
	v_addc_co_u32_e32 v2, vcc, v4, v2, vcc
	v_add_u32_e32 v0, 0x100, v0
	global_store_short v[1:2], v3, off
	s_or_b64 exec, exec, s[0:1]
	v_cmp_gt_i32_e32 vcc, s14, v0
	s_and_saveexec_b64 s[0:1], vcc
	s_cbranch_execnz .LBB113_27
	s_branch .LBB113_28
	.section	.rodata,"a",@progbits
	.p2align	6, 0x0
	.amdhsa_kernel _ZN2at6native29vectorized_elementwise_kernelILi8ENS0_13BinaryFunctorIsssZNS0_12_GLOBAL__N_121threshold_kernel_implIsEEvRNS_18TensorIteratorBaseET_S7_EUlssE_EESt5arrayIPcLm3EEEEviT0_T1_
		.amdhsa_group_segment_fixed_size 0
		.amdhsa_private_segment_fixed_size 0
		.amdhsa_kernarg_size 32
		.amdhsa_user_sgpr_count 6
		.amdhsa_user_sgpr_private_segment_buffer 1
		.amdhsa_user_sgpr_dispatch_ptr 0
		.amdhsa_user_sgpr_queue_ptr 0
		.amdhsa_user_sgpr_kernarg_segment_ptr 1
		.amdhsa_user_sgpr_dispatch_id 0
		.amdhsa_user_sgpr_flat_scratch_init 0
		.amdhsa_user_sgpr_private_segment_size 0
		.amdhsa_uses_dynamic_stack 0
		.amdhsa_system_sgpr_private_segment_wavefront_offset 0
		.amdhsa_system_sgpr_workgroup_id_x 1
		.amdhsa_system_sgpr_workgroup_id_y 0
		.amdhsa_system_sgpr_workgroup_id_z 0
		.amdhsa_system_sgpr_workgroup_info 0
		.amdhsa_system_vgpr_workitem_id 0
		.amdhsa_next_free_vgpr 24
		.amdhsa_next_free_sgpr 22
		.amdhsa_reserve_vcc 1
		.amdhsa_reserve_flat_scratch 0
		.amdhsa_float_round_mode_32 0
		.amdhsa_float_round_mode_16_64 0
		.amdhsa_float_denorm_mode_32 3
		.amdhsa_float_denorm_mode_16_64 3
		.amdhsa_dx10_clamp 1
		.amdhsa_ieee_mode 1
		.amdhsa_fp16_overflow 0
		.amdhsa_exception_fp_ieee_invalid_op 0
		.amdhsa_exception_fp_denorm_src 0
		.amdhsa_exception_fp_ieee_div_zero 0
		.amdhsa_exception_fp_ieee_overflow 0
		.amdhsa_exception_fp_ieee_underflow 0
		.amdhsa_exception_fp_ieee_inexact 0
		.amdhsa_exception_int_div_zero 0
	.end_amdhsa_kernel
	.section	.text._ZN2at6native29vectorized_elementwise_kernelILi8ENS0_13BinaryFunctorIsssZNS0_12_GLOBAL__N_121threshold_kernel_implIsEEvRNS_18TensorIteratorBaseET_S7_EUlssE_EESt5arrayIPcLm3EEEEviT0_T1_,"axG",@progbits,_ZN2at6native29vectorized_elementwise_kernelILi8ENS0_13BinaryFunctorIsssZNS0_12_GLOBAL__N_121threshold_kernel_implIsEEvRNS_18TensorIteratorBaseET_S7_EUlssE_EESt5arrayIPcLm3EEEEviT0_T1_,comdat
.Lfunc_end113:
	.size	_ZN2at6native29vectorized_elementwise_kernelILi8ENS0_13BinaryFunctorIsssZNS0_12_GLOBAL__N_121threshold_kernel_implIsEEvRNS_18TensorIteratorBaseET_S7_EUlssE_EESt5arrayIPcLm3EEEEviT0_T1_, .Lfunc_end113-_ZN2at6native29vectorized_elementwise_kernelILi8ENS0_13BinaryFunctorIsssZNS0_12_GLOBAL__N_121threshold_kernel_implIsEEvRNS_18TensorIteratorBaseET_S7_EUlssE_EESt5arrayIPcLm3EEEEviT0_T1_
                                        ; -- End function
	.set _ZN2at6native29vectorized_elementwise_kernelILi8ENS0_13BinaryFunctorIsssZNS0_12_GLOBAL__N_121threshold_kernel_implIsEEvRNS_18TensorIteratorBaseET_S7_EUlssE_EESt5arrayIPcLm3EEEEviT0_T1_.num_vgpr, 24
	.set _ZN2at6native29vectorized_elementwise_kernelILi8ENS0_13BinaryFunctorIsssZNS0_12_GLOBAL__N_121threshold_kernel_implIsEEvRNS_18TensorIteratorBaseET_S7_EUlssE_EESt5arrayIPcLm3EEEEviT0_T1_.num_agpr, 0
	.set _ZN2at6native29vectorized_elementwise_kernelILi8ENS0_13BinaryFunctorIsssZNS0_12_GLOBAL__N_121threshold_kernel_implIsEEvRNS_18TensorIteratorBaseET_S7_EUlssE_EESt5arrayIPcLm3EEEEviT0_T1_.numbered_sgpr, 22
	.set _ZN2at6native29vectorized_elementwise_kernelILi8ENS0_13BinaryFunctorIsssZNS0_12_GLOBAL__N_121threshold_kernel_implIsEEvRNS_18TensorIteratorBaseET_S7_EUlssE_EESt5arrayIPcLm3EEEEviT0_T1_.num_named_barrier, 0
	.set _ZN2at6native29vectorized_elementwise_kernelILi8ENS0_13BinaryFunctorIsssZNS0_12_GLOBAL__N_121threshold_kernel_implIsEEvRNS_18TensorIteratorBaseET_S7_EUlssE_EESt5arrayIPcLm3EEEEviT0_T1_.private_seg_size, 0
	.set _ZN2at6native29vectorized_elementwise_kernelILi8ENS0_13BinaryFunctorIsssZNS0_12_GLOBAL__N_121threshold_kernel_implIsEEvRNS_18TensorIteratorBaseET_S7_EUlssE_EESt5arrayIPcLm3EEEEviT0_T1_.uses_vcc, 1
	.set _ZN2at6native29vectorized_elementwise_kernelILi8ENS0_13BinaryFunctorIsssZNS0_12_GLOBAL__N_121threshold_kernel_implIsEEvRNS_18TensorIteratorBaseET_S7_EUlssE_EESt5arrayIPcLm3EEEEviT0_T1_.uses_flat_scratch, 0
	.set _ZN2at6native29vectorized_elementwise_kernelILi8ENS0_13BinaryFunctorIsssZNS0_12_GLOBAL__N_121threshold_kernel_implIsEEvRNS_18TensorIteratorBaseET_S7_EUlssE_EESt5arrayIPcLm3EEEEviT0_T1_.has_dyn_sized_stack, 0
	.set _ZN2at6native29vectorized_elementwise_kernelILi8ENS0_13BinaryFunctorIsssZNS0_12_GLOBAL__N_121threshold_kernel_implIsEEvRNS_18TensorIteratorBaseET_S7_EUlssE_EESt5arrayIPcLm3EEEEviT0_T1_.has_recursion, 0
	.set _ZN2at6native29vectorized_elementwise_kernelILi8ENS0_13BinaryFunctorIsssZNS0_12_GLOBAL__N_121threshold_kernel_implIsEEvRNS_18TensorIteratorBaseET_S7_EUlssE_EESt5arrayIPcLm3EEEEviT0_T1_.has_indirect_call, 0
	.section	.AMDGPU.csdata,"",@progbits
; Kernel info:
; codeLenInByte = 1848
; TotalNumSgprs: 26
; NumVgprs: 24
; ScratchSize: 0
; MemoryBound: 0
; FloatMode: 240
; IeeeMode: 1
; LDSByteSize: 0 bytes/workgroup (compile time only)
; SGPRBlocks: 3
; VGPRBlocks: 5
; NumSGPRsForWavesPerEU: 26
; NumVGPRsForWavesPerEU: 24
; Occupancy: 10
; WaveLimiterHint : 0
; COMPUTE_PGM_RSRC2:SCRATCH_EN: 0
; COMPUTE_PGM_RSRC2:USER_SGPR: 6
; COMPUTE_PGM_RSRC2:TRAP_HANDLER: 0
; COMPUTE_PGM_RSRC2:TGID_X_EN: 1
; COMPUTE_PGM_RSRC2:TGID_Y_EN: 0
; COMPUTE_PGM_RSRC2:TGID_Z_EN: 0
; COMPUTE_PGM_RSRC2:TIDIG_COMP_CNT: 0
	.section	.text._ZN2at6native29vectorized_elementwise_kernelILi4ENS0_13BinaryFunctorIsssZNS0_12_GLOBAL__N_121threshold_kernel_implIsEEvRNS_18TensorIteratorBaseET_S7_EUlssE_EESt5arrayIPcLm3EEEEviT0_T1_,"axG",@progbits,_ZN2at6native29vectorized_elementwise_kernelILi4ENS0_13BinaryFunctorIsssZNS0_12_GLOBAL__N_121threshold_kernel_implIsEEvRNS_18TensorIteratorBaseET_S7_EUlssE_EESt5arrayIPcLm3EEEEviT0_T1_,comdat
	.globl	_ZN2at6native29vectorized_elementwise_kernelILi4ENS0_13BinaryFunctorIsssZNS0_12_GLOBAL__N_121threshold_kernel_implIsEEvRNS_18TensorIteratorBaseET_S7_EUlssE_EESt5arrayIPcLm3EEEEviT0_T1_ ; -- Begin function _ZN2at6native29vectorized_elementwise_kernelILi4ENS0_13BinaryFunctorIsssZNS0_12_GLOBAL__N_121threshold_kernel_implIsEEvRNS_18TensorIteratorBaseET_S7_EUlssE_EESt5arrayIPcLm3EEEEviT0_T1_
	.p2align	8
	.type	_ZN2at6native29vectorized_elementwise_kernelILi4ENS0_13BinaryFunctorIsssZNS0_12_GLOBAL__N_121threshold_kernel_implIsEEvRNS_18TensorIteratorBaseET_S7_EUlssE_EESt5arrayIPcLm3EEEEviT0_T1_,@function
_ZN2at6native29vectorized_elementwise_kernelILi4ENS0_13BinaryFunctorIsssZNS0_12_GLOBAL__N_121threshold_kernel_implIsEEvRNS_18TensorIteratorBaseET_S7_EUlssE_EESt5arrayIPcLm3EEEEviT0_T1_: ; @_ZN2at6native29vectorized_elementwise_kernelILi4ENS0_13BinaryFunctorIsssZNS0_12_GLOBAL__N_121threshold_kernel_implIsEEvRNS_18TensorIteratorBaseET_S7_EUlssE_EESt5arrayIPcLm3EEEEviT0_T1_
; %bb.0:
	s_load_dwordx2 s[12:13], s[4:5], 0x0
	s_load_dwordx4 s[8:11], s[4:5], 0x8
	s_load_dwordx2 s[2:3], s[4:5], 0x18
	s_lshl_b32 s4, s6, 11
	s_mov_b64 s[0:1], -1
	s_waitcnt lgkmcnt(0)
	s_sub_i32 s12, s12, s4
	s_lshr_b32 s14, s13, 16
	s_cmpk_gt_i32 s12, 0x7ff
	s_cbranch_scc0 .LBB114_2
; %bb.1:
	s_ashr_i32 s5, s4, 31
	s_lshl_b64 s[0:1], s[4:5], 1
	s_add_u32 s6, s10, s0
	s_addc_u32 s7, s11, s1
	s_add_u32 s16, s2, s0
	v_lshlrev_b32_e32 v9, 3, v0
	s_addc_u32 s17, s3, s1
	global_load_dwordx2 v[1:2], v9, s[16:17]
	global_load_dwordx2 v[3:4], v9, s[16:17] offset:2048
	global_load_dwordx2 v[5:6], v9, s[6:7]
	global_load_dwordx2 v[7:8], v9, s[6:7] offset:2048
	v_mov_b32_e32 v10, s14
	s_mov_b32 s5, 0x5040100
	s_add_u32 s0, s8, s0
	s_addc_u32 s1, s9, s1
	s_waitcnt vmcnt(3)
	v_lshrrev_b32_e32 v11, 16, v1
	v_lshrrev_b32_e32 v12, 16, v2
	s_waitcnt vmcnt(1)
	v_cmp_lt_i16_e32 vcc, s13, v5
	v_cndmask_b32_e32 v15, v10, v1, vcc
	v_cmp_lt_i16_e32 vcc, s13, v6
	v_cndmask_b32_e32 v16, v10, v2, vcc
	s_waitcnt vmcnt(0)
	v_cmp_lt_i16_e32 vcc, s13, v7
	v_cndmask_b32_e32 v1, v10, v3, vcc
	v_cmp_lt_i16_e32 vcc, s13, v8
	v_cndmask_b32_e32 v2, v10, v4, vcc
	v_cmp_gt_i16_sdwa vcc, v5, s13 src0_sel:WORD_1 src1_sel:DWORD
	v_lshrrev_b32_e32 v13, 16, v3
	v_cndmask_b32_e32 v3, v10, v11, vcc
	v_cmp_gt_i16_sdwa vcc, v6, s13 src0_sel:WORD_1 src1_sel:DWORD
	v_lshrrev_b32_e32 v14, 16, v4
	v_cndmask_b32_e32 v4, v10, v12, vcc
	v_cmp_gt_i16_sdwa vcc, v7, s13 src0_sel:WORD_1 src1_sel:DWORD
	v_cndmask_b32_e32 v5, v10, v13, vcc
	v_cmp_gt_i16_sdwa vcc, v8, s13 src0_sel:WORD_1 src1_sel:DWORD
	v_cndmask_b32_e32 v6, v10, v14, vcc
	v_perm_b32 v4, v4, v16, s5
	v_perm_b32 v3, v3, v15, s5
	;; [unrolled: 1-line block ×4, first 2 shown]
	global_store_dwordx2 v9, v[3:4], s[0:1]
	global_store_dwordx2 v9, v[1:2], s[0:1] offset:2048
	s_mov_b64 s[0:1], 0
.LBB114_2:
	s_andn2_b64 vcc, exec, s[0:1]
	s_cbranch_vccnz .LBB114_28
; %bb.3:
	v_cmp_gt_i32_e64 s[0:1], s12, v0
	v_mov_b32_e32 v3, 0
	v_or_b32_e32 v1, s4, v0
	v_mov_b32_e32 v2, 0
	v_mov_b32_e32 v4, 0
	;; [unrolled: 1-line block ×3, first 2 shown]
	s_and_saveexec_b64 s[6:7], s[0:1]
	s_cbranch_execz .LBB114_5
; %bb.4:
	v_mov_b32_e32 v2, 0
	v_lshlrev_b64 v[4:5], 1, v[1:2]
	v_mov_b32_e32 v2, s3
	v_add_co_u32_e32 v6, vcc, s2, v4
	v_addc_co_u32_e32 v7, vcc, v2, v5, vcc
	v_mov_b32_e32 v2, s11
	v_add_co_u32_e32 v8, vcc, s10, v4
	v_addc_co_u32_e32 v9, vcc, v2, v5, vcc
	global_load_ushort v2, v[8:9], off
	global_load_ushort v4, v[6:7], off
	v_or_b32_e32 v6, 0x100, v0
.LBB114_5:
	s_or_b64 exec, exec, s[6:7]
	v_cmp_gt_i32_e32 vcc, s12, v6
	v_mov_b32_e32 v5, 0
	s_and_saveexec_b64 s[6:7], vcc
	s_cbranch_execz .LBB114_7
; %bb.6:
	v_add_u32_e32 v7, s4, v6
	v_mov_b32_e32 v8, 0
	v_lshlrev_b64 v[7:8], 1, v[7:8]
	v_mov_b32_e32 v3, s3
	v_add_co_u32_e32 v9, vcc, s2, v7
	v_addc_co_u32_e32 v10, vcc, v3, v8, vcc
	v_mov_b32_e32 v3, s11
	v_add_co_u32_e32 v7, vcc, s10, v7
	v_addc_co_u32_e32 v8, vcc, v3, v8, vcc
	global_load_ushort v3, v[7:8], off
	global_load_ushort v5, v[9:10], off
	v_add_u32_e32 v6, 0x100, v6
.LBB114_7:
	s_or_b64 exec, exec, s[6:7]
	v_cmp_gt_i32_e32 vcc, s12, v6
	v_mov_b32_e32 v7, 0
	v_mov_b32_e32 v8, 0
	v_mov_b32_e32 v9, 0
	s_and_saveexec_b64 s[6:7], vcc
	s_cbranch_execz .LBB114_9
; %bb.8:
	v_add_u32_e32 v8, s4, v6
	v_mov_b32_e32 v9, 0
	v_lshlrev_b64 v[8:9], 1, v[8:9]
	v_mov_b32_e32 v11, s3
	v_add_co_u32_e32 v10, vcc, s2, v8
	v_addc_co_u32_e32 v11, vcc, v11, v9, vcc
	v_mov_b32_e32 v13, s11
	v_add_co_u32_e32 v12, vcc, s10, v8
	v_addc_co_u32_e32 v13, vcc, v13, v9, vcc
	global_load_ushort v8, v[12:13], off
	global_load_ushort v9, v[10:11], off
	v_add_u32_e32 v6, 0x100, v6
.LBB114_9:
	s_or_b64 exec, exec, s[6:7]
	v_cmp_gt_i32_e32 vcc, s12, v6
	v_mov_b32_e32 v10, 0
	s_and_saveexec_b64 s[6:7], vcc
	s_cbranch_execz .LBB114_11
; %bb.10:
	v_add_u32_e32 v10, s4, v6
	v_mov_b32_e32 v11, 0
	v_lshlrev_b64 v[10:11], 1, v[10:11]
	v_mov_b32_e32 v7, s3
	v_add_co_u32_e32 v12, vcc, s2, v10
	v_addc_co_u32_e32 v13, vcc, v7, v11, vcc
	v_mov_b32_e32 v7, s11
	v_add_co_u32_e32 v14, vcc, s10, v10
	v_addc_co_u32_e32 v15, vcc, v7, v11, vcc
	global_load_ushort v7, v[14:15], off
	global_load_ushort v10, v[12:13], off
	v_add_u32_e32 v6, 0x100, v6
.LBB114_11:
	s_or_b64 exec, exec, s[6:7]
	v_cmp_gt_i32_e32 vcc, s12, v6
	v_mov_b32_e32 v11, 0
	v_mov_b32_e32 v12, 0
	v_mov_b32_e32 v13, 0
	s_and_saveexec_b64 s[6:7], vcc
	s_cbranch_execz .LBB114_13
; %bb.12:
	v_add_u32_e32 v12, s4, v6
	v_mov_b32_e32 v13, 0
	v_lshlrev_b64 v[12:13], 1, v[12:13]
	v_mov_b32_e32 v15, s3
	v_add_co_u32_e32 v14, vcc, s2, v12
	v_addc_co_u32_e32 v15, vcc, v15, v13, vcc
	v_mov_b32_e32 v17, s11
	v_add_co_u32_e32 v16, vcc, s10, v12
	v_addc_co_u32_e32 v17, vcc, v17, v13, vcc
	global_load_ushort v12, v[16:17], off
	global_load_ushort v13, v[14:15], off
	v_add_u32_e32 v6, 0x100, v6
.LBB114_13:
	;; [unrolled: 40-line block ×3, first 2 shown]
	s_or_b64 exec, exec, s[6:7]
	v_cmp_gt_i32_e32 vcc, s12, v6
	v_mov_b32_e32 v18, 0
	s_and_saveexec_b64 s[6:7], vcc
	s_cbranch_execz .LBB114_19
; %bb.18:
	v_add_u32_e32 v18, s4, v6
	v_mov_b32_e32 v19, 0
	v_lshlrev_b64 v[18:19], 1, v[18:19]
	v_mov_b32_e32 v6, s3
	v_add_co_u32_e32 v20, vcc, s2, v18
	v_addc_co_u32_e32 v21, vcc, v6, v19, vcc
	v_mov_b32_e32 v6, s11
	v_add_co_u32_e32 v22, vcc, s10, v18
	v_addc_co_u32_e32 v23, vcc, v6, v19, vcc
	global_load_ushort v15, v[22:23], off
	global_load_ushort v18, v[20:21], off
.LBB114_19:
	s_or_b64 exec, exec, s[6:7]
	v_mov_b32_e32 v20, s14
	s_waitcnt vmcnt(1)
	v_cmp_lt_i16_e64 s[2:3], s13, v2
	s_mov_b64 vcc, s[0:1]
	s_waitcnt vmcnt(0)
	v_cndmask_b32_e64 v4, v20, v4, s[2:3]
	v_mov_b32_e32 v2, 0
	v_cndmask_b32_sdwa v4, v2, v4, vcc dst_sel:DWORD dst_unused:UNUSED_PAD src0_sel:DWORD src1_sel:WORD_0
	v_cmp_lt_i16_e32 vcc, s13, v3
	v_or_b32_e32 v19, 0x100, v0
	v_cndmask_b32_e32 v3, v20, v5, vcc
	s_mov_b32 s5, 0x5040100
	v_perm_b32 v3, v3, v4, s5
	v_cmp_gt_i32_e32 vcc, s12, v19
	v_cndmask_b32_e32 v6, v4, v3, vcc
	v_cmp_lt_i16_e32 vcc, s13, v8
	v_or_b32_e32 v3, 0x200, v0
	v_cndmask_b32_e32 v4, v20, v9, vcc
	v_and_b32_e32 v4, 0xffff, v4
	v_cmp_gt_i32_e32 vcc, s12, v3
	v_cndmask_b32_e32 v3, 0, v4, vcc
	v_cmp_lt_i16_e32 vcc, s13, v7
	v_or_b32_e32 v4, 0x300, v0
	v_cndmask_b32_e32 v5, v20, v10, vcc
	v_perm_b32 v5, v5, v3, s5
	v_cmp_gt_i32_e32 vcc, s12, v4
	v_cndmask_b32_e32 v5, v3, v5, vcc
	v_cmp_lt_i16_e32 vcc, s13, v12
	v_or_b32_e32 v3, 0x400, v0
	v_cndmask_b32_e32 v4, v20, v13, vcc
	v_and_b32_e32 v4, 0xffff, v4
	v_cmp_gt_i32_e32 vcc, s12, v3
	v_cndmask_b32_e32 v3, 0, v4, vcc
	v_cmp_lt_i16_e32 vcc, s13, v11
	v_or_b32_e32 v4, 0x500, v0
	v_cndmask_b32_e32 v7, v20, v14, vcc
	v_perm_b32 v7, v7, v3, s5
	v_cmp_gt_i32_e32 vcc, s12, v4
	v_cndmask_b32_e32 v4, v3, v7, vcc
	v_or_b32_e32 v3, 0x600, v0
	v_cmp_lt_i16_e64 s[2:3], s13, v16
	v_cmp_gt_i32_e32 vcc, s12, v3
	v_cndmask_b32_e64 v3, v20, v17, s[2:3]
	v_cndmask_b32_sdwa v3, v2, v3, vcc dst_sel:DWORD dst_unused:UNUSED_PAD src0_sel:DWORD src1_sel:WORD_0
	v_cmp_lt_i16_e32 vcc, s13, v15
	v_or_b32_e32 v7, 0x700, v0
	v_cndmask_b32_e32 v8, v20, v18, vcc
	v_perm_b32 v8, v8, v3, s5
	v_cmp_gt_i32_e32 vcc, s12, v7
	v_cndmask_b32_e32 v3, v3, v8, vcc
	s_and_saveexec_b64 s[2:3], s[0:1]
	s_cbranch_execnz .LBB114_29
; %bb.20:
	s_or_b64 exec, exec, s[2:3]
	v_cmp_gt_i32_e32 vcc, s12, v0
	s_and_saveexec_b64 s[0:1], vcc
	s_cbranch_execnz .LBB114_30
.LBB114_21:
	s_or_b64 exec, exec, s[0:1]
	v_cmp_gt_i32_e32 vcc, s12, v0
	s_and_saveexec_b64 s[0:1], vcc
	s_cbranch_execnz .LBB114_31
.LBB114_22:
	s_or_b64 exec, exec, s[0:1]
	v_cmp_gt_i32_e32 vcc, s12, v0
	s_and_saveexec_b64 s[0:1], vcc
	s_cbranch_execnz .LBB114_32
.LBB114_23:
	s_or_b64 exec, exec, s[0:1]
	v_cmp_gt_i32_e32 vcc, s12, v0
	s_and_saveexec_b64 s[0:1], vcc
	s_cbranch_execnz .LBB114_33
.LBB114_24:
	s_or_b64 exec, exec, s[0:1]
	v_cmp_gt_i32_e32 vcc, s12, v0
	s_and_saveexec_b64 s[0:1], vcc
	s_cbranch_execnz .LBB114_34
.LBB114_25:
	s_or_b64 exec, exec, s[0:1]
	v_cmp_gt_i32_e32 vcc, s12, v0
	s_and_saveexec_b64 s[0:1], vcc
	s_cbranch_execnz .LBB114_35
.LBB114_26:
	s_or_b64 exec, exec, s[0:1]
	v_cmp_gt_i32_e32 vcc, s12, v0
	s_and_saveexec_b64 s[0:1], vcc
	s_cbranch_execz .LBB114_28
.LBB114_27:
	v_add_u32_e32 v0, s4, v0
	v_mov_b32_e32 v1, 0
	v_lshlrev_b64 v[0:1], 1, v[0:1]
	v_mov_b32_e32 v2, s9
	v_add_co_u32_e32 v0, vcc, s8, v0
	v_addc_co_u32_e32 v1, vcc, v2, v1, vcc
	global_store_short_d16_hi v[0:1], v3, off
.LBB114_28:
	s_endpgm
.LBB114_29:
	v_lshlrev_b64 v[0:1], 1, v[1:2]
	v_mov_b32_e32 v2, s9
	v_add_co_u32_e32 v0, vcc, s8, v0
	v_addc_co_u32_e32 v1, vcc, v2, v1, vcc
	global_store_short v[0:1], v6, off
	v_mov_b32_e32 v0, v19
	s_or_b64 exec, exec, s[2:3]
	v_cmp_gt_i32_e32 vcc, s12, v0
	s_and_saveexec_b64 s[0:1], vcc
	s_cbranch_execz .LBB114_21
.LBB114_30:
	v_add_u32_e32 v1, s4, v0
	v_mov_b32_e32 v2, 0
	v_lshlrev_b64 v[1:2], 1, v[1:2]
	v_mov_b32_e32 v7, s9
	v_add_co_u32_e32 v1, vcc, s8, v1
	v_addc_co_u32_e32 v2, vcc, v7, v2, vcc
	v_add_u32_e32 v0, 0x100, v0
	global_store_short_d16_hi v[1:2], v6, off
	s_or_b64 exec, exec, s[0:1]
	v_cmp_gt_i32_e32 vcc, s12, v0
	s_and_saveexec_b64 s[0:1], vcc
	s_cbranch_execz .LBB114_22
.LBB114_31:
	v_add_u32_e32 v1, s4, v0
	v_mov_b32_e32 v2, 0
	v_lshlrev_b64 v[1:2], 1, v[1:2]
	v_mov_b32_e32 v6, s9
	v_add_co_u32_e32 v1, vcc, s8, v1
	v_addc_co_u32_e32 v2, vcc, v6, v2, vcc
	v_add_u32_e32 v0, 0x100, v0
	global_store_short v[1:2], v5, off
	s_or_b64 exec, exec, s[0:1]
	v_cmp_gt_i32_e32 vcc, s12, v0
	s_and_saveexec_b64 s[0:1], vcc
	s_cbranch_execz .LBB114_23
.LBB114_32:
	v_add_u32_e32 v1, s4, v0
	v_mov_b32_e32 v2, 0
	v_lshlrev_b64 v[1:2], 1, v[1:2]
	v_mov_b32_e32 v6, s9
	v_add_co_u32_e32 v1, vcc, s8, v1
	v_addc_co_u32_e32 v2, vcc, v6, v2, vcc
	v_add_u32_e32 v0, 0x100, v0
	global_store_short_d16_hi v[1:2], v5, off
	s_or_b64 exec, exec, s[0:1]
	v_cmp_gt_i32_e32 vcc, s12, v0
	s_and_saveexec_b64 s[0:1], vcc
	s_cbranch_execz .LBB114_24
.LBB114_33:
	v_add_u32_e32 v1, s4, v0
	v_mov_b32_e32 v2, 0
	v_lshlrev_b64 v[1:2], 1, v[1:2]
	v_mov_b32_e32 v5, s9
	v_add_co_u32_e32 v1, vcc, s8, v1
	v_addc_co_u32_e32 v2, vcc, v5, v2, vcc
	v_add_u32_e32 v0, 0x100, v0
	global_store_short v[1:2], v4, off
	s_or_b64 exec, exec, s[0:1]
	v_cmp_gt_i32_e32 vcc, s12, v0
	s_and_saveexec_b64 s[0:1], vcc
	s_cbranch_execz .LBB114_25
.LBB114_34:
	v_add_u32_e32 v1, s4, v0
	v_mov_b32_e32 v2, 0
	v_lshlrev_b64 v[1:2], 1, v[1:2]
	v_mov_b32_e32 v5, s9
	v_add_co_u32_e32 v1, vcc, s8, v1
	v_addc_co_u32_e32 v2, vcc, v5, v2, vcc
	v_add_u32_e32 v0, 0x100, v0
	global_store_short_d16_hi v[1:2], v4, off
	s_or_b64 exec, exec, s[0:1]
	v_cmp_gt_i32_e32 vcc, s12, v0
	s_and_saveexec_b64 s[0:1], vcc
	s_cbranch_execz .LBB114_26
.LBB114_35:
	v_add_u32_e32 v1, s4, v0
	v_mov_b32_e32 v2, 0
	v_lshlrev_b64 v[1:2], 1, v[1:2]
	v_mov_b32_e32 v4, s9
	v_add_co_u32_e32 v1, vcc, s8, v1
	v_addc_co_u32_e32 v2, vcc, v4, v2, vcc
	v_add_u32_e32 v0, 0x100, v0
	global_store_short v[1:2], v3, off
	s_or_b64 exec, exec, s[0:1]
	v_cmp_gt_i32_e32 vcc, s12, v0
	s_and_saveexec_b64 s[0:1], vcc
	s_cbranch_execnz .LBB114_27
	s_branch .LBB114_28
	.section	.rodata,"a",@progbits
	.p2align	6, 0x0
	.amdhsa_kernel _ZN2at6native29vectorized_elementwise_kernelILi4ENS0_13BinaryFunctorIsssZNS0_12_GLOBAL__N_121threshold_kernel_implIsEEvRNS_18TensorIteratorBaseET_S7_EUlssE_EESt5arrayIPcLm3EEEEviT0_T1_
		.amdhsa_group_segment_fixed_size 0
		.amdhsa_private_segment_fixed_size 0
		.amdhsa_kernarg_size 32
		.amdhsa_user_sgpr_count 6
		.amdhsa_user_sgpr_private_segment_buffer 1
		.amdhsa_user_sgpr_dispatch_ptr 0
		.amdhsa_user_sgpr_queue_ptr 0
		.amdhsa_user_sgpr_kernarg_segment_ptr 1
		.amdhsa_user_sgpr_dispatch_id 0
		.amdhsa_user_sgpr_flat_scratch_init 0
		.amdhsa_user_sgpr_private_segment_size 0
		.amdhsa_uses_dynamic_stack 0
		.amdhsa_system_sgpr_private_segment_wavefront_offset 0
		.amdhsa_system_sgpr_workgroup_id_x 1
		.amdhsa_system_sgpr_workgroup_id_y 0
		.amdhsa_system_sgpr_workgroup_id_z 0
		.amdhsa_system_sgpr_workgroup_info 0
		.amdhsa_system_vgpr_workitem_id 0
		.amdhsa_next_free_vgpr 24
		.amdhsa_next_free_sgpr 18
		.amdhsa_reserve_vcc 1
		.amdhsa_reserve_flat_scratch 0
		.amdhsa_float_round_mode_32 0
		.amdhsa_float_round_mode_16_64 0
		.amdhsa_float_denorm_mode_32 3
		.amdhsa_float_denorm_mode_16_64 3
		.amdhsa_dx10_clamp 1
		.amdhsa_ieee_mode 1
		.amdhsa_fp16_overflow 0
		.amdhsa_exception_fp_ieee_invalid_op 0
		.amdhsa_exception_fp_denorm_src 0
		.amdhsa_exception_fp_ieee_div_zero 0
		.amdhsa_exception_fp_ieee_overflow 0
		.amdhsa_exception_fp_ieee_underflow 0
		.amdhsa_exception_fp_ieee_inexact 0
		.amdhsa_exception_int_div_zero 0
	.end_amdhsa_kernel
	.section	.text._ZN2at6native29vectorized_elementwise_kernelILi4ENS0_13BinaryFunctorIsssZNS0_12_GLOBAL__N_121threshold_kernel_implIsEEvRNS_18TensorIteratorBaseET_S7_EUlssE_EESt5arrayIPcLm3EEEEviT0_T1_,"axG",@progbits,_ZN2at6native29vectorized_elementwise_kernelILi4ENS0_13BinaryFunctorIsssZNS0_12_GLOBAL__N_121threshold_kernel_implIsEEvRNS_18TensorIteratorBaseET_S7_EUlssE_EESt5arrayIPcLm3EEEEviT0_T1_,comdat
.Lfunc_end114:
	.size	_ZN2at6native29vectorized_elementwise_kernelILi4ENS0_13BinaryFunctorIsssZNS0_12_GLOBAL__N_121threshold_kernel_implIsEEvRNS_18TensorIteratorBaseET_S7_EUlssE_EESt5arrayIPcLm3EEEEviT0_T1_, .Lfunc_end114-_ZN2at6native29vectorized_elementwise_kernelILi4ENS0_13BinaryFunctorIsssZNS0_12_GLOBAL__N_121threshold_kernel_implIsEEvRNS_18TensorIteratorBaseET_S7_EUlssE_EESt5arrayIPcLm3EEEEviT0_T1_
                                        ; -- End function
	.set _ZN2at6native29vectorized_elementwise_kernelILi4ENS0_13BinaryFunctorIsssZNS0_12_GLOBAL__N_121threshold_kernel_implIsEEvRNS_18TensorIteratorBaseET_S7_EUlssE_EESt5arrayIPcLm3EEEEviT0_T1_.num_vgpr, 24
	.set _ZN2at6native29vectorized_elementwise_kernelILi4ENS0_13BinaryFunctorIsssZNS0_12_GLOBAL__N_121threshold_kernel_implIsEEvRNS_18TensorIteratorBaseET_S7_EUlssE_EESt5arrayIPcLm3EEEEviT0_T1_.num_agpr, 0
	.set _ZN2at6native29vectorized_elementwise_kernelILi4ENS0_13BinaryFunctorIsssZNS0_12_GLOBAL__N_121threshold_kernel_implIsEEvRNS_18TensorIteratorBaseET_S7_EUlssE_EESt5arrayIPcLm3EEEEviT0_T1_.numbered_sgpr, 18
	.set _ZN2at6native29vectorized_elementwise_kernelILi4ENS0_13BinaryFunctorIsssZNS0_12_GLOBAL__N_121threshold_kernel_implIsEEvRNS_18TensorIteratorBaseET_S7_EUlssE_EESt5arrayIPcLm3EEEEviT0_T1_.num_named_barrier, 0
	.set _ZN2at6native29vectorized_elementwise_kernelILi4ENS0_13BinaryFunctorIsssZNS0_12_GLOBAL__N_121threshold_kernel_implIsEEvRNS_18TensorIteratorBaseET_S7_EUlssE_EESt5arrayIPcLm3EEEEviT0_T1_.private_seg_size, 0
	.set _ZN2at6native29vectorized_elementwise_kernelILi4ENS0_13BinaryFunctorIsssZNS0_12_GLOBAL__N_121threshold_kernel_implIsEEvRNS_18TensorIteratorBaseET_S7_EUlssE_EESt5arrayIPcLm3EEEEviT0_T1_.uses_vcc, 1
	.set _ZN2at6native29vectorized_elementwise_kernelILi4ENS0_13BinaryFunctorIsssZNS0_12_GLOBAL__N_121threshold_kernel_implIsEEvRNS_18TensorIteratorBaseET_S7_EUlssE_EESt5arrayIPcLm3EEEEviT0_T1_.uses_flat_scratch, 0
	.set _ZN2at6native29vectorized_elementwise_kernelILi4ENS0_13BinaryFunctorIsssZNS0_12_GLOBAL__N_121threshold_kernel_implIsEEvRNS_18TensorIteratorBaseET_S7_EUlssE_EESt5arrayIPcLm3EEEEviT0_T1_.has_dyn_sized_stack, 0
	.set _ZN2at6native29vectorized_elementwise_kernelILi4ENS0_13BinaryFunctorIsssZNS0_12_GLOBAL__N_121threshold_kernel_implIsEEvRNS_18TensorIteratorBaseET_S7_EUlssE_EESt5arrayIPcLm3EEEEviT0_T1_.has_recursion, 0
	.set _ZN2at6native29vectorized_elementwise_kernelILi4ENS0_13BinaryFunctorIsssZNS0_12_GLOBAL__N_121threshold_kernel_implIsEEvRNS_18TensorIteratorBaseET_S7_EUlssE_EESt5arrayIPcLm3EEEEviT0_T1_.has_indirect_call, 0
	.section	.AMDGPU.csdata,"",@progbits
; Kernel info:
; codeLenInByte = 1856
; TotalNumSgprs: 22
; NumVgprs: 24
; ScratchSize: 0
; MemoryBound: 0
; FloatMode: 240
; IeeeMode: 1
; LDSByteSize: 0 bytes/workgroup (compile time only)
; SGPRBlocks: 2
; VGPRBlocks: 5
; NumSGPRsForWavesPerEU: 22
; NumVGPRsForWavesPerEU: 24
; Occupancy: 10
; WaveLimiterHint : 1
; COMPUTE_PGM_RSRC2:SCRATCH_EN: 0
; COMPUTE_PGM_RSRC2:USER_SGPR: 6
; COMPUTE_PGM_RSRC2:TRAP_HANDLER: 0
; COMPUTE_PGM_RSRC2:TGID_X_EN: 1
; COMPUTE_PGM_RSRC2:TGID_Y_EN: 0
; COMPUTE_PGM_RSRC2:TGID_Z_EN: 0
; COMPUTE_PGM_RSRC2:TIDIG_COMP_CNT: 0
	.section	.text._ZN2at6native29vectorized_elementwise_kernelILi2ENS0_13BinaryFunctorIsssZNS0_12_GLOBAL__N_121threshold_kernel_implIsEEvRNS_18TensorIteratorBaseET_S7_EUlssE_EESt5arrayIPcLm3EEEEviT0_T1_,"axG",@progbits,_ZN2at6native29vectorized_elementwise_kernelILi2ENS0_13BinaryFunctorIsssZNS0_12_GLOBAL__N_121threshold_kernel_implIsEEvRNS_18TensorIteratorBaseET_S7_EUlssE_EESt5arrayIPcLm3EEEEviT0_T1_,comdat
	.globl	_ZN2at6native29vectorized_elementwise_kernelILi2ENS0_13BinaryFunctorIsssZNS0_12_GLOBAL__N_121threshold_kernel_implIsEEvRNS_18TensorIteratorBaseET_S7_EUlssE_EESt5arrayIPcLm3EEEEviT0_T1_ ; -- Begin function _ZN2at6native29vectorized_elementwise_kernelILi2ENS0_13BinaryFunctorIsssZNS0_12_GLOBAL__N_121threshold_kernel_implIsEEvRNS_18TensorIteratorBaseET_S7_EUlssE_EESt5arrayIPcLm3EEEEviT0_T1_
	.p2align	8
	.type	_ZN2at6native29vectorized_elementwise_kernelILi2ENS0_13BinaryFunctorIsssZNS0_12_GLOBAL__N_121threshold_kernel_implIsEEvRNS_18TensorIteratorBaseET_S7_EUlssE_EESt5arrayIPcLm3EEEEviT0_T1_,@function
_ZN2at6native29vectorized_elementwise_kernelILi2ENS0_13BinaryFunctorIsssZNS0_12_GLOBAL__N_121threshold_kernel_implIsEEvRNS_18TensorIteratorBaseET_S7_EUlssE_EESt5arrayIPcLm3EEEEviT0_T1_: ; @_ZN2at6native29vectorized_elementwise_kernelILi2ENS0_13BinaryFunctorIsssZNS0_12_GLOBAL__N_121threshold_kernel_implIsEEvRNS_18TensorIteratorBaseET_S7_EUlssE_EESt5arrayIPcLm3EEEEviT0_T1_
; %bb.0:
	s_load_dwordx2 s[12:13], s[4:5], 0x0
	s_load_dwordx4 s[8:11], s[4:5], 0x8
	s_load_dwordx2 s[2:3], s[4:5], 0x18
	s_lshl_b32 s4, s6, 11
	s_mov_b64 s[0:1], -1
	s_waitcnt lgkmcnt(0)
	s_sub_i32 s12, s12, s4
	s_lshr_b32 s14, s13, 16
	s_cmpk_gt_i32 s12, 0x7ff
	s_cbranch_scc0 .LBB115_2
; %bb.1:
	s_ashr_i32 s5, s4, 31
	s_lshl_b64 s[0:1], s[4:5], 1
	s_add_u32 s6, s10, s0
	s_addc_u32 s7, s11, s1
	s_add_u32 s16, s2, s0
	v_lshlrev_b32_e32 v1, 2, v0
	s_addc_u32 s17, s3, s1
	global_load_dword v2, v1, s[16:17]
	global_load_dword v3, v1, s[16:17] offset:1024
	global_load_dword v4, v1, s[16:17] offset:2048
	;; [unrolled: 1-line block ×3, first 2 shown]
	global_load_dword v6, v1, s[6:7]
	global_load_dword v7, v1, s[6:7] offset:1024
	global_load_dword v8, v1, s[6:7] offset:2048
	;; [unrolled: 1-line block ×3, first 2 shown]
	v_mov_b32_e32 v10, s14
	s_mov_b32 s5, 0x5040100
	s_add_u32 s0, s8, s0
	s_addc_u32 s1, s9, s1
	s_waitcnt vmcnt(7)
	v_lshrrev_b32_e32 v11, 16, v2
	s_waitcnt vmcnt(6)
	v_lshrrev_b32_e32 v12, 16, v3
	;; [unrolled: 2-line block ×4, first 2 shown]
	s_waitcnt vmcnt(3)
	v_cmp_lt_i16_e32 vcc, s13, v6
	v_cndmask_b32_e32 v2, v10, v2, vcc
	s_waitcnt vmcnt(2)
	v_cmp_lt_i16_e32 vcc, s13, v7
	v_cndmask_b32_e32 v3, v10, v3, vcc
	;; [unrolled: 3-line block ×4, first 2 shown]
	v_cmp_gt_i16_sdwa vcc, v6, s13 src0_sel:WORD_1 src1_sel:DWORD
	v_cndmask_b32_e32 v6, v10, v11, vcc
	v_cmp_gt_i16_sdwa vcc, v7, s13 src0_sel:WORD_1 src1_sel:DWORD
	v_cndmask_b32_e32 v7, v10, v12, vcc
	;; [unrolled: 2-line block ×4, first 2 shown]
	v_perm_b32 v2, v6, v2, s5
	v_perm_b32 v5, v9, v5, s5
	;; [unrolled: 1-line block ×4, first 2 shown]
	global_store_dword v1, v2, s[0:1]
	global_store_dword v1, v3, s[0:1] offset:1024
	global_store_dword v1, v4, s[0:1] offset:2048
	;; [unrolled: 1-line block ×3, first 2 shown]
	s_mov_b64 s[0:1], 0
.LBB115_2:
	s_andn2_b64 vcc, exec, s[0:1]
	s_cbranch_vccnz .LBB115_28
; %bb.3:
	v_cmp_gt_i32_e64 s[0:1], s12, v0
	v_mov_b32_e32 v3, 0
	v_or_b32_e32 v1, s4, v0
	v_mov_b32_e32 v2, 0
	v_mov_b32_e32 v4, 0
	;; [unrolled: 1-line block ×3, first 2 shown]
	s_and_saveexec_b64 s[6:7], s[0:1]
	s_cbranch_execz .LBB115_5
; %bb.4:
	v_mov_b32_e32 v2, 0
	v_lshlrev_b64 v[4:5], 1, v[1:2]
	v_mov_b32_e32 v2, s3
	v_add_co_u32_e32 v6, vcc, s2, v4
	v_addc_co_u32_e32 v7, vcc, v2, v5, vcc
	v_mov_b32_e32 v2, s11
	v_add_co_u32_e32 v8, vcc, s10, v4
	v_addc_co_u32_e32 v9, vcc, v2, v5, vcc
	global_load_ushort v2, v[8:9], off
	global_load_ushort v4, v[6:7], off
	v_or_b32_e32 v6, 0x100, v0
.LBB115_5:
	s_or_b64 exec, exec, s[6:7]
	v_cmp_gt_i32_e32 vcc, s12, v6
	v_mov_b32_e32 v5, 0
	s_and_saveexec_b64 s[6:7], vcc
	s_cbranch_execz .LBB115_7
; %bb.6:
	v_add_u32_e32 v7, s4, v6
	v_mov_b32_e32 v8, 0
	v_lshlrev_b64 v[7:8], 1, v[7:8]
	v_mov_b32_e32 v3, s3
	v_add_co_u32_e32 v9, vcc, s2, v7
	v_addc_co_u32_e32 v10, vcc, v3, v8, vcc
	v_mov_b32_e32 v3, s11
	v_add_co_u32_e32 v7, vcc, s10, v7
	v_addc_co_u32_e32 v8, vcc, v3, v8, vcc
	global_load_ushort v3, v[7:8], off
	global_load_ushort v5, v[9:10], off
	v_add_u32_e32 v6, 0x100, v6
.LBB115_7:
	s_or_b64 exec, exec, s[6:7]
	v_cmp_gt_i32_e32 vcc, s12, v6
	v_mov_b32_e32 v7, 0
	v_mov_b32_e32 v8, 0
	v_mov_b32_e32 v9, 0
	s_and_saveexec_b64 s[6:7], vcc
	s_cbranch_execz .LBB115_9
; %bb.8:
	v_add_u32_e32 v8, s4, v6
	v_mov_b32_e32 v9, 0
	v_lshlrev_b64 v[8:9], 1, v[8:9]
	v_mov_b32_e32 v11, s3
	v_add_co_u32_e32 v10, vcc, s2, v8
	v_addc_co_u32_e32 v11, vcc, v11, v9, vcc
	v_mov_b32_e32 v13, s11
	v_add_co_u32_e32 v12, vcc, s10, v8
	v_addc_co_u32_e32 v13, vcc, v13, v9, vcc
	global_load_ushort v8, v[12:13], off
	global_load_ushort v9, v[10:11], off
	v_add_u32_e32 v6, 0x100, v6
.LBB115_9:
	s_or_b64 exec, exec, s[6:7]
	v_cmp_gt_i32_e32 vcc, s12, v6
	v_mov_b32_e32 v10, 0
	s_and_saveexec_b64 s[6:7], vcc
	s_cbranch_execz .LBB115_11
; %bb.10:
	v_add_u32_e32 v10, s4, v6
	v_mov_b32_e32 v11, 0
	v_lshlrev_b64 v[10:11], 1, v[10:11]
	v_mov_b32_e32 v7, s3
	v_add_co_u32_e32 v12, vcc, s2, v10
	v_addc_co_u32_e32 v13, vcc, v7, v11, vcc
	v_mov_b32_e32 v7, s11
	v_add_co_u32_e32 v14, vcc, s10, v10
	v_addc_co_u32_e32 v15, vcc, v7, v11, vcc
	global_load_ushort v7, v[14:15], off
	global_load_ushort v10, v[12:13], off
	v_add_u32_e32 v6, 0x100, v6
.LBB115_11:
	s_or_b64 exec, exec, s[6:7]
	v_cmp_gt_i32_e32 vcc, s12, v6
	v_mov_b32_e32 v11, 0
	v_mov_b32_e32 v12, 0
	v_mov_b32_e32 v13, 0
	s_and_saveexec_b64 s[6:7], vcc
	s_cbranch_execz .LBB115_13
; %bb.12:
	v_add_u32_e32 v12, s4, v6
	v_mov_b32_e32 v13, 0
	v_lshlrev_b64 v[12:13], 1, v[12:13]
	v_mov_b32_e32 v15, s3
	v_add_co_u32_e32 v14, vcc, s2, v12
	v_addc_co_u32_e32 v15, vcc, v15, v13, vcc
	v_mov_b32_e32 v17, s11
	v_add_co_u32_e32 v16, vcc, s10, v12
	v_addc_co_u32_e32 v17, vcc, v17, v13, vcc
	global_load_ushort v12, v[16:17], off
	global_load_ushort v13, v[14:15], off
	v_add_u32_e32 v6, 0x100, v6
.LBB115_13:
	;; [unrolled: 40-line block ×3, first 2 shown]
	s_or_b64 exec, exec, s[6:7]
	v_cmp_gt_i32_e32 vcc, s12, v6
	v_mov_b32_e32 v18, 0
	s_and_saveexec_b64 s[6:7], vcc
	s_cbranch_execz .LBB115_19
; %bb.18:
	v_add_u32_e32 v18, s4, v6
	v_mov_b32_e32 v19, 0
	v_lshlrev_b64 v[18:19], 1, v[18:19]
	v_mov_b32_e32 v6, s3
	v_add_co_u32_e32 v20, vcc, s2, v18
	v_addc_co_u32_e32 v21, vcc, v6, v19, vcc
	v_mov_b32_e32 v6, s11
	v_add_co_u32_e32 v22, vcc, s10, v18
	v_addc_co_u32_e32 v23, vcc, v6, v19, vcc
	global_load_ushort v15, v[22:23], off
	global_load_ushort v18, v[20:21], off
.LBB115_19:
	s_or_b64 exec, exec, s[6:7]
	v_mov_b32_e32 v20, s14
	s_waitcnt vmcnt(1)
	v_cmp_lt_i16_e64 s[2:3], s13, v2
	s_mov_b64 vcc, s[0:1]
	s_waitcnt vmcnt(0)
	v_cndmask_b32_e64 v4, v20, v4, s[2:3]
	v_mov_b32_e32 v2, 0
	v_cndmask_b32_sdwa v4, v2, v4, vcc dst_sel:DWORD dst_unused:UNUSED_PAD src0_sel:DWORD src1_sel:WORD_0
	v_cmp_lt_i16_e32 vcc, s13, v3
	v_or_b32_e32 v19, 0x100, v0
	v_cndmask_b32_e32 v3, v20, v5, vcc
	s_mov_b32 s5, 0x5040100
	v_perm_b32 v3, v3, v4, s5
	v_cmp_gt_i32_e32 vcc, s12, v19
	v_cndmask_b32_e32 v6, v4, v3, vcc
	v_cmp_lt_i16_e32 vcc, s13, v8
	v_or_b32_e32 v3, 0x200, v0
	v_cndmask_b32_e32 v4, v20, v9, vcc
	v_and_b32_e32 v4, 0xffff, v4
	v_cmp_gt_i32_e32 vcc, s12, v3
	v_cndmask_b32_e32 v3, 0, v4, vcc
	v_cmp_lt_i16_e32 vcc, s13, v7
	v_or_b32_e32 v4, 0x300, v0
	v_cndmask_b32_e32 v5, v20, v10, vcc
	v_perm_b32 v5, v5, v3, s5
	v_cmp_gt_i32_e32 vcc, s12, v4
	v_cndmask_b32_e32 v5, v3, v5, vcc
	v_cmp_lt_i16_e32 vcc, s13, v12
	v_or_b32_e32 v3, 0x400, v0
	v_cndmask_b32_e32 v4, v20, v13, vcc
	v_and_b32_e32 v4, 0xffff, v4
	v_cmp_gt_i32_e32 vcc, s12, v3
	v_cndmask_b32_e32 v3, 0, v4, vcc
	v_cmp_lt_i16_e32 vcc, s13, v11
	v_or_b32_e32 v4, 0x500, v0
	v_cndmask_b32_e32 v7, v20, v14, vcc
	v_perm_b32 v7, v7, v3, s5
	v_cmp_gt_i32_e32 vcc, s12, v4
	v_cndmask_b32_e32 v4, v3, v7, vcc
	v_or_b32_e32 v3, 0x600, v0
	v_cmp_lt_i16_e64 s[2:3], s13, v16
	v_cmp_gt_i32_e32 vcc, s12, v3
	v_cndmask_b32_e64 v3, v20, v17, s[2:3]
	v_cndmask_b32_sdwa v3, v2, v3, vcc dst_sel:DWORD dst_unused:UNUSED_PAD src0_sel:DWORD src1_sel:WORD_0
	v_cmp_lt_i16_e32 vcc, s13, v15
	v_or_b32_e32 v7, 0x700, v0
	v_cndmask_b32_e32 v8, v20, v18, vcc
	v_perm_b32 v8, v8, v3, s5
	v_cmp_gt_i32_e32 vcc, s12, v7
	v_cndmask_b32_e32 v3, v3, v8, vcc
	s_and_saveexec_b64 s[2:3], s[0:1]
	s_cbranch_execnz .LBB115_29
; %bb.20:
	s_or_b64 exec, exec, s[2:3]
	v_cmp_gt_i32_e32 vcc, s12, v0
	s_and_saveexec_b64 s[0:1], vcc
	s_cbranch_execnz .LBB115_30
.LBB115_21:
	s_or_b64 exec, exec, s[0:1]
	v_cmp_gt_i32_e32 vcc, s12, v0
	s_and_saveexec_b64 s[0:1], vcc
	s_cbranch_execnz .LBB115_31
.LBB115_22:
	s_or_b64 exec, exec, s[0:1]
	v_cmp_gt_i32_e32 vcc, s12, v0
	s_and_saveexec_b64 s[0:1], vcc
	s_cbranch_execnz .LBB115_32
.LBB115_23:
	s_or_b64 exec, exec, s[0:1]
	v_cmp_gt_i32_e32 vcc, s12, v0
	s_and_saveexec_b64 s[0:1], vcc
	s_cbranch_execnz .LBB115_33
.LBB115_24:
	s_or_b64 exec, exec, s[0:1]
	v_cmp_gt_i32_e32 vcc, s12, v0
	s_and_saveexec_b64 s[0:1], vcc
	s_cbranch_execnz .LBB115_34
.LBB115_25:
	s_or_b64 exec, exec, s[0:1]
	v_cmp_gt_i32_e32 vcc, s12, v0
	s_and_saveexec_b64 s[0:1], vcc
	s_cbranch_execnz .LBB115_35
.LBB115_26:
	s_or_b64 exec, exec, s[0:1]
	v_cmp_gt_i32_e32 vcc, s12, v0
	s_and_saveexec_b64 s[0:1], vcc
	s_cbranch_execz .LBB115_28
.LBB115_27:
	v_add_u32_e32 v0, s4, v0
	v_mov_b32_e32 v1, 0
	v_lshlrev_b64 v[0:1], 1, v[0:1]
	v_mov_b32_e32 v2, s9
	v_add_co_u32_e32 v0, vcc, s8, v0
	v_addc_co_u32_e32 v1, vcc, v2, v1, vcc
	global_store_short_d16_hi v[0:1], v3, off
.LBB115_28:
	s_endpgm
.LBB115_29:
	v_lshlrev_b64 v[0:1], 1, v[1:2]
	v_mov_b32_e32 v2, s9
	v_add_co_u32_e32 v0, vcc, s8, v0
	v_addc_co_u32_e32 v1, vcc, v2, v1, vcc
	global_store_short v[0:1], v6, off
	v_mov_b32_e32 v0, v19
	s_or_b64 exec, exec, s[2:3]
	v_cmp_gt_i32_e32 vcc, s12, v0
	s_and_saveexec_b64 s[0:1], vcc
	s_cbranch_execz .LBB115_21
.LBB115_30:
	v_add_u32_e32 v1, s4, v0
	v_mov_b32_e32 v2, 0
	v_lshlrev_b64 v[1:2], 1, v[1:2]
	v_mov_b32_e32 v7, s9
	v_add_co_u32_e32 v1, vcc, s8, v1
	v_addc_co_u32_e32 v2, vcc, v7, v2, vcc
	v_add_u32_e32 v0, 0x100, v0
	global_store_short_d16_hi v[1:2], v6, off
	s_or_b64 exec, exec, s[0:1]
	v_cmp_gt_i32_e32 vcc, s12, v0
	s_and_saveexec_b64 s[0:1], vcc
	s_cbranch_execz .LBB115_22
.LBB115_31:
	v_add_u32_e32 v1, s4, v0
	v_mov_b32_e32 v2, 0
	v_lshlrev_b64 v[1:2], 1, v[1:2]
	v_mov_b32_e32 v6, s9
	v_add_co_u32_e32 v1, vcc, s8, v1
	v_addc_co_u32_e32 v2, vcc, v6, v2, vcc
	v_add_u32_e32 v0, 0x100, v0
	global_store_short v[1:2], v5, off
	s_or_b64 exec, exec, s[0:1]
	v_cmp_gt_i32_e32 vcc, s12, v0
	s_and_saveexec_b64 s[0:1], vcc
	s_cbranch_execz .LBB115_23
.LBB115_32:
	v_add_u32_e32 v1, s4, v0
	v_mov_b32_e32 v2, 0
	v_lshlrev_b64 v[1:2], 1, v[1:2]
	v_mov_b32_e32 v6, s9
	v_add_co_u32_e32 v1, vcc, s8, v1
	v_addc_co_u32_e32 v2, vcc, v6, v2, vcc
	v_add_u32_e32 v0, 0x100, v0
	global_store_short_d16_hi v[1:2], v5, off
	s_or_b64 exec, exec, s[0:1]
	v_cmp_gt_i32_e32 vcc, s12, v0
	s_and_saveexec_b64 s[0:1], vcc
	s_cbranch_execz .LBB115_24
.LBB115_33:
	v_add_u32_e32 v1, s4, v0
	v_mov_b32_e32 v2, 0
	v_lshlrev_b64 v[1:2], 1, v[1:2]
	v_mov_b32_e32 v5, s9
	v_add_co_u32_e32 v1, vcc, s8, v1
	v_addc_co_u32_e32 v2, vcc, v5, v2, vcc
	v_add_u32_e32 v0, 0x100, v0
	global_store_short v[1:2], v4, off
	s_or_b64 exec, exec, s[0:1]
	v_cmp_gt_i32_e32 vcc, s12, v0
	s_and_saveexec_b64 s[0:1], vcc
	s_cbranch_execz .LBB115_25
.LBB115_34:
	v_add_u32_e32 v1, s4, v0
	v_mov_b32_e32 v2, 0
	v_lshlrev_b64 v[1:2], 1, v[1:2]
	v_mov_b32_e32 v5, s9
	v_add_co_u32_e32 v1, vcc, s8, v1
	v_addc_co_u32_e32 v2, vcc, v5, v2, vcc
	v_add_u32_e32 v0, 0x100, v0
	global_store_short_d16_hi v[1:2], v4, off
	s_or_b64 exec, exec, s[0:1]
	v_cmp_gt_i32_e32 vcc, s12, v0
	s_and_saveexec_b64 s[0:1], vcc
	s_cbranch_execz .LBB115_26
.LBB115_35:
	v_add_u32_e32 v1, s4, v0
	v_mov_b32_e32 v2, 0
	v_lshlrev_b64 v[1:2], 1, v[1:2]
	v_mov_b32_e32 v4, s9
	v_add_co_u32_e32 v1, vcc, s8, v1
	v_addc_co_u32_e32 v2, vcc, v4, v2, vcc
	v_add_u32_e32 v0, 0x100, v0
	global_store_short v[1:2], v3, off
	s_or_b64 exec, exec, s[0:1]
	v_cmp_gt_i32_e32 vcc, s12, v0
	s_and_saveexec_b64 s[0:1], vcc
	s_cbranch_execnz .LBB115_27
	s_branch .LBB115_28
	.section	.rodata,"a",@progbits
	.p2align	6, 0x0
	.amdhsa_kernel _ZN2at6native29vectorized_elementwise_kernelILi2ENS0_13BinaryFunctorIsssZNS0_12_GLOBAL__N_121threshold_kernel_implIsEEvRNS_18TensorIteratorBaseET_S7_EUlssE_EESt5arrayIPcLm3EEEEviT0_T1_
		.amdhsa_group_segment_fixed_size 0
		.amdhsa_private_segment_fixed_size 0
		.amdhsa_kernarg_size 32
		.amdhsa_user_sgpr_count 6
		.amdhsa_user_sgpr_private_segment_buffer 1
		.amdhsa_user_sgpr_dispatch_ptr 0
		.amdhsa_user_sgpr_queue_ptr 0
		.amdhsa_user_sgpr_kernarg_segment_ptr 1
		.amdhsa_user_sgpr_dispatch_id 0
		.amdhsa_user_sgpr_flat_scratch_init 0
		.amdhsa_user_sgpr_private_segment_size 0
		.amdhsa_uses_dynamic_stack 0
		.amdhsa_system_sgpr_private_segment_wavefront_offset 0
		.amdhsa_system_sgpr_workgroup_id_x 1
		.amdhsa_system_sgpr_workgroup_id_y 0
		.amdhsa_system_sgpr_workgroup_id_z 0
		.amdhsa_system_sgpr_workgroup_info 0
		.amdhsa_system_vgpr_workitem_id 0
		.amdhsa_next_free_vgpr 24
		.amdhsa_next_free_sgpr 18
		.amdhsa_reserve_vcc 1
		.amdhsa_reserve_flat_scratch 0
		.amdhsa_float_round_mode_32 0
		.amdhsa_float_round_mode_16_64 0
		.amdhsa_float_denorm_mode_32 3
		.amdhsa_float_denorm_mode_16_64 3
		.amdhsa_dx10_clamp 1
		.amdhsa_ieee_mode 1
		.amdhsa_fp16_overflow 0
		.amdhsa_exception_fp_ieee_invalid_op 0
		.amdhsa_exception_fp_denorm_src 0
		.amdhsa_exception_fp_ieee_div_zero 0
		.amdhsa_exception_fp_ieee_overflow 0
		.amdhsa_exception_fp_ieee_underflow 0
		.amdhsa_exception_fp_ieee_inexact 0
		.amdhsa_exception_int_div_zero 0
	.end_amdhsa_kernel
	.section	.text._ZN2at6native29vectorized_elementwise_kernelILi2ENS0_13BinaryFunctorIsssZNS0_12_GLOBAL__N_121threshold_kernel_implIsEEvRNS_18TensorIteratorBaseET_S7_EUlssE_EESt5arrayIPcLm3EEEEviT0_T1_,"axG",@progbits,_ZN2at6native29vectorized_elementwise_kernelILi2ENS0_13BinaryFunctorIsssZNS0_12_GLOBAL__N_121threshold_kernel_implIsEEvRNS_18TensorIteratorBaseET_S7_EUlssE_EESt5arrayIPcLm3EEEEviT0_T1_,comdat
.Lfunc_end115:
	.size	_ZN2at6native29vectorized_elementwise_kernelILi2ENS0_13BinaryFunctorIsssZNS0_12_GLOBAL__N_121threshold_kernel_implIsEEvRNS_18TensorIteratorBaseET_S7_EUlssE_EESt5arrayIPcLm3EEEEviT0_T1_, .Lfunc_end115-_ZN2at6native29vectorized_elementwise_kernelILi2ENS0_13BinaryFunctorIsssZNS0_12_GLOBAL__N_121threshold_kernel_implIsEEvRNS_18TensorIteratorBaseET_S7_EUlssE_EESt5arrayIPcLm3EEEEviT0_T1_
                                        ; -- End function
	.set _ZN2at6native29vectorized_elementwise_kernelILi2ENS0_13BinaryFunctorIsssZNS0_12_GLOBAL__N_121threshold_kernel_implIsEEvRNS_18TensorIteratorBaseET_S7_EUlssE_EESt5arrayIPcLm3EEEEviT0_T1_.num_vgpr, 24
	.set _ZN2at6native29vectorized_elementwise_kernelILi2ENS0_13BinaryFunctorIsssZNS0_12_GLOBAL__N_121threshold_kernel_implIsEEvRNS_18TensorIteratorBaseET_S7_EUlssE_EESt5arrayIPcLm3EEEEviT0_T1_.num_agpr, 0
	.set _ZN2at6native29vectorized_elementwise_kernelILi2ENS0_13BinaryFunctorIsssZNS0_12_GLOBAL__N_121threshold_kernel_implIsEEvRNS_18TensorIteratorBaseET_S7_EUlssE_EESt5arrayIPcLm3EEEEviT0_T1_.numbered_sgpr, 18
	.set _ZN2at6native29vectorized_elementwise_kernelILi2ENS0_13BinaryFunctorIsssZNS0_12_GLOBAL__N_121threshold_kernel_implIsEEvRNS_18TensorIteratorBaseET_S7_EUlssE_EESt5arrayIPcLm3EEEEviT0_T1_.num_named_barrier, 0
	.set _ZN2at6native29vectorized_elementwise_kernelILi2ENS0_13BinaryFunctorIsssZNS0_12_GLOBAL__N_121threshold_kernel_implIsEEvRNS_18TensorIteratorBaseET_S7_EUlssE_EESt5arrayIPcLm3EEEEviT0_T1_.private_seg_size, 0
	.set _ZN2at6native29vectorized_elementwise_kernelILi2ENS0_13BinaryFunctorIsssZNS0_12_GLOBAL__N_121threshold_kernel_implIsEEvRNS_18TensorIteratorBaseET_S7_EUlssE_EESt5arrayIPcLm3EEEEviT0_T1_.uses_vcc, 1
	.set _ZN2at6native29vectorized_elementwise_kernelILi2ENS0_13BinaryFunctorIsssZNS0_12_GLOBAL__N_121threshold_kernel_implIsEEvRNS_18TensorIteratorBaseET_S7_EUlssE_EESt5arrayIPcLm3EEEEviT0_T1_.uses_flat_scratch, 0
	.set _ZN2at6native29vectorized_elementwise_kernelILi2ENS0_13BinaryFunctorIsssZNS0_12_GLOBAL__N_121threshold_kernel_implIsEEvRNS_18TensorIteratorBaseET_S7_EUlssE_EESt5arrayIPcLm3EEEEviT0_T1_.has_dyn_sized_stack, 0
	.set _ZN2at6native29vectorized_elementwise_kernelILi2ENS0_13BinaryFunctorIsssZNS0_12_GLOBAL__N_121threshold_kernel_implIsEEvRNS_18TensorIteratorBaseET_S7_EUlssE_EESt5arrayIPcLm3EEEEviT0_T1_.has_recursion, 0
	.set _ZN2at6native29vectorized_elementwise_kernelILi2ENS0_13BinaryFunctorIsssZNS0_12_GLOBAL__N_121threshold_kernel_implIsEEvRNS_18TensorIteratorBaseET_S7_EUlssE_EESt5arrayIPcLm3EEEEviT0_T1_.has_indirect_call, 0
	.section	.AMDGPU.csdata,"",@progbits
; Kernel info:
; codeLenInByte = 1924
; TotalNumSgprs: 22
; NumVgprs: 24
; ScratchSize: 0
; MemoryBound: 0
; FloatMode: 240
; IeeeMode: 1
; LDSByteSize: 0 bytes/workgroup (compile time only)
; SGPRBlocks: 2
; VGPRBlocks: 5
; NumSGPRsForWavesPerEU: 22
; NumVGPRsForWavesPerEU: 24
; Occupancy: 10
; WaveLimiterHint : 1
; COMPUTE_PGM_RSRC2:SCRATCH_EN: 0
; COMPUTE_PGM_RSRC2:USER_SGPR: 6
; COMPUTE_PGM_RSRC2:TRAP_HANDLER: 0
; COMPUTE_PGM_RSRC2:TGID_X_EN: 1
; COMPUTE_PGM_RSRC2:TGID_Y_EN: 0
; COMPUTE_PGM_RSRC2:TGID_Z_EN: 0
; COMPUTE_PGM_RSRC2:TIDIG_COMP_CNT: 0
	.section	.text._ZN2at6native27unrolled_elementwise_kernelINS0_13BinaryFunctorIsssZNS0_12_GLOBAL__N_121threshold_kernel_implIsEEvRNS_18TensorIteratorBaseET_S7_EUlssE_EESt5arrayIPcLm3EELi4E23TrivialOffsetCalculatorILi2EjESD_ILi1EjENS0_6memory15LoadWithoutCastENSG_16StoreWithoutCastEEEviS7_T0_T2_T3_T4_T5_,"axG",@progbits,_ZN2at6native27unrolled_elementwise_kernelINS0_13BinaryFunctorIsssZNS0_12_GLOBAL__N_121threshold_kernel_implIsEEvRNS_18TensorIteratorBaseET_S7_EUlssE_EESt5arrayIPcLm3EELi4E23TrivialOffsetCalculatorILi2EjESD_ILi1EjENS0_6memory15LoadWithoutCastENSG_16StoreWithoutCastEEEviS7_T0_T2_T3_T4_T5_,comdat
	.globl	_ZN2at6native27unrolled_elementwise_kernelINS0_13BinaryFunctorIsssZNS0_12_GLOBAL__N_121threshold_kernel_implIsEEvRNS_18TensorIteratorBaseET_S7_EUlssE_EESt5arrayIPcLm3EELi4E23TrivialOffsetCalculatorILi2EjESD_ILi1EjENS0_6memory15LoadWithoutCastENSG_16StoreWithoutCastEEEviS7_T0_T2_T3_T4_T5_ ; -- Begin function _ZN2at6native27unrolled_elementwise_kernelINS0_13BinaryFunctorIsssZNS0_12_GLOBAL__N_121threshold_kernel_implIsEEvRNS_18TensorIteratorBaseET_S7_EUlssE_EESt5arrayIPcLm3EELi4E23TrivialOffsetCalculatorILi2EjESD_ILi1EjENS0_6memory15LoadWithoutCastENSG_16StoreWithoutCastEEEviS7_T0_T2_T3_T4_T5_
	.p2align	8
	.type	_ZN2at6native27unrolled_elementwise_kernelINS0_13BinaryFunctorIsssZNS0_12_GLOBAL__N_121threshold_kernel_implIsEEvRNS_18TensorIteratorBaseET_S7_EUlssE_EESt5arrayIPcLm3EELi4E23TrivialOffsetCalculatorILi2EjESD_ILi1EjENS0_6memory15LoadWithoutCastENSG_16StoreWithoutCastEEEviS7_T0_T2_T3_T4_T5_,@function
_ZN2at6native27unrolled_elementwise_kernelINS0_13BinaryFunctorIsssZNS0_12_GLOBAL__N_121threshold_kernel_implIsEEvRNS_18TensorIteratorBaseET_S7_EUlssE_EESt5arrayIPcLm3EELi4E23TrivialOffsetCalculatorILi2EjESD_ILi1EjENS0_6memory15LoadWithoutCastENSG_16StoreWithoutCastEEEviS7_T0_T2_T3_T4_T5_: ; @_ZN2at6native27unrolled_elementwise_kernelINS0_13BinaryFunctorIsssZNS0_12_GLOBAL__N_121threshold_kernel_implIsEEvRNS_18TensorIteratorBaseET_S7_EUlssE_EESt5arrayIPcLm3EELi4E23TrivialOffsetCalculatorILi2EjESD_ILi1EjENS0_6memory15LoadWithoutCastENSG_16StoreWithoutCastEEEviS7_T0_T2_T3_T4_T5_
; %bb.0:
	s_load_dwordx2 s[12:13], s[4:5], 0x0
	s_load_dwordx4 s[8:11], s[4:5], 0x8
	s_load_dwordx2 s[2:3], s[4:5], 0x18
	s_lshl_b32 s6, s6, 10
	v_mov_b32_e32 v3, 0
	s_waitcnt lgkmcnt(0)
	s_sub_i32 s7, s12, s6
	v_cmp_gt_i32_e64 s[0:1], s7, v0
	v_or_b32_e32 v1, s6, v0
	v_mov_b32_e32 v2, 0
	v_mov_b32_e32 v4, 0
	;; [unrolled: 1-line block ×3, first 2 shown]
	s_and_saveexec_b64 s[4:5], s[0:1]
	s_cbranch_execz .LBB116_2
; %bb.1:
	v_mov_b32_e32 v2, 0
	v_lshlrev_b64 v[4:5], 1, v[1:2]
	v_mov_b32_e32 v2, s11
	v_add_co_u32_e32 v6, vcc, s10, v4
	v_addc_co_u32_e32 v7, vcc, v2, v5, vcc
	v_mov_b32_e32 v2, s3
	v_add_co_u32_e32 v8, vcc, s2, v4
	v_addc_co_u32_e32 v9, vcc, v2, v5, vcc
	global_load_ushort v2, v[6:7], off
	global_load_ushort v4, v[8:9], off
	v_or_b32_e32 v6, 0x100, v0
.LBB116_2:
	s_or_b64 exec, exec, s[4:5]
	v_cmp_gt_i32_e32 vcc, s7, v6
	v_mov_b32_e32 v5, 0
	s_and_saveexec_b64 s[4:5], vcc
	s_cbranch_execz .LBB116_4
; %bb.3:
	v_add_u32_e32 v7, s6, v6
	v_mov_b32_e32 v8, 0
	v_lshlrev_b64 v[7:8], 1, v[7:8]
	v_mov_b32_e32 v3, s11
	v_add_co_u32_e32 v9, vcc, s10, v7
	v_addc_co_u32_e32 v10, vcc, v3, v8, vcc
	v_mov_b32_e32 v3, s3
	v_add_co_u32_e32 v7, vcc, s2, v7
	v_addc_co_u32_e32 v8, vcc, v3, v8, vcc
	global_load_ushort v3, v[9:10], off
	global_load_ushort v5, v[7:8], off
	v_add_u32_e32 v6, 0x100, v6
.LBB116_4:
	s_or_b64 exec, exec, s[4:5]
	v_cmp_gt_i32_e32 vcc, s7, v6
	v_mov_b32_e32 v7, 0
	v_mov_b32_e32 v8, 0
	;; [unrolled: 1-line block ×3, first 2 shown]
	s_and_saveexec_b64 s[4:5], vcc
	s_cbranch_execz .LBB116_6
; %bb.5:
	v_add_u32_e32 v8, s6, v6
	v_mov_b32_e32 v9, 0
	v_lshlrev_b64 v[8:9], 1, v[8:9]
	v_mov_b32_e32 v11, s11
	v_add_co_u32_e32 v10, vcc, s10, v8
	v_addc_co_u32_e32 v11, vcc, v11, v9, vcc
	v_mov_b32_e32 v13, s3
	v_add_co_u32_e32 v12, vcc, s2, v8
	v_addc_co_u32_e32 v13, vcc, v13, v9, vcc
	global_load_ushort v8, v[10:11], off
	global_load_ushort v9, v[12:13], off
	v_add_u32_e32 v6, 0x100, v6
.LBB116_6:
	s_or_b64 exec, exec, s[4:5]
	v_cmp_gt_i32_e32 vcc, s7, v6
	v_mov_b32_e32 v10, 0
	s_and_saveexec_b64 s[4:5], vcc
	s_cbranch_execz .LBB116_8
; %bb.7:
	v_add_u32_e32 v6, s6, v6
	v_mov_b32_e32 v7, 0
	v_lshlrev_b64 v[6:7], 1, v[6:7]
	v_mov_b32_e32 v10, s11
	v_add_co_u32_e32 v11, vcc, s10, v6
	v_addc_co_u32_e32 v12, vcc, v10, v7, vcc
	v_mov_b32_e32 v10, s3
	v_add_co_u32_e32 v13, vcc, s2, v6
	v_addc_co_u32_e32 v14, vcc, v10, v7, vcc
	global_load_ushort v7, v[11:12], off
	global_load_ushort v10, v[13:14], off
.LBB116_8:
	s_or_b64 exec, exec, s[4:5]
	s_lshr_b32 s2, s13, 16
	v_mov_b32_e32 v11, s2
	s_waitcnt vmcnt(1)
	v_cmp_lt_i16_e64 s[2:3], s13, v2
	s_mov_b64 vcc, s[0:1]
	s_waitcnt vmcnt(0)
	v_cndmask_b32_e64 v4, v11, v4, s[2:3]
	v_mov_b32_e32 v2, 0
	v_cndmask_b32_sdwa v4, v2, v4, vcc dst_sel:DWORD dst_unused:UNUSED_PAD src0_sel:DWORD src1_sel:WORD_0
	v_cmp_lt_i16_e32 vcc, s13, v3
	v_or_b32_e32 v6, 0x100, v0
	v_cndmask_b32_e32 v3, v11, v5, vcc
	s_mov_b32 s4, 0x5040100
	v_perm_b32 v3, v3, v4, s4
	v_cmp_gt_i32_e32 vcc, s7, v6
	v_cndmask_b32_e32 v4, v4, v3, vcc
	v_or_b32_e32 v3, 0x200, v0
	v_cmp_lt_i16_e64 s[2:3], s13, v8
	v_cmp_gt_i32_e32 vcc, s7, v3
	v_cndmask_b32_e64 v3, v11, v9, s[2:3]
	v_cndmask_b32_sdwa v3, v2, v3, vcc dst_sel:DWORD dst_unused:UNUSED_PAD src0_sel:DWORD src1_sel:WORD_0
	v_cmp_lt_i16_e32 vcc, s13, v7
	v_or_b32_e32 v5, 0x300, v0
	v_cndmask_b32_e32 v7, v11, v10, vcc
	v_perm_b32 v7, v7, v3, s4
	v_cmp_gt_i32_e32 vcc, s7, v5
	v_cndmask_b32_e32 v3, v3, v7, vcc
	s_and_saveexec_b64 s[2:3], s[0:1]
	s_cbranch_execnz .LBB116_13
; %bb.9:
	s_or_b64 exec, exec, s[2:3]
	v_cmp_gt_i32_e32 vcc, s7, v0
	s_and_saveexec_b64 s[0:1], vcc
	s_cbranch_execnz .LBB116_14
.LBB116_10:
	s_or_b64 exec, exec, s[0:1]
	v_cmp_gt_i32_e32 vcc, s7, v0
	s_and_saveexec_b64 s[0:1], vcc
	s_cbranch_execnz .LBB116_15
.LBB116_11:
	s_or_b64 exec, exec, s[0:1]
	v_cmp_gt_i32_e32 vcc, s7, v0
	s_and_saveexec_b64 s[0:1], vcc
	s_cbranch_execnz .LBB116_16
.LBB116_12:
	s_endpgm
.LBB116_13:
	v_lshlrev_b64 v[0:1], 1, v[1:2]
	v_mov_b32_e32 v2, s9
	v_add_co_u32_e32 v0, vcc, s8, v0
	v_addc_co_u32_e32 v1, vcc, v2, v1, vcc
	global_store_short v[0:1], v4, off
	v_mov_b32_e32 v0, v6
	s_or_b64 exec, exec, s[2:3]
	v_cmp_gt_i32_e32 vcc, s7, v0
	s_and_saveexec_b64 s[0:1], vcc
	s_cbranch_execz .LBB116_10
.LBB116_14:
	v_add_u32_e32 v2, 0x100, v0
	v_add_u32_e32 v0, s6, v0
	v_mov_b32_e32 v1, 0
	v_lshlrev_b64 v[0:1], 1, v[0:1]
	v_mov_b32_e32 v5, s9
	v_add_co_u32_e32 v0, vcc, s8, v0
	v_addc_co_u32_e32 v1, vcc, v5, v1, vcc
	global_store_short_d16_hi v[0:1], v4, off
	v_mov_b32_e32 v0, v2
	s_or_b64 exec, exec, s[0:1]
	v_cmp_gt_i32_e32 vcc, s7, v0
	s_and_saveexec_b64 s[0:1], vcc
	s_cbranch_execz .LBB116_11
.LBB116_15:
	v_add_u32_e32 v2, 0x100, v0
	v_add_u32_e32 v0, s6, v0
	v_mov_b32_e32 v1, 0
	v_lshlrev_b64 v[0:1], 1, v[0:1]
	v_mov_b32_e32 v4, s9
	v_add_co_u32_e32 v0, vcc, s8, v0
	v_addc_co_u32_e32 v1, vcc, v4, v1, vcc
	global_store_short v[0:1], v3, off
	v_mov_b32_e32 v0, v2
	s_or_b64 exec, exec, s[0:1]
	v_cmp_gt_i32_e32 vcc, s7, v0
	s_and_saveexec_b64 s[0:1], vcc
	s_cbranch_execz .LBB116_12
.LBB116_16:
	v_add_u32_e32 v0, s6, v0
	v_mov_b32_e32 v1, 0
	v_lshlrev_b64 v[0:1], 1, v[0:1]
	v_mov_b32_e32 v2, s9
	v_add_co_u32_e32 v0, vcc, s8, v0
	v_addc_co_u32_e32 v1, vcc, v2, v1, vcc
	global_store_short_d16_hi v[0:1], v3, off
	s_endpgm
	.section	.rodata,"a",@progbits
	.p2align	6, 0x0
	.amdhsa_kernel _ZN2at6native27unrolled_elementwise_kernelINS0_13BinaryFunctorIsssZNS0_12_GLOBAL__N_121threshold_kernel_implIsEEvRNS_18TensorIteratorBaseET_S7_EUlssE_EESt5arrayIPcLm3EELi4E23TrivialOffsetCalculatorILi2EjESD_ILi1EjENS0_6memory15LoadWithoutCastENSG_16StoreWithoutCastEEEviS7_T0_T2_T3_T4_T5_
		.amdhsa_group_segment_fixed_size 0
		.amdhsa_private_segment_fixed_size 0
		.amdhsa_kernarg_size 36
		.amdhsa_user_sgpr_count 6
		.amdhsa_user_sgpr_private_segment_buffer 1
		.amdhsa_user_sgpr_dispatch_ptr 0
		.amdhsa_user_sgpr_queue_ptr 0
		.amdhsa_user_sgpr_kernarg_segment_ptr 1
		.amdhsa_user_sgpr_dispatch_id 0
		.amdhsa_user_sgpr_flat_scratch_init 0
		.amdhsa_user_sgpr_private_segment_size 0
		.amdhsa_uses_dynamic_stack 0
		.amdhsa_system_sgpr_private_segment_wavefront_offset 0
		.amdhsa_system_sgpr_workgroup_id_x 1
		.amdhsa_system_sgpr_workgroup_id_y 0
		.amdhsa_system_sgpr_workgroup_id_z 0
		.amdhsa_system_sgpr_workgroup_info 0
		.amdhsa_system_vgpr_workitem_id 0
		.amdhsa_next_free_vgpr 15
		.amdhsa_next_free_sgpr 14
		.amdhsa_reserve_vcc 1
		.amdhsa_reserve_flat_scratch 0
		.amdhsa_float_round_mode_32 0
		.amdhsa_float_round_mode_16_64 0
		.amdhsa_float_denorm_mode_32 3
		.amdhsa_float_denorm_mode_16_64 3
		.amdhsa_dx10_clamp 1
		.amdhsa_ieee_mode 1
		.amdhsa_fp16_overflow 0
		.amdhsa_exception_fp_ieee_invalid_op 0
		.amdhsa_exception_fp_denorm_src 0
		.amdhsa_exception_fp_ieee_div_zero 0
		.amdhsa_exception_fp_ieee_overflow 0
		.amdhsa_exception_fp_ieee_underflow 0
		.amdhsa_exception_fp_ieee_inexact 0
		.amdhsa_exception_int_div_zero 0
	.end_amdhsa_kernel
	.section	.text._ZN2at6native27unrolled_elementwise_kernelINS0_13BinaryFunctorIsssZNS0_12_GLOBAL__N_121threshold_kernel_implIsEEvRNS_18TensorIteratorBaseET_S7_EUlssE_EESt5arrayIPcLm3EELi4E23TrivialOffsetCalculatorILi2EjESD_ILi1EjENS0_6memory15LoadWithoutCastENSG_16StoreWithoutCastEEEviS7_T0_T2_T3_T4_T5_,"axG",@progbits,_ZN2at6native27unrolled_elementwise_kernelINS0_13BinaryFunctorIsssZNS0_12_GLOBAL__N_121threshold_kernel_implIsEEvRNS_18TensorIteratorBaseET_S7_EUlssE_EESt5arrayIPcLm3EELi4E23TrivialOffsetCalculatorILi2EjESD_ILi1EjENS0_6memory15LoadWithoutCastENSG_16StoreWithoutCastEEEviS7_T0_T2_T3_T4_T5_,comdat
.Lfunc_end116:
	.size	_ZN2at6native27unrolled_elementwise_kernelINS0_13BinaryFunctorIsssZNS0_12_GLOBAL__N_121threshold_kernel_implIsEEvRNS_18TensorIteratorBaseET_S7_EUlssE_EESt5arrayIPcLm3EELi4E23TrivialOffsetCalculatorILi2EjESD_ILi1EjENS0_6memory15LoadWithoutCastENSG_16StoreWithoutCastEEEviS7_T0_T2_T3_T4_T5_, .Lfunc_end116-_ZN2at6native27unrolled_elementwise_kernelINS0_13BinaryFunctorIsssZNS0_12_GLOBAL__N_121threshold_kernel_implIsEEvRNS_18TensorIteratorBaseET_S7_EUlssE_EESt5arrayIPcLm3EELi4E23TrivialOffsetCalculatorILi2EjESD_ILi1EjENS0_6memory15LoadWithoutCastENSG_16StoreWithoutCastEEEviS7_T0_T2_T3_T4_T5_
                                        ; -- End function
	.set _ZN2at6native27unrolled_elementwise_kernelINS0_13BinaryFunctorIsssZNS0_12_GLOBAL__N_121threshold_kernel_implIsEEvRNS_18TensorIteratorBaseET_S7_EUlssE_EESt5arrayIPcLm3EELi4E23TrivialOffsetCalculatorILi2EjESD_ILi1EjENS0_6memory15LoadWithoutCastENSG_16StoreWithoutCastEEEviS7_T0_T2_T3_T4_T5_.num_vgpr, 15
	.set _ZN2at6native27unrolled_elementwise_kernelINS0_13BinaryFunctorIsssZNS0_12_GLOBAL__N_121threshold_kernel_implIsEEvRNS_18TensorIteratorBaseET_S7_EUlssE_EESt5arrayIPcLm3EELi4E23TrivialOffsetCalculatorILi2EjESD_ILi1EjENS0_6memory15LoadWithoutCastENSG_16StoreWithoutCastEEEviS7_T0_T2_T3_T4_T5_.num_agpr, 0
	.set _ZN2at6native27unrolled_elementwise_kernelINS0_13BinaryFunctorIsssZNS0_12_GLOBAL__N_121threshold_kernel_implIsEEvRNS_18TensorIteratorBaseET_S7_EUlssE_EESt5arrayIPcLm3EELi4E23TrivialOffsetCalculatorILi2EjESD_ILi1EjENS0_6memory15LoadWithoutCastENSG_16StoreWithoutCastEEEviS7_T0_T2_T3_T4_T5_.numbered_sgpr, 14
	.set _ZN2at6native27unrolled_elementwise_kernelINS0_13BinaryFunctorIsssZNS0_12_GLOBAL__N_121threshold_kernel_implIsEEvRNS_18TensorIteratorBaseET_S7_EUlssE_EESt5arrayIPcLm3EELi4E23TrivialOffsetCalculatorILi2EjESD_ILi1EjENS0_6memory15LoadWithoutCastENSG_16StoreWithoutCastEEEviS7_T0_T2_T3_T4_T5_.num_named_barrier, 0
	.set _ZN2at6native27unrolled_elementwise_kernelINS0_13BinaryFunctorIsssZNS0_12_GLOBAL__N_121threshold_kernel_implIsEEvRNS_18TensorIteratorBaseET_S7_EUlssE_EESt5arrayIPcLm3EELi4E23TrivialOffsetCalculatorILi2EjESD_ILi1EjENS0_6memory15LoadWithoutCastENSG_16StoreWithoutCastEEEviS7_T0_T2_T3_T4_T5_.private_seg_size, 0
	.set _ZN2at6native27unrolled_elementwise_kernelINS0_13BinaryFunctorIsssZNS0_12_GLOBAL__N_121threshold_kernel_implIsEEvRNS_18TensorIteratorBaseET_S7_EUlssE_EESt5arrayIPcLm3EELi4E23TrivialOffsetCalculatorILi2EjESD_ILi1EjENS0_6memory15LoadWithoutCastENSG_16StoreWithoutCastEEEviS7_T0_T2_T3_T4_T5_.uses_vcc, 1
	.set _ZN2at6native27unrolled_elementwise_kernelINS0_13BinaryFunctorIsssZNS0_12_GLOBAL__N_121threshold_kernel_implIsEEvRNS_18TensorIteratorBaseET_S7_EUlssE_EESt5arrayIPcLm3EELi4E23TrivialOffsetCalculatorILi2EjESD_ILi1EjENS0_6memory15LoadWithoutCastENSG_16StoreWithoutCastEEEviS7_T0_T2_T3_T4_T5_.uses_flat_scratch, 0
	.set _ZN2at6native27unrolled_elementwise_kernelINS0_13BinaryFunctorIsssZNS0_12_GLOBAL__N_121threshold_kernel_implIsEEvRNS_18TensorIteratorBaseET_S7_EUlssE_EESt5arrayIPcLm3EELi4E23TrivialOffsetCalculatorILi2EjESD_ILi1EjENS0_6memory15LoadWithoutCastENSG_16StoreWithoutCastEEEviS7_T0_T2_T3_T4_T5_.has_dyn_sized_stack, 0
	.set _ZN2at6native27unrolled_elementwise_kernelINS0_13BinaryFunctorIsssZNS0_12_GLOBAL__N_121threshold_kernel_implIsEEvRNS_18TensorIteratorBaseET_S7_EUlssE_EESt5arrayIPcLm3EELi4E23TrivialOffsetCalculatorILi2EjESD_ILi1EjENS0_6memory15LoadWithoutCastENSG_16StoreWithoutCastEEEviS7_T0_T2_T3_T4_T5_.has_recursion, 0
	.set _ZN2at6native27unrolled_elementwise_kernelINS0_13BinaryFunctorIsssZNS0_12_GLOBAL__N_121threshold_kernel_implIsEEvRNS_18TensorIteratorBaseET_S7_EUlssE_EESt5arrayIPcLm3EELi4E23TrivialOffsetCalculatorILi2EjESD_ILi1EjENS0_6memory15LoadWithoutCastENSG_16StoreWithoutCastEEEviS7_T0_T2_T3_T4_T5_.has_indirect_call, 0
	.section	.AMDGPU.csdata,"",@progbits
; Kernel info:
; codeLenInByte = 820
; TotalNumSgprs: 18
; NumVgprs: 15
; ScratchSize: 0
; MemoryBound: 0
; FloatMode: 240
; IeeeMode: 1
; LDSByteSize: 0 bytes/workgroup (compile time only)
; SGPRBlocks: 2
; VGPRBlocks: 3
; NumSGPRsForWavesPerEU: 18
; NumVGPRsForWavesPerEU: 15
; Occupancy: 10
; WaveLimiterHint : 0
; COMPUTE_PGM_RSRC2:SCRATCH_EN: 0
; COMPUTE_PGM_RSRC2:USER_SGPR: 6
; COMPUTE_PGM_RSRC2:TRAP_HANDLER: 0
; COMPUTE_PGM_RSRC2:TGID_X_EN: 1
; COMPUTE_PGM_RSRC2:TGID_Y_EN: 0
; COMPUTE_PGM_RSRC2:TGID_Z_EN: 0
; COMPUTE_PGM_RSRC2:TIDIG_COMP_CNT: 0
	.section	.text._ZN2at6native32elementwise_kernel_manual_unrollILi128ELi8EZNS0_22gpu_kernel_impl_nocastINS0_13BinaryFunctorIsssZNS0_12_GLOBAL__N_121threshold_kernel_implIsEEvRNS_18TensorIteratorBaseET_S8_EUlssE_EEEEvS7_RKS8_EUlibE_EEviT1_,"axG",@progbits,_ZN2at6native32elementwise_kernel_manual_unrollILi128ELi8EZNS0_22gpu_kernel_impl_nocastINS0_13BinaryFunctorIsssZNS0_12_GLOBAL__N_121threshold_kernel_implIsEEvRNS_18TensorIteratorBaseET_S8_EUlssE_EEEEvS7_RKS8_EUlibE_EEviT1_,comdat
	.globl	_ZN2at6native32elementwise_kernel_manual_unrollILi128ELi8EZNS0_22gpu_kernel_impl_nocastINS0_13BinaryFunctorIsssZNS0_12_GLOBAL__N_121threshold_kernel_implIsEEvRNS_18TensorIteratorBaseET_S8_EUlssE_EEEEvS7_RKS8_EUlibE_EEviT1_ ; -- Begin function _ZN2at6native32elementwise_kernel_manual_unrollILi128ELi8EZNS0_22gpu_kernel_impl_nocastINS0_13BinaryFunctorIsssZNS0_12_GLOBAL__N_121threshold_kernel_implIsEEvRNS_18TensorIteratorBaseET_S8_EUlssE_EEEEvS7_RKS8_EUlibE_EEviT1_
	.p2align	8
	.type	_ZN2at6native32elementwise_kernel_manual_unrollILi128ELi8EZNS0_22gpu_kernel_impl_nocastINS0_13BinaryFunctorIsssZNS0_12_GLOBAL__N_121threshold_kernel_implIsEEvRNS_18TensorIteratorBaseET_S8_EUlssE_EEEEvS7_RKS8_EUlibE_EEviT1_,@function
_ZN2at6native32elementwise_kernel_manual_unrollILi128ELi8EZNS0_22gpu_kernel_impl_nocastINS0_13BinaryFunctorIsssZNS0_12_GLOBAL__N_121threshold_kernel_implIsEEvRNS_18TensorIteratorBaseET_S8_EUlssE_EEEEvS7_RKS8_EUlibE_EEviT1_: ; @_ZN2at6native32elementwise_kernel_manual_unrollILi128ELi8EZNS0_22gpu_kernel_impl_nocastINS0_13BinaryFunctorIsssZNS0_12_GLOBAL__N_121threshold_kernel_implIsEEvRNS_18TensorIteratorBaseET_S8_EUlssE_EEEEvS7_RKS8_EUlibE_EEviT1_
; %bb.0:
	s_load_dword s38, s[4:5], 0x0
	s_load_dword s33, s[4:5], 0x8
	s_add_u32 s12, s4, 8
	s_addc_u32 s13, s5, 0
	v_lshl_or_b32 v31, s6, 10, v0
	v_or_b32_e32 v41, 0x380, v31
	s_waitcnt lgkmcnt(0)
	s_add_i32 s34, s33, -1
	s_cmp_gt_u32 s34, 1
	v_cmp_le_i32_e32 vcc, s38, v41
	s_cselect_b64 s[14:15], -1, 0
	s_and_saveexec_b64 s[0:1], vcc
	s_xor_b64 s[16:17], exec, s[0:1]
	s_cbranch_execz .LBB117_106
; %bb.1:
	s_cmp_lg_u32 s33, 0
	s_load_dwordx4 s[8:11], s[12:13], 0x4
	s_load_dwordx2 s[22:23], s[12:13], 0x14
	s_load_dwordx4 s[4:7], s[12:13], 0xc4
	s_load_dwordx2 s[20:21], s[12:13], 0xd4
	s_load_dword s35, s[12:13], 0x1a0
	s_load_dwordx2 s[18:19], s[12:13], 0x198
	s_load_dwordx4 s[0:3], s[12:13], 0x188
	s_cselect_b64 s[26:27], -1, 0
	s_min_u32 s37, s34, 15
	s_cmp_gt_u32 s33, 1
	s_cselect_b64 s[24:25], -1, 0
	s_waitcnt lgkmcnt(0)
	s_lshr_b32 s36, s35, 16
	v_cmp_gt_i32_e32 vcc, s38, v31
	s_and_saveexec_b64 s[28:29], vcc
	s_cbranch_execnz .LBB117_9
; %bb.2:
	s_or_b64 exec, exec, s[28:29]
	v_cmp_gt_i32_e32 vcc, s38, v31
	s_and_saveexec_b64 s[28:29], vcc
	s_cbranch_execnz .LBB117_21
.LBB117_3:
	s_or_b64 exec, exec, s[28:29]
	v_cmp_gt_i32_e32 vcc, s38, v31
	s_and_saveexec_b64 s[28:29], vcc
	s_cbranch_execnz .LBB117_33
.LBB117_4:
	s_or_b64 exec, exec, s[28:29]
	v_cmp_gt_i32_e32 vcc, s38, v31
	s_and_saveexec_b64 s[28:29], vcc
	s_cbranch_execnz .LBB117_45
.LBB117_5:
	s_or_b64 exec, exec, s[28:29]
	v_cmp_gt_i32_e32 vcc, s38, v31
	s_and_saveexec_b64 s[28:29], vcc
	s_cbranch_execnz .LBB117_57
.LBB117_6:
	s_or_b64 exec, exec, s[28:29]
	v_cmp_gt_i32_e32 vcc, s38, v31
	s_and_saveexec_b64 s[28:29], vcc
	s_cbranch_execnz .LBB117_69
.LBB117_7:
	s_or_b64 exec, exec, s[28:29]
	v_cmp_gt_i32_e32 vcc, s38, v31
	s_and_saveexec_b64 s[28:29], vcc
	s_cbranch_execnz .LBB117_81
.LBB117_8:
	s_or_b64 exec, exec, s[28:29]
	v_cmp_gt_i32_e32 vcc, s38, v31
	s_and_saveexec_b64 s[28:29], vcc
	s_cbranch_execnz .LBB117_93
	s_branch .LBB117_105
.LBB117_9:
	s_andn2_b64 vcc, exec, s[14:15]
	s_cbranch_vccnz .LBB117_15
; %bb.10:
	s_andn2_b64 vcc, exec, s[26:27]
	s_cbranch_vccnz .LBB117_16
; %bb.11:
	s_add_i32 s30, s37, 1
	s_and_b32 s39, s30, 30
	s_add_u32 s30, s12, 0xffffffe8
	s_addc_u32 s31, s13, -1
	v_mov_b32_e32 v2, 0
	v_mov_b32_e32 v4, 0
	;; [unrolled: 1-line block ×4, first 2 shown]
.LBB117_12:                             ; =>This Inner Loop Header: Depth=1
	s_load_dwordx4 s[40:43], s[30:31], 0x1c
	s_load_dwordx2 s[48:49], s[30:31], 0x2c
	s_load_dwordx2 s[50:51], s[30:31], 0xec
	s_load_dwordx4 s[44:47], s[30:31], 0xdc
	s_add_u32 s30, s30, 24
	s_waitcnt lgkmcnt(0)
	v_mul_hi_u32 v3, s41, v1
	s_addc_u32 s31, s31, 0
	s_add_i32 s39, s39, -2
	s_cmp_lg_u32 s39, 0
	v_add_u32_e32 v3, v1, v3
	v_lshrrev_b32_e32 v3, s42, v3
	v_mul_lo_u32 v5, v3, s40
	v_mul_hi_u32 v6, s48, v3
	v_sub_u32_e32 v5, v1, v5
	v_add_u32_e32 v1, v3, v6
	v_lshrrev_b32_e32 v1, s49, v1
	v_mul_lo_u32 v8, v1, s43
	v_mul_lo_u32 v6, v5, s44
	;; [unrolled: 1-line block ×4, first 2 shown]
	v_sub_u32_e32 v3, v3, v8
	v_mul_lo_u32 v8, v3, s47
	v_mul_lo_u32 v9, v3, s50
	;; [unrolled: 1-line block ×3, first 2 shown]
	v_add3_u32 v0, v6, v0, v8
	v_add3_u32 v4, v7, v4, v9
	;; [unrolled: 1-line block ×3, first 2 shown]
	s_cbranch_scc1 .LBB117_12
; %bb.13:
	s_bitcmp1_b32 s37, 0
	s_cselect_b64 s[40:41], -1, 0
	s_and_b64 vcc, exec, s[40:41]
	s_cbranch_vccnz .LBB117_17
; %bb.14:
	s_load_dwordx2 s[40:41], s[30:31], 0x1c
	s_load_dword s39, s[30:31], 0x24
	s_load_dwordx2 s[42:43], s[30:31], 0xdc
	s_waitcnt lgkmcnt(0)
	v_mul_hi_u32 v3, s41, v1
	v_add_u32_e32 v3, v1, v3
	v_lshrrev_b32_e32 v3, s39, v3
	v_mul_lo_u32 v3, v3, s40
	s_load_dword s39, s[30:31], 0xe4
	v_sub_u32_e32 v3, v1, v3
	v_mad_u64_u32 v[0:1], s[30:31], v3, s42, v[0:1]
	v_mad_u64_u32 v[4:5], s[30:31], v3, s43, v[4:5]
	s_waitcnt lgkmcnt(0)
	v_mad_u64_u32 v[2:3], s[30:31], v3, s39, v[2:3]
	s_cbranch_execz .LBB117_18
	s_branch .LBB117_20
.LBB117_15:
                                        ; implicit-def: $vgpr0
                                        ; implicit-def: $vgpr4
                                        ; implicit-def: $vgpr2
	s_branch .LBB117_18
.LBB117_16:
	v_mov_b32_e32 v0, 0
	v_mov_b32_e32 v4, 0
	;; [unrolled: 1-line block ×3, first 2 shown]
.LBB117_17:
	s_cbranch_execnz .LBB117_20
.LBB117_18:
	v_mul_hi_u32 v0, s9, v31
	s_andn2_b64 vcc, exec, s[24:25]
	v_add_u32_e32 v0, v31, v0
	v_lshrrev_b32_e32 v1, s10, v0
	v_mul_lo_u32 v0, v1, s8
	v_sub_u32_e32 v2, v31, v0
	v_mul_lo_u32 v0, v2, s4
	v_mul_lo_u32 v4, v2, s5
	;; [unrolled: 1-line block ×3, first 2 shown]
	s_cbranch_vccnz .LBB117_20
; %bb.19:
	v_mul_hi_u32 v3, s22, v1
	v_add_u32_e32 v3, v1, v3
	v_lshrrev_b32_e32 v3, s23, v3
	v_mul_lo_u32 v3, v3, s11
	v_sub_u32_e32 v3, v1, v3
	v_mad_u64_u32 v[0:1], s[30:31], v3, s7, v[0:1]
	v_mad_u64_u32 v[4:5], s[30:31], v3, s20, v[4:5]
	;; [unrolled: 1-line block ×3, first 2 shown]
.LBB117_20:
	global_load_ushort v1, v4, s[2:3]
	global_load_ushort v3, v2, s[18:19]
	v_mov_b32_e32 v2, s36
	v_add_u32_e32 v31, 0x80, v31
	s_waitcnt vmcnt(1)
	v_cmp_lt_i16_e32 vcc, s35, v1
	s_waitcnt vmcnt(0)
	v_cndmask_b32_e32 v1, v2, v3, vcc
	global_store_short v0, v1, s[0:1]
	s_or_b64 exec, exec, s[28:29]
	v_cmp_gt_i32_e32 vcc, s38, v31
	s_and_saveexec_b64 s[28:29], vcc
	s_cbranch_execz .LBB117_3
.LBB117_21:
	s_andn2_b64 vcc, exec, s[14:15]
	s_cbranch_vccnz .LBB117_27
; %bb.22:
	s_andn2_b64 vcc, exec, s[26:27]
	s_cbranch_vccnz .LBB117_28
; %bb.23:
	s_add_i32 s30, s37, 1
	s_and_b32 s39, s30, 30
	s_add_u32 s30, s12, 0xffffffe8
	s_addc_u32 s31, s13, -1
	v_mov_b32_e32 v2, 0
	v_mov_b32_e32 v4, 0
	;; [unrolled: 1-line block ×4, first 2 shown]
.LBB117_24:                             ; =>This Inner Loop Header: Depth=1
	s_load_dwordx4 s[40:43], s[30:31], 0x1c
	s_load_dwordx2 s[48:49], s[30:31], 0x2c
	s_load_dwordx2 s[50:51], s[30:31], 0xec
	s_load_dwordx4 s[44:47], s[30:31], 0xdc
	s_add_u32 s30, s30, 24
	s_waitcnt lgkmcnt(0)
	v_mul_hi_u32 v3, s41, v1
	s_addc_u32 s31, s31, 0
	s_add_i32 s39, s39, -2
	s_cmp_eq_u32 s39, 0
	v_add_u32_e32 v3, v1, v3
	v_lshrrev_b32_e32 v3, s42, v3
	v_mul_lo_u32 v5, v3, s40
	v_mul_hi_u32 v6, s48, v3
	v_sub_u32_e32 v5, v1, v5
	v_add_u32_e32 v1, v3, v6
	v_lshrrev_b32_e32 v1, s49, v1
	v_mul_lo_u32 v8, v1, s43
	v_mul_lo_u32 v6, v5, s44
	;; [unrolled: 1-line block ×4, first 2 shown]
	v_sub_u32_e32 v3, v3, v8
	v_mul_lo_u32 v8, v3, s47
	v_mul_lo_u32 v9, v3, s50
	;; [unrolled: 1-line block ×3, first 2 shown]
	v_add3_u32 v0, v6, v0, v8
	v_add3_u32 v4, v7, v4, v9
	;; [unrolled: 1-line block ×3, first 2 shown]
	s_cbranch_scc0 .LBB117_24
; %bb.25:
	s_bitcmp1_b32 s37, 0
	s_cselect_b64 s[40:41], -1, 0
	s_and_b64 vcc, exec, s[40:41]
	s_cbranch_vccnz .LBB117_29
; %bb.26:
	s_load_dwordx2 s[40:41], s[30:31], 0x1c
	s_load_dword s39, s[30:31], 0x24
	s_load_dwordx2 s[42:43], s[30:31], 0xdc
	s_waitcnt lgkmcnt(0)
	v_mul_hi_u32 v3, s41, v1
	v_add_u32_e32 v3, v1, v3
	v_lshrrev_b32_e32 v3, s39, v3
	v_mul_lo_u32 v3, v3, s40
	s_load_dword s39, s[30:31], 0xe4
	v_sub_u32_e32 v3, v1, v3
	v_mad_u64_u32 v[0:1], s[30:31], v3, s42, v[0:1]
	v_mad_u64_u32 v[4:5], s[30:31], v3, s43, v[4:5]
	s_waitcnt lgkmcnt(0)
	v_mad_u64_u32 v[2:3], s[30:31], v3, s39, v[2:3]
	s_branch .LBB117_29
.LBB117_27:
                                        ; implicit-def: $vgpr0
                                        ; implicit-def: $vgpr4
                                        ; implicit-def: $vgpr2
	s_branch .LBB117_30
.LBB117_28:
	v_mov_b32_e32 v0, 0
	v_mov_b32_e32 v4, 0
	;; [unrolled: 1-line block ×3, first 2 shown]
.LBB117_29:
	s_cbranch_execnz .LBB117_32
.LBB117_30:
	v_mul_hi_u32 v0, s9, v31
	s_andn2_b64 vcc, exec, s[24:25]
	v_add_u32_e32 v0, v31, v0
	v_lshrrev_b32_e32 v1, s10, v0
	v_mul_lo_u32 v0, v1, s8
	v_sub_u32_e32 v2, v31, v0
	v_mul_lo_u32 v0, v2, s4
	v_mul_lo_u32 v4, v2, s5
	v_mul_lo_u32 v2, v2, s6
	s_cbranch_vccnz .LBB117_32
; %bb.31:
	v_mul_hi_u32 v3, s22, v1
	v_add_u32_e32 v3, v1, v3
	v_lshrrev_b32_e32 v3, s23, v3
	v_mul_lo_u32 v3, v3, s11
	v_sub_u32_e32 v3, v1, v3
	v_mad_u64_u32 v[0:1], s[30:31], v3, s7, v[0:1]
	v_mad_u64_u32 v[4:5], s[30:31], v3, s20, v[4:5]
	;; [unrolled: 1-line block ×3, first 2 shown]
.LBB117_32:
	global_load_ushort v1, v4, s[2:3]
	global_load_ushort v3, v2, s[18:19]
	v_mov_b32_e32 v2, s36
	v_add_u32_e32 v31, 0x80, v31
	s_waitcnt vmcnt(1)
	v_cmp_lt_i16_e32 vcc, s35, v1
	s_waitcnt vmcnt(0)
	v_cndmask_b32_e32 v1, v2, v3, vcc
	global_store_short v0, v1, s[0:1]
	s_or_b64 exec, exec, s[28:29]
	v_cmp_gt_i32_e32 vcc, s38, v31
	s_and_saveexec_b64 s[28:29], vcc
	s_cbranch_execz .LBB117_4
.LBB117_33:
	s_andn2_b64 vcc, exec, s[14:15]
	s_cbranch_vccnz .LBB117_39
; %bb.34:
	s_andn2_b64 vcc, exec, s[26:27]
	s_cbranch_vccnz .LBB117_40
; %bb.35:
	s_add_i32 s30, s37, 1
	s_and_b32 s39, s30, 30
	s_add_u32 s30, s12, 0xffffffe8
	s_addc_u32 s31, s13, -1
	v_mov_b32_e32 v2, 0
	v_mov_b32_e32 v4, 0
	;; [unrolled: 1-line block ×4, first 2 shown]
.LBB117_36:                             ; =>This Inner Loop Header: Depth=1
	s_load_dwordx4 s[40:43], s[30:31], 0x1c
	s_load_dwordx2 s[48:49], s[30:31], 0x2c
	s_load_dwordx2 s[50:51], s[30:31], 0xec
	s_load_dwordx4 s[44:47], s[30:31], 0xdc
	s_add_u32 s30, s30, 24
	s_waitcnt lgkmcnt(0)
	v_mul_hi_u32 v3, s41, v1
	s_addc_u32 s31, s31, 0
	s_add_i32 s39, s39, -2
	s_cmp_eq_u32 s39, 0
	v_add_u32_e32 v3, v1, v3
	v_lshrrev_b32_e32 v3, s42, v3
	v_mul_lo_u32 v5, v3, s40
	v_mul_hi_u32 v6, s48, v3
	v_sub_u32_e32 v5, v1, v5
	v_add_u32_e32 v1, v3, v6
	v_lshrrev_b32_e32 v1, s49, v1
	v_mul_lo_u32 v8, v1, s43
	v_mul_lo_u32 v6, v5, s44
	;; [unrolled: 1-line block ×4, first 2 shown]
	v_sub_u32_e32 v3, v3, v8
	v_mul_lo_u32 v8, v3, s47
	v_mul_lo_u32 v9, v3, s50
	;; [unrolled: 1-line block ×3, first 2 shown]
	v_add3_u32 v0, v6, v0, v8
	v_add3_u32 v4, v7, v4, v9
	;; [unrolled: 1-line block ×3, first 2 shown]
	s_cbranch_scc0 .LBB117_36
; %bb.37:
	s_bitcmp1_b32 s37, 0
	s_cselect_b64 s[40:41], -1, 0
	s_and_b64 vcc, exec, s[40:41]
	s_cbranch_vccnz .LBB117_41
; %bb.38:
	s_load_dwordx2 s[40:41], s[30:31], 0x1c
	s_load_dword s39, s[30:31], 0x24
	s_load_dwordx2 s[42:43], s[30:31], 0xdc
	s_waitcnt lgkmcnt(0)
	v_mul_hi_u32 v3, s41, v1
	v_add_u32_e32 v3, v1, v3
	v_lshrrev_b32_e32 v3, s39, v3
	v_mul_lo_u32 v3, v3, s40
	s_load_dword s39, s[30:31], 0xe4
	v_sub_u32_e32 v3, v1, v3
	v_mad_u64_u32 v[0:1], s[30:31], v3, s42, v[0:1]
	v_mad_u64_u32 v[4:5], s[30:31], v3, s43, v[4:5]
	s_waitcnt lgkmcnt(0)
	v_mad_u64_u32 v[2:3], s[30:31], v3, s39, v[2:3]
	s_branch .LBB117_41
.LBB117_39:
                                        ; implicit-def: $vgpr0
                                        ; implicit-def: $vgpr4
                                        ; implicit-def: $vgpr2
	s_branch .LBB117_42
.LBB117_40:
	v_mov_b32_e32 v0, 0
	v_mov_b32_e32 v4, 0
	v_mov_b32_e32 v2, 0
.LBB117_41:
	s_cbranch_execnz .LBB117_44
.LBB117_42:
	v_mul_hi_u32 v0, s9, v31
	s_andn2_b64 vcc, exec, s[24:25]
	v_add_u32_e32 v0, v31, v0
	v_lshrrev_b32_e32 v1, s10, v0
	v_mul_lo_u32 v0, v1, s8
	v_sub_u32_e32 v2, v31, v0
	v_mul_lo_u32 v0, v2, s4
	v_mul_lo_u32 v4, v2, s5
	;; [unrolled: 1-line block ×3, first 2 shown]
	s_cbranch_vccnz .LBB117_44
; %bb.43:
	v_mul_hi_u32 v3, s22, v1
	v_add_u32_e32 v3, v1, v3
	v_lshrrev_b32_e32 v3, s23, v3
	v_mul_lo_u32 v3, v3, s11
	v_sub_u32_e32 v3, v1, v3
	v_mad_u64_u32 v[0:1], s[30:31], v3, s7, v[0:1]
	v_mad_u64_u32 v[4:5], s[30:31], v3, s20, v[4:5]
	;; [unrolled: 1-line block ×3, first 2 shown]
.LBB117_44:
	global_load_ushort v1, v4, s[2:3]
	global_load_ushort v3, v2, s[18:19]
	v_mov_b32_e32 v2, s36
	v_add_u32_e32 v31, 0x80, v31
	s_waitcnt vmcnt(1)
	v_cmp_lt_i16_e32 vcc, s35, v1
	s_waitcnt vmcnt(0)
	v_cndmask_b32_e32 v1, v2, v3, vcc
	global_store_short v0, v1, s[0:1]
	s_or_b64 exec, exec, s[28:29]
	v_cmp_gt_i32_e32 vcc, s38, v31
	s_and_saveexec_b64 s[28:29], vcc
	s_cbranch_execz .LBB117_5
.LBB117_45:
	s_andn2_b64 vcc, exec, s[14:15]
	s_cbranch_vccnz .LBB117_51
; %bb.46:
	s_andn2_b64 vcc, exec, s[26:27]
	s_cbranch_vccnz .LBB117_52
; %bb.47:
	s_add_i32 s30, s37, 1
	s_and_b32 s39, s30, 30
	s_add_u32 s30, s12, 0xffffffe8
	s_addc_u32 s31, s13, -1
	v_mov_b32_e32 v2, 0
	v_mov_b32_e32 v4, 0
	;; [unrolled: 1-line block ×4, first 2 shown]
.LBB117_48:                             ; =>This Inner Loop Header: Depth=1
	s_load_dwordx4 s[40:43], s[30:31], 0x1c
	s_load_dwordx2 s[48:49], s[30:31], 0x2c
	s_load_dwordx2 s[50:51], s[30:31], 0xec
	s_load_dwordx4 s[44:47], s[30:31], 0xdc
	s_add_u32 s30, s30, 24
	s_waitcnt lgkmcnt(0)
	v_mul_hi_u32 v3, s41, v1
	s_addc_u32 s31, s31, 0
	s_add_i32 s39, s39, -2
	s_cmp_eq_u32 s39, 0
	v_add_u32_e32 v3, v1, v3
	v_lshrrev_b32_e32 v3, s42, v3
	v_mul_lo_u32 v5, v3, s40
	v_mul_hi_u32 v6, s48, v3
	v_sub_u32_e32 v5, v1, v5
	v_add_u32_e32 v1, v3, v6
	v_lshrrev_b32_e32 v1, s49, v1
	v_mul_lo_u32 v8, v1, s43
	v_mul_lo_u32 v6, v5, s44
	;; [unrolled: 1-line block ×4, first 2 shown]
	v_sub_u32_e32 v3, v3, v8
	v_mul_lo_u32 v8, v3, s47
	v_mul_lo_u32 v9, v3, s50
	;; [unrolled: 1-line block ×3, first 2 shown]
	v_add3_u32 v0, v6, v0, v8
	v_add3_u32 v4, v7, v4, v9
	;; [unrolled: 1-line block ×3, first 2 shown]
	s_cbranch_scc0 .LBB117_48
; %bb.49:
	s_bitcmp1_b32 s37, 0
	s_cselect_b64 s[40:41], -1, 0
	s_and_b64 vcc, exec, s[40:41]
	s_cbranch_vccnz .LBB117_53
; %bb.50:
	s_load_dwordx2 s[40:41], s[30:31], 0x1c
	s_load_dword s39, s[30:31], 0x24
	s_load_dwordx2 s[42:43], s[30:31], 0xdc
	s_waitcnt lgkmcnt(0)
	v_mul_hi_u32 v3, s41, v1
	v_add_u32_e32 v3, v1, v3
	v_lshrrev_b32_e32 v3, s39, v3
	v_mul_lo_u32 v3, v3, s40
	s_load_dword s39, s[30:31], 0xe4
	v_sub_u32_e32 v3, v1, v3
	v_mad_u64_u32 v[0:1], s[30:31], v3, s42, v[0:1]
	v_mad_u64_u32 v[4:5], s[30:31], v3, s43, v[4:5]
	s_waitcnt lgkmcnt(0)
	v_mad_u64_u32 v[2:3], s[30:31], v3, s39, v[2:3]
	s_branch .LBB117_53
.LBB117_51:
                                        ; implicit-def: $vgpr0
                                        ; implicit-def: $vgpr4
                                        ; implicit-def: $vgpr2
	s_branch .LBB117_54
.LBB117_52:
	v_mov_b32_e32 v0, 0
	v_mov_b32_e32 v4, 0
	v_mov_b32_e32 v2, 0
.LBB117_53:
	s_cbranch_execnz .LBB117_56
.LBB117_54:
	v_mul_hi_u32 v0, s9, v31
	s_andn2_b64 vcc, exec, s[24:25]
	v_add_u32_e32 v0, v31, v0
	v_lshrrev_b32_e32 v1, s10, v0
	v_mul_lo_u32 v0, v1, s8
	v_sub_u32_e32 v2, v31, v0
	v_mul_lo_u32 v0, v2, s4
	v_mul_lo_u32 v4, v2, s5
	;; [unrolled: 1-line block ×3, first 2 shown]
	s_cbranch_vccnz .LBB117_56
; %bb.55:
	v_mul_hi_u32 v3, s22, v1
	v_add_u32_e32 v3, v1, v3
	v_lshrrev_b32_e32 v3, s23, v3
	v_mul_lo_u32 v3, v3, s11
	v_sub_u32_e32 v3, v1, v3
	v_mad_u64_u32 v[0:1], s[30:31], v3, s7, v[0:1]
	v_mad_u64_u32 v[4:5], s[30:31], v3, s20, v[4:5]
	;; [unrolled: 1-line block ×3, first 2 shown]
.LBB117_56:
	global_load_ushort v1, v4, s[2:3]
	global_load_ushort v3, v2, s[18:19]
	v_mov_b32_e32 v2, s36
	v_add_u32_e32 v31, 0x80, v31
	s_waitcnt vmcnt(1)
	v_cmp_lt_i16_e32 vcc, s35, v1
	s_waitcnt vmcnt(0)
	v_cndmask_b32_e32 v1, v2, v3, vcc
	global_store_short v0, v1, s[0:1]
	s_or_b64 exec, exec, s[28:29]
	v_cmp_gt_i32_e32 vcc, s38, v31
	s_and_saveexec_b64 s[28:29], vcc
	s_cbranch_execz .LBB117_6
.LBB117_57:
	s_andn2_b64 vcc, exec, s[14:15]
	s_cbranch_vccnz .LBB117_63
; %bb.58:
	s_andn2_b64 vcc, exec, s[26:27]
	s_cbranch_vccnz .LBB117_64
; %bb.59:
	s_add_i32 s30, s37, 1
	s_and_b32 s39, s30, 30
	s_add_u32 s30, s12, 0xffffffe8
	s_addc_u32 s31, s13, -1
	v_mov_b32_e32 v2, 0
	v_mov_b32_e32 v4, 0
	;; [unrolled: 1-line block ×4, first 2 shown]
.LBB117_60:                             ; =>This Inner Loop Header: Depth=1
	s_load_dwordx4 s[40:43], s[30:31], 0x1c
	s_load_dwordx2 s[48:49], s[30:31], 0x2c
	s_load_dwordx2 s[50:51], s[30:31], 0xec
	s_load_dwordx4 s[44:47], s[30:31], 0xdc
	s_add_u32 s30, s30, 24
	s_waitcnt lgkmcnt(0)
	v_mul_hi_u32 v3, s41, v1
	s_addc_u32 s31, s31, 0
	s_add_i32 s39, s39, -2
	s_cmp_eq_u32 s39, 0
	v_add_u32_e32 v3, v1, v3
	v_lshrrev_b32_e32 v3, s42, v3
	v_mul_lo_u32 v5, v3, s40
	v_mul_hi_u32 v6, s48, v3
	v_sub_u32_e32 v5, v1, v5
	v_add_u32_e32 v1, v3, v6
	v_lshrrev_b32_e32 v1, s49, v1
	v_mul_lo_u32 v8, v1, s43
	v_mul_lo_u32 v6, v5, s44
	;; [unrolled: 1-line block ×4, first 2 shown]
	v_sub_u32_e32 v3, v3, v8
	v_mul_lo_u32 v8, v3, s47
	v_mul_lo_u32 v9, v3, s50
	;; [unrolled: 1-line block ×3, first 2 shown]
	v_add3_u32 v0, v6, v0, v8
	v_add3_u32 v4, v7, v4, v9
	;; [unrolled: 1-line block ×3, first 2 shown]
	s_cbranch_scc0 .LBB117_60
; %bb.61:
	s_bitcmp1_b32 s37, 0
	s_cselect_b64 s[40:41], -1, 0
	s_and_b64 vcc, exec, s[40:41]
	s_cbranch_vccnz .LBB117_65
; %bb.62:
	s_load_dwordx2 s[40:41], s[30:31], 0x1c
	s_load_dword s39, s[30:31], 0x24
	s_load_dwordx2 s[42:43], s[30:31], 0xdc
	s_waitcnt lgkmcnt(0)
	v_mul_hi_u32 v3, s41, v1
	v_add_u32_e32 v3, v1, v3
	v_lshrrev_b32_e32 v3, s39, v3
	v_mul_lo_u32 v3, v3, s40
	s_load_dword s39, s[30:31], 0xe4
	v_sub_u32_e32 v3, v1, v3
	v_mad_u64_u32 v[0:1], s[30:31], v3, s42, v[0:1]
	v_mad_u64_u32 v[4:5], s[30:31], v3, s43, v[4:5]
	s_waitcnt lgkmcnt(0)
	v_mad_u64_u32 v[2:3], s[30:31], v3, s39, v[2:3]
	s_branch .LBB117_65
.LBB117_63:
                                        ; implicit-def: $vgpr0
                                        ; implicit-def: $vgpr4
                                        ; implicit-def: $vgpr2
	s_branch .LBB117_66
.LBB117_64:
	v_mov_b32_e32 v0, 0
	v_mov_b32_e32 v4, 0
	;; [unrolled: 1-line block ×3, first 2 shown]
.LBB117_65:
	s_cbranch_execnz .LBB117_68
.LBB117_66:
	v_mul_hi_u32 v0, s9, v31
	s_andn2_b64 vcc, exec, s[24:25]
	v_add_u32_e32 v0, v31, v0
	v_lshrrev_b32_e32 v1, s10, v0
	v_mul_lo_u32 v0, v1, s8
	v_sub_u32_e32 v2, v31, v0
	v_mul_lo_u32 v0, v2, s4
	v_mul_lo_u32 v4, v2, s5
	;; [unrolled: 1-line block ×3, first 2 shown]
	s_cbranch_vccnz .LBB117_68
; %bb.67:
	v_mul_hi_u32 v3, s22, v1
	v_add_u32_e32 v3, v1, v3
	v_lshrrev_b32_e32 v3, s23, v3
	v_mul_lo_u32 v3, v3, s11
	v_sub_u32_e32 v3, v1, v3
	v_mad_u64_u32 v[0:1], s[30:31], v3, s7, v[0:1]
	v_mad_u64_u32 v[4:5], s[30:31], v3, s20, v[4:5]
	;; [unrolled: 1-line block ×3, first 2 shown]
.LBB117_68:
	global_load_ushort v1, v4, s[2:3]
	global_load_ushort v3, v2, s[18:19]
	v_mov_b32_e32 v2, s36
	v_add_u32_e32 v31, 0x80, v31
	s_waitcnt vmcnt(1)
	v_cmp_lt_i16_e32 vcc, s35, v1
	s_waitcnt vmcnt(0)
	v_cndmask_b32_e32 v1, v2, v3, vcc
	global_store_short v0, v1, s[0:1]
	s_or_b64 exec, exec, s[28:29]
	v_cmp_gt_i32_e32 vcc, s38, v31
	s_and_saveexec_b64 s[28:29], vcc
	s_cbranch_execz .LBB117_7
.LBB117_69:
	s_andn2_b64 vcc, exec, s[14:15]
	s_cbranch_vccnz .LBB117_75
; %bb.70:
	s_andn2_b64 vcc, exec, s[26:27]
	s_cbranch_vccnz .LBB117_76
; %bb.71:
	s_add_i32 s30, s37, 1
	s_and_b32 s39, s30, 30
	s_add_u32 s30, s12, 0xffffffe8
	s_addc_u32 s31, s13, -1
	v_mov_b32_e32 v2, 0
	v_mov_b32_e32 v4, 0
	;; [unrolled: 1-line block ×4, first 2 shown]
.LBB117_72:                             ; =>This Inner Loop Header: Depth=1
	s_load_dwordx4 s[40:43], s[30:31], 0x1c
	s_load_dwordx2 s[48:49], s[30:31], 0x2c
	s_load_dwordx2 s[50:51], s[30:31], 0xec
	s_load_dwordx4 s[44:47], s[30:31], 0xdc
	s_add_u32 s30, s30, 24
	s_waitcnt lgkmcnt(0)
	v_mul_hi_u32 v3, s41, v1
	s_addc_u32 s31, s31, 0
	s_add_i32 s39, s39, -2
	s_cmp_eq_u32 s39, 0
	v_add_u32_e32 v3, v1, v3
	v_lshrrev_b32_e32 v3, s42, v3
	v_mul_lo_u32 v5, v3, s40
	v_mul_hi_u32 v6, s48, v3
	v_sub_u32_e32 v5, v1, v5
	v_add_u32_e32 v1, v3, v6
	v_lshrrev_b32_e32 v1, s49, v1
	v_mul_lo_u32 v8, v1, s43
	v_mul_lo_u32 v6, v5, s44
	;; [unrolled: 1-line block ×4, first 2 shown]
	v_sub_u32_e32 v3, v3, v8
	v_mul_lo_u32 v8, v3, s47
	v_mul_lo_u32 v9, v3, s50
	;; [unrolled: 1-line block ×3, first 2 shown]
	v_add3_u32 v0, v6, v0, v8
	v_add3_u32 v4, v7, v4, v9
	;; [unrolled: 1-line block ×3, first 2 shown]
	s_cbranch_scc0 .LBB117_72
; %bb.73:
	s_bitcmp1_b32 s37, 0
	s_cselect_b64 s[40:41], -1, 0
	s_and_b64 vcc, exec, s[40:41]
	s_cbranch_vccnz .LBB117_77
; %bb.74:
	s_load_dwordx2 s[40:41], s[30:31], 0x1c
	s_load_dword s39, s[30:31], 0x24
	s_load_dwordx2 s[42:43], s[30:31], 0xdc
	s_waitcnt lgkmcnt(0)
	v_mul_hi_u32 v3, s41, v1
	v_add_u32_e32 v3, v1, v3
	v_lshrrev_b32_e32 v3, s39, v3
	v_mul_lo_u32 v3, v3, s40
	s_load_dword s39, s[30:31], 0xe4
	v_sub_u32_e32 v3, v1, v3
	v_mad_u64_u32 v[0:1], s[30:31], v3, s42, v[0:1]
	v_mad_u64_u32 v[4:5], s[30:31], v3, s43, v[4:5]
	s_waitcnt lgkmcnt(0)
	v_mad_u64_u32 v[2:3], s[30:31], v3, s39, v[2:3]
	s_branch .LBB117_77
.LBB117_75:
                                        ; implicit-def: $vgpr0
                                        ; implicit-def: $vgpr4
                                        ; implicit-def: $vgpr2
	s_branch .LBB117_78
.LBB117_76:
	v_mov_b32_e32 v0, 0
	v_mov_b32_e32 v4, 0
	v_mov_b32_e32 v2, 0
.LBB117_77:
	s_cbranch_execnz .LBB117_80
.LBB117_78:
	v_mul_hi_u32 v0, s9, v31
	s_andn2_b64 vcc, exec, s[24:25]
	v_add_u32_e32 v0, v31, v0
	v_lshrrev_b32_e32 v1, s10, v0
	v_mul_lo_u32 v0, v1, s8
	v_sub_u32_e32 v2, v31, v0
	v_mul_lo_u32 v0, v2, s4
	v_mul_lo_u32 v4, v2, s5
	;; [unrolled: 1-line block ×3, first 2 shown]
	s_cbranch_vccnz .LBB117_80
; %bb.79:
	v_mul_hi_u32 v3, s22, v1
	v_add_u32_e32 v3, v1, v3
	v_lshrrev_b32_e32 v3, s23, v3
	v_mul_lo_u32 v3, v3, s11
	v_sub_u32_e32 v3, v1, v3
	v_mad_u64_u32 v[0:1], s[30:31], v3, s7, v[0:1]
	v_mad_u64_u32 v[4:5], s[30:31], v3, s20, v[4:5]
	;; [unrolled: 1-line block ×3, first 2 shown]
.LBB117_80:
	global_load_ushort v1, v4, s[2:3]
	global_load_ushort v3, v2, s[18:19]
	v_mov_b32_e32 v2, s36
	v_add_u32_e32 v31, 0x80, v31
	s_waitcnt vmcnt(1)
	v_cmp_lt_i16_e32 vcc, s35, v1
	s_waitcnt vmcnt(0)
	v_cndmask_b32_e32 v1, v2, v3, vcc
	global_store_short v0, v1, s[0:1]
	s_or_b64 exec, exec, s[28:29]
	v_cmp_gt_i32_e32 vcc, s38, v31
	s_and_saveexec_b64 s[28:29], vcc
	s_cbranch_execz .LBB117_8
.LBB117_81:
	s_andn2_b64 vcc, exec, s[14:15]
	s_cbranch_vccnz .LBB117_87
; %bb.82:
	s_andn2_b64 vcc, exec, s[26:27]
	s_cbranch_vccnz .LBB117_88
; %bb.83:
	s_add_i32 s30, s37, 1
	s_and_b32 s39, s30, 30
	s_add_u32 s30, s12, 0xffffffe8
	s_addc_u32 s31, s13, -1
	v_mov_b32_e32 v2, 0
	v_mov_b32_e32 v4, 0
	;; [unrolled: 1-line block ×4, first 2 shown]
.LBB117_84:                             ; =>This Inner Loop Header: Depth=1
	s_load_dwordx4 s[40:43], s[30:31], 0x1c
	s_load_dwordx2 s[48:49], s[30:31], 0x2c
	s_load_dwordx2 s[50:51], s[30:31], 0xec
	s_load_dwordx4 s[44:47], s[30:31], 0xdc
	s_add_u32 s30, s30, 24
	s_waitcnt lgkmcnt(0)
	v_mul_hi_u32 v3, s41, v1
	s_addc_u32 s31, s31, 0
	s_add_i32 s39, s39, -2
	s_cmp_eq_u32 s39, 0
	v_add_u32_e32 v3, v1, v3
	v_lshrrev_b32_e32 v3, s42, v3
	v_mul_lo_u32 v5, v3, s40
	v_mul_hi_u32 v6, s48, v3
	v_sub_u32_e32 v5, v1, v5
	v_add_u32_e32 v1, v3, v6
	v_lshrrev_b32_e32 v1, s49, v1
	v_mul_lo_u32 v8, v1, s43
	v_mul_lo_u32 v6, v5, s44
	v_mul_lo_u32 v7, v5, s45
	v_mul_lo_u32 v5, v5, s46
	v_sub_u32_e32 v3, v3, v8
	v_mul_lo_u32 v8, v3, s47
	v_mul_lo_u32 v9, v3, s50
	;; [unrolled: 1-line block ×3, first 2 shown]
	v_add3_u32 v0, v6, v0, v8
	v_add3_u32 v4, v7, v4, v9
	;; [unrolled: 1-line block ×3, first 2 shown]
	s_cbranch_scc0 .LBB117_84
; %bb.85:
	s_bitcmp1_b32 s37, 0
	s_cselect_b64 s[40:41], -1, 0
	s_and_b64 vcc, exec, s[40:41]
	s_cbranch_vccnz .LBB117_89
; %bb.86:
	s_load_dwordx2 s[40:41], s[30:31], 0x1c
	s_load_dword s39, s[30:31], 0x24
	s_load_dwordx2 s[42:43], s[30:31], 0xdc
	s_waitcnt lgkmcnt(0)
	v_mul_hi_u32 v3, s41, v1
	v_add_u32_e32 v3, v1, v3
	v_lshrrev_b32_e32 v3, s39, v3
	v_mul_lo_u32 v3, v3, s40
	s_load_dword s39, s[30:31], 0xe4
	v_sub_u32_e32 v3, v1, v3
	v_mad_u64_u32 v[0:1], s[30:31], v3, s42, v[0:1]
	v_mad_u64_u32 v[4:5], s[30:31], v3, s43, v[4:5]
	s_waitcnt lgkmcnt(0)
	v_mad_u64_u32 v[2:3], s[30:31], v3, s39, v[2:3]
	s_branch .LBB117_89
.LBB117_87:
                                        ; implicit-def: $vgpr0
                                        ; implicit-def: $vgpr4
                                        ; implicit-def: $vgpr2
	s_branch .LBB117_90
.LBB117_88:
	v_mov_b32_e32 v0, 0
	v_mov_b32_e32 v4, 0
	;; [unrolled: 1-line block ×3, first 2 shown]
.LBB117_89:
	s_cbranch_execnz .LBB117_92
.LBB117_90:
	v_mul_hi_u32 v0, s9, v31
	s_andn2_b64 vcc, exec, s[24:25]
	v_add_u32_e32 v0, v31, v0
	v_lshrrev_b32_e32 v1, s10, v0
	v_mul_lo_u32 v0, v1, s8
	v_sub_u32_e32 v2, v31, v0
	v_mul_lo_u32 v0, v2, s4
	v_mul_lo_u32 v4, v2, s5
	;; [unrolled: 1-line block ×3, first 2 shown]
	s_cbranch_vccnz .LBB117_92
; %bb.91:
	v_mul_hi_u32 v3, s22, v1
	v_add_u32_e32 v3, v1, v3
	v_lshrrev_b32_e32 v3, s23, v3
	v_mul_lo_u32 v3, v3, s11
	v_sub_u32_e32 v3, v1, v3
	v_mad_u64_u32 v[0:1], s[30:31], v3, s7, v[0:1]
	v_mad_u64_u32 v[4:5], s[30:31], v3, s20, v[4:5]
	;; [unrolled: 1-line block ×3, first 2 shown]
.LBB117_92:
	global_load_ushort v1, v4, s[2:3]
	global_load_ushort v3, v2, s[18:19]
	v_mov_b32_e32 v2, s36
	v_add_u32_e32 v31, 0x80, v31
	s_waitcnt vmcnt(1)
	v_cmp_lt_i16_e32 vcc, s35, v1
	s_waitcnt vmcnt(0)
	v_cndmask_b32_e32 v1, v2, v3, vcc
	global_store_short v0, v1, s[0:1]
	s_or_b64 exec, exec, s[28:29]
	v_cmp_gt_i32_e32 vcc, s38, v31
	s_and_saveexec_b64 s[28:29], vcc
	s_cbranch_execz .LBB117_105
.LBB117_93:
	s_andn2_b64 vcc, exec, s[14:15]
	s_cbranch_vccnz .LBB117_99
; %bb.94:
	s_andn2_b64 vcc, exec, s[26:27]
	s_cbranch_vccnz .LBB117_100
; %bb.95:
	s_add_i32 s26, s37, 1
	s_and_b32 s30, s26, 30
	s_add_u32 s26, s12, 0xffffffe8
	s_addc_u32 s27, s13, -1
	v_mov_b32_e32 v2, 0
	v_mov_b32_e32 v4, 0
	;; [unrolled: 1-line block ×4, first 2 shown]
.LBB117_96:                             ; =>This Inner Loop Header: Depth=1
	s_load_dwordx4 s[40:43], s[26:27], 0x1c
	s_load_dwordx2 s[38:39], s[26:27], 0x2c
	s_load_dwordx2 s[48:49], s[26:27], 0xec
	s_load_dwordx4 s[44:47], s[26:27], 0xdc
	s_add_u32 s26, s26, 24
	s_waitcnt lgkmcnt(0)
	v_mul_hi_u32 v3, s41, v1
	s_addc_u32 s27, s27, 0
	s_add_i32 s30, s30, -2
	s_cmp_eq_u32 s30, 0
	v_add_u32_e32 v3, v1, v3
	v_lshrrev_b32_e32 v3, s42, v3
	v_mul_lo_u32 v5, v3, s40
	v_mul_hi_u32 v6, s38, v3
	v_sub_u32_e32 v5, v1, v5
	v_add_u32_e32 v1, v3, v6
	v_lshrrev_b32_e32 v1, s39, v1
	v_mul_lo_u32 v8, v1, s43
	v_mul_lo_u32 v6, v5, s44
	;; [unrolled: 1-line block ×4, first 2 shown]
	v_sub_u32_e32 v3, v3, v8
	v_mul_lo_u32 v8, v3, s47
	v_mul_lo_u32 v9, v3, s48
	;; [unrolled: 1-line block ×3, first 2 shown]
	v_add3_u32 v0, v6, v0, v8
	v_add3_u32 v4, v7, v4, v9
	;; [unrolled: 1-line block ×3, first 2 shown]
	s_cbranch_scc0 .LBB117_96
; %bb.97:
	s_bitcmp1_b32 s37, 0
	s_cselect_b64 s[30:31], -1, 0
	s_and_b64 vcc, exec, s[30:31]
	s_cbranch_vccnz .LBB117_101
; %bb.98:
	s_load_dwordx2 s[30:31], s[26:27], 0x1c
	s_load_dword s37, s[26:27], 0x24
	s_load_dwordx2 s[38:39], s[26:27], 0xdc
	s_waitcnt lgkmcnt(0)
	v_mul_hi_u32 v3, s31, v1
	v_add_u32_e32 v3, v1, v3
	v_lshrrev_b32_e32 v3, s37, v3
	v_mul_lo_u32 v3, v3, s30
	s_load_dword s30, s[26:27], 0xe4
	v_sub_u32_e32 v3, v1, v3
	v_mad_u64_u32 v[0:1], s[26:27], v3, s38, v[0:1]
	v_mad_u64_u32 v[4:5], s[26:27], v3, s39, v[4:5]
	s_waitcnt lgkmcnt(0)
	v_mad_u64_u32 v[2:3], s[26:27], v3, s30, v[2:3]
	s_branch .LBB117_101
.LBB117_99:
                                        ; implicit-def: $vgpr0
                                        ; implicit-def: $vgpr4
                                        ; implicit-def: $vgpr2
	s_branch .LBB117_102
.LBB117_100:
	v_mov_b32_e32 v0, 0
	v_mov_b32_e32 v4, 0
	;; [unrolled: 1-line block ×3, first 2 shown]
.LBB117_101:
	s_cbranch_execnz .LBB117_104
.LBB117_102:
	v_mul_hi_u32 v0, s9, v31
	s_andn2_b64 vcc, exec, s[24:25]
	v_add_u32_e32 v0, v31, v0
	v_lshrrev_b32_e32 v1, s10, v0
	v_mul_lo_u32 v0, v1, s8
	v_sub_u32_e32 v2, v31, v0
	v_mul_lo_u32 v0, v2, s4
	v_mul_lo_u32 v4, v2, s5
	v_mul_lo_u32 v2, v2, s6
	s_cbranch_vccnz .LBB117_104
; %bb.103:
	v_mul_hi_u32 v3, s22, v1
	v_add_u32_e32 v3, v1, v3
	v_lshrrev_b32_e32 v3, s23, v3
	v_mul_lo_u32 v3, v3, s11
	v_sub_u32_e32 v3, v1, v3
	v_mad_u64_u32 v[0:1], s[4:5], v3, s7, v[0:1]
	v_mad_u64_u32 v[4:5], s[4:5], v3, s20, v[4:5]
	;; [unrolled: 1-line block ×3, first 2 shown]
.LBB117_104:
	global_load_ushort v1, v4, s[2:3]
	global_load_ushort v3, v2, s[18:19]
	v_mov_b32_e32 v2, s36
	s_waitcnt vmcnt(1)
	v_cmp_lt_i16_e32 vcc, s35, v1
	s_waitcnt vmcnt(0)
	v_cndmask_b32_e32 v1, v2, v3, vcc
	global_store_short v0, v1, s[0:1]
.LBB117_105:
	s_or_b64 exec, exec, s[28:29]
                                        ; implicit-def: $vgpr41
                                        ; implicit-def: $vgpr31
.LBB117_106:
	s_andn2_saveexec_b64 s[0:1], s[16:17]
	s_cbranch_execz .LBB117_113
; %bb.107:
	v_cndmask_b32_e64 v0, 0, 1, s[14:15]
	v_cmp_ne_u32_e64 s[0:1], 1, v0
	s_andn2_b64 vcc, exec, s[14:15]
	s_cbranch_vccnz .LBB117_114
; %bb.108:
	s_cmp_lg_u32 s33, 0
	s_cbranch_scc0 .LBB117_115
; %bb.109:
	s_min_u32 s4, s34, 15
	s_add_i32 s2, s4, 1
	s_and_b32 s5, s2, 30
	s_add_u32 s2, s12, 0xffffffe8
	s_addc_u32 s3, s13, -1
	v_mov_b32_e32 v4, 0
	v_mov_b32_e32 v2, 0
	;; [unrolled: 1-line block ×4, first 2 shown]
.LBB117_110:                            ; =>This Inner Loop Header: Depth=1
	s_load_dwordx4 s[8:11], s[2:3], 0x1c
	s_load_dwordx2 s[6:7], s[2:3], 0x2c
	s_load_dwordx2 s[14:15], s[2:3], 0xec
	s_load_dwordx4 s[16:19], s[2:3], 0xdc
	s_add_u32 s2, s2, 24
	s_waitcnt lgkmcnt(0)
	v_mul_hi_u32 v3, s9, v1
	s_addc_u32 s3, s3, 0
	s_add_i32 s5, s5, -2
	s_cmp_lg_u32 s5, 0
	v_add_u32_e32 v3, v1, v3
	v_lshrrev_b32_e32 v3, s10, v3
	v_mul_lo_u32 v5, v3, s8
	v_mul_hi_u32 v6, s6, v3
	v_sub_u32_e32 v5, v1, v5
	v_add_u32_e32 v1, v3, v6
	v_lshrrev_b32_e32 v1, s7, v1
	v_mul_lo_u32 v8, v1, s11
	v_mul_lo_u32 v6, v5, s16
	;; [unrolled: 1-line block ×4, first 2 shown]
	v_sub_u32_e32 v3, v3, v8
	v_mul_lo_u32 v8, v3, s19
	v_mul_lo_u32 v9, v3, s14
	;; [unrolled: 1-line block ×3, first 2 shown]
	v_add3_u32 v0, v6, v0, v8
	v_add3_u32 v2, v7, v2, v9
	;; [unrolled: 1-line block ×3, first 2 shown]
	s_cbranch_scc1 .LBB117_110
; %bb.111:
	s_bitcmp1_b32 s4, 0
	s_cselect_b64 s[4:5], -1, 0
	s_and_b64 vcc, exec, s[4:5]
	s_cbranch_vccnz .LBB117_116
; %bb.112:
	s_load_dwordx2 s[4:5], s[2:3], 0x1c
	s_load_dword s8, s[2:3], 0x24
	s_load_dwordx2 s[6:7], s[2:3], 0xdc
	s_waitcnt lgkmcnt(0)
	v_mul_hi_u32 v3, s5, v1
	v_add_u32_e32 v3, v1, v3
	v_lshrrev_b32_e32 v3, s8, v3
	v_mul_lo_u32 v3, v3, s4
	s_load_dword s4, s[2:3], 0xe4
	v_sub_u32_e32 v5, v1, v3
	v_mad_u64_u32 v[0:1], s[2:3], v5, s6, v[0:1]
	v_mad_u64_u32 v[2:3], s[2:3], v5, s7, v[2:3]
	s_waitcnt lgkmcnt(0)
	v_mad_u64_u32 v[4:5], s[2:3], v5, s4, v[4:5]
	s_cbranch_execz .LBB117_117
	s_branch .LBB117_119
.LBB117_113:
	s_endpgm
.LBB117_114:
                                        ; implicit-def: $vgpr0
                                        ; implicit-def: $vgpr2
                                        ; implicit-def: $vgpr4
	s_branch .LBB117_117
.LBB117_115:
	v_mov_b32_e32 v0, 0
	v_mov_b32_e32 v2, 0
	;; [unrolled: 1-line block ×3, first 2 shown]
.LBB117_116:
	s_cbranch_execnz .LBB117_119
.LBB117_117:
	s_load_dwordx4 s[4:7], s[12:13], 0x4
	s_load_dwordx4 s[8:11], s[12:13], 0xc4
	s_cmp_lt_u32 s33, 2
	s_waitcnt lgkmcnt(0)
	v_mul_hi_u32 v0, s5, v31
	v_add_u32_e32 v0, v31, v0
	v_lshrrev_b32_e32 v1, s6, v0
	v_mul_lo_u32 v0, v1, s4
	v_sub_u32_e32 v3, v31, v0
	v_mul_lo_u32 v0, v3, s8
	v_mul_lo_u32 v2, v3, s9
	v_mul_lo_u32 v4, v3, s10
	s_cbranch_scc1 .LBB117_119
; %bb.118:
	s_load_dwordx4 s[4:7], s[12:13], 0x10
	s_load_dwordx4 s[8:11], s[12:13], 0xd0
	s_waitcnt lgkmcnt(0)
	v_mul_hi_u32 v3, s5, v1
	v_add_u32_e32 v3, v1, v3
	v_lshrrev_b32_e32 v3, s6, v3
	v_mul_lo_u32 v3, v3, s4
	v_sub_u32_e32 v5, v1, v3
	v_mad_u64_u32 v[0:1], s[2:3], v5, s8, v[0:1]
	v_mad_u64_u32 v[2:3], s[2:3], v5, s9, v[2:3]
	;; [unrolled: 1-line block ×3, first 2 shown]
.LBB117_119:
	s_and_b64 vcc, exec, s[0:1]
	v_add_u32_e32 v1, 0x80, v31
	s_cbranch_vccnz .LBB117_125
; %bb.120:
	s_cmp_lg_u32 s33, 0
	s_cbranch_scc0 .LBB117_126
; %bb.121:
	s_min_u32 s4, s34, 15
	s_add_i32 s2, s4, 1
	s_and_b32 s5, s2, 30
	s_add_u32 s2, s12, 0xffffffe8
	s_addc_u32 s3, s13, -1
	v_mov_b32_e32 v7, 0
	v_mov_b32_e32 v9, 0
	;; [unrolled: 1-line block ×4, first 2 shown]
.LBB117_122:                            ; =>This Inner Loop Header: Depth=1
	s_load_dwordx4 s[8:11], s[2:3], 0x1c
	s_load_dwordx2 s[6:7], s[2:3], 0x2c
	s_load_dwordx2 s[14:15], s[2:3], 0xec
	s_load_dwordx4 s[16:19], s[2:3], 0xdc
	s_add_u32 s2, s2, 24
	s_waitcnt lgkmcnt(0)
	v_mul_hi_u32 v6, s9, v3
	s_addc_u32 s3, s3, 0
	s_add_i32 s5, s5, -2
	s_cmp_lg_u32 s5, 0
	v_add_u32_e32 v6, v3, v6
	v_lshrrev_b32_e32 v6, s10, v6
	v_mul_lo_u32 v8, v6, s8
	v_mul_hi_u32 v10, s6, v6
	v_sub_u32_e32 v8, v3, v8
	v_add_u32_e32 v3, v6, v10
	v_lshrrev_b32_e32 v3, s7, v3
	v_mul_lo_u32 v12, v3, s11
	v_mul_lo_u32 v10, v8, s16
	;; [unrolled: 1-line block ×4, first 2 shown]
	v_sub_u32_e32 v6, v6, v12
	v_mul_lo_u32 v12, v6, s19
	v_mul_lo_u32 v13, v6, s14
	;; [unrolled: 1-line block ×3, first 2 shown]
	v_add3_u32 v5, v10, v5, v12
	v_add3_u32 v9, v11, v9, v13
	;; [unrolled: 1-line block ×3, first 2 shown]
	s_cbranch_scc1 .LBB117_122
; %bb.123:
	s_bitcmp1_b32 s4, 0
	s_cselect_b64 s[4:5], -1, 0
	s_and_b64 vcc, exec, s[4:5]
	s_cbranch_vccnz .LBB117_127
; %bb.124:
	s_load_dwordx2 s[4:5], s[2:3], 0x1c
	s_load_dword s8, s[2:3], 0x24
	s_load_dwordx2 s[6:7], s[2:3], 0xdc
	s_waitcnt lgkmcnt(0)
	v_mul_hi_u32 v6, s5, v3
	v_add_u32_e32 v6, v3, v6
	v_lshrrev_b32_e32 v6, s8, v6
	v_mul_lo_u32 v6, v6, s4
	s_load_dword s4, s[2:3], 0xe4
	v_sub_u32_e32 v3, v3, v6
	v_mad_u64_u32 v[5:6], s[2:3], v3, s6, v[5:6]
	v_mad_u64_u32 v[9:10], s[2:3], v3, s7, v[9:10]
	s_waitcnt lgkmcnt(0)
	v_mad_u64_u32 v[7:8], s[2:3], v3, s4, v[7:8]
	s_cbranch_execz .LBB117_128
	s_branch .LBB117_130
.LBB117_125:
                                        ; implicit-def: $vgpr5
                                        ; implicit-def: $vgpr9
                                        ; implicit-def: $vgpr7
	s_branch .LBB117_128
.LBB117_126:
	v_mov_b32_e32 v5, 0
	v_mov_b32_e32 v9, 0
	;; [unrolled: 1-line block ×3, first 2 shown]
.LBB117_127:
	s_cbranch_execnz .LBB117_130
.LBB117_128:
	s_load_dwordx4 s[4:7], s[12:13], 0x4
	s_load_dwordx4 s[8:11], s[12:13], 0xc4
	s_cmp_lt_u32 s33, 2
	s_waitcnt lgkmcnt(0)
	v_mul_hi_u32 v3, s5, v1
	v_add_u32_e32 v3, v1, v3
	v_lshrrev_b32_e32 v3, s6, v3
	v_mul_lo_u32 v5, v3, s4
	v_sub_u32_e32 v1, v1, v5
	v_mul_lo_u32 v5, v1, s8
	v_mul_lo_u32 v9, v1, s9
	v_mul_lo_u32 v7, v1, s10
	s_cbranch_scc1 .LBB117_130
; %bb.129:
	s_load_dwordx4 s[4:7], s[12:13], 0x10
	s_load_dwordx4 s[8:11], s[12:13], 0xd0
	s_waitcnt lgkmcnt(0)
	v_mul_hi_u32 v1, s5, v3
	v_add_u32_e32 v1, v3, v1
	v_lshrrev_b32_e32 v1, s6, v1
	v_mul_lo_u32 v1, v1, s4
	v_sub_u32_e32 v1, v3, v1
	v_mad_u64_u32 v[5:6], s[2:3], v1, s8, v[5:6]
	v_mad_u64_u32 v[9:10], s[2:3], v1, s9, v[9:10]
	;; [unrolled: 1-line block ×3, first 2 shown]
.LBB117_130:
	s_and_b64 vcc, exec, s[0:1]
	v_add_u32_e32 v1, 0x100, v31
	s_cbranch_vccnz .LBB117_136
; %bb.131:
	s_cmp_lg_u32 s33, 0
	s_cbranch_scc0 .LBB117_137
; %bb.132:
	s_min_u32 s4, s34, 15
	s_add_i32 s2, s4, 1
	s_and_b32 s5, s2, 30
	s_add_u32 s2, s12, 0xffffffe8
	s_addc_u32 s3, s13, -1
	v_mov_b32_e32 v12, 0
	v_mov_b32_e32 v14, 0
	;; [unrolled: 1-line block ×4, first 2 shown]
.LBB117_133:                            ; =>This Inner Loop Header: Depth=1
	s_load_dwordx4 s[8:11], s[2:3], 0x1c
	s_load_dwordx2 s[6:7], s[2:3], 0x2c
	s_load_dwordx2 s[14:15], s[2:3], 0xec
	s_load_dwordx4 s[16:19], s[2:3], 0xdc
	s_add_u32 s2, s2, 24
	s_waitcnt lgkmcnt(0)
	v_mul_hi_u32 v6, s9, v3
	s_addc_u32 s3, s3, 0
	s_add_i32 s5, s5, -2
	s_cmp_lg_u32 s5, 0
	v_add_u32_e32 v6, v3, v6
	v_lshrrev_b32_e32 v6, s10, v6
	v_mul_lo_u32 v8, v6, s8
	v_mul_hi_u32 v11, s6, v6
	v_sub_u32_e32 v8, v3, v8
	v_add_u32_e32 v3, v6, v11
	v_lshrrev_b32_e32 v3, s7, v3
	v_mul_lo_u32 v15, v3, s11
	v_mul_lo_u32 v11, v8, s16
	;; [unrolled: 1-line block ×4, first 2 shown]
	v_sub_u32_e32 v6, v6, v15
	v_mul_lo_u32 v15, v6, s19
	v_mul_lo_u32 v16, v6, s14
	;; [unrolled: 1-line block ×3, first 2 shown]
	v_add3_u32 v10, v11, v10, v15
	v_add3_u32 v14, v13, v14, v16
	;; [unrolled: 1-line block ×3, first 2 shown]
	s_cbranch_scc1 .LBB117_133
; %bb.134:
	s_bitcmp1_b32 s4, 0
	s_cselect_b64 s[4:5], -1, 0
	s_and_b64 vcc, exec, s[4:5]
	s_cbranch_vccnz .LBB117_138
; %bb.135:
	s_load_dwordx2 s[4:5], s[2:3], 0x1c
	s_load_dword s8, s[2:3], 0x24
	s_load_dwordx2 s[6:7], s[2:3], 0xdc
	s_waitcnt lgkmcnt(0)
	v_mul_hi_u32 v6, s5, v3
	v_add_u32_e32 v6, v3, v6
	v_lshrrev_b32_e32 v6, s8, v6
	v_mul_lo_u32 v6, v6, s4
	s_load_dword s4, s[2:3], 0xe4
	v_sub_u32_e32 v3, v3, v6
	v_mad_u64_u32 v[10:11], s[2:3], v3, s6, v[10:11]
	v_mad_u64_u32 v[14:15], s[2:3], v3, s7, v[14:15]
	s_waitcnt lgkmcnt(0)
	v_mad_u64_u32 v[12:13], s[2:3], v3, s4, v[12:13]
	s_cbranch_execz .LBB117_139
	s_branch .LBB117_141
.LBB117_136:
                                        ; implicit-def: $vgpr10
                                        ; implicit-def: $vgpr14
                                        ; implicit-def: $vgpr12
	s_branch .LBB117_139
.LBB117_137:
	v_mov_b32_e32 v10, 0
	v_mov_b32_e32 v14, 0
	;; [unrolled: 1-line block ×3, first 2 shown]
.LBB117_138:
	s_cbranch_execnz .LBB117_141
.LBB117_139:
	s_load_dwordx4 s[4:7], s[12:13], 0x4
	s_load_dwordx4 s[8:11], s[12:13], 0xc4
	s_cmp_lt_u32 s33, 2
	s_waitcnt lgkmcnt(0)
	v_mul_hi_u32 v3, s5, v1
	v_add_u32_e32 v3, v1, v3
	v_lshrrev_b32_e32 v3, s6, v3
	v_mul_lo_u32 v6, v3, s4
	v_sub_u32_e32 v1, v1, v6
	v_mul_lo_u32 v10, v1, s8
	v_mul_lo_u32 v14, v1, s9
	;; [unrolled: 1-line block ×3, first 2 shown]
	s_cbranch_scc1 .LBB117_141
; %bb.140:
	s_load_dwordx4 s[4:7], s[12:13], 0x10
	s_load_dwordx4 s[8:11], s[12:13], 0xd0
	s_waitcnt lgkmcnt(0)
	v_mul_hi_u32 v1, s5, v3
	v_add_u32_e32 v1, v3, v1
	v_lshrrev_b32_e32 v1, s6, v1
	v_mul_lo_u32 v1, v1, s4
	v_sub_u32_e32 v1, v3, v1
	v_mad_u64_u32 v[10:11], s[2:3], v1, s8, v[10:11]
	v_mad_u64_u32 v[14:15], s[2:3], v1, s9, v[14:15]
	;; [unrolled: 1-line block ×3, first 2 shown]
.LBB117_141:
	s_and_b64 vcc, exec, s[0:1]
	v_add_u32_e32 v1, 0x180, v31
	s_cbranch_vccnz .LBB117_147
; %bb.142:
	s_cmp_lg_u32 s33, 0
	s_cbranch_scc0 .LBB117_148
; %bb.143:
	s_min_u32 s4, s34, 15
	s_add_i32 s2, s4, 1
	s_and_b32 s5, s2, 30
	s_add_u32 s2, s12, 0xffffffe8
	s_addc_u32 s3, s13, -1
	v_mov_b32_e32 v17, 0
	v_mov_b32_e32 v19, 0
	;; [unrolled: 1-line block ×4, first 2 shown]
.LBB117_144:                            ; =>This Inner Loop Header: Depth=1
	s_load_dwordx4 s[8:11], s[2:3], 0x1c
	s_load_dwordx2 s[6:7], s[2:3], 0x2c
	s_load_dwordx2 s[14:15], s[2:3], 0xec
	s_load_dwordx4 s[16:19], s[2:3], 0xdc
	s_add_u32 s2, s2, 24
	s_waitcnt lgkmcnt(0)
	v_mul_hi_u32 v6, s9, v3
	s_addc_u32 s3, s3, 0
	s_add_i32 s5, s5, -2
	s_cmp_lg_u32 s5, 0
	v_add_u32_e32 v6, v3, v6
	v_lshrrev_b32_e32 v6, s10, v6
	v_mul_lo_u32 v8, v6, s8
	v_mul_hi_u32 v11, s6, v6
	v_sub_u32_e32 v8, v3, v8
	v_add_u32_e32 v3, v6, v11
	v_lshrrev_b32_e32 v3, s7, v3
	v_mul_lo_u32 v16, v3, s11
	v_mul_lo_u32 v11, v8, s16
	;; [unrolled: 1-line block ×4, first 2 shown]
	v_sub_u32_e32 v6, v6, v16
	v_mul_lo_u32 v16, v6, s19
	v_mul_lo_u32 v18, v6, s14
	;; [unrolled: 1-line block ×3, first 2 shown]
	v_add3_u32 v15, v11, v15, v16
	v_add3_u32 v19, v13, v19, v18
	;; [unrolled: 1-line block ×3, first 2 shown]
	s_cbranch_scc1 .LBB117_144
; %bb.145:
	s_bitcmp1_b32 s4, 0
	s_cselect_b64 s[4:5], -1, 0
	s_and_b64 vcc, exec, s[4:5]
	s_cbranch_vccnz .LBB117_149
; %bb.146:
	s_load_dwordx2 s[4:5], s[2:3], 0x1c
	s_load_dword s8, s[2:3], 0x24
	s_load_dwordx2 s[6:7], s[2:3], 0xdc
	s_waitcnt lgkmcnt(0)
	v_mul_hi_u32 v6, s5, v3
	v_add_u32_e32 v6, v3, v6
	v_lshrrev_b32_e32 v6, s8, v6
	v_mul_lo_u32 v6, v6, s4
	s_load_dword s4, s[2:3], 0xe4
	v_sub_u32_e32 v3, v3, v6
	v_mad_u64_u32 v[15:16], s[2:3], v3, s6, v[15:16]
	v_mad_u64_u32 v[19:20], s[2:3], v3, s7, v[19:20]
	s_waitcnt lgkmcnt(0)
	v_mad_u64_u32 v[17:18], s[2:3], v3, s4, v[17:18]
	s_cbranch_execz .LBB117_150
	s_branch .LBB117_152
.LBB117_147:
                                        ; implicit-def: $vgpr15
                                        ; implicit-def: $vgpr19
                                        ; implicit-def: $vgpr17
	s_branch .LBB117_150
.LBB117_148:
	v_mov_b32_e32 v15, 0
	v_mov_b32_e32 v19, 0
	;; [unrolled: 1-line block ×3, first 2 shown]
.LBB117_149:
	s_cbranch_execnz .LBB117_152
.LBB117_150:
	s_load_dwordx4 s[4:7], s[12:13], 0x4
	s_load_dwordx4 s[8:11], s[12:13], 0xc4
	s_cmp_lt_u32 s33, 2
	s_waitcnt lgkmcnt(0)
	v_mul_hi_u32 v3, s5, v1
	v_add_u32_e32 v3, v1, v3
	v_lshrrev_b32_e32 v3, s6, v3
	v_mul_lo_u32 v6, v3, s4
	v_sub_u32_e32 v1, v1, v6
	v_mul_lo_u32 v15, v1, s8
	v_mul_lo_u32 v19, v1, s9
	;; [unrolled: 1-line block ×3, first 2 shown]
	s_cbranch_scc1 .LBB117_152
; %bb.151:
	s_load_dwordx4 s[4:7], s[12:13], 0x10
	s_load_dwordx4 s[8:11], s[12:13], 0xd0
	s_waitcnt lgkmcnt(0)
	v_mul_hi_u32 v1, s5, v3
	v_add_u32_e32 v1, v3, v1
	v_lshrrev_b32_e32 v1, s6, v1
	v_mul_lo_u32 v1, v1, s4
	v_sub_u32_e32 v1, v3, v1
	v_mad_u64_u32 v[15:16], s[2:3], v1, s8, v[15:16]
	v_mad_u64_u32 v[19:20], s[2:3], v1, s9, v[19:20]
	;; [unrolled: 1-line block ×3, first 2 shown]
.LBB117_152:
	s_and_b64 vcc, exec, s[0:1]
	v_add_u32_e32 v1, 0x200, v31
	s_cbranch_vccnz .LBB117_158
; %bb.153:
	s_cmp_lg_u32 s33, 0
	s_cbranch_scc0 .LBB117_159
; %bb.154:
	s_min_u32 s4, s34, 15
	s_add_i32 s2, s4, 1
	s_and_b32 s5, s2, 30
	s_add_u32 s2, s12, 0xffffffe8
	s_addc_u32 s3, s13, -1
	v_mov_b32_e32 v22, 0
	v_mov_b32_e32 v24, 0
	;; [unrolled: 1-line block ×4, first 2 shown]
.LBB117_155:                            ; =>This Inner Loop Header: Depth=1
	s_load_dwordx4 s[8:11], s[2:3], 0x1c
	s_load_dwordx2 s[6:7], s[2:3], 0x2c
	s_load_dwordx2 s[14:15], s[2:3], 0xec
	s_load_dwordx4 s[16:19], s[2:3], 0xdc
	s_add_u32 s2, s2, 24
	s_waitcnt lgkmcnt(0)
	v_mul_hi_u32 v6, s9, v3
	s_addc_u32 s3, s3, 0
	s_add_i32 s5, s5, -2
	s_cmp_lg_u32 s5, 0
	v_add_u32_e32 v6, v3, v6
	v_lshrrev_b32_e32 v6, s10, v6
	v_mul_lo_u32 v8, v6, s8
	v_mul_hi_u32 v11, s6, v6
	v_sub_u32_e32 v8, v3, v8
	v_add_u32_e32 v3, v6, v11
	v_lshrrev_b32_e32 v3, s7, v3
	v_mul_lo_u32 v16, v3, s11
	v_mul_lo_u32 v11, v8, s16
	;; [unrolled: 1-line block ×4, first 2 shown]
	v_sub_u32_e32 v6, v6, v16
	v_mul_lo_u32 v16, v6, s19
	v_mul_lo_u32 v18, v6, s14
	;; [unrolled: 1-line block ×3, first 2 shown]
	v_add3_u32 v20, v11, v20, v16
	v_add3_u32 v24, v13, v24, v18
	;; [unrolled: 1-line block ×3, first 2 shown]
	s_cbranch_scc1 .LBB117_155
; %bb.156:
	s_bitcmp1_b32 s4, 0
	s_cselect_b64 s[4:5], -1, 0
	s_and_b64 vcc, exec, s[4:5]
	s_cbranch_vccnz .LBB117_160
; %bb.157:
	s_load_dwordx2 s[4:5], s[2:3], 0x1c
	s_load_dword s8, s[2:3], 0x24
	s_load_dwordx2 s[6:7], s[2:3], 0xdc
	s_waitcnt lgkmcnt(0)
	v_mul_hi_u32 v6, s5, v3
	v_add_u32_e32 v6, v3, v6
	v_lshrrev_b32_e32 v6, s8, v6
	v_mul_lo_u32 v6, v6, s4
	s_load_dword s4, s[2:3], 0xe4
	v_sub_u32_e32 v3, v3, v6
	v_mad_u64_u32 v[20:21], s[2:3], v3, s6, v[20:21]
	v_mad_u64_u32 v[24:25], s[2:3], v3, s7, v[24:25]
	s_waitcnt lgkmcnt(0)
	v_mad_u64_u32 v[22:23], s[2:3], v3, s4, v[22:23]
	s_cbranch_execz .LBB117_161
	s_branch .LBB117_163
.LBB117_158:
                                        ; implicit-def: $vgpr20
                                        ; implicit-def: $vgpr24
                                        ; implicit-def: $vgpr22
	s_branch .LBB117_161
.LBB117_159:
	v_mov_b32_e32 v20, 0
	v_mov_b32_e32 v24, 0
	v_mov_b32_e32 v22, 0
.LBB117_160:
	s_cbranch_execnz .LBB117_163
.LBB117_161:
	s_load_dwordx4 s[4:7], s[12:13], 0x4
	s_load_dwordx4 s[8:11], s[12:13], 0xc4
	s_cmp_lt_u32 s33, 2
	s_waitcnt lgkmcnt(0)
	v_mul_hi_u32 v3, s5, v1
	v_add_u32_e32 v3, v1, v3
	v_lshrrev_b32_e32 v3, s6, v3
	v_mul_lo_u32 v6, v3, s4
	v_sub_u32_e32 v1, v1, v6
	v_mul_lo_u32 v20, v1, s8
	v_mul_lo_u32 v24, v1, s9
	;; [unrolled: 1-line block ×3, first 2 shown]
	s_cbranch_scc1 .LBB117_163
; %bb.162:
	s_load_dwordx4 s[4:7], s[12:13], 0x10
	s_load_dwordx4 s[8:11], s[12:13], 0xd0
	s_waitcnt lgkmcnt(0)
	v_mul_hi_u32 v1, s5, v3
	v_add_u32_e32 v1, v3, v1
	v_lshrrev_b32_e32 v1, s6, v1
	v_mul_lo_u32 v1, v1, s4
	v_sub_u32_e32 v1, v3, v1
	v_mad_u64_u32 v[20:21], s[2:3], v1, s8, v[20:21]
	v_mad_u64_u32 v[24:25], s[2:3], v1, s9, v[24:25]
	;; [unrolled: 1-line block ×3, first 2 shown]
.LBB117_163:
	s_and_b64 vcc, exec, s[0:1]
	v_add_u32_e32 v1, 0x280, v31
	s_cbranch_vccnz .LBB117_169
; %bb.164:
	s_cmp_lg_u32 s33, 0
	s_cbranch_scc0 .LBB117_170
; %bb.165:
	s_min_u32 s4, s34, 15
	s_add_i32 s2, s4, 1
	s_and_b32 s5, s2, 30
	s_add_u32 s2, s12, 0xffffffe8
	s_addc_u32 s3, s13, -1
	v_mov_b32_e32 v27, 0
	v_mov_b32_e32 v29, 0
	;; [unrolled: 1-line block ×4, first 2 shown]
.LBB117_166:                            ; =>This Inner Loop Header: Depth=1
	s_load_dwordx4 s[8:11], s[2:3], 0x1c
	s_load_dwordx2 s[6:7], s[2:3], 0x2c
	s_load_dwordx2 s[14:15], s[2:3], 0xec
	s_load_dwordx4 s[16:19], s[2:3], 0xdc
	s_add_u32 s2, s2, 24
	s_waitcnt lgkmcnt(0)
	v_mul_hi_u32 v6, s9, v3
	s_addc_u32 s3, s3, 0
	s_add_i32 s5, s5, -2
	s_cmp_lg_u32 s5, 0
	v_add_u32_e32 v6, v3, v6
	v_lshrrev_b32_e32 v6, s10, v6
	v_mul_lo_u32 v8, v6, s8
	v_mul_hi_u32 v11, s6, v6
	v_sub_u32_e32 v8, v3, v8
	v_add_u32_e32 v3, v6, v11
	v_lshrrev_b32_e32 v3, s7, v3
	v_mul_lo_u32 v16, v3, s11
	v_mul_lo_u32 v11, v8, s16
	;; [unrolled: 1-line block ×4, first 2 shown]
	v_sub_u32_e32 v6, v6, v16
	v_mul_lo_u32 v16, v6, s19
	v_mul_lo_u32 v18, v6, s14
	;; [unrolled: 1-line block ×3, first 2 shown]
	v_add3_u32 v25, v11, v25, v16
	v_add3_u32 v29, v13, v29, v18
	;; [unrolled: 1-line block ×3, first 2 shown]
	s_cbranch_scc1 .LBB117_166
; %bb.167:
	s_bitcmp1_b32 s4, 0
	s_cselect_b64 s[4:5], -1, 0
	s_and_b64 vcc, exec, s[4:5]
	s_cbranch_vccnz .LBB117_171
; %bb.168:
	s_load_dwordx2 s[4:5], s[2:3], 0x1c
	s_load_dword s8, s[2:3], 0x24
	s_load_dwordx2 s[6:7], s[2:3], 0xdc
	s_waitcnt lgkmcnt(0)
	v_mul_hi_u32 v6, s5, v3
	v_add_u32_e32 v6, v3, v6
	v_lshrrev_b32_e32 v6, s8, v6
	v_mul_lo_u32 v6, v6, s4
	s_load_dword s4, s[2:3], 0xe4
	v_sub_u32_e32 v3, v3, v6
	v_mad_u64_u32 v[25:26], s[2:3], v3, s6, v[25:26]
	v_mad_u64_u32 v[29:30], s[2:3], v3, s7, v[29:30]
	s_waitcnt lgkmcnt(0)
	v_mad_u64_u32 v[27:28], s[2:3], v3, s4, v[27:28]
	s_cbranch_execz .LBB117_172
	s_branch .LBB117_174
.LBB117_169:
                                        ; implicit-def: $vgpr25
                                        ; implicit-def: $vgpr29
                                        ; implicit-def: $vgpr27
	s_branch .LBB117_172
.LBB117_170:
	v_mov_b32_e32 v25, 0
	v_mov_b32_e32 v29, 0
	;; [unrolled: 1-line block ×3, first 2 shown]
.LBB117_171:
	s_cbranch_execnz .LBB117_174
.LBB117_172:
	s_load_dwordx4 s[4:7], s[12:13], 0x4
	s_load_dwordx4 s[8:11], s[12:13], 0xc4
	s_cmp_lt_u32 s33, 2
	s_waitcnt lgkmcnt(0)
	v_mul_hi_u32 v3, s5, v1
	v_add_u32_e32 v3, v1, v3
	v_lshrrev_b32_e32 v3, s6, v3
	v_mul_lo_u32 v6, v3, s4
	v_sub_u32_e32 v1, v1, v6
	v_mul_lo_u32 v25, v1, s8
	v_mul_lo_u32 v29, v1, s9
	v_mul_lo_u32 v27, v1, s10
	s_cbranch_scc1 .LBB117_174
; %bb.173:
	s_load_dwordx4 s[4:7], s[12:13], 0x10
	s_load_dwordx4 s[8:11], s[12:13], 0xd0
	s_waitcnt lgkmcnt(0)
	v_mul_hi_u32 v1, s5, v3
	v_add_u32_e32 v1, v3, v1
	v_lshrrev_b32_e32 v1, s6, v1
	v_mul_lo_u32 v1, v1, s4
	v_sub_u32_e32 v1, v3, v1
	v_mad_u64_u32 v[25:26], s[2:3], v1, s8, v[25:26]
	v_mad_u64_u32 v[29:30], s[2:3], v1, s9, v[29:30]
	;; [unrolled: 1-line block ×3, first 2 shown]
.LBB117_174:
	s_and_b64 vcc, exec, s[0:1]
	v_add_u32_e32 v1, 0x300, v31
	s_cbranch_vccnz .LBB117_180
; %bb.175:
	s_cmp_lg_u32 s33, 0
	s_cbranch_scc0 .LBB117_181
; %bb.176:
	s_min_u32 s4, s34, 15
	s_add_i32 s2, s4, 1
	s_and_b32 s5, s2, 30
	s_add_u32 s2, s12, 0xffffffe8
	s_addc_u32 s3, s13, -1
	v_mov_b32_e32 v32, 0
	v_mov_b32_e32 v34, 0
	;; [unrolled: 1-line block ×4, first 2 shown]
.LBB117_177:                            ; =>This Inner Loop Header: Depth=1
	s_load_dwordx4 s[8:11], s[2:3], 0x1c
	s_load_dwordx2 s[6:7], s[2:3], 0x2c
	s_load_dwordx2 s[14:15], s[2:3], 0xec
	s_load_dwordx4 s[16:19], s[2:3], 0xdc
	s_add_u32 s2, s2, 24
	s_waitcnt lgkmcnt(0)
	v_mul_hi_u32 v6, s9, v3
	s_addc_u32 s3, s3, 0
	s_add_i32 s5, s5, -2
	s_cmp_lg_u32 s5, 0
	v_add_u32_e32 v6, v3, v6
	v_lshrrev_b32_e32 v6, s10, v6
	v_mul_lo_u32 v8, v6, s8
	v_mul_hi_u32 v11, s6, v6
	v_sub_u32_e32 v8, v3, v8
	v_add_u32_e32 v3, v6, v11
	v_lshrrev_b32_e32 v3, s7, v3
	v_mul_lo_u32 v16, v3, s11
	v_mul_lo_u32 v11, v8, s16
	;; [unrolled: 1-line block ×4, first 2 shown]
	v_sub_u32_e32 v6, v6, v16
	v_mul_lo_u32 v16, v6, s19
	v_mul_lo_u32 v18, v6, s14
	v_mul_lo_u32 v6, v6, s15
	v_add3_u32 v30, v11, v30, v16
	v_add3_u32 v34, v13, v34, v18
	;; [unrolled: 1-line block ×3, first 2 shown]
	s_cbranch_scc1 .LBB117_177
; %bb.178:
	s_bitcmp1_b32 s4, 0
	s_cselect_b64 s[4:5], -1, 0
	s_and_b64 vcc, exec, s[4:5]
	s_cbranch_vccnz .LBB117_182
; %bb.179:
	s_load_dwordx2 s[4:5], s[2:3], 0x1c
	s_load_dword s8, s[2:3], 0x24
	s_load_dwordx2 s[6:7], s[2:3], 0xdc
	s_waitcnt lgkmcnt(0)
	v_mul_hi_u32 v6, s5, v3
	v_add_u32_e32 v6, v3, v6
	v_lshrrev_b32_e32 v6, s8, v6
	v_mul_lo_u32 v6, v6, s4
	s_load_dword s4, s[2:3], 0xe4
	v_sub_u32_e32 v3, v3, v6
	v_mad_u64_u32 v[30:31], s[2:3], v3, s6, v[30:31]
	v_mad_u64_u32 v[34:35], s[2:3], v3, s7, v[34:35]
	s_waitcnt lgkmcnt(0)
	v_mad_u64_u32 v[32:33], s[2:3], v3, s4, v[32:33]
	s_cbranch_execz .LBB117_183
	s_branch .LBB117_185
.LBB117_180:
                                        ; implicit-def: $vgpr30
                                        ; implicit-def: $vgpr34
                                        ; implicit-def: $vgpr32
	s_branch .LBB117_183
.LBB117_181:
	v_mov_b32_e32 v30, 0
	v_mov_b32_e32 v34, 0
	v_mov_b32_e32 v32, 0
.LBB117_182:
	s_cbranch_execnz .LBB117_185
.LBB117_183:
	s_load_dwordx4 s[4:7], s[12:13], 0x4
	s_load_dwordx4 s[8:11], s[12:13], 0xc4
	s_cmp_lt_u32 s33, 2
	s_waitcnt lgkmcnt(0)
	v_mul_hi_u32 v3, s5, v1
	v_add_u32_e32 v3, v1, v3
	v_lshrrev_b32_e32 v3, s6, v3
	v_mul_lo_u32 v6, v3, s4
	v_sub_u32_e32 v1, v1, v6
	v_mul_lo_u32 v30, v1, s8
	v_mul_lo_u32 v34, v1, s9
	;; [unrolled: 1-line block ×3, first 2 shown]
	s_cbranch_scc1 .LBB117_185
; %bb.184:
	s_load_dwordx4 s[4:7], s[12:13], 0x10
	s_load_dwordx4 s[8:11], s[12:13], 0xd0
	s_waitcnt lgkmcnt(0)
	v_mul_hi_u32 v1, s5, v3
	v_add_u32_e32 v1, v3, v1
	v_lshrrev_b32_e32 v1, s6, v1
	v_mul_lo_u32 v1, v1, s4
	v_sub_u32_e32 v1, v3, v1
	v_mad_u64_u32 v[30:31], s[2:3], v1, s8, v[30:31]
	v_mad_u64_u32 v[34:35], s[2:3], v1, s9, v[34:35]
	;; [unrolled: 1-line block ×3, first 2 shown]
.LBB117_185:
	s_and_b64 vcc, exec, s[0:1]
	s_cbranch_vccnz .LBB117_191
; %bb.186:
	s_cmp_lg_u32 s33, 0
	s_cbranch_scc0 .LBB117_192
; %bb.187:
	s_min_u32 s2, s34, 15
	s_add_i32 s0, s2, 1
	s_and_b32 s3, s0, 30
	s_add_u32 s0, s12, 0xffffffe8
	s_addc_u32 s1, s13, -1
	v_mov_b32_e32 v37, 0
	v_mov_b32_e32 v39, 0
	v_mov_b32_e32 v35, 0
	v_mov_b32_e32 v1, v41
.LBB117_188:                            ; =>This Inner Loop Header: Depth=1
	s_load_dwordx4 s[4:7], s[0:1], 0x1c
	s_load_dwordx2 s[14:15], s[0:1], 0x2c
	s_load_dwordx2 s[16:17], s[0:1], 0xec
	s_load_dwordx4 s[8:11], s[0:1], 0xdc
	s_add_u32 s0, s0, 24
	s_waitcnt lgkmcnt(0)
	v_mul_hi_u32 v3, s5, v1
	s_addc_u32 s1, s1, 0
	s_add_i32 s3, s3, -2
	s_cmp_lg_u32 s3, 0
	v_add_u32_e32 v3, v1, v3
	v_lshrrev_b32_e32 v3, s6, v3
	v_mul_lo_u32 v6, v3, s4
	v_mul_hi_u32 v8, s14, v3
	v_sub_u32_e32 v6, v1, v6
	v_add_u32_e32 v1, v3, v8
	v_lshrrev_b32_e32 v1, s15, v1
	v_mul_lo_u32 v13, v1, s7
	v_mul_lo_u32 v8, v6, s8
	;; [unrolled: 1-line block ×4, first 2 shown]
	v_sub_u32_e32 v3, v3, v13
	v_mul_lo_u32 v13, v3, s11
	v_mul_lo_u32 v16, v3, s16
	;; [unrolled: 1-line block ×3, first 2 shown]
	v_add3_u32 v35, v8, v35, v13
	v_add3_u32 v39, v11, v39, v16
	;; [unrolled: 1-line block ×3, first 2 shown]
	s_cbranch_scc1 .LBB117_188
; %bb.189:
	s_bitcmp1_b32 s2, 0
	s_cselect_b64 s[2:3], -1, 0
	s_and_b64 vcc, exec, s[2:3]
	s_cbranch_vccnz .LBB117_193
; %bb.190:
	s_load_dwordx2 s[2:3], s[0:1], 0x1c
	s_load_dword s6, s[0:1], 0x24
	s_load_dwordx2 s[4:5], s[0:1], 0xdc
	s_waitcnt lgkmcnt(0)
	v_mul_hi_u32 v3, s3, v1
	v_add_u32_e32 v3, v1, v3
	v_lshrrev_b32_e32 v3, s6, v3
	v_mul_lo_u32 v3, v3, s2
	s_load_dword s2, s[0:1], 0xe4
	v_sub_u32_e32 v1, v1, v3
	v_mad_u64_u32 v[35:36], s[0:1], v1, s4, v[35:36]
	v_mad_u64_u32 v[39:40], s[0:1], v1, s5, v[39:40]
	s_waitcnt lgkmcnt(0)
	v_mad_u64_u32 v[37:38], s[0:1], v1, s2, v[37:38]
	s_cbranch_execz .LBB117_194
	s_branch .LBB117_196
.LBB117_191:
                                        ; implicit-def: $vgpr35
                                        ; implicit-def: $vgpr39
                                        ; implicit-def: $vgpr37
	s_branch .LBB117_194
.LBB117_192:
	v_mov_b32_e32 v35, 0
	v_mov_b32_e32 v39, 0
	;; [unrolled: 1-line block ×3, first 2 shown]
.LBB117_193:
	s_cbranch_execnz .LBB117_196
.LBB117_194:
	s_load_dwordx4 s[0:3], s[12:13], 0x4
	s_load_dwordx4 s[4:7], s[12:13], 0xc4
	s_cmp_lt_u32 s33, 2
	s_waitcnt lgkmcnt(0)
	v_mul_hi_u32 v1, s1, v41
	v_add_u32_e32 v1, v41, v1
	v_lshrrev_b32_e32 v1, s2, v1
	v_mul_lo_u32 v3, v1, s0
	v_sub_u32_e32 v3, v41, v3
	v_mul_lo_u32 v35, v3, s4
	v_mul_lo_u32 v39, v3, s5
	;; [unrolled: 1-line block ×3, first 2 shown]
	s_cbranch_scc1 .LBB117_196
; %bb.195:
	s_load_dwordx4 s[0:3], s[12:13], 0x10
	s_load_dwordx4 s[4:7], s[12:13], 0xd0
	s_waitcnt lgkmcnt(0)
	v_mul_hi_u32 v3, s1, v1
	v_add_u32_e32 v3, v1, v3
	v_lshrrev_b32_e32 v3, s2, v3
	v_mul_lo_u32 v3, v3, s0
	v_sub_u32_e32 v1, v1, v3
	v_mad_u64_u32 v[35:36], s[0:1], v1, s4, v[35:36]
	v_mad_u64_u32 v[39:40], s[0:1], v1, s5, v[39:40]
	v_mad_u64_u32 v[37:38], s[0:1], v1, s6, v[37:38]
.LBB117_196:
	s_load_dwordx4 s[0:3], s[12:13], 0x188
	s_load_dwordx2 s[4:5], s[12:13], 0x198
	s_waitcnt lgkmcnt(0)
	global_load_ushort v1, v2, s[2:3]
	global_load_ushort v3, v4, s[4:5]
	;; [unrolled: 1-line block ×8, first 2 shown]
                                        ; kill: killed $vgpr9
                                        ; kill: killed $vgpr4
                                        ; kill: killed $vgpr14
                                        ; kill: killed $vgpr7
                                        ; kill: killed $vgpr19
                                        ; kill: killed $vgpr12
                                        ; kill: killed $vgpr17
                                        ; kill: killed $vgpr2
	global_load_ushort v2, v24, s[2:3]
	global_load_ushort v4, v22, s[4:5]
	;; [unrolled: 1-line block ×8, first 2 shown]
	s_load_dword s2, s[12:13], 0x1a0
	s_waitcnt lgkmcnt(0)
	s_lshr_b32 s3, s2, 16
	v_mov_b32_e32 v21, s3
	s_waitcnt vmcnt(15)
	v_cmp_lt_i16_e32 vcc, s2, v1
	s_waitcnt vmcnt(14)
	v_cndmask_b32_e32 v1, v21, v3, vcc
	s_waitcnt vmcnt(13)
	v_cmp_lt_i16_e32 vcc, s2, v6
	s_waitcnt vmcnt(12)
	v_cndmask_b32_e32 v3, v21, v8, vcc
	;; [unrolled: 4-line block ×8, first 2 shown]
	global_store_short v0, v1, s[0:1]
	global_store_short v5, v3, s[0:1]
	global_store_short v10, v6, s[0:1]
	global_store_short v15, v8, s[0:1]
	global_store_short v20, v2, s[0:1]
	global_store_short v25, v4, s[0:1]
	global_store_short v30, v7, s[0:1]
	global_store_short v35, v9, s[0:1]
	s_endpgm
	.section	.rodata,"a",@progbits
	.p2align	6, 0x0
	.amdhsa_kernel _ZN2at6native32elementwise_kernel_manual_unrollILi128ELi8EZNS0_22gpu_kernel_impl_nocastINS0_13BinaryFunctorIsssZNS0_12_GLOBAL__N_121threshold_kernel_implIsEEvRNS_18TensorIteratorBaseET_S8_EUlssE_EEEEvS7_RKS8_EUlibE_EEviT1_
		.amdhsa_group_segment_fixed_size 0
		.amdhsa_private_segment_fixed_size 0
		.amdhsa_kernarg_size 432
		.amdhsa_user_sgpr_count 6
		.amdhsa_user_sgpr_private_segment_buffer 1
		.amdhsa_user_sgpr_dispatch_ptr 0
		.amdhsa_user_sgpr_queue_ptr 0
		.amdhsa_user_sgpr_kernarg_segment_ptr 1
		.amdhsa_user_sgpr_dispatch_id 0
		.amdhsa_user_sgpr_flat_scratch_init 0
		.amdhsa_user_sgpr_private_segment_size 0
		.amdhsa_uses_dynamic_stack 0
		.amdhsa_system_sgpr_private_segment_wavefront_offset 0
		.amdhsa_system_sgpr_workgroup_id_x 1
		.amdhsa_system_sgpr_workgroup_id_y 0
		.amdhsa_system_sgpr_workgroup_id_z 0
		.amdhsa_system_sgpr_workgroup_info 0
		.amdhsa_system_vgpr_workitem_id 0
		.amdhsa_next_free_vgpr 42
		.amdhsa_next_free_sgpr 52
		.amdhsa_reserve_vcc 1
		.amdhsa_reserve_flat_scratch 0
		.amdhsa_float_round_mode_32 0
		.amdhsa_float_round_mode_16_64 0
		.amdhsa_float_denorm_mode_32 3
		.amdhsa_float_denorm_mode_16_64 3
		.amdhsa_dx10_clamp 1
		.amdhsa_ieee_mode 1
		.amdhsa_fp16_overflow 0
		.amdhsa_exception_fp_ieee_invalid_op 0
		.amdhsa_exception_fp_denorm_src 0
		.amdhsa_exception_fp_ieee_div_zero 0
		.amdhsa_exception_fp_ieee_overflow 0
		.amdhsa_exception_fp_ieee_underflow 0
		.amdhsa_exception_fp_ieee_inexact 0
		.amdhsa_exception_int_div_zero 0
	.end_amdhsa_kernel
	.section	.text._ZN2at6native32elementwise_kernel_manual_unrollILi128ELi8EZNS0_22gpu_kernel_impl_nocastINS0_13BinaryFunctorIsssZNS0_12_GLOBAL__N_121threshold_kernel_implIsEEvRNS_18TensorIteratorBaseET_S8_EUlssE_EEEEvS7_RKS8_EUlibE_EEviT1_,"axG",@progbits,_ZN2at6native32elementwise_kernel_manual_unrollILi128ELi8EZNS0_22gpu_kernel_impl_nocastINS0_13BinaryFunctorIsssZNS0_12_GLOBAL__N_121threshold_kernel_implIsEEvRNS_18TensorIteratorBaseET_S8_EUlssE_EEEEvS7_RKS8_EUlibE_EEviT1_,comdat
.Lfunc_end117:
	.size	_ZN2at6native32elementwise_kernel_manual_unrollILi128ELi8EZNS0_22gpu_kernel_impl_nocastINS0_13BinaryFunctorIsssZNS0_12_GLOBAL__N_121threshold_kernel_implIsEEvRNS_18TensorIteratorBaseET_S8_EUlssE_EEEEvS7_RKS8_EUlibE_EEviT1_, .Lfunc_end117-_ZN2at6native32elementwise_kernel_manual_unrollILi128ELi8EZNS0_22gpu_kernel_impl_nocastINS0_13BinaryFunctorIsssZNS0_12_GLOBAL__N_121threshold_kernel_implIsEEvRNS_18TensorIteratorBaseET_S8_EUlssE_EEEEvS7_RKS8_EUlibE_EEviT1_
                                        ; -- End function
	.set _ZN2at6native32elementwise_kernel_manual_unrollILi128ELi8EZNS0_22gpu_kernel_impl_nocastINS0_13BinaryFunctorIsssZNS0_12_GLOBAL__N_121threshold_kernel_implIsEEvRNS_18TensorIteratorBaseET_S8_EUlssE_EEEEvS7_RKS8_EUlibE_EEviT1_.num_vgpr, 42
	.set _ZN2at6native32elementwise_kernel_manual_unrollILi128ELi8EZNS0_22gpu_kernel_impl_nocastINS0_13BinaryFunctorIsssZNS0_12_GLOBAL__N_121threshold_kernel_implIsEEvRNS_18TensorIteratorBaseET_S8_EUlssE_EEEEvS7_RKS8_EUlibE_EEviT1_.num_agpr, 0
	.set _ZN2at6native32elementwise_kernel_manual_unrollILi128ELi8EZNS0_22gpu_kernel_impl_nocastINS0_13BinaryFunctorIsssZNS0_12_GLOBAL__N_121threshold_kernel_implIsEEvRNS_18TensorIteratorBaseET_S8_EUlssE_EEEEvS7_RKS8_EUlibE_EEviT1_.numbered_sgpr, 52
	.set _ZN2at6native32elementwise_kernel_manual_unrollILi128ELi8EZNS0_22gpu_kernel_impl_nocastINS0_13BinaryFunctorIsssZNS0_12_GLOBAL__N_121threshold_kernel_implIsEEvRNS_18TensorIteratorBaseET_S8_EUlssE_EEEEvS7_RKS8_EUlibE_EEviT1_.num_named_barrier, 0
	.set _ZN2at6native32elementwise_kernel_manual_unrollILi128ELi8EZNS0_22gpu_kernel_impl_nocastINS0_13BinaryFunctorIsssZNS0_12_GLOBAL__N_121threshold_kernel_implIsEEvRNS_18TensorIteratorBaseET_S8_EUlssE_EEEEvS7_RKS8_EUlibE_EEviT1_.private_seg_size, 0
	.set _ZN2at6native32elementwise_kernel_manual_unrollILi128ELi8EZNS0_22gpu_kernel_impl_nocastINS0_13BinaryFunctorIsssZNS0_12_GLOBAL__N_121threshold_kernel_implIsEEvRNS_18TensorIteratorBaseET_S8_EUlssE_EEEEvS7_RKS8_EUlibE_EEviT1_.uses_vcc, 1
	.set _ZN2at6native32elementwise_kernel_manual_unrollILi128ELi8EZNS0_22gpu_kernel_impl_nocastINS0_13BinaryFunctorIsssZNS0_12_GLOBAL__N_121threshold_kernel_implIsEEvRNS_18TensorIteratorBaseET_S8_EUlssE_EEEEvS7_RKS8_EUlibE_EEviT1_.uses_flat_scratch, 0
	.set _ZN2at6native32elementwise_kernel_manual_unrollILi128ELi8EZNS0_22gpu_kernel_impl_nocastINS0_13BinaryFunctorIsssZNS0_12_GLOBAL__N_121threshold_kernel_implIsEEvRNS_18TensorIteratorBaseET_S8_EUlssE_EEEEvS7_RKS8_EUlibE_EEviT1_.has_dyn_sized_stack, 0
	.set _ZN2at6native32elementwise_kernel_manual_unrollILi128ELi8EZNS0_22gpu_kernel_impl_nocastINS0_13BinaryFunctorIsssZNS0_12_GLOBAL__N_121threshold_kernel_implIsEEvRNS_18TensorIteratorBaseET_S8_EUlssE_EEEEvS7_RKS8_EUlibE_EEviT1_.has_recursion, 0
	.set _ZN2at6native32elementwise_kernel_manual_unrollILi128ELi8EZNS0_22gpu_kernel_impl_nocastINS0_13BinaryFunctorIsssZNS0_12_GLOBAL__N_121threshold_kernel_implIsEEvRNS_18TensorIteratorBaseET_S8_EUlssE_EEEEvS7_RKS8_EUlibE_EEviT1_.has_indirect_call, 0
	.section	.AMDGPU.csdata,"",@progbits
; Kernel info:
; codeLenInByte = 9316
; TotalNumSgprs: 56
; NumVgprs: 42
; ScratchSize: 0
; MemoryBound: 0
; FloatMode: 240
; IeeeMode: 1
; LDSByteSize: 0 bytes/workgroup (compile time only)
; SGPRBlocks: 6
; VGPRBlocks: 10
; NumSGPRsForWavesPerEU: 56
; NumVGPRsForWavesPerEU: 42
; Occupancy: 5
; WaveLimiterHint : 1
; COMPUTE_PGM_RSRC2:SCRATCH_EN: 0
; COMPUTE_PGM_RSRC2:USER_SGPR: 6
; COMPUTE_PGM_RSRC2:TRAP_HANDLER: 0
; COMPUTE_PGM_RSRC2:TGID_X_EN: 1
; COMPUTE_PGM_RSRC2:TGID_Y_EN: 0
; COMPUTE_PGM_RSRC2:TGID_Z_EN: 0
; COMPUTE_PGM_RSRC2:TIDIG_COMP_CNT: 0
	.section	.text._ZN2at6native32elementwise_kernel_manual_unrollILi128ELi4EZNS0_15gpu_kernel_implINS0_13BinaryFunctorIsssZNS0_12_GLOBAL__N_121threshold_kernel_implIsEEvRNS_18TensorIteratorBaseET_S8_EUlssE_EEEEvS7_RKS8_EUlibE_EEviT1_,"axG",@progbits,_ZN2at6native32elementwise_kernel_manual_unrollILi128ELi4EZNS0_15gpu_kernel_implINS0_13BinaryFunctorIsssZNS0_12_GLOBAL__N_121threshold_kernel_implIsEEvRNS_18TensorIteratorBaseET_S8_EUlssE_EEEEvS7_RKS8_EUlibE_EEviT1_,comdat
	.globl	_ZN2at6native32elementwise_kernel_manual_unrollILi128ELi4EZNS0_15gpu_kernel_implINS0_13BinaryFunctorIsssZNS0_12_GLOBAL__N_121threshold_kernel_implIsEEvRNS_18TensorIteratorBaseET_S8_EUlssE_EEEEvS7_RKS8_EUlibE_EEviT1_ ; -- Begin function _ZN2at6native32elementwise_kernel_manual_unrollILi128ELi4EZNS0_15gpu_kernel_implINS0_13BinaryFunctorIsssZNS0_12_GLOBAL__N_121threshold_kernel_implIsEEvRNS_18TensorIteratorBaseET_S8_EUlssE_EEEEvS7_RKS8_EUlibE_EEviT1_
	.p2align	8
	.type	_ZN2at6native32elementwise_kernel_manual_unrollILi128ELi4EZNS0_15gpu_kernel_implINS0_13BinaryFunctorIsssZNS0_12_GLOBAL__N_121threshold_kernel_implIsEEvRNS_18TensorIteratorBaseET_S8_EUlssE_EEEEvS7_RKS8_EUlibE_EEviT1_,@function
_ZN2at6native32elementwise_kernel_manual_unrollILi128ELi4EZNS0_15gpu_kernel_implINS0_13BinaryFunctorIsssZNS0_12_GLOBAL__N_121threshold_kernel_implIsEEvRNS_18TensorIteratorBaseET_S8_EUlssE_EEEEvS7_RKS8_EUlibE_EEviT1_: ; @_ZN2at6native32elementwise_kernel_manual_unrollILi128ELi4EZNS0_15gpu_kernel_implINS0_13BinaryFunctorIsssZNS0_12_GLOBAL__N_121threshold_kernel_implIsEEvRNS_18TensorIteratorBaseET_S8_EUlssE_EEEEvS7_RKS8_EUlibE_EEviT1_
; %bb.0:
	s_load_dwordx2 s[2:3], s[4:5], 0x2c
	s_load_dword s50, s[4:5], 0x0
	s_load_dwordx4 s[8:11], s[4:5], 0x8
	s_load_dwordx2 s[16:17], s[4:5], 0x18
	s_load_dwordx4 s[12:15], s[4:5], 0x20
	v_lshl_or_b32 v14, s6, 9, v0
	v_or_b32_e32 v0, 0x180, v14
	s_waitcnt lgkmcnt(0)
	s_lshr_b32 s33, s2, 16
	s_lshr_b32 s56, s3, 8
	;; [unrolled: 1-line block ×3, first 2 shown]
	v_cmp_le_i32_e32 vcc, s50, v0
	s_mov_b64 s[4:5], 0
	s_mov_b64 s[18:19], 0
	s_and_saveexec_b64 s[0:1], vcc
	s_xor_b64 s[6:7], exec, s[0:1]
	s_cbranch_execz .LBB118_1512
; %bb.1:
	v_cmp_gt_i32_e32 vcc, s50, v14
	s_mov_b64 s[0:1], -1
	s_mov_b64 s[28:29], 0
	s_mov_b64 s[22:23], 0
	;; [unrolled: 1-line block ×3, first 2 shown]
	s_and_saveexec_b64 s[24:25], vcc
	s_cbranch_execz .LBB118_375
; %bb.2:
	v_mul_lo_u32 v0, v14, s13
	v_mov_b32_e32 v1, s11
	s_and_b32 s20, s56, 0xff
	s_cmp_lt_i32 s20, 11
	v_ashrrev_i32_e32 v3, 31, v0
	v_add_co_u32_e32 v2, vcc, s10, v0
	v_addc_co_u32_e32 v3, vcc, v1, v3, vcc
	s_cbranch_scc1 .LBB118_9
; %bb.3:
	s_and_b32 s21, 0xffff, s20
	s_cmp_gt_i32 s21, 25
	s_cbranch_scc0 .LBB118_18
; %bb.4:
	s_cmp_gt_i32 s21, 28
	s_cbranch_scc0 .LBB118_28
; %bb.5:
	;; [unrolled: 3-line block ×4, first 2 shown]
	s_cmp_eq_u32 s21, 46
	s_cbranch_scc0 .LBB118_37
; %bb.8:
	global_load_dword v0, v[2:3], off
	s_waitcnt vmcnt(0)
	v_lshlrev_b32_e32 v0, 16, v0
	v_cvt_i32_f32_e32 v0, v0
	s_branch .LBB118_39
.LBB118_9:
                                        ; implicit-def: $vgpr0
	s_mov_b64 s[0:1], 0
	s_cbranch_execnz .LBB118_101
.LBB118_10:
	s_andn2_b64 vcc, exec, s[0:1]
	s_cbranch_vccnz .LBB118_148
.LBB118_11:
	s_waitcnt vmcnt(0)
	v_mul_lo_u32 v1, v14, s14
	v_mov_b32_e32 v2, s17
	s_and_b32 s26, s15, 0xff
	s_cmp_lt_i32 s26, 11
	v_ashrrev_i32_e32 v3, 31, v1
	v_add_co_u32_e32 v1, vcc, s16, v1
	v_addc_co_u32_e32 v2, vcc, v2, v3, vcc
	s_cbranch_scc1 .LBB118_19
; %bb.12:
	s_and_b32 s27, 0xffff, s26
	s_cmp_gt_i32 s27, 25
	s_cbranch_scc0 .LBB118_29
; %bb.13:
	s_cmp_gt_i32 s27, 28
	s_cbranch_scc0 .LBB118_32
; %bb.14:
	;; [unrolled: 3-line block ×4, first 2 shown]
	s_cmp_eq_u32 s27, 46
	s_mov_b64 s[18:19], 0
	s_cbranch_scc0 .LBB118_149
; %bb.17:
	global_load_dword v3, v[1:2], off
	s_mov_b64 s[0:1], -1
	s_mov_b64 s[20:21], 0
	s_waitcnt vmcnt(0)
	v_lshlrev_b32_e32 v3, 16, v3
	v_cvt_i32_f32_e32 v3, v3
	s_branch .LBB118_151
.LBB118_18:
	s_mov_b64 s[0:1], 0
                                        ; implicit-def: $vgpr0
	s_cbranch_execnz .LBB118_68
	s_branch .LBB118_100
.LBB118_19:
	s_mov_b64 s[20:21], 0
                                        ; implicit-def: $vgpr3
	s_mov_b64 s[0:1], 0
	s_cbranch_execnz .LBB118_324
.LBB118_20:
	s_andn2_b64 vcc, exec, s[0:1]
	s_cbranch_vccnz .LBB118_372
.LBB118_21:
	v_mul_lo_u32 v1, v14, s12
	v_mov_b32_e32 v2, s33
	v_cmp_lt_i16_e32 vcc, s2, v0
	s_waitcnt vmcnt(0)
	v_cndmask_b32_e32 v4, v2, v3, vcc
	v_ashrrev_i32_e32 v2, 31, v1
	v_mov_b32_e32 v3, s9
	s_and_b32 s34, s3, 0xff
	v_add_co_u32_e32 v0, vcc, s8, v1
	s_cmp_lt_i32 s34, 11
	v_addc_co_u32_e32 v1, vcc, v3, v2, vcc
	s_cbranch_scc1 .LBB118_30
; %bb.22:
	s_and_b32 s35, 0xffff, s34
	s_cmp_gt_i32 s35, 25
	s_cbranch_scc0 .LBB118_33
; %bb.23:
	s_cmp_gt_i32 s35, 28
	s_cbranch_scc0 .LBB118_36
; %bb.24:
	;; [unrolled: 3-line block ×4, first 2 shown]
	s_mov_b64 s[26:27], 0
	s_mov_b64 s[0:1], -1
	s_cmp_eq_u32 s35, 46
	s_mov_b64 s[18:19], 0
	s_cbranch_scc0 .LBB118_155
; %bb.27:
	v_cvt_f32_i32_sdwa v2, sext(v4) dst_sel:DWORD dst_unused:UNUSED_PAD src0_sel:WORD_0
	s_movk_i32 s0, 0x7fff
	s_mov_b64 s[18:19], -1
	v_bfe_u32 v3, v2, 16, 1
	v_add3_u32 v2, v2, v3, s0
	v_lshrrev_b32_e32 v2, 16, v2
	global_store_dword v[0:1], v2, off
	s_mov_b64 s[0:1], 0
	s_branch .LBB118_155
.LBB118_28:
	s_mov_b64 s[18:19], -1
	s_mov_b64 s[0:1], 0
                                        ; implicit-def: $vgpr0
	s_branch .LBB118_51
.LBB118_29:
	s_mov_b64 s[18:19], -1
	s_mov_b64 s[20:21], 0
	s_mov_b64 s[0:1], 0
                                        ; implicit-def: $vgpr3
	s_branch .LBB118_290
.LBB118_30:
	s_mov_b64 s[26:27], -1
	s_mov_b64 s[0:1], 0
	s_mov_b64 s[18:19], 0
	s_branch .LBB118_224
.LBB118_31:
	s_mov_b64 s[18:19], -1
	s_mov_b64 s[0:1], 0
                                        ; implicit-def: $vgpr0
	s_branch .LBB118_46
.LBB118_32:
	s_mov_b64 s[18:19], -1
	s_mov_b64 s[20:21], 0
	s_mov_b64 s[0:1], 0
                                        ; implicit-def: $vgpr3
	s_branch .LBB118_273
.LBB118_33:
	s_mov_b64 s[26:27], -1
	s_mov_b64 s[0:1], 0
	s_mov_b64 s[18:19], 0
	s_branch .LBB118_182
.LBB118_34:
	s_mov_b64 s[18:19], -1
	s_branch .LBB118_38
.LBB118_35:
	s_mov_b64 s[18:19], -1
	s_mov_b64 s[20:21], 0
	s_mov_b64 s[0:1], 0
                                        ; implicit-def: $vgpr3
	s_branch .LBB118_268
.LBB118_36:
	s_mov_b64 s[26:27], -1
	s_mov_b64 s[0:1], 0
	s_mov_b64 s[18:19], 0
	s_branch .LBB118_165
.LBB118_37:
	s_mov_b64 s[22:23], -1
.LBB118_38:
	s_mov_b64 s[0:1], 0
                                        ; implicit-def: $vgpr0
.LBB118_39:
	s_and_b64 vcc, exec, s[18:19]
	s_cbranch_vccz .LBB118_45
; %bb.40:
	s_cmp_eq_u32 s21, 44
	s_cbranch_scc0 .LBB118_44
; %bb.41:
	global_load_ubyte v0, v[2:3], off
	s_mov_b64 s[0:1], -1
	s_mov_b64 s[22:23], 0
	s_waitcnt vmcnt(0)
	v_lshlrev_b32_e32 v1, 23, v0
	v_cvt_i32_f32_e32 v1, v1
	v_cmp_ne_u32_e32 vcc, 0, v0
	v_cndmask_b32_e32 v0, 0, v1, vcc
	s_branch .LBB118_45
.LBB118_42:
	s_mov_b64 s[18:19], -1
	s_mov_b64 s[20:21], 0
	s_branch .LBB118_150
.LBB118_43:
	s_mov_b64 s[26:27], -1
	s_mov_b64 s[0:1], 0
	s_mov_b64 s[18:19], 0
	s_branch .LBB118_161
.LBB118_44:
	s_mov_b64 s[22:23], -1
                                        ; implicit-def: $vgpr0
.LBB118_45:
	s_mov_b64 s[18:19], 0
.LBB118_46:
	s_and_b64 vcc, exec, s[18:19]
	s_cbranch_vccz .LBB118_50
; %bb.47:
	s_cmp_eq_u32 s21, 29
	s_cbranch_scc0 .LBB118_49
; %bb.48:
	global_load_dwordx2 v[0:1], v[2:3], off
	s_mov_b64 s[0:1], -1
	s_mov_b64 s[22:23], 0
	s_branch .LBB118_50
.LBB118_49:
	s_mov_b64 s[22:23], -1
                                        ; implicit-def: $vgpr0
.LBB118_50:
	s_mov_b64 s[18:19], 0
.LBB118_51:
	s_and_b64 vcc, exec, s[18:19]
	s_cbranch_vccz .LBB118_67
; %bb.52:
	s_cmp_lt_i32 s21, 27
	s_cbranch_scc1 .LBB118_55
; %bb.53:
	s_cmp_gt_i32 s21, 27
	s_cbranch_scc0 .LBB118_56
; %bb.54:
	global_load_dword v0, v[2:3], off
	s_mov_b64 s[0:1], 0
	s_branch .LBB118_57
.LBB118_55:
	s_mov_b64 s[0:1], -1
                                        ; implicit-def: $vgpr0
	s_branch .LBB118_60
.LBB118_56:
	s_mov_b64 s[0:1], -1
                                        ; implicit-def: $vgpr0
.LBB118_57:
	s_andn2_b64 vcc, exec, s[0:1]
	s_cbranch_vccnz .LBB118_59
; %bb.58:
	global_load_ushort v0, v[2:3], off
.LBB118_59:
	s_mov_b64 s[0:1], 0
.LBB118_60:
	s_andn2_b64 vcc, exec, s[0:1]
	s_cbranch_vccnz .LBB118_66
; %bb.61:
	global_load_ubyte v1, v[2:3], off
	s_movk_i32 s0, 0x7f
	s_mov_b64 s[18:19], 0
	s_waitcnt vmcnt(0)
	v_cmp_lt_i16_e32 vcc, s0, v1
	s_and_saveexec_b64 s[0:1], vcc
	s_xor_b64 s[0:1], exec, s[0:1]
	s_cbranch_execz .LBB118_77
; %bb.62:
	s_movk_i32 s18, 0x80
	v_cmp_ne_u16_e32 vcc, s18, v1
	s_and_b64 s[18:19], vcc, exec
	s_andn2_saveexec_b64 s[0:1], s[0:1]
	s_cbranch_execnz .LBB118_78
.LBB118_63:
	s_or_b64 exec, exec, s[0:1]
	v_mov_b32_e32 v0, 0
	s_and_saveexec_b64 s[0:1], s[18:19]
	s_cbranch_execz .LBB118_65
.LBB118_64:
	v_lshlrev_b32_e32 v0, 24, v1
	v_and_b32_e32 v1, 0xffff, v1
	v_and_b32_e32 v4, 7, v1
	v_ffbh_u32_e32 v6, v4
	v_min_u32_e32 v6, 32, v6
	v_subrev_u32_e32 v7, 28, v6
	v_bfe_u32 v5, v1, 3, 4
	v_lshlrev_b32_e32 v1, v7, v1
	v_sub_u32_e32 v6, 29, v6
	v_and_b32_e32 v1, 7, v1
	v_cmp_eq_u32_e32 vcc, 0, v5
	v_cndmask_b32_e32 v5, v5, v6, vcc
	v_cndmask_b32_e32 v1, v4, v1, vcc
	v_mov_b32_e32 v4, 0x3b800000
	v_lshlrev_b32_e32 v1, 20, v1
	v_and_b32_e32 v0, 0x80000000, v0
	v_lshl_add_u32 v4, v5, 23, v4
	v_or3_b32 v0, v0, v4, v1
	v_cvt_i32_f32_e32 v0, v0
.LBB118_65:
	s_or_b64 exec, exec, s[0:1]
.LBB118_66:
	s_mov_b64 s[0:1], -1
.LBB118_67:
	s_branch .LBB118_100
.LBB118_68:
	s_cmp_gt_i32 s21, 22
	s_cbranch_scc0 .LBB118_76
; %bb.69:
	s_cmp_lt_i32 s21, 24
	s_cbranch_scc1 .LBB118_79
; %bb.70:
	s_cmp_gt_i32 s21, 24
	s_cbranch_scc0 .LBB118_80
; %bb.71:
	global_load_ubyte v1, v[2:3], off
	s_movk_i32 s0, 0x7f
	s_mov_b64 s[18:19], 0
	s_waitcnt vmcnt(0)
	v_cmp_lt_i16_e32 vcc, s0, v1
	s_and_saveexec_b64 s[0:1], vcc
	s_xor_b64 s[0:1], exec, s[0:1]
	s_cbranch_execz .LBB118_92
; %bb.72:
	s_movk_i32 s18, 0x80
	v_cmp_ne_u16_e32 vcc, s18, v1
	s_and_b64 s[18:19], vcc, exec
	s_andn2_saveexec_b64 s[0:1], s[0:1]
	s_cbranch_execnz .LBB118_93
.LBB118_73:
	s_or_b64 exec, exec, s[0:1]
	v_mov_b32_e32 v0, 0
	s_and_saveexec_b64 s[0:1], s[18:19]
	s_cbranch_execz .LBB118_75
.LBB118_74:
	v_lshlrev_b32_e32 v0, 24, v1
	v_and_b32_e32 v1, 0xffff, v1
	v_and_b32_e32 v4, 3, v1
	v_ffbh_u32_e32 v6, v4
	v_min_u32_e32 v6, 32, v6
	v_subrev_u32_e32 v7, 29, v6
	v_bfe_u32 v5, v1, 2, 5
	v_lshlrev_b32_e32 v1, v7, v1
	v_sub_u32_e32 v6, 30, v6
	v_and_b32_e32 v1, 3, v1
	v_cmp_eq_u32_e32 vcc, 0, v5
	v_cndmask_b32_e32 v5, v5, v6, vcc
	v_cndmask_b32_e32 v1, v4, v1, vcc
	v_mov_b32_e32 v4, 0x37800000
	v_lshlrev_b32_e32 v1, 21, v1
	v_and_b32_e32 v0, 0x80000000, v0
	v_lshl_add_u32 v4, v5, 23, v4
	v_or3_b32 v0, v0, v4, v1
	v_cvt_i32_f32_e32 v0, v0
.LBB118_75:
	s_or_b64 exec, exec, s[0:1]
	s_mov_b64 s[0:1], 0
	s_branch .LBB118_81
.LBB118_76:
	s_mov_b64 s[18:19], -1
                                        ; implicit-def: $vgpr0
	s_branch .LBB118_87
.LBB118_77:
	s_andn2_saveexec_b64 s[0:1], s[0:1]
	s_cbranch_execz .LBB118_63
.LBB118_78:
	v_cmp_ne_u16_e32 vcc, 0, v1
	s_andn2_b64 s[18:19], s[18:19], exec
	s_and_b64 s[26:27], vcc, exec
	s_or_b64 s[18:19], s[18:19], s[26:27]
	s_or_b64 exec, exec, s[0:1]
	v_mov_b32_e32 v0, 0
	s_and_saveexec_b64 s[0:1], s[18:19]
	s_cbranch_execnz .LBB118_64
	s_branch .LBB118_65
.LBB118_79:
	s_mov_b64 s[0:1], -1
                                        ; implicit-def: $vgpr0
	s_branch .LBB118_84
.LBB118_80:
	s_mov_b64 s[0:1], -1
                                        ; implicit-def: $vgpr0
.LBB118_81:
	s_and_b64 vcc, exec, s[0:1]
	s_cbranch_vccz .LBB118_83
; %bb.82:
	global_load_ubyte v0, v[2:3], off
	s_mov_b32 s0, 0x7f800000
	s_waitcnt vmcnt(0)
	v_lshlrev_b32_e32 v0, 24, v0
	v_and_b32_e32 v1, 0x7f000000, v0
	v_ffbh_u32_e32 v4, v1
	v_min_u32_e32 v4, 32, v4
	v_sub_u32_e64 v4, v4, 4 clamp
	v_lshlrev_b32_e32 v6, v4, v1
	v_lshlrev_b32_e32 v4, 23, v4
	v_lshrrev_b32_e32 v6, 4, v6
	v_add_u32_e32 v5, 0x1000000, v1
	v_sub_u32_e32 v4, v6, v4
	v_ashrrev_i32_e32 v5, 8, v5
	v_add_u32_e32 v4, 0x3c000000, v4
	v_and_or_b32 v4, v5, s0, v4
	v_cmp_ne_u32_e32 vcc, 0, v1
	v_cndmask_b32_e32 v1, 0, v4, vcc
	s_brev_b32 s0, 1
	v_and_or_b32 v0, v0, s0, v1
	v_cvt_i32_f32_e32 v0, v0
.LBB118_83:
	s_mov_b64 s[0:1], 0
.LBB118_84:
	s_andn2_b64 vcc, exec, s[0:1]
	s_cbranch_vccnz .LBB118_86
; %bb.85:
	global_load_ubyte v0, v[2:3], off
	s_movk_i32 s0, 0x7f00
	s_brev_b32 s1, 16
	s_waitcnt vmcnt(0)
	v_lshlrev_b16_e32 v1, 8, v0
	v_lshlrev_b32_e32 v0, 25, v0
	v_lshrrev_b32_e32 v4, 4, v0
	v_and_or_b32 v5, v1, s0, 0.5
	v_or_b32_e32 v4, 0x70000000, v4
	v_add_f32_e32 v5, -0.5, v5
	v_mul_f32_e32 v4, 0x7800000, v4
	v_cmp_gt_u32_e32 vcc, s1, v0
	v_bfe_i32 v1, v1, 0, 16
	v_cndmask_b32_e32 v0, v4, v5, vcc
	s_brev_b32 s0, 1
	v_and_or_b32 v0, v1, s0, v0
	v_cvt_i32_f32_e32 v0, v0
.LBB118_86:
	s_mov_b64 s[18:19], 0
	s_mov_b64 s[0:1], -1
.LBB118_87:
	s_andn2_b64 vcc, exec, s[18:19]
	s_cbranch_vccnz .LBB118_100
; %bb.88:
	s_cmp_gt_i32 s21, 14
	s_cbranch_scc0 .LBB118_91
; %bb.89:
	s_cmp_eq_u32 s21, 15
	s_cbranch_scc0 .LBB118_94
; %bb.90:
	global_load_ushort v0, v[2:3], off
	s_mov_b64 s[0:1], -1
	s_mov_b64 s[22:23], 0
	s_waitcnt vmcnt(0)
	v_lshlrev_b32_e32 v0, 16, v0
	v_cvt_i32_f32_e32 v0, v0
	s_branch .LBB118_95
.LBB118_91:
	s_mov_b64 s[18:19], -1
                                        ; implicit-def: $vgpr0
	s_branch .LBB118_96
.LBB118_92:
	s_andn2_saveexec_b64 s[0:1], s[0:1]
	s_cbranch_execz .LBB118_73
.LBB118_93:
	v_cmp_ne_u16_e32 vcc, 0, v1
	s_andn2_b64 s[18:19], s[18:19], exec
	s_and_b64 s[26:27], vcc, exec
	s_or_b64 s[18:19], s[18:19], s[26:27]
	s_or_b64 exec, exec, s[0:1]
	v_mov_b32_e32 v0, 0
	s_and_saveexec_b64 s[0:1], s[18:19]
	s_cbranch_execnz .LBB118_74
	s_branch .LBB118_75
.LBB118_94:
	s_mov_b64 s[22:23], -1
                                        ; implicit-def: $vgpr0
.LBB118_95:
	s_mov_b64 s[18:19], 0
.LBB118_96:
	s_and_b64 vcc, exec, s[18:19]
	s_cbranch_vccz .LBB118_100
; %bb.97:
	s_cmp_eq_u32 s21, 11
	s_cbranch_scc0 .LBB118_99
; %bb.98:
	global_load_ubyte v0, v[2:3], off
	s_mov_b64 s[0:1], -1
	s_mov_b64 s[22:23], 0
	s_waitcnt vmcnt(0)
	v_cmp_ne_u16_e32 vcc, 0, v0
	v_cndmask_b32_e64 v0, 0, 1, vcc
	s_branch .LBB118_100
.LBB118_99:
	s_mov_b64 s[22:23], -1
                                        ; implicit-def: $vgpr0
.LBB118_100:
	s_branch .LBB118_10
.LBB118_101:
	s_and_b32 s18, 0xffff, s20
	s_cmp_lt_i32 s18, 5
	s_cbranch_scc1 .LBB118_106
; %bb.102:
	s_cmp_lt_i32 s18, 8
	s_cbranch_scc1 .LBB118_107
; %bb.103:
	;; [unrolled: 3-line block ×3, first 2 shown]
	s_cmp_gt_i32 s18, 9
	s_cbranch_scc0 .LBB118_109
; %bb.105:
	global_load_dwordx2 v[0:1], v[2:3], off
	s_mov_b64 s[0:1], 0
	s_waitcnt vmcnt(0)
	v_cvt_i32_f64_e32 v0, v[0:1]
	s_branch .LBB118_110
.LBB118_106:
                                        ; implicit-def: $vgpr0
	s_branch .LBB118_128
.LBB118_107:
	s_mov_b64 s[0:1], -1
                                        ; implicit-def: $vgpr0
	s_branch .LBB118_116
.LBB118_108:
	s_mov_b64 s[0:1], -1
                                        ; implicit-def: $vgpr0
	s_branch .LBB118_113
.LBB118_109:
	s_mov_b64 s[0:1], -1
                                        ; implicit-def: $vgpr0
.LBB118_110:
	s_andn2_b64 vcc, exec, s[0:1]
	s_cbranch_vccnz .LBB118_112
; %bb.111:
	global_load_dword v0, v[2:3], off
	s_waitcnt vmcnt(0)
	v_cvt_i32_f32_e32 v0, v0
.LBB118_112:
	s_mov_b64 s[0:1], 0
.LBB118_113:
	s_andn2_b64 vcc, exec, s[0:1]
	s_cbranch_vccnz .LBB118_115
; %bb.114:
	global_load_dword v0, v[2:3], off
	s_waitcnt vmcnt(0)
	v_cvt_i16_f16_e32 v0, v0
.LBB118_115:
	s_mov_b64 s[0:1], 0
.LBB118_116:
	s_andn2_b64 vcc, exec, s[0:1]
	s_cbranch_vccnz .LBB118_127
; %bb.117:
	s_cmp_lt_i32 s18, 6
	s_cbranch_scc1 .LBB118_120
; %bb.118:
	s_cmp_gt_i32 s18, 6
	s_cbranch_scc0 .LBB118_121
; %bb.119:
	global_load_dwordx2 v[0:1], v[2:3], off
	s_mov_b64 s[0:1], 0
	s_waitcnt vmcnt(0)
	v_cvt_i32_f64_e32 v0, v[0:1]
	s_branch .LBB118_122
.LBB118_120:
	s_mov_b64 s[0:1], -1
                                        ; implicit-def: $vgpr0
	s_branch .LBB118_125
.LBB118_121:
	s_mov_b64 s[0:1], -1
                                        ; implicit-def: $vgpr0
.LBB118_122:
	s_andn2_b64 vcc, exec, s[0:1]
	s_cbranch_vccnz .LBB118_124
; %bb.123:
	global_load_dword v0, v[2:3], off
	s_waitcnt vmcnt(0)
	v_cvt_i32_f32_e32 v0, v0
.LBB118_124:
	s_mov_b64 s[0:1], 0
.LBB118_125:
	s_andn2_b64 vcc, exec, s[0:1]
	s_cbranch_vccnz .LBB118_127
; %bb.126:
	global_load_ushort v0, v[2:3], off
	s_waitcnt vmcnt(0)
	v_cvt_i16_f16_e32 v0, v0
.LBB118_127:
	s_cbranch_execnz .LBB118_147
.LBB118_128:
	s_cmp_lt_i32 s18, 2
	s_cbranch_scc1 .LBB118_132
; %bb.129:
	s_cmp_lt_i32 s18, 3
	s_cbranch_scc1 .LBB118_133
; %bb.130:
	s_cmp_gt_i32 s18, 3
	s_cbranch_scc0 .LBB118_134
; %bb.131:
	global_load_dwordx2 v[0:1], v[2:3], off
	s_mov_b64 s[0:1], 0
	s_branch .LBB118_135
.LBB118_132:
	s_mov_b64 s[0:1], -1
                                        ; implicit-def: $vgpr0
	s_branch .LBB118_141
.LBB118_133:
	s_mov_b64 s[0:1], -1
                                        ; implicit-def: $vgpr0
	s_branch .LBB118_138
.LBB118_134:
	s_mov_b64 s[0:1], -1
                                        ; implicit-def: $vgpr0
.LBB118_135:
	s_andn2_b64 vcc, exec, s[0:1]
	s_cbranch_vccnz .LBB118_137
; %bb.136:
	global_load_dword v0, v[2:3], off
.LBB118_137:
	s_mov_b64 s[0:1], 0
.LBB118_138:
	s_andn2_b64 vcc, exec, s[0:1]
	s_cbranch_vccnz .LBB118_140
; %bb.139:
	global_load_ushort v0, v[2:3], off
.LBB118_140:
	s_mov_b64 s[0:1], 0
.LBB118_141:
	s_andn2_b64 vcc, exec, s[0:1]
	s_cbranch_vccnz .LBB118_147
; %bb.142:
	s_cmp_gt_i32 s18, 0
	s_cbranch_scc0 .LBB118_144
; %bb.143:
	global_load_sbyte v0, v[2:3], off
	s_mov_b64 s[0:1], 0
	s_branch .LBB118_145
.LBB118_144:
	s_mov_b64 s[0:1], -1
                                        ; implicit-def: $vgpr0
.LBB118_145:
	s_andn2_b64 vcc, exec, s[0:1]
	s_cbranch_vccnz .LBB118_147
; %bb.146:
	global_load_ubyte v0, v[2:3], off
.LBB118_147:
	s_branch .LBB118_11
.LBB118_148:
	s_mov_b64 s[0:1], 0
	s_mov_b64 s[20:21], 0
	s_branch .LBB118_373
.LBB118_149:
	s_mov_b64 s[20:21], -1
.LBB118_150:
	s_mov_b64 s[0:1], 0
                                        ; implicit-def: $vgpr3
.LBB118_151:
	s_and_b64 vcc, exec, s[18:19]
	s_cbranch_vccz .LBB118_267
; %bb.152:
	s_cmp_eq_u32 s27, 44
	s_cbranch_scc0 .LBB118_266
; %bb.153:
	global_load_ubyte v3, v[1:2], off
	s_mov_b64 s[0:1], -1
	s_mov_b64 s[20:21], 0
	s_waitcnt vmcnt(0)
	v_lshlrev_b32_e32 v4, 23, v3
	v_cvt_i32_f32_e32 v4, v4
	v_cmp_ne_u32_e32 vcc, 0, v3
	v_cndmask_b32_e32 v3, 0, v4, vcc
	s_branch .LBB118_267
.LBB118_154:
	s_mov_b64 s[26:27], -1
	s_mov_b64 s[0:1], 0
	s_mov_b64 s[18:19], 0
.LBB118_155:
	s_and_b64 vcc, exec, s[26:27]
	s_cbranch_vccz .LBB118_160
; %bb.156:
	s_cmp_eq_u32 s35, 44
	s_mov_b64 s[0:1], -1
	s_cbranch_scc0 .LBB118_160
; %bb.157:
	v_cvt_f32_i32_sdwa v2, sext(v4) dst_sel:DWORD dst_unused:UNUSED_PAD src0_sel:WORD_0
	s_movk_i32 s0, 0xff
	v_mov_b32_e32 v5, 0xff
	v_bfe_u32 v3, v2, 23, 8
	v_cmp_ne_u32_e32 vcc, s0, v3
	s_and_saveexec_b64 s[18:19], vcc
; %bb.158:
	s_mov_b32 s0, 0x3fffff
	v_lshrrev_b32_e32 v5, 23, v2
	v_and_b32_e32 v6, 0x400000, v2
	v_and_or_b32 v2, v2, s0, v3
	v_cmp_ne_u32_e32 vcc, 0, v6
	v_cmp_ne_u32_e64 s[0:1], 0, v2
	s_and_b64 s[0:1], vcc, s[0:1]
	v_cndmask_b32_e64 v2, 0, 1, s[0:1]
	v_add_u32_e32 v5, v5, v2
; %bb.159:
	s_or_b64 exec, exec, s[18:19]
	s_mov_b64 s[18:19], -1
	s_mov_b64 s[0:1], 0
	global_store_byte v[0:1], v5, off
.LBB118_160:
	s_mov_b64 s[26:27], 0
.LBB118_161:
	s_and_b64 vcc, exec, s[26:27]
	s_cbranch_vccz .LBB118_164
; %bb.162:
	s_cmp_eq_u32 s35, 29
	s_mov_b64 s[0:1], -1
	s_cbranch_scc0 .LBB118_164
; %bb.163:
	v_bfe_i32 v2, v4, 0, 16
	v_ashrrev_i32_e32 v3, 31, v2
	global_store_dwordx2 v[0:1], v[2:3], off
	s_mov_b64 s[18:19], -1
	s_mov_b64 s[0:1], 0
.LBB118_164:
	s_mov_b64 s[26:27], 0
.LBB118_165:
	s_and_b64 vcc, exec, s[26:27]
	s_cbranch_vccz .LBB118_181
; %bb.166:
	s_cmp_lt_i32 s35, 27
	s_mov_b64 s[18:19], -1
	s_cbranch_scc1 .LBB118_172
; %bb.167:
	s_cmp_gt_i32 s35, 27
	s_cbranch_scc0 .LBB118_169
; %bb.168:
	v_bfe_i32 v2, v4, 0, 16
	s_mov_b64 s[18:19], 0
	global_store_dword v[0:1], v2, off
.LBB118_169:
	s_andn2_b64 vcc, exec, s[18:19]
	s_cbranch_vccnz .LBB118_171
; %bb.170:
	global_store_short v[0:1], v4, off
.LBB118_171:
	s_mov_b64 s[18:19], 0
.LBB118_172:
	s_andn2_b64 vcc, exec, s[18:19]
	s_cbranch_vccnz .LBB118_180
; %bb.173:
	v_cvt_f32_i32_sdwa v2, sext(v4) dst_sel:DWORD dst_unused:UNUSED_PAD src0_sel:WORD_0
	s_mov_b32 s18, 0x43800000
	v_mov_b32_e32 v5, 0x80
	v_and_b32_e32 v3, 0x7fffffff, v2
	v_cmp_gt_u32_e32 vcc, s18, v3
	s_and_saveexec_b64 s[18:19], vcc
	s_cbranch_execz .LBB118_179
; %bb.174:
	s_mov_b32 s26, 0x3bffffff
	v_cmp_lt_u32_e32 vcc, s26, v3
	s_mov_b64 s[26:27], 0
                                        ; implicit-def: $vgpr3
	s_and_saveexec_b64 s[30:31], vcc
	s_xor_b64 s[30:31], exec, s[30:31]
	s_cbranch_execz .LBB118_404
; %bb.175:
	v_bfe_u32 v3, v2, 20, 1
	s_mov_b32 s36, 0x487ffff
	v_add3_u32 v3, v2, v3, s36
	s_mov_b64 s[26:27], exec
	v_lshrrev_b32_e32 v3, 20, v3
	s_andn2_saveexec_b64 s[30:31], s[30:31]
	s_cbranch_execnz .LBB118_405
.LBB118_176:
	s_or_b64 exec, exec, s[30:31]
	v_mov_b32_e32 v5, 0
	s_and_saveexec_b64 s[30:31], s[26:27]
.LBB118_177:
	v_lshrrev_b32_e32 v2, 24, v2
	s_movk_i32 s26, 0x80
	v_and_or_b32 v5, v2, s26, v3
.LBB118_178:
	s_or_b64 exec, exec, s[30:31]
.LBB118_179:
	s_or_b64 exec, exec, s[18:19]
	global_store_byte v[0:1], v5, off
.LBB118_180:
	s_mov_b64 s[18:19], -1
.LBB118_181:
	s_mov_b64 s[26:27], 0
.LBB118_182:
	s_and_b64 vcc, exec, s[26:27]
	s_cbranch_vccz .LBB118_223
; %bb.183:
	s_cmp_gt_i32 s35, 22
	s_mov_b64 s[26:27], -1
	s_cbranch_scc0 .LBB118_215
; %bb.184:
	s_cmp_lt_i32 s35, 24
	s_mov_b64 s[18:19], -1
	s_cbranch_scc1 .LBB118_204
; %bb.185:
	s_cmp_gt_i32 s35, 24
	s_cbranch_scc0 .LBB118_193
; %bb.186:
	v_cvt_f32_i32_sdwa v2, sext(v4) dst_sel:DWORD dst_unused:UNUSED_PAD src0_sel:WORD_0
	s_mov_b32 s18, 0x47800000
	v_mov_b32_e32 v5, 0x80
	v_and_b32_e32 v3, 0x7fffffff, v2
	v_cmp_gt_u32_e32 vcc, s18, v3
	s_and_saveexec_b64 s[18:19], vcc
	s_cbranch_execz .LBB118_192
; %bb.187:
	s_mov_b32 s26, 0x37ffffff
	v_cmp_lt_u32_e32 vcc, s26, v3
	s_mov_b64 s[26:27], 0
                                        ; implicit-def: $vgpr3
	s_and_saveexec_b64 s[30:31], vcc
	s_xor_b64 s[30:31], exec, s[30:31]
	s_cbranch_execz .LBB118_519
; %bb.188:
	v_bfe_u32 v3, v2, 21, 1
	s_mov_b32 s36, 0x88fffff
	v_add3_u32 v3, v2, v3, s36
	s_mov_b64 s[26:27], exec
	v_lshrrev_b32_e32 v3, 21, v3
	s_andn2_saveexec_b64 s[30:31], s[30:31]
	s_cbranch_execnz .LBB118_520
.LBB118_189:
	s_or_b64 exec, exec, s[30:31]
	v_mov_b32_e32 v5, 0
	s_and_saveexec_b64 s[30:31], s[26:27]
.LBB118_190:
	v_lshrrev_b32_e32 v2, 24, v2
	s_movk_i32 s26, 0x80
	v_and_or_b32 v5, v2, s26, v3
.LBB118_191:
	s_or_b64 exec, exec, s[30:31]
.LBB118_192:
	s_or_b64 exec, exec, s[18:19]
	s_mov_b64 s[18:19], 0
	global_store_byte v[0:1], v5, off
.LBB118_193:
	s_and_b64 vcc, exec, s[18:19]
	s_cbranch_vccz .LBB118_203
; %bb.194:
	v_cvt_f32_i32_sdwa v2, sext(v4) dst_sel:DWORD dst_unused:UNUSED_PAD src0_sel:WORD_0
	s_mov_b32 s18, 0x43f00000
                                        ; implicit-def: $vgpr3
	v_and_b32_e32 v5, 0x7fffffff, v2
	v_cmp_gt_u32_e32 vcc, s18, v5
	s_and_saveexec_b64 s[18:19], vcc
	s_xor_b64 s[18:19], exec, s[18:19]
	s_cbranch_execz .LBB118_200
; %bb.195:
	s_mov_b32 s26, 0x3c7fffff
	v_cmp_lt_u32_e32 vcc, s26, v5
                                        ; implicit-def: $vgpr3
	s_and_saveexec_b64 s[26:27], vcc
	s_xor_b64 s[26:27], exec, s[26:27]
; %bb.196:
	v_bfe_u32 v3, v2, 20, 1
	s_mov_b32 s30, 0x407ffff
	v_add3_u32 v3, v2, v3, s30
	v_lshrrev_b32_e32 v5, 20, v3
	v_and_b32_e32 v3, 0xff00000, v3
	s_mov_b32 s30, 0x7f00000
	v_mov_b32_e32 v6, 0x7e
	v_cmp_ne_u32_e32 vcc, s30, v3
	v_cndmask_b32_e32 v3, v6, v5, vcc
; %bb.197:
	s_andn2_saveexec_b64 s[26:27], s[26:27]
; %bb.198:
	s_mov_b32 s30, 0x46800000
	v_add_f32_e64 v3, |v2|, s30
; %bb.199:
	s_or_b64 exec, exec, s[26:27]
                                        ; implicit-def: $vgpr5
.LBB118_200:
	s_andn2_saveexec_b64 s[18:19], s[18:19]
; %bb.201:
	s_mov_b32 s26, 0x7f800000
	v_mov_b32_e32 v3, 0x7e
	v_mov_b32_e32 v6, 0x7f
	v_cmp_lt_u32_e32 vcc, s26, v5
	v_cndmask_b32_e32 v3, v3, v6, vcc
; %bb.202:
	s_or_b64 exec, exec, s[18:19]
	v_lshrrev_b32_e32 v2, 24, v2
	s_movk_i32 s18, 0x80
	v_and_or_b32 v2, v2, s18, v3
	global_store_byte v[0:1], v2, off
.LBB118_203:
	s_mov_b64 s[18:19], 0
.LBB118_204:
	s_andn2_b64 vcc, exec, s[18:19]
	s_cbranch_vccnz .LBB118_214
; %bb.205:
	v_cvt_f32_i32_sdwa v2, sext(v4) dst_sel:DWORD dst_unused:UNUSED_PAD src0_sel:WORD_0
	s_mov_b32 s18, 0x47800000
                                        ; implicit-def: $vgpr3
	v_and_b32_e32 v5, 0x7fffffff, v2
	v_cmp_gt_u32_e32 vcc, s18, v5
	s_and_saveexec_b64 s[18:19], vcc
	s_xor_b64 s[18:19], exec, s[18:19]
	s_cbranch_execz .LBB118_211
; %bb.206:
	s_mov_b32 s26, 0x387fffff
	v_cmp_lt_u32_e32 vcc, s26, v5
                                        ; implicit-def: $vgpr3
	s_and_saveexec_b64 s[26:27], vcc
	s_xor_b64 s[26:27], exec, s[26:27]
; %bb.207:
	v_bfe_u32 v3, v2, 21, 1
	s_mov_b32 s30, 0x80fffff
	v_add3_u32 v3, v2, v3, s30
	v_lshrrev_b32_e32 v3, 21, v3
; %bb.208:
	s_andn2_saveexec_b64 s[26:27], s[26:27]
; %bb.209:
	s_mov_b32 s30, 0x43000000
	v_add_f32_e64 v3, |v2|, s30
; %bb.210:
	s_or_b64 exec, exec, s[26:27]
                                        ; implicit-def: $vgpr5
.LBB118_211:
	s_andn2_saveexec_b64 s[18:19], s[18:19]
; %bb.212:
	s_mov_b32 s26, 0x7f800000
	v_mov_b32_e32 v3, 0x7c
	v_mov_b32_e32 v6, 0x7f
	v_cmp_lt_u32_e32 vcc, s26, v5
	v_cndmask_b32_e32 v3, v3, v6, vcc
; %bb.213:
	s_or_b64 exec, exec, s[18:19]
	v_lshrrev_b32_e32 v2, 24, v2
	s_movk_i32 s18, 0x80
	v_and_or_b32 v2, v2, s18, v3
	global_store_byte v[0:1], v2, off
.LBB118_214:
	s_mov_b64 s[26:27], 0
	s_mov_b64 s[18:19], -1
.LBB118_215:
	s_andn2_b64 vcc, exec, s[26:27]
	s_cbranch_vccnz .LBB118_223
; %bb.216:
	s_cmp_gt_i32 s35, 14
	s_mov_b64 s[26:27], -1
	s_cbranch_scc0 .LBB118_220
; %bb.217:
	s_cmp_eq_u32 s35, 15
	s_mov_b64 s[0:1], -1
	s_cbranch_scc0 .LBB118_219
; %bb.218:
	v_cvt_f32_i32_sdwa v2, sext(v4) dst_sel:DWORD dst_unused:UNUSED_PAD src0_sel:WORD_0
	s_movk_i32 s0, 0x7fff
	s_mov_b64 s[18:19], -1
	v_bfe_u32 v3, v2, 16, 1
	v_add3_u32 v2, v2, v3, s0
	global_store_short_d16_hi v[0:1], v2, off
	s_mov_b64 s[0:1], 0
.LBB118_219:
	s_mov_b64 s[26:27], 0
.LBB118_220:
	s_and_b64 vcc, exec, s[26:27]
	s_cbranch_vccz .LBB118_223
; %bb.221:
	s_cmp_eq_u32 s35, 11
	s_mov_b64 s[0:1], -1
	s_cbranch_scc0 .LBB118_223
; %bb.222:
	v_cmp_ne_u16_e32 vcc, 0, v4
	v_cndmask_b32_e64 v2, 0, 1, vcc
	s_mov_b64 s[18:19], -1
	s_mov_b64 s[0:1], 0
	global_store_byte v[0:1], v2, off
.LBB118_223:
	s_mov_b64 s[26:27], 0
.LBB118_224:
	s_and_b64 vcc, exec, s[26:27]
	s_cbranch_vccz .LBB118_263
; %bb.225:
	s_and_b32 s26, 0xffff, s34
	s_cmp_lt_i32 s26, 5
	s_mov_b64 s[18:19], -1
	s_cbranch_scc1 .LBB118_246
; %bb.226:
	s_cmp_lt_i32 s26, 8
	s_cbranch_scc1 .LBB118_236
; %bb.227:
	s_cmp_lt_i32 s26, 9
	s_cbranch_scc1 .LBB118_233
; %bb.228:
	s_cmp_gt_i32 s26, 9
	s_cbranch_scc0 .LBB118_230
; %bb.229:
	v_bfe_i32 v2, v4, 0, 16
	v_cvt_f64_i32_e32 v[5:6], v2
	v_mov_b32_e32 v7, 0
	v_mov_b32_e32 v8, v7
	s_mov_b64 s[18:19], 0
	global_store_dwordx4 v[0:1], v[5:8], off
.LBB118_230:
	s_andn2_b64 vcc, exec, s[18:19]
	s_cbranch_vccnz .LBB118_232
; %bb.231:
	v_cvt_f32_i32_sdwa v2, sext(v4) dst_sel:DWORD dst_unused:UNUSED_PAD src0_sel:WORD_0
	v_mov_b32_e32 v3, 0
	global_store_dwordx2 v[0:1], v[2:3], off
.LBB118_232:
	s_mov_b64 s[18:19], 0
.LBB118_233:
	s_andn2_b64 vcc, exec, s[18:19]
	s_cbranch_vccnz .LBB118_235
; %bb.234:
	v_cvt_f16_i16_e32 v2, v4
	global_store_dword v[0:1], v2, off
.LBB118_235:
	s_mov_b64 s[18:19], 0
.LBB118_236:
	s_andn2_b64 vcc, exec, s[18:19]
	s_cbranch_vccnz .LBB118_245
; %bb.237:
	s_cmp_lt_i32 s26, 6
	s_mov_b64 s[18:19], -1
	s_cbranch_scc1 .LBB118_243
; %bb.238:
	s_cmp_gt_i32 s26, 6
	s_cbranch_scc0 .LBB118_240
; %bb.239:
	v_bfe_i32 v2, v4, 0, 16
	v_cvt_f64_i32_e32 v[2:3], v2
	s_mov_b64 s[18:19], 0
	global_store_dwordx2 v[0:1], v[2:3], off
.LBB118_240:
	s_andn2_b64 vcc, exec, s[18:19]
	s_cbranch_vccnz .LBB118_242
; %bb.241:
	v_cvt_f32_i32_sdwa v2, sext(v4) dst_sel:DWORD dst_unused:UNUSED_PAD src0_sel:WORD_0
	global_store_dword v[0:1], v2, off
.LBB118_242:
	s_mov_b64 s[18:19], 0
.LBB118_243:
	s_andn2_b64 vcc, exec, s[18:19]
	s_cbranch_vccnz .LBB118_245
; %bb.244:
	v_cvt_f16_i16_e32 v2, v4
	global_store_short v[0:1], v2, off
.LBB118_245:
	s_mov_b64 s[18:19], 0
.LBB118_246:
	s_andn2_b64 vcc, exec, s[18:19]
	s_cbranch_vccnz .LBB118_262
; %bb.247:
	s_cmp_lt_i32 s26, 2
	s_mov_b64 s[18:19], -1
	s_cbranch_scc1 .LBB118_257
; %bb.248:
	s_cmp_lt_i32 s26, 3
	s_cbranch_scc1 .LBB118_254
; %bb.249:
	s_cmp_gt_i32 s26, 3
	v_bfe_i32 v2, v4, 0, 16
	s_cbranch_scc0 .LBB118_251
; %bb.250:
	v_ashrrev_i32_e32 v3, 31, v2
	global_store_dwordx2 v[0:1], v[2:3], off
	s_mov_b64 s[18:19], 0
.LBB118_251:
	s_andn2_b64 vcc, exec, s[18:19]
	s_cbranch_vccnz .LBB118_253
; %bb.252:
	global_store_dword v[0:1], v2, off
.LBB118_253:
	s_mov_b64 s[18:19], 0
.LBB118_254:
	s_andn2_b64 vcc, exec, s[18:19]
	s_cbranch_vccnz .LBB118_256
; %bb.255:
	global_store_short v[0:1], v4, off
.LBB118_256:
	s_mov_b64 s[18:19], 0
.LBB118_257:
	s_andn2_b64 vcc, exec, s[18:19]
	s_cbranch_vccnz .LBB118_262
; %bb.258:
	s_cmp_gt_i32 s26, 0
	s_mov_b64 s[18:19], -1
	s_cbranch_scc0 .LBB118_260
; %bb.259:
	global_store_byte v[0:1], v4, off
	s_mov_b64 s[18:19], 0
.LBB118_260:
	s_andn2_b64 vcc, exec, s[18:19]
	s_cbranch_vccnz .LBB118_262
; %bb.261:
	global_store_byte v[0:1], v4, off
.LBB118_262:
	s_mov_b64 s[18:19], -1
.LBB118_263:
	s_andn2_b64 vcc, exec, s[18:19]
	s_cbranch_vccnz .LBB118_265
; %bb.264:
	v_add_u32_e32 v14, 0x80, v14
	s_mov_b64 s[26:27], -1
	s_branch .LBB118_374
.LBB118_265:
	s_mov_b64 s[26:27], 0
                                        ; implicit-def: $vgpr14
	s_branch .LBB118_374
.LBB118_266:
	s_mov_b64 s[20:21], -1
                                        ; implicit-def: $vgpr3
.LBB118_267:
	s_mov_b64 s[18:19], 0
.LBB118_268:
	s_and_b64 vcc, exec, s[18:19]
	s_cbranch_vccz .LBB118_272
; %bb.269:
	s_cmp_eq_u32 s27, 29
	s_cbranch_scc0 .LBB118_271
; %bb.270:
	global_load_dwordx2 v[3:4], v[1:2], off
	s_mov_b64 s[0:1], -1
	s_mov_b64 s[20:21], 0
	s_branch .LBB118_272
.LBB118_271:
	s_mov_b64 s[20:21], -1
                                        ; implicit-def: $vgpr3
.LBB118_272:
	s_mov_b64 s[18:19], 0
.LBB118_273:
	s_and_b64 vcc, exec, s[18:19]
	s_cbranch_vccz .LBB118_289
; %bb.274:
	s_cmp_lt_i32 s27, 27
	s_cbranch_scc1 .LBB118_277
; %bb.275:
	s_cmp_gt_i32 s27, 27
	s_cbranch_scc0 .LBB118_278
; %bb.276:
	global_load_dword v3, v[1:2], off
	s_mov_b64 s[0:1], 0
	s_branch .LBB118_279
.LBB118_277:
	s_mov_b64 s[0:1], -1
                                        ; implicit-def: $vgpr3
	s_branch .LBB118_282
.LBB118_278:
	s_mov_b64 s[0:1], -1
                                        ; implicit-def: $vgpr3
.LBB118_279:
	s_andn2_b64 vcc, exec, s[0:1]
	s_cbranch_vccnz .LBB118_281
; %bb.280:
	global_load_ushort v3, v[1:2], off
.LBB118_281:
	s_mov_b64 s[0:1], 0
.LBB118_282:
	s_andn2_b64 vcc, exec, s[0:1]
	s_cbranch_vccnz .LBB118_288
; %bb.283:
	global_load_ubyte v4, v[1:2], off
	s_movk_i32 s0, 0x7f
	s_mov_b64 s[18:19], 0
	s_waitcnt vmcnt(0)
	v_cmp_lt_i16_e32 vcc, s0, v4
	s_and_saveexec_b64 s[0:1], vcc
	s_xor_b64 s[0:1], exec, s[0:1]
	s_cbranch_execz .LBB118_300
; %bb.284:
	s_movk_i32 s18, 0x80
	v_cmp_ne_u16_e32 vcc, s18, v4
	s_and_b64 s[18:19], vcc, exec
	s_andn2_saveexec_b64 s[0:1], s[0:1]
	s_cbranch_execnz .LBB118_301
.LBB118_285:
	s_or_b64 exec, exec, s[0:1]
	v_mov_b32_e32 v3, 0
	s_and_saveexec_b64 s[0:1], s[18:19]
	s_cbranch_execz .LBB118_287
.LBB118_286:
	v_lshlrev_b32_e32 v3, 24, v4
	v_and_b32_e32 v4, 0xffff, v4
	v_and_b32_e32 v5, 7, v4
	v_ffbh_u32_e32 v7, v5
	v_min_u32_e32 v7, 32, v7
	v_subrev_u32_e32 v8, 28, v7
	v_bfe_u32 v6, v4, 3, 4
	v_lshlrev_b32_e32 v4, v8, v4
	v_sub_u32_e32 v7, 29, v7
	v_and_b32_e32 v4, 7, v4
	v_cmp_eq_u32_e32 vcc, 0, v6
	v_cndmask_b32_e32 v6, v6, v7, vcc
	v_cndmask_b32_e32 v4, v5, v4, vcc
	v_mov_b32_e32 v5, 0x3b800000
	v_lshlrev_b32_e32 v4, 20, v4
	v_and_b32_e32 v3, 0x80000000, v3
	v_lshl_add_u32 v5, v6, 23, v5
	v_or3_b32 v3, v3, v5, v4
	v_cvt_i32_f32_e32 v3, v3
.LBB118_287:
	s_or_b64 exec, exec, s[0:1]
.LBB118_288:
	s_mov_b64 s[0:1], -1
.LBB118_289:
	s_mov_b64 s[18:19], 0
.LBB118_290:
	s_and_b64 vcc, exec, s[18:19]
	s_cbranch_vccz .LBB118_323
; %bb.291:
	s_cmp_gt_i32 s27, 22
	s_cbranch_scc0 .LBB118_299
; %bb.292:
	s_cmp_lt_i32 s27, 24
	s_cbranch_scc1 .LBB118_302
; %bb.293:
	s_cmp_gt_i32 s27, 24
	s_cbranch_scc0 .LBB118_303
; %bb.294:
	global_load_ubyte v4, v[1:2], off
	s_movk_i32 s0, 0x7f
	s_mov_b64 s[18:19], 0
	s_waitcnt vmcnt(0)
	v_cmp_lt_i16_e32 vcc, s0, v4
	s_and_saveexec_b64 s[0:1], vcc
	s_xor_b64 s[0:1], exec, s[0:1]
	s_cbranch_execz .LBB118_315
; %bb.295:
	s_movk_i32 s18, 0x80
	v_cmp_ne_u16_e32 vcc, s18, v4
	s_and_b64 s[18:19], vcc, exec
	s_andn2_saveexec_b64 s[0:1], s[0:1]
	s_cbranch_execnz .LBB118_316
.LBB118_296:
	s_or_b64 exec, exec, s[0:1]
	v_mov_b32_e32 v3, 0
	s_and_saveexec_b64 s[0:1], s[18:19]
	s_cbranch_execz .LBB118_298
.LBB118_297:
	v_lshlrev_b32_e32 v3, 24, v4
	v_and_b32_e32 v4, 0xffff, v4
	v_and_b32_e32 v5, 3, v4
	v_ffbh_u32_e32 v7, v5
	v_min_u32_e32 v7, 32, v7
	v_subrev_u32_e32 v8, 29, v7
	v_bfe_u32 v6, v4, 2, 5
	v_lshlrev_b32_e32 v4, v8, v4
	v_sub_u32_e32 v7, 30, v7
	v_and_b32_e32 v4, 3, v4
	v_cmp_eq_u32_e32 vcc, 0, v6
	v_cndmask_b32_e32 v6, v6, v7, vcc
	v_cndmask_b32_e32 v4, v5, v4, vcc
	v_mov_b32_e32 v5, 0x37800000
	v_lshlrev_b32_e32 v4, 21, v4
	v_and_b32_e32 v3, 0x80000000, v3
	v_lshl_add_u32 v5, v6, 23, v5
	v_or3_b32 v3, v3, v5, v4
	v_cvt_i32_f32_e32 v3, v3
.LBB118_298:
	s_or_b64 exec, exec, s[0:1]
	s_mov_b64 s[0:1], 0
	s_branch .LBB118_304
.LBB118_299:
	s_mov_b64 s[18:19], -1
                                        ; implicit-def: $vgpr3
	s_branch .LBB118_310
.LBB118_300:
	s_andn2_saveexec_b64 s[0:1], s[0:1]
	s_cbranch_execz .LBB118_285
.LBB118_301:
	v_cmp_ne_u16_e32 vcc, 0, v4
	s_andn2_b64 s[18:19], s[18:19], exec
	s_and_b64 s[30:31], vcc, exec
	s_or_b64 s[18:19], s[18:19], s[30:31]
	s_or_b64 exec, exec, s[0:1]
	v_mov_b32_e32 v3, 0
	s_and_saveexec_b64 s[0:1], s[18:19]
	s_cbranch_execnz .LBB118_286
	s_branch .LBB118_287
.LBB118_302:
	s_mov_b64 s[0:1], -1
                                        ; implicit-def: $vgpr3
	s_branch .LBB118_307
.LBB118_303:
	s_mov_b64 s[0:1], -1
                                        ; implicit-def: $vgpr3
.LBB118_304:
	s_and_b64 vcc, exec, s[0:1]
	s_cbranch_vccz .LBB118_306
; %bb.305:
	global_load_ubyte v3, v[1:2], off
	s_mov_b32 s0, 0x7f800000
	s_waitcnt vmcnt(0)
	v_lshlrev_b32_e32 v3, 24, v3
	v_and_b32_e32 v4, 0x7f000000, v3
	v_ffbh_u32_e32 v5, v4
	v_min_u32_e32 v5, 32, v5
	v_sub_u32_e64 v5, v5, 4 clamp
	v_lshlrev_b32_e32 v7, v5, v4
	v_lshlrev_b32_e32 v5, 23, v5
	v_lshrrev_b32_e32 v7, 4, v7
	v_add_u32_e32 v6, 0x1000000, v4
	v_sub_u32_e32 v5, v7, v5
	v_ashrrev_i32_e32 v6, 8, v6
	v_add_u32_e32 v5, 0x3c000000, v5
	v_and_or_b32 v5, v6, s0, v5
	v_cmp_ne_u32_e32 vcc, 0, v4
	v_cndmask_b32_e32 v4, 0, v5, vcc
	s_brev_b32 s0, 1
	v_and_or_b32 v3, v3, s0, v4
	v_cvt_i32_f32_e32 v3, v3
.LBB118_306:
	s_mov_b64 s[0:1], 0
.LBB118_307:
	s_andn2_b64 vcc, exec, s[0:1]
	s_cbranch_vccnz .LBB118_309
; %bb.308:
	global_load_ubyte v3, v[1:2], off
	s_movk_i32 s0, 0x7f00
	s_brev_b32 s1, 16
	s_waitcnt vmcnt(0)
	v_lshlrev_b16_e32 v4, 8, v3
	v_lshlrev_b32_e32 v3, 25, v3
	v_lshrrev_b32_e32 v5, 4, v3
	v_and_or_b32 v6, v4, s0, 0.5
	v_or_b32_e32 v5, 0x70000000, v5
	v_add_f32_e32 v6, -0.5, v6
	v_mul_f32_e32 v5, 0x7800000, v5
	v_cmp_gt_u32_e32 vcc, s1, v3
	v_bfe_i32 v4, v4, 0, 16
	v_cndmask_b32_e32 v3, v5, v6, vcc
	s_brev_b32 s0, 1
	v_and_or_b32 v3, v4, s0, v3
	v_cvt_i32_f32_e32 v3, v3
.LBB118_309:
	s_mov_b64 s[18:19], 0
	s_mov_b64 s[0:1], -1
.LBB118_310:
	s_andn2_b64 vcc, exec, s[18:19]
	s_cbranch_vccnz .LBB118_323
; %bb.311:
	s_cmp_gt_i32 s27, 14
	s_cbranch_scc0 .LBB118_314
; %bb.312:
	s_cmp_eq_u32 s27, 15
	s_cbranch_scc0 .LBB118_317
; %bb.313:
	global_load_ushort v3, v[1:2], off
	s_mov_b64 s[0:1], -1
	s_mov_b64 s[20:21], 0
	s_waitcnt vmcnt(0)
	v_lshlrev_b32_e32 v3, 16, v3
	v_cvt_i32_f32_e32 v3, v3
	s_branch .LBB118_318
.LBB118_314:
	s_mov_b64 s[18:19], -1
                                        ; implicit-def: $vgpr3
	s_branch .LBB118_319
.LBB118_315:
	s_andn2_saveexec_b64 s[0:1], s[0:1]
	s_cbranch_execz .LBB118_296
.LBB118_316:
	v_cmp_ne_u16_e32 vcc, 0, v4
	s_andn2_b64 s[18:19], s[18:19], exec
	s_and_b64 s[30:31], vcc, exec
	s_or_b64 s[18:19], s[18:19], s[30:31]
	s_or_b64 exec, exec, s[0:1]
	v_mov_b32_e32 v3, 0
	s_and_saveexec_b64 s[0:1], s[18:19]
	s_cbranch_execnz .LBB118_297
	s_branch .LBB118_298
.LBB118_317:
	s_mov_b64 s[20:21], -1
                                        ; implicit-def: $vgpr3
.LBB118_318:
	s_mov_b64 s[18:19], 0
.LBB118_319:
	s_and_b64 vcc, exec, s[18:19]
	s_cbranch_vccz .LBB118_323
; %bb.320:
	s_cmp_eq_u32 s27, 11
	s_cbranch_scc0 .LBB118_322
; %bb.321:
	global_load_ubyte v3, v[1:2], off
	s_mov_b64 s[0:1], -1
	s_mov_b64 s[20:21], 0
	s_waitcnt vmcnt(0)
	v_cmp_ne_u16_e32 vcc, 0, v3
	v_cndmask_b32_e64 v3, 0, 1, vcc
	s_branch .LBB118_323
.LBB118_322:
	s_mov_b64 s[20:21], -1
                                        ; implicit-def: $vgpr3
.LBB118_323:
	s_branch .LBB118_20
.LBB118_324:
	s_and_b32 s18, 0xffff, s26
	s_cmp_lt_i32 s18, 5
	s_cbranch_scc1 .LBB118_329
; %bb.325:
	s_cmp_lt_i32 s18, 8
	s_cbranch_scc1 .LBB118_330
; %bb.326:
	;; [unrolled: 3-line block ×3, first 2 shown]
	s_cmp_gt_i32 s18, 9
	s_cbranch_scc0 .LBB118_332
; %bb.328:
	global_load_dwordx2 v[3:4], v[1:2], off
	s_mov_b64 s[0:1], 0
	s_waitcnt vmcnt(0)
	v_cvt_i32_f64_e32 v3, v[3:4]
	s_branch .LBB118_333
.LBB118_329:
	s_mov_b64 s[0:1], -1
                                        ; implicit-def: $vgpr3
	s_branch .LBB118_351
.LBB118_330:
	s_mov_b64 s[0:1], -1
                                        ; implicit-def: $vgpr3
	s_branch .LBB118_339
.LBB118_331:
	s_mov_b64 s[0:1], -1
                                        ; implicit-def: $vgpr3
	s_branch .LBB118_336
.LBB118_332:
	s_mov_b64 s[0:1], -1
                                        ; implicit-def: $vgpr3
.LBB118_333:
	s_andn2_b64 vcc, exec, s[0:1]
	s_cbranch_vccnz .LBB118_335
; %bb.334:
	global_load_dword v3, v[1:2], off
	s_waitcnt vmcnt(0)
	v_cvt_i32_f32_e32 v3, v3
.LBB118_335:
	s_mov_b64 s[0:1], 0
.LBB118_336:
	s_andn2_b64 vcc, exec, s[0:1]
	s_cbranch_vccnz .LBB118_338
; %bb.337:
	global_load_dword v3, v[1:2], off
	s_waitcnt vmcnt(0)
	v_cvt_i16_f16_e32 v3, v3
.LBB118_338:
	s_mov_b64 s[0:1], 0
.LBB118_339:
	s_andn2_b64 vcc, exec, s[0:1]
	s_cbranch_vccnz .LBB118_350
; %bb.340:
	s_cmp_lt_i32 s18, 6
	s_cbranch_scc1 .LBB118_343
; %bb.341:
	s_cmp_gt_i32 s18, 6
	s_cbranch_scc0 .LBB118_344
; %bb.342:
	global_load_dwordx2 v[3:4], v[1:2], off
	s_mov_b64 s[0:1], 0
	s_waitcnt vmcnt(0)
	v_cvt_i32_f64_e32 v3, v[3:4]
	s_branch .LBB118_345
.LBB118_343:
	s_mov_b64 s[0:1], -1
                                        ; implicit-def: $vgpr3
	s_branch .LBB118_348
.LBB118_344:
	s_mov_b64 s[0:1], -1
                                        ; implicit-def: $vgpr3
.LBB118_345:
	s_andn2_b64 vcc, exec, s[0:1]
	s_cbranch_vccnz .LBB118_347
; %bb.346:
	global_load_dword v3, v[1:2], off
	s_waitcnt vmcnt(0)
	v_cvt_i32_f32_e32 v3, v3
.LBB118_347:
	s_mov_b64 s[0:1], 0
.LBB118_348:
	s_andn2_b64 vcc, exec, s[0:1]
	s_cbranch_vccnz .LBB118_350
; %bb.349:
	global_load_ushort v3, v[1:2], off
	s_waitcnt vmcnt(0)
	v_cvt_i16_f16_e32 v3, v3
.LBB118_350:
	s_mov_b64 s[0:1], 0
.LBB118_351:
	s_andn2_b64 vcc, exec, s[0:1]
	s_cbranch_vccnz .LBB118_371
; %bb.352:
	s_cmp_lt_i32 s18, 2
	s_cbranch_scc1 .LBB118_356
; %bb.353:
	s_cmp_lt_i32 s18, 3
	s_cbranch_scc1 .LBB118_357
; %bb.354:
	s_cmp_gt_i32 s18, 3
	s_cbranch_scc0 .LBB118_358
; %bb.355:
	global_load_dwordx2 v[3:4], v[1:2], off
	s_mov_b64 s[0:1], 0
	s_branch .LBB118_359
.LBB118_356:
	s_mov_b64 s[0:1], -1
                                        ; implicit-def: $vgpr3
	s_branch .LBB118_365
.LBB118_357:
	s_mov_b64 s[0:1], -1
                                        ; implicit-def: $vgpr3
	s_branch .LBB118_362
.LBB118_358:
	s_mov_b64 s[0:1], -1
                                        ; implicit-def: $vgpr3
.LBB118_359:
	s_andn2_b64 vcc, exec, s[0:1]
	s_cbranch_vccnz .LBB118_361
; %bb.360:
	global_load_dword v3, v[1:2], off
.LBB118_361:
	s_mov_b64 s[0:1], 0
.LBB118_362:
	s_andn2_b64 vcc, exec, s[0:1]
	s_cbranch_vccnz .LBB118_364
; %bb.363:
	global_load_ushort v3, v[1:2], off
.LBB118_364:
	s_mov_b64 s[0:1], 0
.LBB118_365:
	s_andn2_b64 vcc, exec, s[0:1]
	s_cbranch_vccnz .LBB118_371
; %bb.366:
	s_cmp_gt_i32 s18, 0
	s_cbranch_scc0 .LBB118_368
; %bb.367:
	global_load_sbyte v3, v[1:2], off
	s_mov_b64 s[0:1], 0
	s_branch .LBB118_369
.LBB118_368:
	s_mov_b64 s[0:1], -1
                                        ; implicit-def: $vgpr3
.LBB118_369:
	s_andn2_b64 vcc, exec, s[0:1]
	s_cbranch_vccnz .LBB118_371
; %bb.370:
	global_load_ubyte v3, v[1:2], off
.LBB118_371:
	s_branch .LBB118_21
.LBB118_372:
	s_mov_b64 s[0:1], 0
.LBB118_373:
                                        ; implicit-def: $vgpr14
	s_mov_b64 s[26:27], 0
.LBB118_374:
	s_and_b64 s[18:19], s[0:1], exec
	s_and_b64 s[20:21], s[20:21], exec
	;; [unrolled: 1-line block ×3, first 2 shown]
	s_orn2_b64 s[0:1], s[26:27], exec
.LBB118_375:
	s_or_b64 exec, exec, s[24:25]
	s_mov_b64 s[34:35], 0
	s_mov_b64 s[30:31], 0
                                        ; implicit-def: $sgpr57
                                        ; implicit-def: $vgpr2_vgpr3
                                        ; implicit-def: $vgpr0
	s_and_saveexec_b64 s[24:25], s[0:1]
	s_cbranch_execz .LBB118_384
; %bb.376:
	v_cmp_gt_i32_e32 vcc, s50, v14
	s_mov_b64 s[0:1], -1
	s_mov_b64 s[26:27], s[22:23]
	s_mov_b64 s[28:29], s[20:21]
	;; [unrolled: 1-line block ×3, first 2 shown]
	s_and_saveexec_b64 s[34:35], vcc
	s_cbranch_execz .LBB118_757
; %bb.377:
	s_waitcnt vmcnt(0)
	v_mul_lo_u32 v0, v14, s13
	v_mov_b32_e32 v1, s11
	s_and_b32 s30, s56, 0xff
	s_cmp_lt_i32 s30, 11
	v_ashrrev_i32_e32 v3, 31, v0
	v_add_co_u32_e32 v2, vcc, s10, v0
	v_addc_co_u32_e32 v3, vcc, v1, v3, vcc
	s_cbranch_scc1 .LBB118_387
; %bb.378:
	s_and_b32 s31, 0xffff, s30
	s_cmp_gt_i32 s31, 25
	s_cbranch_scc0 .LBB118_396
; %bb.379:
	s_cmp_gt_i32 s31, 28
	s_cbranch_scc0 .LBB118_398
; %bb.380:
	;; [unrolled: 3-line block ×4, first 2 shown]
	s_cmp_eq_u32 s31, 46
	s_mov_b64 s[28:29], 0
	s_cbranch_scc0 .LBB118_406
; %bb.383:
	global_load_dword v0, v[2:3], off
	s_mov_b64 s[26:27], 0
	s_waitcnt vmcnt(0)
	v_lshlrev_b32_e32 v0, 16, v0
	v_cvt_i32_f32_e32 v0, v0
	s_branch .LBB118_407
.LBB118_384:
	s_or_b64 exec, exec, s[24:25]
	s_mov_b64 s[24:25], 0
	s_and_saveexec_b64 s[0:1], s[22:23]
	s_cbranch_execnz .LBB118_1220
.LBB118_385:
	s_or_b64 exec, exec, s[0:1]
	s_and_saveexec_b64 s[0:1], s[28:29]
	s_xor_b64 s[0:1], exec, s[0:1]
	s_cbranch_execz .LBB118_1221
.LBB118_386:
	s_waitcnt vmcnt(0)
	global_load_ubyte v0, v[2:3], off
	s_or_b64 s[30:31], s[30:31], exec
	s_waitcnt vmcnt(0)
	v_cmp_ne_u16_e32 vcc, 0, v0
	v_cndmask_b32_e64 v0, 0, 1, vcc
	s_or_b64 exec, exec, s[0:1]
	s_and_saveexec_b64 s[0:1], s[34:35]
	s_cbranch_execz .LBB118_1267
	s_branch .LBB118_1222
.LBB118_387:
	s_mov_b64 s[0:1], 0
                                        ; implicit-def: $vgpr0
	s_mov_b64 s[26:27], s[22:23]
	s_cbranch_execnz .LBB118_469
.LBB118_388:
	s_andn2_b64 vcc, exec, s[0:1]
	s_cbranch_vccnz .LBB118_517
.LBB118_389:
	s_waitcnt vmcnt(0)
	v_mul_lo_u32 v1, v14, s14
	v_mov_b32_e32 v2, s17
	s_and_b32 s36, s15, 0xff
	s_cmp_lt_i32 s36, 11
	v_ashrrev_i32_e32 v3, 31, v1
	v_add_co_u32_e32 v1, vcc, s16, v1
	v_addc_co_u32_e32 v2, vcc, v2, v3, vcc
	s_cbranch_scc1 .LBB118_397
; %bb.390:
	s_and_b32 s37, 0xffff, s36
	s_cmp_gt_i32 s37, 25
	s_cbranch_scc0 .LBB118_399
; %bb.391:
	s_cmp_gt_i32 s37, 28
	s_cbranch_scc0 .LBB118_401
; %bb.392:
	;; [unrolled: 3-line block ×4, first 2 shown]
	s_cmp_eq_u32 s37, 46
	s_mov_b64 s[30:31], 0
	s_cbranch_scc0 .LBB118_521
; %bb.395:
	global_load_dword v3, v[1:2], off
	s_mov_b64 s[0:1], -1
	s_mov_b64 s[28:29], 0
	s_waitcnt vmcnt(0)
	v_lshlrev_b32_e32 v3, 16, v3
	v_cvt_i32_f32_e32 v3, v3
	s_branch .LBB118_522
.LBB118_396:
	s_mov_b64 s[28:29], -1
	s_mov_b64 s[0:1], 0
	s_mov_b64 s[26:27], s[22:23]
                                        ; implicit-def: $vgpr0
	s_branch .LBB118_435
.LBB118_397:
	s_mov_b64 s[30:31], -1
	s_mov_b64 s[0:1], 0
                                        ; implicit-def: $vgpr3
	s_mov_b64 s[28:29], s[20:21]
	s_branch .LBB118_583
.LBB118_398:
	s_mov_b64 s[28:29], -1
	s_mov_b64 s[0:1], 0
	s_mov_b64 s[26:27], s[22:23]
                                        ; implicit-def: $vgpr0
	s_branch .LBB118_418
.LBB118_399:
	s_mov_b64 s[30:31], -1
	s_mov_b64 s[0:1], 0
	s_mov_b64 s[28:29], s[20:21]
                                        ; implicit-def: $vgpr3
	s_branch .LBB118_549
.LBB118_400:
	s_mov_b64 s[28:29], -1
	s_mov_b64 s[0:1], 0
	s_mov_b64 s[26:27], s[22:23]
                                        ; implicit-def: $vgpr0
	s_branch .LBB118_413
.LBB118_401:
	s_mov_b64 s[30:31], -1
	s_mov_b64 s[0:1], 0
	s_mov_b64 s[28:29], s[20:21]
                                        ; implicit-def: $vgpr3
	s_branch .LBB118_532
.LBB118_402:
	s_mov_b64 s[28:29], -1
	s_mov_b64 s[0:1], 0
	s_mov_b64 s[26:27], s[22:23]
                                        ; implicit-def: $vgpr0
	s_branch .LBB118_407
.LBB118_403:
	s_mov_b64 s[30:31], -1
	s_mov_b64 s[0:1], 0
	s_mov_b64 s[28:29], s[20:21]
                                        ; implicit-def: $vgpr3
	s_branch .LBB118_527
.LBB118_404:
	s_andn2_saveexec_b64 s[30:31], s[30:31]
	s_cbranch_execz .LBB118_176
.LBB118_405:
	s_mov_b32 s36, 0x46000000
	v_add_f32_e64 v3, |v2|, s36
	v_and_b32_e32 v3, 0xff, v3
	v_cmp_ne_u32_e32 vcc, 0, v3
	s_andn2_b64 s[26:27], s[26:27], exec
	s_and_b64 s[36:37], vcc, exec
	s_or_b64 s[26:27], s[26:27], s[36:37]
	s_or_b64 exec, exec, s[30:31]
	v_mov_b32_e32 v5, 0
	s_and_saveexec_b64 s[30:31], s[26:27]
	s_cbranch_execnz .LBB118_177
	s_branch .LBB118_178
.LBB118_406:
	s_mov_b64 s[26:27], -1
                                        ; implicit-def: $vgpr0
	s_mov_b64 s[0:1], 0
.LBB118_407:
	s_and_b64 vcc, exec, s[28:29]
	s_cbranch_vccz .LBB118_412
; %bb.408:
	s_cmp_eq_u32 s31, 44
	s_cbranch_scc0 .LBB118_411
; %bb.409:
	global_load_ubyte v0, v[2:3], off
	s_mov_b64 s[0:1], -1
	s_mov_b64 s[26:27], 0
	s_waitcnt vmcnt(0)
	v_lshlrev_b32_e32 v1, 23, v0
	v_cvt_i32_f32_e32 v1, v1
	v_cmp_ne_u32_e32 vcc, 0, v0
	v_cndmask_b32_e32 v0, 0, v1, vcc
	s_branch .LBB118_412
.LBB118_410:
	s_mov_b64 s[30:31], -1
	s_mov_b64 s[0:1], 0
	s_mov_b64 s[28:29], s[20:21]
                                        ; implicit-def: $vgpr3
	s_branch .LBB118_522
.LBB118_411:
	s_mov_b64 s[26:27], -1
                                        ; implicit-def: $vgpr0
.LBB118_412:
	s_mov_b64 s[28:29], 0
.LBB118_413:
	s_and_b64 vcc, exec, s[28:29]
	s_cbranch_vccz .LBB118_417
; %bb.414:
	s_cmp_eq_u32 s31, 29
	s_cbranch_scc0 .LBB118_416
; %bb.415:
	global_load_dwordx2 v[0:1], v[2:3], off
	s_mov_b64 s[0:1], -1
	s_mov_b64 s[26:27], 0
	s_branch .LBB118_417
.LBB118_416:
	s_mov_b64 s[26:27], -1
                                        ; implicit-def: $vgpr0
.LBB118_417:
	s_mov_b64 s[28:29], 0
.LBB118_418:
	s_and_b64 vcc, exec, s[28:29]
	s_cbranch_vccz .LBB118_434
; %bb.419:
	s_cmp_lt_i32 s31, 27
	s_cbranch_scc1 .LBB118_422
; %bb.420:
	s_cmp_gt_i32 s31, 27
	s_cbranch_scc0 .LBB118_423
; %bb.421:
	global_load_dword v0, v[2:3], off
	s_mov_b64 s[0:1], 0
	s_branch .LBB118_424
.LBB118_422:
	s_mov_b64 s[0:1], -1
                                        ; implicit-def: $vgpr0
	s_branch .LBB118_427
.LBB118_423:
	s_mov_b64 s[0:1], -1
                                        ; implicit-def: $vgpr0
.LBB118_424:
	s_andn2_b64 vcc, exec, s[0:1]
	s_cbranch_vccnz .LBB118_426
; %bb.425:
	global_load_ushort v0, v[2:3], off
.LBB118_426:
	s_mov_b64 s[0:1], 0
.LBB118_427:
	s_andn2_b64 vcc, exec, s[0:1]
	s_cbranch_vccnz .LBB118_433
; %bb.428:
	global_load_ubyte v1, v[2:3], off
	s_movk_i32 s0, 0x7f
	s_mov_b64 s[28:29], 0
	s_waitcnt vmcnt(0)
	v_cmp_lt_i16_e32 vcc, s0, v1
	s_and_saveexec_b64 s[0:1], vcc
	s_xor_b64 s[0:1], exec, s[0:1]
	s_cbranch_execz .LBB118_445
; %bb.429:
	s_movk_i32 s28, 0x80
	v_cmp_ne_u16_e32 vcc, s28, v1
	s_and_b64 s[28:29], vcc, exec
	s_andn2_saveexec_b64 s[0:1], s[0:1]
	s_cbranch_execnz .LBB118_446
.LBB118_430:
	s_or_b64 exec, exec, s[0:1]
	v_mov_b32_e32 v0, 0
	s_and_saveexec_b64 s[0:1], s[28:29]
	s_cbranch_execz .LBB118_432
.LBB118_431:
	v_lshlrev_b32_e32 v0, 24, v1
	v_and_b32_e32 v1, 0xffff, v1
	v_and_b32_e32 v4, 7, v1
	v_ffbh_u32_e32 v6, v4
	v_min_u32_e32 v6, 32, v6
	v_subrev_u32_e32 v7, 28, v6
	v_bfe_u32 v5, v1, 3, 4
	v_lshlrev_b32_e32 v1, v7, v1
	v_sub_u32_e32 v6, 29, v6
	v_and_b32_e32 v1, 7, v1
	v_cmp_eq_u32_e32 vcc, 0, v5
	v_cndmask_b32_e32 v5, v5, v6, vcc
	v_cndmask_b32_e32 v1, v4, v1, vcc
	v_mov_b32_e32 v4, 0x3b800000
	v_lshlrev_b32_e32 v1, 20, v1
	v_and_b32_e32 v0, 0x80000000, v0
	v_lshl_add_u32 v4, v5, 23, v4
	v_or3_b32 v0, v0, v4, v1
	v_cvt_i32_f32_e32 v0, v0
.LBB118_432:
	s_or_b64 exec, exec, s[0:1]
.LBB118_433:
	s_mov_b64 s[0:1], -1
.LBB118_434:
	s_mov_b64 s[28:29], 0
.LBB118_435:
	s_and_b64 vcc, exec, s[28:29]
	s_cbranch_vccz .LBB118_468
; %bb.436:
	s_cmp_gt_i32 s31, 22
	s_cbranch_scc0 .LBB118_444
; %bb.437:
	s_cmp_lt_i32 s31, 24
	s_cbranch_scc1 .LBB118_447
; %bb.438:
	s_cmp_gt_i32 s31, 24
	s_cbranch_scc0 .LBB118_448
; %bb.439:
	global_load_ubyte v1, v[2:3], off
	s_movk_i32 s0, 0x7f
	s_mov_b64 s[28:29], 0
	s_waitcnt vmcnt(0)
	v_cmp_lt_i16_e32 vcc, s0, v1
	s_and_saveexec_b64 s[0:1], vcc
	s_xor_b64 s[0:1], exec, s[0:1]
	s_cbranch_execz .LBB118_460
; %bb.440:
	s_movk_i32 s28, 0x80
	v_cmp_ne_u16_e32 vcc, s28, v1
	s_and_b64 s[28:29], vcc, exec
	s_andn2_saveexec_b64 s[0:1], s[0:1]
	s_cbranch_execnz .LBB118_461
.LBB118_441:
	s_or_b64 exec, exec, s[0:1]
	v_mov_b32_e32 v0, 0
	s_and_saveexec_b64 s[0:1], s[28:29]
	s_cbranch_execz .LBB118_443
.LBB118_442:
	v_lshlrev_b32_e32 v0, 24, v1
	v_and_b32_e32 v1, 0xffff, v1
	v_and_b32_e32 v4, 3, v1
	v_ffbh_u32_e32 v6, v4
	v_min_u32_e32 v6, 32, v6
	v_subrev_u32_e32 v7, 29, v6
	v_bfe_u32 v5, v1, 2, 5
	v_lshlrev_b32_e32 v1, v7, v1
	v_sub_u32_e32 v6, 30, v6
	v_and_b32_e32 v1, 3, v1
	v_cmp_eq_u32_e32 vcc, 0, v5
	v_cndmask_b32_e32 v5, v5, v6, vcc
	v_cndmask_b32_e32 v1, v4, v1, vcc
	v_mov_b32_e32 v4, 0x37800000
	v_lshlrev_b32_e32 v1, 21, v1
	v_and_b32_e32 v0, 0x80000000, v0
	v_lshl_add_u32 v4, v5, 23, v4
	v_or3_b32 v0, v0, v4, v1
	v_cvt_i32_f32_e32 v0, v0
.LBB118_443:
	s_or_b64 exec, exec, s[0:1]
	s_mov_b64 s[0:1], 0
	s_branch .LBB118_449
.LBB118_444:
	s_mov_b64 s[28:29], -1
                                        ; implicit-def: $vgpr0
	s_branch .LBB118_455
.LBB118_445:
	s_andn2_saveexec_b64 s[0:1], s[0:1]
	s_cbranch_execz .LBB118_430
.LBB118_446:
	v_cmp_ne_u16_e32 vcc, 0, v1
	s_andn2_b64 s[28:29], s[28:29], exec
	s_and_b64 s[36:37], vcc, exec
	s_or_b64 s[28:29], s[28:29], s[36:37]
	s_or_b64 exec, exec, s[0:1]
	v_mov_b32_e32 v0, 0
	s_and_saveexec_b64 s[0:1], s[28:29]
	s_cbranch_execnz .LBB118_431
	s_branch .LBB118_432
.LBB118_447:
	s_mov_b64 s[0:1], -1
                                        ; implicit-def: $vgpr0
	s_branch .LBB118_452
.LBB118_448:
	s_mov_b64 s[0:1], -1
                                        ; implicit-def: $vgpr0
.LBB118_449:
	s_and_b64 vcc, exec, s[0:1]
	s_cbranch_vccz .LBB118_451
; %bb.450:
	global_load_ubyte v0, v[2:3], off
	s_mov_b32 s0, 0x7f800000
	s_waitcnt vmcnt(0)
	v_lshlrev_b32_e32 v0, 24, v0
	v_and_b32_e32 v1, 0x7f000000, v0
	v_ffbh_u32_e32 v4, v1
	v_min_u32_e32 v4, 32, v4
	v_sub_u32_e64 v4, v4, 4 clamp
	v_lshlrev_b32_e32 v6, v4, v1
	v_lshlrev_b32_e32 v4, 23, v4
	v_lshrrev_b32_e32 v6, 4, v6
	v_add_u32_e32 v5, 0x1000000, v1
	v_sub_u32_e32 v4, v6, v4
	v_ashrrev_i32_e32 v5, 8, v5
	v_add_u32_e32 v4, 0x3c000000, v4
	v_and_or_b32 v4, v5, s0, v4
	v_cmp_ne_u32_e32 vcc, 0, v1
	v_cndmask_b32_e32 v1, 0, v4, vcc
	s_brev_b32 s0, 1
	v_and_or_b32 v0, v0, s0, v1
	v_cvt_i32_f32_e32 v0, v0
.LBB118_451:
	s_mov_b64 s[0:1], 0
.LBB118_452:
	s_andn2_b64 vcc, exec, s[0:1]
	s_cbranch_vccnz .LBB118_454
; %bb.453:
	global_load_ubyte v0, v[2:3], off
	s_movk_i32 s0, 0x7f00
	s_brev_b32 s1, 16
	s_waitcnt vmcnt(0)
	v_lshlrev_b16_e32 v1, 8, v0
	v_lshlrev_b32_e32 v0, 25, v0
	v_lshrrev_b32_e32 v4, 4, v0
	v_and_or_b32 v5, v1, s0, 0.5
	v_or_b32_e32 v4, 0x70000000, v4
	v_add_f32_e32 v5, -0.5, v5
	v_mul_f32_e32 v4, 0x7800000, v4
	v_cmp_gt_u32_e32 vcc, s1, v0
	v_bfe_i32 v1, v1, 0, 16
	v_cndmask_b32_e32 v0, v4, v5, vcc
	s_brev_b32 s0, 1
	v_and_or_b32 v0, v1, s0, v0
	v_cvt_i32_f32_e32 v0, v0
.LBB118_454:
	s_mov_b64 s[28:29], 0
	s_mov_b64 s[0:1], -1
.LBB118_455:
	s_andn2_b64 vcc, exec, s[28:29]
	s_cbranch_vccnz .LBB118_468
; %bb.456:
	s_cmp_gt_i32 s31, 14
	s_cbranch_scc0 .LBB118_459
; %bb.457:
	s_cmp_eq_u32 s31, 15
	s_cbranch_scc0 .LBB118_462
; %bb.458:
	global_load_ushort v0, v[2:3], off
	s_mov_b64 s[0:1], -1
	s_mov_b64 s[26:27], 0
	s_waitcnt vmcnt(0)
	v_lshlrev_b32_e32 v0, 16, v0
	v_cvt_i32_f32_e32 v0, v0
	s_branch .LBB118_463
.LBB118_459:
	s_mov_b64 s[28:29], -1
                                        ; implicit-def: $vgpr0
	s_branch .LBB118_464
.LBB118_460:
	s_andn2_saveexec_b64 s[0:1], s[0:1]
	s_cbranch_execz .LBB118_441
.LBB118_461:
	v_cmp_ne_u16_e32 vcc, 0, v1
	s_andn2_b64 s[28:29], s[28:29], exec
	s_and_b64 s[36:37], vcc, exec
	s_or_b64 s[28:29], s[28:29], s[36:37]
	s_or_b64 exec, exec, s[0:1]
	v_mov_b32_e32 v0, 0
	s_and_saveexec_b64 s[0:1], s[28:29]
	s_cbranch_execnz .LBB118_442
	s_branch .LBB118_443
.LBB118_462:
	s_mov_b64 s[26:27], -1
                                        ; implicit-def: $vgpr0
.LBB118_463:
	s_mov_b64 s[28:29], 0
.LBB118_464:
	s_and_b64 vcc, exec, s[28:29]
	s_cbranch_vccz .LBB118_468
; %bb.465:
	s_cmp_eq_u32 s31, 11
	s_cbranch_scc0 .LBB118_467
; %bb.466:
	global_load_ubyte v0, v[2:3], off
	s_mov_b64 s[0:1], -1
	s_mov_b64 s[26:27], 0
	s_waitcnt vmcnt(0)
	v_cmp_ne_u16_e32 vcc, 0, v0
	v_cndmask_b32_e64 v0, 0, 1, vcc
	s_branch .LBB118_468
.LBB118_467:
	s_mov_b64 s[26:27], -1
                                        ; implicit-def: $vgpr0
.LBB118_468:
	s_branch .LBB118_388
.LBB118_469:
	s_and_b32 s28, 0xffff, s30
	s_cmp_lt_i32 s28, 5
	s_cbranch_scc1 .LBB118_474
; %bb.470:
	s_cmp_lt_i32 s28, 8
	s_cbranch_scc1 .LBB118_475
; %bb.471:
	;; [unrolled: 3-line block ×3, first 2 shown]
	s_cmp_gt_i32 s28, 9
	s_cbranch_scc0 .LBB118_477
; %bb.473:
	global_load_dwordx2 v[0:1], v[2:3], off
	s_mov_b64 s[0:1], 0
	s_waitcnt vmcnt(0)
	v_cvt_i32_f64_e32 v0, v[0:1]
	s_branch .LBB118_478
.LBB118_474:
	s_mov_b64 s[0:1], -1
                                        ; implicit-def: $vgpr0
	s_branch .LBB118_496
.LBB118_475:
	s_mov_b64 s[0:1], -1
                                        ; implicit-def: $vgpr0
	s_branch .LBB118_484
.LBB118_476:
	s_mov_b64 s[0:1], -1
                                        ; implicit-def: $vgpr0
	s_branch .LBB118_481
.LBB118_477:
	s_mov_b64 s[0:1], -1
                                        ; implicit-def: $vgpr0
.LBB118_478:
	s_andn2_b64 vcc, exec, s[0:1]
	s_cbranch_vccnz .LBB118_480
; %bb.479:
	global_load_dword v0, v[2:3], off
	s_waitcnt vmcnt(0)
	v_cvt_i32_f32_e32 v0, v0
.LBB118_480:
	s_mov_b64 s[0:1], 0
.LBB118_481:
	s_andn2_b64 vcc, exec, s[0:1]
	s_cbranch_vccnz .LBB118_483
; %bb.482:
	global_load_dword v0, v[2:3], off
	s_waitcnt vmcnt(0)
	v_cvt_i16_f16_e32 v0, v0
.LBB118_483:
	s_mov_b64 s[0:1], 0
.LBB118_484:
	s_andn2_b64 vcc, exec, s[0:1]
	s_cbranch_vccnz .LBB118_495
; %bb.485:
	s_cmp_lt_i32 s28, 6
	s_cbranch_scc1 .LBB118_488
; %bb.486:
	s_cmp_gt_i32 s28, 6
	s_cbranch_scc0 .LBB118_489
; %bb.487:
	global_load_dwordx2 v[0:1], v[2:3], off
	s_mov_b64 s[0:1], 0
	s_waitcnt vmcnt(0)
	v_cvt_i32_f64_e32 v0, v[0:1]
	s_branch .LBB118_490
.LBB118_488:
	s_mov_b64 s[0:1], -1
                                        ; implicit-def: $vgpr0
	s_branch .LBB118_493
.LBB118_489:
	s_mov_b64 s[0:1], -1
                                        ; implicit-def: $vgpr0
.LBB118_490:
	s_andn2_b64 vcc, exec, s[0:1]
	s_cbranch_vccnz .LBB118_492
; %bb.491:
	global_load_dword v0, v[2:3], off
	s_waitcnt vmcnt(0)
	v_cvt_i32_f32_e32 v0, v0
.LBB118_492:
	s_mov_b64 s[0:1], 0
.LBB118_493:
	s_andn2_b64 vcc, exec, s[0:1]
	s_cbranch_vccnz .LBB118_495
; %bb.494:
	global_load_ushort v0, v[2:3], off
	s_waitcnt vmcnt(0)
	v_cvt_i16_f16_e32 v0, v0
.LBB118_495:
	s_mov_b64 s[0:1], 0
.LBB118_496:
	s_andn2_b64 vcc, exec, s[0:1]
	s_cbranch_vccnz .LBB118_516
; %bb.497:
	s_cmp_lt_i32 s28, 2
	s_cbranch_scc1 .LBB118_501
; %bb.498:
	s_cmp_lt_i32 s28, 3
	s_cbranch_scc1 .LBB118_502
; %bb.499:
	s_cmp_gt_i32 s28, 3
	s_cbranch_scc0 .LBB118_503
; %bb.500:
	global_load_dwordx2 v[0:1], v[2:3], off
	s_mov_b64 s[0:1], 0
	s_branch .LBB118_504
.LBB118_501:
	s_mov_b64 s[0:1], -1
                                        ; implicit-def: $vgpr0
	s_branch .LBB118_510
.LBB118_502:
	s_mov_b64 s[0:1], -1
                                        ; implicit-def: $vgpr0
	s_branch .LBB118_507
.LBB118_503:
	s_mov_b64 s[0:1], -1
                                        ; implicit-def: $vgpr0
.LBB118_504:
	s_andn2_b64 vcc, exec, s[0:1]
	s_cbranch_vccnz .LBB118_506
; %bb.505:
	global_load_dword v0, v[2:3], off
.LBB118_506:
	s_mov_b64 s[0:1], 0
.LBB118_507:
	s_andn2_b64 vcc, exec, s[0:1]
	s_cbranch_vccnz .LBB118_509
; %bb.508:
	global_load_ushort v0, v[2:3], off
.LBB118_509:
	s_mov_b64 s[0:1], 0
.LBB118_510:
	s_andn2_b64 vcc, exec, s[0:1]
	s_cbranch_vccnz .LBB118_516
; %bb.511:
	s_cmp_gt_i32 s28, 0
	s_cbranch_scc0 .LBB118_513
; %bb.512:
	global_load_sbyte v0, v[2:3], off
	s_mov_b64 s[0:1], 0
	s_branch .LBB118_514
.LBB118_513:
	s_mov_b64 s[0:1], -1
                                        ; implicit-def: $vgpr0
.LBB118_514:
	s_andn2_b64 vcc, exec, s[0:1]
	s_cbranch_vccnz .LBB118_516
; %bb.515:
	global_load_ubyte v0, v[2:3], off
.LBB118_516:
	s_branch .LBB118_389
.LBB118_517:
	s_mov_b64 s[36:37], 0
	s_mov_b64 s[0:1], s[18:19]
	;; [unrolled: 1-line block ×3, first 2 shown]
.LBB118_518:
                                        ; implicit-def: $vgpr14
	s_branch .LBB118_756
.LBB118_519:
	s_andn2_saveexec_b64 s[30:31], s[30:31]
	s_cbranch_execz .LBB118_189
.LBB118_520:
	s_mov_b32 s36, 0x42800000
	v_add_f32_e64 v3, |v2|, s36
	v_and_b32_e32 v3, 0xff, v3
	v_cmp_ne_u32_e32 vcc, 0, v3
	s_andn2_b64 s[26:27], s[26:27], exec
	s_and_b64 s[36:37], vcc, exec
	s_or_b64 s[26:27], s[26:27], s[36:37]
	s_or_b64 exec, exec, s[30:31]
	v_mov_b32_e32 v5, 0
	s_and_saveexec_b64 s[30:31], s[26:27]
	s_cbranch_execnz .LBB118_190
	s_branch .LBB118_191
.LBB118_521:
	s_mov_b64 s[28:29], -1
                                        ; implicit-def: $vgpr3
	s_mov_b64 s[0:1], 0
.LBB118_522:
	s_and_b64 vcc, exec, s[30:31]
	s_cbranch_vccz .LBB118_526
; %bb.523:
	s_cmp_eq_u32 s37, 44
	s_cbranch_scc0 .LBB118_525
; %bb.524:
	global_load_ubyte v3, v[1:2], off
	s_mov_b64 s[0:1], -1
	s_mov_b64 s[28:29], 0
	s_waitcnt vmcnt(0)
	v_lshlrev_b32_e32 v4, 23, v3
	v_cvt_i32_f32_e32 v4, v4
	v_cmp_ne_u32_e32 vcc, 0, v3
	v_cndmask_b32_e32 v3, 0, v4, vcc
	s_branch .LBB118_526
.LBB118_525:
	s_mov_b64 s[28:29], -1
                                        ; implicit-def: $vgpr3
.LBB118_526:
	s_mov_b64 s[30:31], 0
.LBB118_527:
	s_and_b64 vcc, exec, s[30:31]
	s_cbranch_vccz .LBB118_531
; %bb.528:
	s_cmp_eq_u32 s37, 29
	s_cbranch_scc0 .LBB118_530
; %bb.529:
	global_load_dwordx2 v[3:4], v[1:2], off
	s_mov_b64 s[0:1], -1
	s_mov_b64 s[28:29], 0
	s_branch .LBB118_531
.LBB118_530:
	s_mov_b64 s[28:29], -1
                                        ; implicit-def: $vgpr3
.LBB118_531:
	s_mov_b64 s[30:31], 0
.LBB118_532:
	s_and_b64 vcc, exec, s[30:31]
	s_cbranch_vccz .LBB118_548
; %bb.533:
	s_cmp_lt_i32 s37, 27
	s_cbranch_scc1 .LBB118_536
; %bb.534:
	s_cmp_gt_i32 s37, 27
	s_cbranch_scc0 .LBB118_537
; %bb.535:
	global_load_dword v3, v[1:2], off
	s_mov_b64 s[0:1], 0
	s_branch .LBB118_538
.LBB118_536:
	s_mov_b64 s[0:1], -1
                                        ; implicit-def: $vgpr3
	s_branch .LBB118_541
.LBB118_537:
	s_mov_b64 s[0:1], -1
                                        ; implicit-def: $vgpr3
.LBB118_538:
	s_andn2_b64 vcc, exec, s[0:1]
	s_cbranch_vccnz .LBB118_540
; %bb.539:
	global_load_ushort v3, v[1:2], off
.LBB118_540:
	s_mov_b64 s[0:1], 0
.LBB118_541:
	s_andn2_b64 vcc, exec, s[0:1]
	s_cbranch_vccnz .LBB118_547
; %bb.542:
	global_load_ubyte v4, v[1:2], off
	s_movk_i32 s0, 0x7f
	s_mov_b64 s[30:31], 0
	s_waitcnt vmcnt(0)
	v_cmp_lt_i16_e32 vcc, s0, v4
	s_and_saveexec_b64 s[0:1], vcc
	s_xor_b64 s[0:1], exec, s[0:1]
	s_cbranch_execz .LBB118_559
; %bb.543:
	s_movk_i32 s30, 0x80
	v_cmp_ne_u16_e32 vcc, s30, v4
	s_and_b64 s[30:31], vcc, exec
	s_andn2_saveexec_b64 s[0:1], s[0:1]
	s_cbranch_execnz .LBB118_560
.LBB118_544:
	s_or_b64 exec, exec, s[0:1]
	v_mov_b32_e32 v3, 0
	s_and_saveexec_b64 s[0:1], s[30:31]
	s_cbranch_execz .LBB118_546
.LBB118_545:
	v_lshlrev_b32_e32 v3, 24, v4
	v_and_b32_e32 v4, 0xffff, v4
	v_and_b32_e32 v5, 7, v4
	v_ffbh_u32_e32 v7, v5
	v_min_u32_e32 v7, 32, v7
	v_subrev_u32_e32 v8, 28, v7
	v_bfe_u32 v6, v4, 3, 4
	v_lshlrev_b32_e32 v4, v8, v4
	v_sub_u32_e32 v7, 29, v7
	v_and_b32_e32 v4, 7, v4
	v_cmp_eq_u32_e32 vcc, 0, v6
	v_cndmask_b32_e32 v6, v6, v7, vcc
	v_cndmask_b32_e32 v4, v5, v4, vcc
	v_mov_b32_e32 v5, 0x3b800000
	v_lshlrev_b32_e32 v4, 20, v4
	v_and_b32_e32 v3, 0x80000000, v3
	v_lshl_add_u32 v5, v6, 23, v5
	v_or3_b32 v3, v3, v5, v4
	v_cvt_i32_f32_e32 v3, v3
.LBB118_546:
	s_or_b64 exec, exec, s[0:1]
.LBB118_547:
	s_mov_b64 s[0:1], -1
.LBB118_548:
	s_mov_b64 s[30:31], 0
.LBB118_549:
	s_and_b64 vcc, exec, s[30:31]
	s_cbranch_vccz .LBB118_582
; %bb.550:
	s_cmp_gt_i32 s37, 22
	s_cbranch_scc0 .LBB118_558
; %bb.551:
	s_cmp_lt_i32 s37, 24
	s_cbranch_scc1 .LBB118_561
; %bb.552:
	s_cmp_gt_i32 s37, 24
	s_cbranch_scc0 .LBB118_562
; %bb.553:
	global_load_ubyte v4, v[1:2], off
	s_movk_i32 s0, 0x7f
	s_mov_b64 s[30:31], 0
	s_waitcnt vmcnt(0)
	v_cmp_lt_i16_e32 vcc, s0, v4
	s_and_saveexec_b64 s[0:1], vcc
	s_xor_b64 s[0:1], exec, s[0:1]
	s_cbranch_execz .LBB118_574
; %bb.554:
	s_movk_i32 s30, 0x80
	v_cmp_ne_u16_e32 vcc, s30, v4
	s_and_b64 s[30:31], vcc, exec
	s_andn2_saveexec_b64 s[0:1], s[0:1]
	s_cbranch_execnz .LBB118_575
.LBB118_555:
	s_or_b64 exec, exec, s[0:1]
	v_mov_b32_e32 v3, 0
	s_and_saveexec_b64 s[0:1], s[30:31]
	s_cbranch_execz .LBB118_557
.LBB118_556:
	v_lshlrev_b32_e32 v3, 24, v4
	v_and_b32_e32 v4, 0xffff, v4
	v_and_b32_e32 v5, 3, v4
	v_ffbh_u32_e32 v7, v5
	v_min_u32_e32 v7, 32, v7
	v_subrev_u32_e32 v8, 29, v7
	v_bfe_u32 v6, v4, 2, 5
	v_lshlrev_b32_e32 v4, v8, v4
	v_sub_u32_e32 v7, 30, v7
	v_and_b32_e32 v4, 3, v4
	v_cmp_eq_u32_e32 vcc, 0, v6
	v_cndmask_b32_e32 v6, v6, v7, vcc
	v_cndmask_b32_e32 v4, v5, v4, vcc
	v_mov_b32_e32 v5, 0x37800000
	v_lshlrev_b32_e32 v4, 21, v4
	v_and_b32_e32 v3, 0x80000000, v3
	v_lshl_add_u32 v5, v6, 23, v5
	v_or3_b32 v3, v3, v5, v4
	v_cvt_i32_f32_e32 v3, v3
.LBB118_557:
	s_or_b64 exec, exec, s[0:1]
	s_mov_b64 s[0:1], 0
	s_branch .LBB118_563
.LBB118_558:
	s_mov_b64 s[30:31], -1
                                        ; implicit-def: $vgpr3
	s_branch .LBB118_569
.LBB118_559:
	s_andn2_saveexec_b64 s[0:1], s[0:1]
	s_cbranch_execz .LBB118_544
.LBB118_560:
	v_cmp_ne_u16_e32 vcc, 0, v4
	s_andn2_b64 s[30:31], s[30:31], exec
	s_and_b64 s[38:39], vcc, exec
	s_or_b64 s[30:31], s[30:31], s[38:39]
	s_or_b64 exec, exec, s[0:1]
	v_mov_b32_e32 v3, 0
	s_and_saveexec_b64 s[0:1], s[30:31]
	s_cbranch_execnz .LBB118_545
	s_branch .LBB118_546
.LBB118_561:
	s_mov_b64 s[0:1], -1
                                        ; implicit-def: $vgpr3
	s_branch .LBB118_566
.LBB118_562:
	s_mov_b64 s[0:1], -1
                                        ; implicit-def: $vgpr3
.LBB118_563:
	s_and_b64 vcc, exec, s[0:1]
	s_cbranch_vccz .LBB118_565
; %bb.564:
	global_load_ubyte v3, v[1:2], off
	s_mov_b32 s0, 0x7f800000
	s_waitcnt vmcnt(0)
	v_lshlrev_b32_e32 v3, 24, v3
	v_and_b32_e32 v4, 0x7f000000, v3
	v_ffbh_u32_e32 v5, v4
	v_min_u32_e32 v5, 32, v5
	v_sub_u32_e64 v5, v5, 4 clamp
	v_lshlrev_b32_e32 v7, v5, v4
	v_lshlrev_b32_e32 v5, 23, v5
	v_lshrrev_b32_e32 v7, 4, v7
	v_add_u32_e32 v6, 0x1000000, v4
	v_sub_u32_e32 v5, v7, v5
	v_ashrrev_i32_e32 v6, 8, v6
	v_add_u32_e32 v5, 0x3c000000, v5
	v_and_or_b32 v5, v6, s0, v5
	v_cmp_ne_u32_e32 vcc, 0, v4
	v_cndmask_b32_e32 v4, 0, v5, vcc
	s_brev_b32 s0, 1
	v_and_or_b32 v3, v3, s0, v4
	v_cvt_i32_f32_e32 v3, v3
.LBB118_565:
	s_mov_b64 s[0:1], 0
.LBB118_566:
	s_andn2_b64 vcc, exec, s[0:1]
	s_cbranch_vccnz .LBB118_568
; %bb.567:
	global_load_ubyte v3, v[1:2], off
	s_movk_i32 s0, 0x7f00
	s_brev_b32 s1, 16
	s_waitcnt vmcnt(0)
	v_lshlrev_b16_e32 v4, 8, v3
	v_lshlrev_b32_e32 v3, 25, v3
	v_lshrrev_b32_e32 v5, 4, v3
	v_and_or_b32 v6, v4, s0, 0.5
	v_or_b32_e32 v5, 0x70000000, v5
	v_add_f32_e32 v6, -0.5, v6
	v_mul_f32_e32 v5, 0x7800000, v5
	v_cmp_gt_u32_e32 vcc, s1, v3
	v_bfe_i32 v4, v4, 0, 16
	v_cndmask_b32_e32 v3, v5, v6, vcc
	s_brev_b32 s0, 1
	v_and_or_b32 v3, v4, s0, v3
	v_cvt_i32_f32_e32 v3, v3
.LBB118_568:
	s_mov_b64 s[30:31], 0
	s_mov_b64 s[0:1], -1
.LBB118_569:
	s_andn2_b64 vcc, exec, s[30:31]
	s_cbranch_vccnz .LBB118_582
; %bb.570:
	s_cmp_gt_i32 s37, 14
	s_cbranch_scc0 .LBB118_573
; %bb.571:
	s_cmp_eq_u32 s37, 15
	s_cbranch_scc0 .LBB118_576
; %bb.572:
	global_load_ushort v3, v[1:2], off
	s_mov_b64 s[0:1], -1
	s_mov_b64 s[28:29], 0
	s_waitcnt vmcnt(0)
	v_lshlrev_b32_e32 v3, 16, v3
	v_cvt_i32_f32_e32 v3, v3
	s_branch .LBB118_577
.LBB118_573:
	s_mov_b64 s[30:31], -1
                                        ; implicit-def: $vgpr3
	s_branch .LBB118_578
.LBB118_574:
	s_andn2_saveexec_b64 s[0:1], s[0:1]
	s_cbranch_execz .LBB118_555
.LBB118_575:
	v_cmp_ne_u16_e32 vcc, 0, v4
	s_andn2_b64 s[30:31], s[30:31], exec
	s_and_b64 s[38:39], vcc, exec
	s_or_b64 s[30:31], s[30:31], s[38:39]
	s_or_b64 exec, exec, s[0:1]
	v_mov_b32_e32 v3, 0
	s_and_saveexec_b64 s[0:1], s[30:31]
	s_cbranch_execnz .LBB118_556
	s_branch .LBB118_557
.LBB118_576:
	s_mov_b64 s[28:29], -1
                                        ; implicit-def: $vgpr3
.LBB118_577:
	s_mov_b64 s[30:31], 0
.LBB118_578:
	s_and_b64 vcc, exec, s[30:31]
	s_cbranch_vccz .LBB118_582
; %bb.579:
	s_cmp_eq_u32 s37, 11
	s_cbranch_scc0 .LBB118_581
; %bb.580:
	global_load_ubyte v3, v[1:2], off
	s_mov_b64 s[0:1], -1
	s_mov_b64 s[28:29], 0
	s_waitcnt vmcnt(0)
	v_cmp_ne_u16_e32 vcc, 0, v3
	v_cndmask_b32_e64 v3, 0, 1, vcc
	s_branch .LBB118_582
.LBB118_581:
	s_mov_b64 s[28:29], -1
                                        ; implicit-def: $vgpr3
.LBB118_582:
	s_mov_b64 s[30:31], 0
.LBB118_583:
	s_and_b64 vcc, exec, s[30:31]
	s_cbranch_vccz .LBB118_632
; %bb.584:
	s_and_b32 s30, 0xffff, s36
	s_cmp_lt_i32 s30, 5
	s_cbranch_scc1 .LBB118_589
; %bb.585:
	s_cmp_lt_i32 s30, 8
	s_cbranch_scc1 .LBB118_590
; %bb.586:
	;; [unrolled: 3-line block ×3, first 2 shown]
	s_cmp_gt_i32 s30, 9
	s_cbranch_scc0 .LBB118_592
; %bb.588:
	global_load_dwordx2 v[3:4], v[1:2], off
	s_mov_b64 s[0:1], 0
	s_waitcnt vmcnt(0)
	v_cvt_i32_f64_e32 v3, v[3:4]
	s_branch .LBB118_593
.LBB118_589:
	s_mov_b64 s[0:1], -1
                                        ; implicit-def: $vgpr3
	s_branch .LBB118_611
.LBB118_590:
	s_mov_b64 s[0:1], -1
                                        ; implicit-def: $vgpr3
	s_branch .LBB118_599
.LBB118_591:
	s_mov_b64 s[0:1], -1
                                        ; implicit-def: $vgpr3
	s_branch .LBB118_596
.LBB118_592:
	s_mov_b64 s[0:1], -1
                                        ; implicit-def: $vgpr3
.LBB118_593:
	s_andn2_b64 vcc, exec, s[0:1]
	s_cbranch_vccnz .LBB118_595
; %bb.594:
	global_load_dword v3, v[1:2], off
	s_waitcnt vmcnt(0)
	v_cvt_i32_f32_e32 v3, v3
.LBB118_595:
	s_mov_b64 s[0:1], 0
.LBB118_596:
	s_andn2_b64 vcc, exec, s[0:1]
	s_cbranch_vccnz .LBB118_598
; %bb.597:
	global_load_dword v3, v[1:2], off
	s_waitcnt vmcnt(0)
	v_cvt_i16_f16_e32 v3, v3
.LBB118_598:
	s_mov_b64 s[0:1], 0
.LBB118_599:
	s_andn2_b64 vcc, exec, s[0:1]
	s_cbranch_vccnz .LBB118_610
; %bb.600:
	s_cmp_lt_i32 s30, 6
	s_cbranch_scc1 .LBB118_603
; %bb.601:
	s_cmp_gt_i32 s30, 6
	s_cbranch_scc0 .LBB118_604
; %bb.602:
	global_load_dwordx2 v[3:4], v[1:2], off
	s_mov_b64 s[0:1], 0
	s_waitcnt vmcnt(0)
	v_cvt_i32_f64_e32 v3, v[3:4]
	s_branch .LBB118_605
.LBB118_603:
	s_mov_b64 s[0:1], -1
                                        ; implicit-def: $vgpr3
	s_branch .LBB118_608
.LBB118_604:
	s_mov_b64 s[0:1], -1
                                        ; implicit-def: $vgpr3
.LBB118_605:
	s_andn2_b64 vcc, exec, s[0:1]
	s_cbranch_vccnz .LBB118_607
; %bb.606:
	global_load_dword v3, v[1:2], off
	s_waitcnt vmcnt(0)
	v_cvt_i32_f32_e32 v3, v3
.LBB118_607:
	s_mov_b64 s[0:1], 0
.LBB118_608:
	s_andn2_b64 vcc, exec, s[0:1]
	s_cbranch_vccnz .LBB118_610
; %bb.609:
	global_load_ushort v3, v[1:2], off
	s_waitcnt vmcnt(0)
	v_cvt_i16_f16_e32 v3, v3
.LBB118_610:
	s_mov_b64 s[0:1], 0
.LBB118_611:
	s_andn2_b64 vcc, exec, s[0:1]
	s_cbranch_vccnz .LBB118_631
; %bb.612:
	s_cmp_lt_i32 s30, 2
	s_cbranch_scc1 .LBB118_616
; %bb.613:
	s_cmp_lt_i32 s30, 3
	s_cbranch_scc1 .LBB118_617
; %bb.614:
	s_cmp_gt_i32 s30, 3
	s_cbranch_scc0 .LBB118_618
; %bb.615:
	global_load_dwordx2 v[3:4], v[1:2], off
	s_mov_b64 s[0:1], 0
	s_branch .LBB118_619
.LBB118_616:
	s_mov_b64 s[0:1], -1
                                        ; implicit-def: $vgpr3
	s_branch .LBB118_625
.LBB118_617:
	s_mov_b64 s[0:1], -1
                                        ; implicit-def: $vgpr3
	s_branch .LBB118_622
.LBB118_618:
	s_mov_b64 s[0:1], -1
                                        ; implicit-def: $vgpr3
.LBB118_619:
	s_andn2_b64 vcc, exec, s[0:1]
	s_cbranch_vccnz .LBB118_621
; %bb.620:
	global_load_dword v3, v[1:2], off
.LBB118_621:
	s_mov_b64 s[0:1], 0
.LBB118_622:
	s_andn2_b64 vcc, exec, s[0:1]
	s_cbranch_vccnz .LBB118_624
; %bb.623:
	global_load_ushort v3, v[1:2], off
.LBB118_624:
	s_mov_b64 s[0:1], 0
.LBB118_625:
	s_andn2_b64 vcc, exec, s[0:1]
	s_cbranch_vccnz .LBB118_631
; %bb.626:
	s_cmp_gt_i32 s30, 0
	s_cbranch_scc0 .LBB118_628
; %bb.627:
	global_load_sbyte v3, v[1:2], off
	s_mov_b64 s[0:1], 0
	s_branch .LBB118_629
.LBB118_628:
	s_mov_b64 s[0:1], -1
                                        ; implicit-def: $vgpr3
.LBB118_629:
	s_andn2_b64 vcc, exec, s[0:1]
	s_cbranch_vccnz .LBB118_631
; %bb.630:
	global_load_ubyte v3, v[1:2], off
.LBB118_631:
	s_mov_b64 s[0:1], -1
.LBB118_632:
	s_andn2_b64 vcc, exec, s[0:1]
	s_cbranch_vccnz .LBB118_640
; %bb.633:
	v_mul_lo_u32 v1, v14, s12
	v_mov_b32_e32 v2, s33
	v_cmp_lt_i16_e32 vcc, s2, v0
	s_waitcnt vmcnt(0)
	v_cndmask_b32_e32 v4, v2, v3, vcc
	v_ashrrev_i32_e32 v2, 31, v1
	v_mov_b32_e32 v3, s9
	s_and_b32 s40, s3, 0xff
	v_add_co_u32_e32 v0, vcc, s8, v1
	s_cmp_lt_i32 s40, 11
	v_addc_co_u32_e32 v1, vcc, v3, v2, vcc
	s_cbranch_scc1 .LBB118_641
; %bb.634:
	s_and_b32 s41, 0xffff, s40
	s_cmp_gt_i32 s41, 25
	s_cbranch_scc0 .LBB118_642
; %bb.635:
	s_cmp_gt_i32 s41, 28
	s_cbranch_scc0 .LBB118_643
; %bb.636:
	;; [unrolled: 3-line block ×4, first 2 shown]
	s_mov_b64 s[36:37], 0
	s_mov_b64 s[0:1], -1
	s_cmp_eq_u32 s41, 46
	s_mov_b64 s[30:31], 0
	s_cbranch_scc0 .LBB118_646
; %bb.639:
	v_cvt_f32_i32_sdwa v2, sext(v4) dst_sel:DWORD dst_unused:UNUSED_PAD src0_sel:WORD_0
	s_movk_i32 s0, 0x7fff
	s_mov_b64 s[30:31], -1
	v_bfe_u32 v3, v2, 16, 1
	v_add3_u32 v2, v2, v3, s0
	v_lshrrev_b32_e32 v2, 16, v2
	global_store_dword v[0:1], v2, off
	s_mov_b64 s[0:1], 0
	s_branch .LBB118_646
.LBB118_640:
	s_mov_b64 s[36:37], 0
                                        ; implicit-def: $vgpr14
	s_mov_b64 s[0:1], s[18:19]
	s_branch .LBB118_756
.LBB118_641:
	s_mov_b64 s[36:37], -1
	s_mov_b64 s[30:31], 0
	s_mov_b64 s[0:1], s[18:19]
	s_branch .LBB118_715
.LBB118_642:
	s_mov_b64 s[36:37], -1
	s_mov_b64 s[30:31], 0
	s_mov_b64 s[0:1], s[18:19]
	s_branch .LBB118_673
.LBB118_643:
	s_mov_b64 s[36:37], -1
	s_mov_b64 s[30:31], 0
	s_mov_b64 s[0:1], s[18:19]
	s_branch .LBB118_656
.LBB118_644:
	s_mov_b64 s[36:37], -1
	s_mov_b64 s[30:31], 0
	s_mov_b64 s[0:1], s[18:19]
	s_branch .LBB118_652
.LBB118_645:
	s_mov_b64 s[36:37], -1
	s_mov_b64 s[30:31], 0
	s_mov_b64 s[0:1], s[18:19]
.LBB118_646:
	s_and_b64 vcc, exec, s[36:37]
	s_cbranch_vccz .LBB118_651
; %bb.647:
	s_cmp_eq_u32 s41, 44
	s_mov_b64 s[0:1], -1
	s_cbranch_scc0 .LBB118_651
; %bb.648:
	v_cvt_f32_i32_sdwa v2, sext(v4) dst_sel:DWORD dst_unused:UNUSED_PAD src0_sel:WORD_0
	s_movk_i32 s0, 0xff
	v_mov_b32_e32 v5, 0xff
	v_bfe_u32 v3, v2, 23, 8
	v_cmp_ne_u32_e32 vcc, s0, v3
	s_and_saveexec_b64 s[30:31], vcc
; %bb.649:
	s_mov_b32 s0, 0x3fffff
	v_lshrrev_b32_e32 v5, 23, v2
	v_and_b32_e32 v6, 0x400000, v2
	v_and_or_b32 v2, v2, s0, v3
	v_cmp_ne_u32_e32 vcc, 0, v6
	v_cmp_ne_u32_e64 s[0:1], 0, v2
	s_and_b64 s[0:1], vcc, s[0:1]
	v_cndmask_b32_e64 v2, 0, 1, s[0:1]
	v_add_u32_e32 v5, v5, v2
; %bb.650:
	s_or_b64 exec, exec, s[30:31]
	s_mov_b64 s[30:31], -1
	s_mov_b64 s[0:1], 0
	global_store_byte v[0:1], v5, off
.LBB118_651:
	s_mov_b64 s[36:37], 0
.LBB118_652:
	s_and_b64 vcc, exec, s[36:37]
	s_cbranch_vccz .LBB118_655
; %bb.653:
	s_cmp_eq_u32 s41, 29
	s_mov_b64 s[0:1], -1
	s_cbranch_scc0 .LBB118_655
; %bb.654:
	v_bfe_i32 v2, v4, 0, 16
	v_ashrrev_i32_e32 v3, 31, v2
	global_store_dwordx2 v[0:1], v[2:3], off
	s_mov_b64 s[30:31], -1
	s_mov_b64 s[0:1], 0
.LBB118_655:
	s_mov_b64 s[36:37], 0
.LBB118_656:
	s_and_b64 vcc, exec, s[36:37]
	s_cbranch_vccz .LBB118_672
; %bb.657:
	s_cmp_lt_i32 s41, 27
	s_mov_b64 s[30:31], -1
	s_cbranch_scc1 .LBB118_663
; %bb.658:
	s_cmp_gt_i32 s41, 27
	s_cbranch_scc0 .LBB118_660
; %bb.659:
	v_bfe_i32 v2, v4, 0, 16
	s_mov_b64 s[30:31], 0
	global_store_dword v[0:1], v2, off
.LBB118_660:
	s_andn2_b64 vcc, exec, s[30:31]
	s_cbranch_vccnz .LBB118_662
; %bb.661:
	global_store_short v[0:1], v4, off
.LBB118_662:
	s_mov_b64 s[30:31], 0
.LBB118_663:
	s_andn2_b64 vcc, exec, s[30:31]
	s_cbranch_vccnz .LBB118_671
; %bb.664:
	v_cvt_f32_i32_sdwa v2, sext(v4) dst_sel:DWORD dst_unused:UNUSED_PAD src0_sel:WORD_0
	s_mov_b32 s30, 0x43800000
	v_mov_b32_e32 v5, 0x80
	v_and_b32_e32 v3, 0x7fffffff, v2
	v_cmp_gt_u32_e32 vcc, s30, v3
	s_and_saveexec_b64 s[30:31], vcc
	s_cbranch_execz .LBB118_670
; %bb.665:
	s_mov_b32 s36, 0x3bffffff
	v_cmp_lt_u32_e32 vcc, s36, v3
	s_mov_b64 s[36:37], 0
                                        ; implicit-def: $vgpr3
	s_and_saveexec_b64 s[38:39], vcc
	s_xor_b64 s[38:39], exec, s[38:39]
	s_cbranch_execz .LBB118_772
; %bb.666:
	v_bfe_u32 v3, v2, 20, 1
	s_mov_b32 s42, 0x487ffff
	v_add3_u32 v3, v2, v3, s42
	s_mov_b64 s[36:37], exec
	v_lshrrev_b32_e32 v3, 20, v3
	s_andn2_saveexec_b64 s[38:39], s[38:39]
	s_cbranch_execnz .LBB118_773
.LBB118_667:
	s_or_b64 exec, exec, s[38:39]
	v_mov_b32_e32 v5, 0
	s_and_saveexec_b64 s[38:39], s[36:37]
.LBB118_668:
	v_lshrrev_b32_e32 v2, 24, v2
	s_movk_i32 s36, 0x80
	v_and_or_b32 v5, v2, s36, v3
.LBB118_669:
	s_or_b64 exec, exec, s[38:39]
.LBB118_670:
	s_or_b64 exec, exec, s[30:31]
	global_store_byte v[0:1], v5, off
.LBB118_671:
	s_mov_b64 s[30:31], -1
.LBB118_672:
	s_mov_b64 s[36:37], 0
.LBB118_673:
	s_and_b64 vcc, exec, s[36:37]
	s_cbranch_vccz .LBB118_714
; %bb.674:
	s_cmp_gt_i32 s41, 22
	s_mov_b64 s[36:37], -1
	s_cbranch_scc0 .LBB118_706
; %bb.675:
	s_cmp_lt_i32 s41, 24
	s_mov_b64 s[30:31], -1
	s_cbranch_scc1 .LBB118_695
; %bb.676:
	s_cmp_gt_i32 s41, 24
	s_cbranch_scc0 .LBB118_684
; %bb.677:
	v_cvt_f32_i32_sdwa v2, sext(v4) dst_sel:DWORD dst_unused:UNUSED_PAD src0_sel:WORD_0
	s_mov_b32 s30, 0x47800000
	v_mov_b32_e32 v5, 0x80
	v_and_b32_e32 v3, 0x7fffffff, v2
	v_cmp_gt_u32_e32 vcc, s30, v3
	s_and_saveexec_b64 s[30:31], vcc
	s_cbranch_execz .LBB118_683
; %bb.678:
	s_mov_b32 s36, 0x37ffffff
	v_cmp_lt_u32_e32 vcc, s36, v3
	s_mov_b64 s[36:37], 0
                                        ; implicit-def: $vgpr3
	s_and_saveexec_b64 s[38:39], vcc
	s_xor_b64 s[38:39], exec, s[38:39]
	s_cbranch_execz .LBB118_900
; %bb.679:
	v_bfe_u32 v3, v2, 21, 1
	s_mov_b32 s42, 0x88fffff
	v_add3_u32 v3, v2, v3, s42
	s_mov_b64 s[36:37], exec
	v_lshrrev_b32_e32 v3, 21, v3
	s_andn2_saveexec_b64 s[38:39], s[38:39]
	s_cbranch_execnz .LBB118_901
.LBB118_680:
	s_or_b64 exec, exec, s[38:39]
	v_mov_b32_e32 v5, 0
	s_and_saveexec_b64 s[38:39], s[36:37]
.LBB118_681:
	v_lshrrev_b32_e32 v2, 24, v2
	s_movk_i32 s36, 0x80
	v_and_or_b32 v5, v2, s36, v3
.LBB118_682:
	s_or_b64 exec, exec, s[38:39]
.LBB118_683:
	s_or_b64 exec, exec, s[30:31]
	s_mov_b64 s[30:31], 0
	global_store_byte v[0:1], v5, off
.LBB118_684:
	s_and_b64 vcc, exec, s[30:31]
	s_cbranch_vccz .LBB118_694
; %bb.685:
	v_cvt_f32_i32_sdwa v2, sext(v4) dst_sel:DWORD dst_unused:UNUSED_PAD src0_sel:WORD_0
	s_mov_b32 s30, 0x43f00000
                                        ; implicit-def: $vgpr3
	v_and_b32_e32 v5, 0x7fffffff, v2
	v_cmp_gt_u32_e32 vcc, s30, v5
	s_and_saveexec_b64 s[30:31], vcc
	s_xor_b64 s[30:31], exec, s[30:31]
	s_cbranch_execz .LBB118_691
; %bb.686:
	s_mov_b32 s36, 0x3c7fffff
	v_cmp_lt_u32_e32 vcc, s36, v5
                                        ; implicit-def: $vgpr3
	s_and_saveexec_b64 s[36:37], vcc
	s_xor_b64 s[36:37], exec, s[36:37]
; %bb.687:
	v_bfe_u32 v3, v2, 20, 1
	s_mov_b32 s38, 0x407ffff
	v_add3_u32 v3, v2, v3, s38
	v_lshrrev_b32_e32 v5, 20, v3
	v_and_b32_e32 v3, 0xff00000, v3
	s_mov_b32 s38, 0x7f00000
	v_mov_b32_e32 v6, 0x7e
	v_cmp_ne_u32_e32 vcc, s38, v3
	v_cndmask_b32_e32 v3, v6, v5, vcc
; %bb.688:
	s_andn2_saveexec_b64 s[36:37], s[36:37]
; %bb.689:
	s_mov_b32 s38, 0x46800000
	v_add_f32_e64 v3, |v2|, s38
; %bb.690:
	s_or_b64 exec, exec, s[36:37]
                                        ; implicit-def: $vgpr5
.LBB118_691:
	s_andn2_saveexec_b64 s[30:31], s[30:31]
; %bb.692:
	s_mov_b32 s36, 0x7f800000
	v_mov_b32_e32 v3, 0x7e
	v_mov_b32_e32 v6, 0x7f
	v_cmp_lt_u32_e32 vcc, s36, v5
	v_cndmask_b32_e32 v3, v3, v6, vcc
; %bb.693:
	s_or_b64 exec, exec, s[30:31]
	v_lshrrev_b32_e32 v2, 24, v2
	s_movk_i32 s30, 0x80
	v_and_or_b32 v2, v2, s30, v3
	global_store_byte v[0:1], v2, off
.LBB118_694:
	s_mov_b64 s[30:31], 0
.LBB118_695:
	s_andn2_b64 vcc, exec, s[30:31]
	s_cbranch_vccnz .LBB118_705
; %bb.696:
	v_cvt_f32_i32_sdwa v2, sext(v4) dst_sel:DWORD dst_unused:UNUSED_PAD src0_sel:WORD_0
	s_mov_b32 s30, 0x47800000
                                        ; implicit-def: $vgpr3
	v_and_b32_e32 v5, 0x7fffffff, v2
	v_cmp_gt_u32_e32 vcc, s30, v5
	s_and_saveexec_b64 s[30:31], vcc
	s_xor_b64 s[30:31], exec, s[30:31]
	s_cbranch_execz .LBB118_702
; %bb.697:
	s_mov_b32 s36, 0x387fffff
	v_cmp_lt_u32_e32 vcc, s36, v5
                                        ; implicit-def: $vgpr3
	s_and_saveexec_b64 s[36:37], vcc
	s_xor_b64 s[36:37], exec, s[36:37]
; %bb.698:
	v_bfe_u32 v3, v2, 21, 1
	s_mov_b32 s38, 0x80fffff
	v_add3_u32 v3, v2, v3, s38
	v_lshrrev_b32_e32 v3, 21, v3
; %bb.699:
	s_andn2_saveexec_b64 s[36:37], s[36:37]
; %bb.700:
	s_mov_b32 s38, 0x43000000
	v_add_f32_e64 v3, |v2|, s38
; %bb.701:
	s_or_b64 exec, exec, s[36:37]
                                        ; implicit-def: $vgpr5
.LBB118_702:
	s_andn2_saveexec_b64 s[30:31], s[30:31]
; %bb.703:
	s_mov_b32 s36, 0x7f800000
	v_mov_b32_e32 v3, 0x7c
	v_mov_b32_e32 v6, 0x7f
	v_cmp_lt_u32_e32 vcc, s36, v5
	v_cndmask_b32_e32 v3, v3, v6, vcc
; %bb.704:
	s_or_b64 exec, exec, s[30:31]
	v_lshrrev_b32_e32 v2, 24, v2
	s_movk_i32 s30, 0x80
	v_and_or_b32 v2, v2, s30, v3
	global_store_byte v[0:1], v2, off
.LBB118_705:
	s_mov_b64 s[36:37], 0
	s_mov_b64 s[30:31], -1
.LBB118_706:
	s_andn2_b64 vcc, exec, s[36:37]
	s_cbranch_vccnz .LBB118_714
; %bb.707:
	s_cmp_gt_i32 s41, 14
	s_mov_b64 s[36:37], -1
	s_cbranch_scc0 .LBB118_711
; %bb.708:
	s_cmp_eq_u32 s41, 15
	s_mov_b64 s[0:1], -1
	s_cbranch_scc0 .LBB118_710
; %bb.709:
	v_cvt_f32_i32_sdwa v2, sext(v4) dst_sel:DWORD dst_unused:UNUSED_PAD src0_sel:WORD_0
	s_movk_i32 s0, 0x7fff
	s_mov_b64 s[30:31], -1
	v_bfe_u32 v3, v2, 16, 1
	v_add3_u32 v2, v2, v3, s0
	global_store_short_d16_hi v[0:1], v2, off
	s_mov_b64 s[0:1], 0
.LBB118_710:
	s_mov_b64 s[36:37], 0
.LBB118_711:
	s_and_b64 vcc, exec, s[36:37]
	s_cbranch_vccz .LBB118_714
; %bb.712:
	s_cmp_eq_u32 s41, 11
	s_mov_b64 s[0:1], -1
	s_cbranch_scc0 .LBB118_714
; %bb.713:
	v_cmp_ne_u16_e32 vcc, 0, v4
	v_cndmask_b32_e64 v2, 0, 1, vcc
	s_mov_b64 s[30:31], -1
	s_mov_b64 s[0:1], 0
	global_store_byte v[0:1], v2, off
.LBB118_714:
	s_mov_b64 s[36:37], 0
.LBB118_715:
	s_and_b64 vcc, exec, s[36:37]
	s_cbranch_vccz .LBB118_754
; %bb.716:
	s_and_b32 s36, 0xffff, s40
	s_cmp_lt_i32 s36, 5
	s_mov_b64 s[30:31], -1
	s_cbranch_scc1 .LBB118_737
; %bb.717:
	s_cmp_lt_i32 s36, 8
	s_cbranch_scc1 .LBB118_727
; %bb.718:
	s_cmp_lt_i32 s36, 9
	s_cbranch_scc1 .LBB118_724
; %bb.719:
	s_cmp_gt_i32 s36, 9
	s_cbranch_scc0 .LBB118_721
; %bb.720:
	v_bfe_i32 v2, v4, 0, 16
	v_cvt_f64_i32_e32 v[5:6], v2
	v_mov_b32_e32 v7, 0
	v_mov_b32_e32 v8, v7
	s_mov_b64 s[30:31], 0
	global_store_dwordx4 v[0:1], v[5:8], off
.LBB118_721:
	s_andn2_b64 vcc, exec, s[30:31]
	s_cbranch_vccnz .LBB118_723
; %bb.722:
	v_cvt_f32_i32_sdwa v2, sext(v4) dst_sel:DWORD dst_unused:UNUSED_PAD src0_sel:WORD_0
	v_mov_b32_e32 v3, 0
	global_store_dwordx2 v[0:1], v[2:3], off
.LBB118_723:
	s_mov_b64 s[30:31], 0
.LBB118_724:
	s_andn2_b64 vcc, exec, s[30:31]
	s_cbranch_vccnz .LBB118_726
; %bb.725:
	v_cvt_f16_i16_e32 v2, v4
	global_store_dword v[0:1], v2, off
.LBB118_726:
	s_mov_b64 s[30:31], 0
.LBB118_727:
	s_andn2_b64 vcc, exec, s[30:31]
	s_cbranch_vccnz .LBB118_736
; %bb.728:
	s_cmp_lt_i32 s36, 6
	s_mov_b64 s[30:31], -1
	s_cbranch_scc1 .LBB118_734
; %bb.729:
	s_cmp_gt_i32 s36, 6
	s_cbranch_scc0 .LBB118_731
; %bb.730:
	v_bfe_i32 v2, v4, 0, 16
	v_cvt_f64_i32_e32 v[2:3], v2
	s_mov_b64 s[30:31], 0
	global_store_dwordx2 v[0:1], v[2:3], off
.LBB118_731:
	s_andn2_b64 vcc, exec, s[30:31]
	s_cbranch_vccnz .LBB118_733
; %bb.732:
	v_cvt_f32_i32_sdwa v2, sext(v4) dst_sel:DWORD dst_unused:UNUSED_PAD src0_sel:WORD_0
	global_store_dword v[0:1], v2, off
.LBB118_733:
	s_mov_b64 s[30:31], 0
.LBB118_734:
	s_andn2_b64 vcc, exec, s[30:31]
	s_cbranch_vccnz .LBB118_736
; %bb.735:
	v_cvt_f16_i16_e32 v2, v4
	global_store_short v[0:1], v2, off
.LBB118_736:
	s_mov_b64 s[30:31], 0
.LBB118_737:
	s_andn2_b64 vcc, exec, s[30:31]
	s_cbranch_vccnz .LBB118_753
; %bb.738:
	s_cmp_lt_i32 s36, 2
	s_mov_b64 s[30:31], -1
	s_cbranch_scc1 .LBB118_748
; %bb.739:
	s_cmp_lt_i32 s36, 3
	s_cbranch_scc1 .LBB118_745
; %bb.740:
	s_cmp_gt_i32 s36, 3
	v_bfe_i32 v2, v4, 0, 16
	s_cbranch_scc0 .LBB118_742
; %bb.741:
	v_ashrrev_i32_e32 v3, 31, v2
	s_mov_b64 s[30:31], 0
	global_store_dwordx2 v[0:1], v[2:3], off
.LBB118_742:
	s_andn2_b64 vcc, exec, s[30:31]
	s_cbranch_vccnz .LBB118_744
; %bb.743:
	global_store_dword v[0:1], v2, off
.LBB118_744:
	s_mov_b64 s[30:31], 0
.LBB118_745:
	s_andn2_b64 vcc, exec, s[30:31]
	s_cbranch_vccnz .LBB118_747
; %bb.746:
	global_store_short v[0:1], v4, off
.LBB118_747:
	s_mov_b64 s[30:31], 0
.LBB118_748:
	s_andn2_b64 vcc, exec, s[30:31]
	s_cbranch_vccnz .LBB118_753
; %bb.749:
	s_cmp_gt_i32 s36, 0
	s_mov_b64 s[30:31], -1
	s_cbranch_scc0 .LBB118_751
; %bb.750:
	s_mov_b64 s[30:31], 0
	global_store_byte v[0:1], v4, off
.LBB118_751:
	s_andn2_b64 vcc, exec, s[30:31]
	s_cbranch_vccnz .LBB118_753
; %bb.752:
	global_store_byte v[0:1], v4, off
.LBB118_753:
	s_mov_b64 s[30:31], -1
.LBB118_754:
	s_andn2_b64 vcc, exec, s[30:31]
	s_cbranch_vccnz .LBB118_767
; %bb.755:
	v_add_u32_e32 v14, 0x80, v14
	s_mov_b64 s[36:37], -1
.LBB118_756:
	s_andn2_b64 s[30:31], s[18:19], exec
	s_and_b64 s[0:1], s[0:1], exec
	s_or_b64 s[30:31], s[30:31], s[0:1]
	s_andn2_b64 s[0:1], s[20:21], exec
	s_and_b64 s[28:29], s[28:29], exec
	s_or_b64 s[28:29], s[0:1], s[28:29]
	;; [unrolled: 3-line block ×3, first 2 shown]
	s_orn2_b64 s[0:1], s[36:37], exec
.LBB118_757:
	s_or_b64 exec, exec, s[34:35]
	s_mov_b64 s[36:37], 0
	s_mov_b64 s[38:39], 0
	;; [unrolled: 1-line block ×3, first 2 shown]
                                        ; implicit-def: $sgpr57
                                        ; implicit-def: $vgpr2_vgpr3
                                        ; implicit-def: $vgpr0
	s_and_saveexec_b64 s[34:35], s[0:1]
	s_cbranch_execz .LBB118_1219
; %bb.758:
	v_cmp_gt_i32_e32 vcc, s50, v14
	s_mov_b64 s[48:49], -1
	s_mov_b64 s[0:1], s[26:27]
	s_mov_b64 s[40:41], s[28:29]
	;; [unrolled: 1-line block ×3, first 2 shown]
	s_and_saveexec_b64 s[36:37], vcc
	s_cbranch_execz .LBB118_1138
; %bb.759:
	s_waitcnt vmcnt(0)
	v_mul_lo_u32 v0, v14, s13
	v_mov_b32_e32 v1, s11
	s_and_b32 s42, s56, 0xff
	s_cmp_lt_i32 s42, 11
	v_ashrrev_i32_e32 v3, 31, v0
	v_add_co_u32_e32 v2, vcc, s10, v0
	v_addc_co_u32_e32 v3, vcc, v1, v3, vcc
	s_cbranch_scc1 .LBB118_766
; %bb.760:
	s_and_b32 s43, 0xffff, s42
	s_cmp_gt_i32 s43, 25
	s_cbranch_scc0 .LBB118_768
; %bb.761:
	s_cmp_gt_i32 s43, 28
	s_cbranch_scc0 .LBB118_769
; %bb.762:
	;; [unrolled: 3-line block ×4, first 2 shown]
	s_cmp_eq_u32 s43, 46
	s_mov_b64 s[40:41], 0
	s_cbranch_scc0 .LBB118_774
; %bb.765:
	global_load_dword v0, v[2:3], off
	s_mov_b64 s[0:1], -1
	s_waitcnt vmcnt(0)
	v_lshlrev_b32_e32 v0, 16, v0
	v_cvt_i32_f32_e32 v0, v0
	s_branch .LBB118_775
.LBB118_766:
	s_mov_b64 s[40:41], -1
	s_mov_b64 s[0:1], 0
                                        ; implicit-def: $vgpr0
	s_mov_b64 s[38:39], s[26:27]
	s_branch .LBB118_836
.LBB118_767:
	s_mov_b64 s[36:37], 0
	s_branch .LBB118_518
.LBB118_768:
	s_mov_b64 s[40:41], -1
	s_mov_b64 s[0:1], 0
	s_mov_b64 s[38:39], s[26:27]
                                        ; implicit-def: $vgpr0
	s_branch .LBB118_802
.LBB118_769:
	s_mov_b64 s[40:41], -1
	s_mov_b64 s[0:1], 0
	s_mov_b64 s[38:39], s[26:27]
                                        ; implicit-def: $vgpr0
	s_branch .LBB118_785
.LBB118_770:
	s_mov_b64 s[40:41], -1
	s_mov_b64 s[0:1], 0
	s_mov_b64 s[38:39], s[26:27]
                                        ; implicit-def: $vgpr0
	s_branch .LBB118_780
.LBB118_771:
	s_mov_b64 s[40:41], -1
	s_mov_b64 s[0:1], 0
	s_mov_b64 s[38:39], s[26:27]
                                        ; implicit-def: $vgpr0
	s_branch .LBB118_775
.LBB118_772:
	s_andn2_saveexec_b64 s[38:39], s[38:39]
	s_cbranch_execz .LBB118_667
.LBB118_773:
	s_mov_b32 s42, 0x46000000
	v_add_f32_e64 v3, |v2|, s42
	v_and_b32_e32 v3, 0xff, v3
	v_cmp_ne_u32_e32 vcc, 0, v3
	s_andn2_b64 s[36:37], s[36:37], exec
	s_and_b64 s[42:43], vcc, exec
	s_or_b64 s[36:37], s[36:37], s[42:43]
	s_or_b64 exec, exec, s[38:39]
	v_mov_b32_e32 v5, 0
	s_and_saveexec_b64 s[38:39], s[36:37]
	s_cbranch_execnz .LBB118_668
	s_branch .LBB118_669
.LBB118_774:
	s_mov_b64 s[38:39], -1
                                        ; implicit-def: $vgpr0
	s_mov_b64 s[0:1], 0
.LBB118_775:
	s_and_b64 vcc, exec, s[40:41]
	s_cbranch_vccz .LBB118_779
; %bb.776:
	s_cmp_eq_u32 s43, 44
	s_cbranch_scc0 .LBB118_778
; %bb.777:
	global_load_ubyte v0, v[2:3], off
	s_mov_b64 s[0:1], -1
	s_mov_b64 s[38:39], 0
	s_waitcnt vmcnt(0)
	v_lshlrev_b32_e32 v1, 23, v0
	v_cvt_i32_f32_e32 v1, v1
	v_cmp_ne_u32_e32 vcc, 0, v0
	v_cndmask_b32_e32 v0, 0, v1, vcc
	s_branch .LBB118_779
.LBB118_778:
	s_mov_b64 s[38:39], -1
                                        ; implicit-def: $vgpr0
.LBB118_779:
	s_mov_b64 s[40:41], 0
.LBB118_780:
	s_and_b64 vcc, exec, s[40:41]
	s_cbranch_vccz .LBB118_784
; %bb.781:
	s_cmp_eq_u32 s43, 29
	s_cbranch_scc0 .LBB118_783
; %bb.782:
	global_load_dwordx2 v[0:1], v[2:3], off
	s_mov_b64 s[0:1], -1
	s_mov_b64 s[38:39], 0
	s_branch .LBB118_784
.LBB118_783:
	s_mov_b64 s[38:39], -1
                                        ; implicit-def: $vgpr0
.LBB118_784:
	s_mov_b64 s[40:41], 0
.LBB118_785:
	s_and_b64 vcc, exec, s[40:41]
	s_cbranch_vccz .LBB118_801
; %bb.786:
	s_cmp_lt_i32 s43, 27
	s_cbranch_scc1 .LBB118_789
; %bb.787:
	s_cmp_gt_i32 s43, 27
	s_cbranch_scc0 .LBB118_790
; %bb.788:
	global_load_dword v0, v[2:3], off
	s_mov_b64 s[0:1], 0
	s_branch .LBB118_791
.LBB118_789:
	s_mov_b64 s[0:1], -1
                                        ; implicit-def: $vgpr0
	s_branch .LBB118_794
.LBB118_790:
	s_mov_b64 s[0:1], -1
                                        ; implicit-def: $vgpr0
.LBB118_791:
	s_andn2_b64 vcc, exec, s[0:1]
	s_cbranch_vccnz .LBB118_793
; %bb.792:
	global_load_ushort v0, v[2:3], off
.LBB118_793:
	s_mov_b64 s[0:1], 0
.LBB118_794:
	s_andn2_b64 vcc, exec, s[0:1]
	s_cbranch_vccnz .LBB118_800
; %bb.795:
	global_load_ubyte v1, v[2:3], off
	s_movk_i32 s0, 0x7f
	s_mov_b64 s[40:41], 0
	s_waitcnt vmcnt(0)
	v_cmp_lt_i16_e32 vcc, s0, v1
	s_and_saveexec_b64 s[0:1], vcc
	s_xor_b64 s[0:1], exec, s[0:1]
	s_cbranch_execz .LBB118_812
; %bb.796:
	s_movk_i32 s40, 0x80
	v_cmp_ne_u16_e32 vcc, s40, v1
	s_and_b64 s[40:41], vcc, exec
	s_andn2_saveexec_b64 s[0:1], s[0:1]
	s_cbranch_execnz .LBB118_813
.LBB118_797:
	s_or_b64 exec, exec, s[0:1]
	v_mov_b32_e32 v0, 0
	s_and_saveexec_b64 s[0:1], s[40:41]
	s_cbranch_execz .LBB118_799
.LBB118_798:
	v_lshlrev_b32_e32 v0, 24, v1
	v_and_b32_e32 v1, 0xffff, v1
	v_and_b32_e32 v4, 7, v1
	v_ffbh_u32_e32 v6, v4
	v_min_u32_e32 v6, 32, v6
	v_subrev_u32_e32 v7, 28, v6
	v_bfe_u32 v5, v1, 3, 4
	v_lshlrev_b32_e32 v1, v7, v1
	v_sub_u32_e32 v6, 29, v6
	v_and_b32_e32 v1, 7, v1
	v_cmp_eq_u32_e32 vcc, 0, v5
	v_cndmask_b32_e32 v5, v5, v6, vcc
	v_cndmask_b32_e32 v1, v4, v1, vcc
	v_mov_b32_e32 v4, 0x3b800000
	v_lshlrev_b32_e32 v1, 20, v1
	v_and_b32_e32 v0, 0x80000000, v0
	v_lshl_add_u32 v4, v5, 23, v4
	v_or3_b32 v0, v0, v4, v1
	v_cvt_i32_f32_e32 v0, v0
.LBB118_799:
	s_or_b64 exec, exec, s[0:1]
.LBB118_800:
	s_mov_b64 s[0:1], -1
.LBB118_801:
	s_mov_b64 s[40:41], 0
.LBB118_802:
	s_and_b64 vcc, exec, s[40:41]
	s_cbranch_vccz .LBB118_835
; %bb.803:
	s_cmp_gt_i32 s43, 22
	s_cbranch_scc0 .LBB118_811
; %bb.804:
	s_cmp_lt_i32 s43, 24
	s_cbranch_scc1 .LBB118_814
; %bb.805:
	s_cmp_gt_i32 s43, 24
	s_cbranch_scc0 .LBB118_815
; %bb.806:
	global_load_ubyte v1, v[2:3], off
	s_movk_i32 s0, 0x7f
	s_mov_b64 s[40:41], 0
	s_waitcnt vmcnt(0)
	v_cmp_lt_i16_e32 vcc, s0, v1
	s_and_saveexec_b64 s[0:1], vcc
	s_xor_b64 s[0:1], exec, s[0:1]
	s_cbranch_execz .LBB118_827
; %bb.807:
	s_movk_i32 s40, 0x80
	v_cmp_ne_u16_e32 vcc, s40, v1
	s_and_b64 s[40:41], vcc, exec
	s_andn2_saveexec_b64 s[0:1], s[0:1]
	s_cbranch_execnz .LBB118_828
.LBB118_808:
	s_or_b64 exec, exec, s[0:1]
	v_mov_b32_e32 v0, 0
	s_and_saveexec_b64 s[0:1], s[40:41]
	s_cbranch_execz .LBB118_810
.LBB118_809:
	v_lshlrev_b32_e32 v0, 24, v1
	v_and_b32_e32 v1, 0xffff, v1
	v_and_b32_e32 v4, 3, v1
	v_ffbh_u32_e32 v6, v4
	v_min_u32_e32 v6, 32, v6
	v_subrev_u32_e32 v7, 29, v6
	v_bfe_u32 v5, v1, 2, 5
	v_lshlrev_b32_e32 v1, v7, v1
	v_sub_u32_e32 v6, 30, v6
	v_and_b32_e32 v1, 3, v1
	v_cmp_eq_u32_e32 vcc, 0, v5
	v_cndmask_b32_e32 v5, v5, v6, vcc
	v_cndmask_b32_e32 v1, v4, v1, vcc
	v_mov_b32_e32 v4, 0x37800000
	v_lshlrev_b32_e32 v1, 21, v1
	v_and_b32_e32 v0, 0x80000000, v0
	v_lshl_add_u32 v4, v5, 23, v4
	v_or3_b32 v0, v0, v4, v1
	v_cvt_i32_f32_e32 v0, v0
.LBB118_810:
	s_or_b64 exec, exec, s[0:1]
	s_mov_b64 s[0:1], 0
	s_branch .LBB118_816
.LBB118_811:
	s_mov_b64 s[40:41], -1
                                        ; implicit-def: $vgpr0
	s_branch .LBB118_822
.LBB118_812:
	s_andn2_saveexec_b64 s[0:1], s[0:1]
	s_cbranch_execz .LBB118_797
.LBB118_813:
	v_cmp_ne_u16_e32 vcc, 0, v1
	s_andn2_b64 s[40:41], s[40:41], exec
	s_and_b64 s[44:45], vcc, exec
	s_or_b64 s[40:41], s[40:41], s[44:45]
	s_or_b64 exec, exec, s[0:1]
	v_mov_b32_e32 v0, 0
	s_and_saveexec_b64 s[0:1], s[40:41]
	s_cbranch_execnz .LBB118_798
	s_branch .LBB118_799
.LBB118_814:
	s_mov_b64 s[0:1], -1
                                        ; implicit-def: $vgpr0
	s_branch .LBB118_819
.LBB118_815:
	s_mov_b64 s[0:1], -1
                                        ; implicit-def: $vgpr0
.LBB118_816:
	s_and_b64 vcc, exec, s[0:1]
	s_cbranch_vccz .LBB118_818
; %bb.817:
	global_load_ubyte v0, v[2:3], off
	s_mov_b32 s0, 0x7f800000
	s_waitcnt vmcnt(0)
	v_lshlrev_b32_e32 v0, 24, v0
	v_and_b32_e32 v1, 0x7f000000, v0
	v_ffbh_u32_e32 v4, v1
	v_min_u32_e32 v4, 32, v4
	v_sub_u32_e64 v4, v4, 4 clamp
	v_lshlrev_b32_e32 v6, v4, v1
	v_lshlrev_b32_e32 v4, 23, v4
	v_lshrrev_b32_e32 v6, 4, v6
	v_add_u32_e32 v5, 0x1000000, v1
	v_sub_u32_e32 v4, v6, v4
	v_ashrrev_i32_e32 v5, 8, v5
	v_add_u32_e32 v4, 0x3c000000, v4
	v_and_or_b32 v4, v5, s0, v4
	v_cmp_ne_u32_e32 vcc, 0, v1
	v_cndmask_b32_e32 v1, 0, v4, vcc
	s_brev_b32 s0, 1
	v_and_or_b32 v0, v0, s0, v1
	v_cvt_i32_f32_e32 v0, v0
.LBB118_818:
	s_mov_b64 s[0:1], 0
.LBB118_819:
	s_andn2_b64 vcc, exec, s[0:1]
	s_cbranch_vccnz .LBB118_821
; %bb.820:
	global_load_ubyte v0, v[2:3], off
	s_movk_i32 s0, 0x7f00
	s_brev_b32 s1, 16
	s_waitcnt vmcnt(0)
	v_lshlrev_b16_e32 v1, 8, v0
	v_lshlrev_b32_e32 v0, 25, v0
	v_lshrrev_b32_e32 v4, 4, v0
	v_and_or_b32 v5, v1, s0, 0.5
	v_or_b32_e32 v4, 0x70000000, v4
	v_add_f32_e32 v5, -0.5, v5
	v_mul_f32_e32 v4, 0x7800000, v4
	v_cmp_gt_u32_e32 vcc, s1, v0
	v_bfe_i32 v1, v1, 0, 16
	v_cndmask_b32_e32 v0, v4, v5, vcc
	s_brev_b32 s0, 1
	v_and_or_b32 v0, v1, s0, v0
	v_cvt_i32_f32_e32 v0, v0
.LBB118_821:
	s_mov_b64 s[40:41], 0
	s_mov_b64 s[0:1], -1
.LBB118_822:
	s_andn2_b64 vcc, exec, s[40:41]
	s_cbranch_vccnz .LBB118_835
; %bb.823:
	s_cmp_gt_i32 s43, 14
	s_cbranch_scc0 .LBB118_826
; %bb.824:
	s_cmp_eq_u32 s43, 15
	s_cbranch_scc0 .LBB118_829
; %bb.825:
	global_load_ushort v0, v[2:3], off
	s_mov_b64 s[0:1], -1
	s_mov_b64 s[38:39], 0
	s_waitcnt vmcnt(0)
	v_lshlrev_b32_e32 v0, 16, v0
	v_cvt_i32_f32_e32 v0, v0
	s_branch .LBB118_830
.LBB118_826:
	s_mov_b64 s[40:41], -1
                                        ; implicit-def: $vgpr0
	s_branch .LBB118_831
.LBB118_827:
	s_andn2_saveexec_b64 s[0:1], s[0:1]
	s_cbranch_execz .LBB118_808
.LBB118_828:
	v_cmp_ne_u16_e32 vcc, 0, v1
	s_andn2_b64 s[40:41], s[40:41], exec
	s_and_b64 s[44:45], vcc, exec
	s_or_b64 s[40:41], s[40:41], s[44:45]
	s_or_b64 exec, exec, s[0:1]
	v_mov_b32_e32 v0, 0
	s_and_saveexec_b64 s[0:1], s[40:41]
	s_cbranch_execnz .LBB118_809
	s_branch .LBB118_810
.LBB118_829:
	s_mov_b64 s[38:39], -1
                                        ; implicit-def: $vgpr0
.LBB118_830:
	s_mov_b64 s[40:41], 0
.LBB118_831:
	s_and_b64 vcc, exec, s[40:41]
	s_cbranch_vccz .LBB118_835
; %bb.832:
	s_cmp_eq_u32 s43, 11
	s_cbranch_scc0 .LBB118_834
; %bb.833:
	global_load_ubyte v0, v[2:3], off
	s_mov_b64 s[0:1], -1
	s_mov_b64 s[38:39], 0
	s_waitcnt vmcnt(0)
	v_cmp_ne_u16_e32 vcc, 0, v0
	v_cndmask_b32_e64 v0, 0, 1, vcc
	s_branch .LBB118_835
.LBB118_834:
	s_mov_b64 s[38:39], -1
                                        ; implicit-def: $vgpr0
.LBB118_835:
	s_mov_b64 s[40:41], 0
.LBB118_836:
	s_and_b64 vcc, exec, s[40:41]
	s_cbranch_vccz .LBB118_885
; %bb.837:
	s_and_b32 s40, 0xffff, s42
	s_cmp_lt_i32 s40, 5
	s_cbranch_scc1 .LBB118_842
; %bb.838:
	s_cmp_lt_i32 s40, 8
	s_cbranch_scc1 .LBB118_843
; %bb.839:
	;; [unrolled: 3-line block ×3, first 2 shown]
	s_cmp_gt_i32 s40, 9
	s_cbranch_scc0 .LBB118_845
; %bb.841:
	global_load_dwordx2 v[0:1], v[2:3], off
	s_mov_b64 s[0:1], 0
	s_waitcnt vmcnt(0)
	v_cvt_i32_f64_e32 v0, v[0:1]
	s_branch .LBB118_846
.LBB118_842:
	s_mov_b64 s[0:1], -1
                                        ; implicit-def: $vgpr0
	s_branch .LBB118_864
.LBB118_843:
	s_mov_b64 s[0:1], -1
                                        ; implicit-def: $vgpr0
	s_branch .LBB118_852
.LBB118_844:
	s_mov_b64 s[0:1], -1
                                        ; implicit-def: $vgpr0
	s_branch .LBB118_849
.LBB118_845:
	s_mov_b64 s[0:1], -1
                                        ; implicit-def: $vgpr0
.LBB118_846:
	s_andn2_b64 vcc, exec, s[0:1]
	s_cbranch_vccnz .LBB118_848
; %bb.847:
	global_load_dword v0, v[2:3], off
	s_waitcnt vmcnt(0)
	v_cvt_i32_f32_e32 v0, v0
.LBB118_848:
	s_mov_b64 s[0:1], 0
.LBB118_849:
	s_andn2_b64 vcc, exec, s[0:1]
	s_cbranch_vccnz .LBB118_851
; %bb.850:
	global_load_dword v0, v[2:3], off
	s_waitcnt vmcnt(0)
	v_cvt_i16_f16_e32 v0, v0
.LBB118_851:
	s_mov_b64 s[0:1], 0
.LBB118_852:
	s_andn2_b64 vcc, exec, s[0:1]
	s_cbranch_vccnz .LBB118_863
; %bb.853:
	s_cmp_lt_i32 s40, 6
	s_cbranch_scc1 .LBB118_856
; %bb.854:
	s_cmp_gt_i32 s40, 6
	s_cbranch_scc0 .LBB118_857
; %bb.855:
	global_load_dwordx2 v[0:1], v[2:3], off
	s_mov_b64 s[0:1], 0
	s_waitcnt vmcnt(0)
	v_cvt_i32_f64_e32 v0, v[0:1]
	s_branch .LBB118_858
.LBB118_856:
	s_mov_b64 s[0:1], -1
                                        ; implicit-def: $vgpr0
	s_branch .LBB118_861
.LBB118_857:
	s_mov_b64 s[0:1], -1
                                        ; implicit-def: $vgpr0
.LBB118_858:
	s_andn2_b64 vcc, exec, s[0:1]
	s_cbranch_vccnz .LBB118_860
; %bb.859:
	global_load_dword v0, v[2:3], off
	s_waitcnt vmcnt(0)
	v_cvt_i32_f32_e32 v0, v0
.LBB118_860:
	s_mov_b64 s[0:1], 0
.LBB118_861:
	s_andn2_b64 vcc, exec, s[0:1]
	s_cbranch_vccnz .LBB118_863
; %bb.862:
	global_load_ushort v0, v[2:3], off
	s_waitcnt vmcnt(0)
	v_cvt_i16_f16_e32 v0, v0
.LBB118_863:
	s_mov_b64 s[0:1], 0
.LBB118_864:
	s_andn2_b64 vcc, exec, s[0:1]
	s_cbranch_vccnz .LBB118_884
; %bb.865:
	s_cmp_lt_i32 s40, 2
	s_cbranch_scc1 .LBB118_869
; %bb.866:
	s_cmp_lt_i32 s40, 3
	s_cbranch_scc1 .LBB118_870
; %bb.867:
	s_cmp_gt_i32 s40, 3
	s_cbranch_scc0 .LBB118_871
; %bb.868:
	global_load_dwordx2 v[0:1], v[2:3], off
	s_mov_b64 s[0:1], 0
	s_branch .LBB118_872
.LBB118_869:
	s_mov_b64 s[0:1], -1
                                        ; implicit-def: $vgpr0
	s_branch .LBB118_878
.LBB118_870:
	s_mov_b64 s[0:1], -1
                                        ; implicit-def: $vgpr0
	s_branch .LBB118_875
.LBB118_871:
	s_mov_b64 s[0:1], -1
                                        ; implicit-def: $vgpr0
.LBB118_872:
	s_andn2_b64 vcc, exec, s[0:1]
	s_cbranch_vccnz .LBB118_874
; %bb.873:
	global_load_dword v0, v[2:3], off
.LBB118_874:
	s_mov_b64 s[0:1], 0
.LBB118_875:
	s_andn2_b64 vcc, exec, s[0:1]
	s_cbranch_vccnz .LBB118_877
; %bb.876:
	global_load_ushort v0, v[2:3], off
.LBB118_877:
	s_mov_b64 s[0:1], 0
.LBB118_878:
	s_andn2_b64 vcc, exec, s[0:1]
	s_cbranch_vccnz .LBB118_884
; %bb.879:
	s_cmp_gt_i32 s40, 0
	s_cbranch_scc0 .LBB118_881
; %bb.880:
	global_load_sbyte v0, v[2:3], off
	s_mov_b64 s[0:1], 0
	s_branch .LBB118_882
.LBB118_881:
	s_mov_b64 s[0:1], -1
                                        ; implicit-def: $vgpr0
.LBB118_882:
	s_andn2_b64 vcc, exec, s[0:1]
	s_cbranch_vccnz .LBB118_884
; %bb.883:
	global_load_ubyte v0, v[2:3], off
.LBB118_884:
	s_mov_b64 s[0:1], -1
.LBB118_885:
	s_andn2_b64 vcc, exec, s[0:1]
	s_cbranch_vccnz .LBB118_893
; %bb.886:
	s_waitcnt vmcnt(0)
	v_mul_lo_u32 v1, v14, s14
	v_mov_b32_e32 v2, s17
	s_and_b32 s44, s15, 0xff
	s_cmp_lt_i32 s44, 11
	v_ashrrev_i32_e32 v3, 31, v1
	v_add_co_u32_e32 v1, vcc, s16, v1
	v_addc_co_u32_e32 v2, vcc, v2, v3, vcc
	s_cbranch_scc1 .LBB118_895
; %bb.887:
	s_and_b32 s45, 0xffff, s44
	s_cmp_gt_i32 s45, 25
	s_cbranch_scc0 .LBB118_896
; %bb.888:
	s_cmp_gt_i32 s45, 28
	s_cbranch_scc0 .LBB118_897
; %bb.889:
	;; [unrolled: 3-line block ×4, first 2 shown]
	s_cmp_eq_u32 s45, 46
	s_mov_b64 s[42:43], 0
	s_cbranch_scc0 .LBB118_902
; %bb.892:
	global_load_dword v3, v[1:2], off
	s_mov_b64 s[0:1], -1
	s_mov_b64 s[40:41], 0
	s_waitcnt vmcnt(0)
	v_lshlrev_b32_e32 v3, 16, v3
	v_cvt_i32_f32_e32 v3, v3
	s_branch .LBB118_903
.LBB118_893:
	s_mov_b64 s[44:45], 0
	s_mov_b64 s[0:1], s[30:31]
	;; [unrolled: 1-line block ×3, first 2 shown]
.LBB118_894:
                                        ; implicit-def: $vgpr14
	s_branch .LBB118_1137
.LBB118_895:
	s_mov_b64 s[42:43], -1
	s_mov_b64 s[0:1], 0
                                        ; implicit-def: $vgpr3
	s_mov_b64 s[40:41], s[28:29]
	s_branch .LBB118_964
.LBB118_896:
	s_mov_b64 s[42:43], -1
	s_mov_b64 s[0:1], 0
	s_mov_b64 s[40:41], s[28:29]
                                        ; implicit-def: $vgpr3
	s_branch .LBB118_930
.LBB118_897:
	s_mov_b64 s[42:43], -1
	s_mov_b64 s[0:1], 0
	s_mov_b64 s[40:41], s[28:29]
                                        ; implicit-def: $vgpr3
	s_branch .LBB118_913
.LBB118_898:
	s_mov_b64 s[42:43], -1
	s_mov_b64 s[0:1], 0
	s_mov_b64 s[40:41], s[28:29]
                                        ; implicit-def: $vgpr3
	s_branch .LBB118_908
.LBB118_899:
	s_mov_b64 s[42:43], -1
	s_mov_b64 s[0:1], 0
	s_mov_b64 s[40:41], s[28:29]
                                        ; implicit-def: $vgpr3
	s_branch .LBB118_903
.LBB118_900:
	s_andn2_saveexec_b64 s[38:39], s[38:39]
	s_cbranch_execz .LBB118_680
.LBB118_901:
	s_mov_b32 s42, 0x42800000
	v_add_f32_e64 v3, |v2|, s42
	v_and_b32_e32 v3, 0xff, v3
	v_cmp_ne_u32_e32 vcc, 0, v3
	s_andn2_b64 s[36:37], s[36:37], exec
	s_and_b64 s[42:43], vcc, exec
	s_or_b64 s[36:37], s[36:37], s[42:43]
	s_or_b64 exec, exec, s[38:39]
	v_mov_b32_e32 v5, 0
	s_and_saveexec_b64 s[38:39], s[36:37]
	s_cbranch_execnz .LBB118_681
	s_branch .LBB118_682
.LBB118_902:
	s_mov_b64 s[40:41], -1
                                        ; implicit-def: $vgpr3
	s_mov_b64 s[0:1], 0
.LBB118_903:
	s_and_b64 vcc, exec, s[42:43]
	s_cbranch_vccz .LBB118_907
; %bb.904:
	s_cmp_eq_u32 s45, 44
	s_cbranch_scc0 .LBB118_906
; %bb.905:
	global_load_ubyte v3, v[1:2], off
	s_mov_b64 s[0:1], -1
	s_mov_b64 s[40:41], 0
	s_waitcnt vmcnt(0)
	v_lshlrev_b32_e32 v4, 23, v3
	v_cvt_i32_f32_e32 v4, v4
	v_cmp_ne_u32_e32 vcc, 0, v3
	v_cndmask_b32_e32 v3, 0, v4, vcc
	s_branch .LBB118_907
.LBB118_906:
	s_mov_b64 s[40:41], -1
                                        ; implicit-def: $vgpr3
.LBB118_907:
	s_mov_b64 s[42:43], 0
.LBB118_908:
	s_and_b64 vcc, exec, s[42:43]
	s_cbranch_vccz .LBB118_912
; %bb.909:
	s_cmp_eq_u32 s45, 29
	s_cbranch_scc0 .LBB118_911
; %bb.910:
	global_load_dwordx2 v[3:4], v[1:2], off
	s_mov_b64 s[0:1], -1
	s_mov_b64 s[40:41], 0
	s_branch .LBB118_912
.LBB118_911:
	s_mov_b64 s[40:41], -1
                                        ; implicit-def: $vgpr3
.LBB118_912:
	s_mov_b64 s[42:43], 0
.LBB118_913:
	s_and_b64 vcc, exec, s[42:43]
	s_cbranch_vccz .LBB118_929
; %bb.914:
	s_cmp_lt_i32 s45, 27
	s_cbranch_scc1 .LBB118_917
; %bb.915:
	s_cmp_gt_i32 s45, 27
	s_cbranch_scc0 .LBB118_918
; %bb.916:
	global_load_dword v3, v[1:2], off
	s_mov_b64 s[0:1], 0
	s_branch .LBB118_919
.LBB118_917:
	s_mov_b64 s[0:1], -1
                                        ; implicit-def: $vgpr3
	s_branch .LBB118_922
.LBB118_918:
	s_mov_b64 s[0:1], -1
                                        ; implicit-def: $vgpr3
.LBB118_919:
	s_andn2_b64 vcc, exec, s[0:1]
	s_cbranch_vccnz .LBB118_921
; %bb.920:
	global_load_ushort v3, v[1:2], off
.LBB118_921:
	s_mov_b64 s[0:1], 0
.LBB118_922:
	s_andn2_b64 vcc, exec, s[0:1]
	s_cbranch_vccnz .LBB118_928
; %bb.923:
	global_load_ubyte v4, v[1:2], off
	s_movk_i32 s0, 0x7f
	s_mov_b64 s[42:43], 0
	s_waitcnt vmcnt(0)
	v_cmp_lt_i16_e32 vcc, s0, v4
	s_and_saveexec_b64 s[0:1], vcc
	s_xor_b64 s[0:1], exec, s[0:1]
	s_cbranch_execz .LBB118_940
; %bb.924:
	s_movk_i32 s42, 0x80
	v_cmp_ne_u16_e32 vcc, s42, v4
	s_and_b64 s[42:43], vcc, exec
	s_andn2_saveexec_b64 s[0:1], s[0:1]
	s_cbranch_execnz .LBB118_941
.LBB118_925:
	s_or_b64 exec, exec, s[0:1]
	v_mov_b32_e32 v3, 0
	s_and_saveexec_b64 s[0:1], s[42:43]
	s_cbranch_execz .LBB118_927
.LBB118_926:
	v_lshlrev_b32_e32 v3, 24, v4
	v_and_b32_e32 v4, 0xffff, v4
	v_and_b32_e32 v5, 7, v4
	v_ffbh_u32_e32 v7, v5
	v_min_u32_e32 v7, 32, v7
	v_subrev_u32_e32 v8, 28, v7
	v_bfe_u32 v6, v4, 3, 4
	v_lshlrev_b32_e32 v4, v8, v4
	v_sub_u32_e32 v7, 29, v7
	v_and_b32_e32 v4, 7, v4
	v_cmp_eq_u32_e32 vcc, 0, v6
	v_cndmask_b32_e32 v6, v6, v7, vcc
	v_cndmask_b32_e32 v4, v5, v4, vcc
	v_mov_b32_e32 v5, 0x3b800000
	v_lshlrev_b32_e32 v4, 20, v4
	v_and_b32_e32 v3, 0x80000000, v3
	v_lshl_add_u32 v5, v6, 23, v5
	v_or3_b32 v3, v3, v5, v4
	v_cvt_i32_f32_e32 v3, v3
.LBB118_927:
	s_or_b64 exec, exec, s[0:1]
.LBB118_928:
	s_mov_b64 s[0:1], -1
.LBB118_929:
	s_mov_b64 s[42:43], 0
.LBB118_930:
	s_and_b64 vcc, exec, s[42:43]
	s_cbranch_vccz .LBB118_963
; %bb.931:
	s_cmp_gt_i32 s45, 22
	s_cbranch_scc0 .LBB118_939
; %bb.932:
	s_cmp_lt_i32 s45, 24
	s_cbranch_scc1 .LBB118_942
; %bb.933:
	s_cmp_gt_i32 s45, 24
	s_cbranch_scc0 .LBB118_943
; %bb.934:
	global_load_ubyte v4, v[1:2], off
	s_movk_i32 s0, 0x7f
	s_mov_b64 s[42:43], 0
	s_waitcnt vmcnt(0)
	v_cmp_lt_i16_e32 vcc, s0, v4
	s_and_saveexec_b64 s[0:1], vcc
	s_xor_b64 s[0:1], exec, s[0:1]
	s_cbranch_execz .LBB118_955
; %bb.935:
	s_movk_i32 s42, 0x80
	v_cmp_ne_u16_e32 vcc, s42, v4
	s_and_b64 s[42:43], vcc, exec
	s_andn2_saveexec_b64 s[0:1], s[0:1]
	s_cbranch_execnz .LBB118_956
.LBB118_936:
	s_or_b64 exec, exec, s[0:1]
	v_mov_b32_e32 v3, 0
	s_and_saveexec_b64 s[0:1], s[42:43]
	s_cbranch_execz .LBB118_938
.LBB118_937:
	v_lshlrev_b32_e32 v3, 24, v4
	v_and_b32_e32 v4, 0xffff, v4
	v_and_b32_e32 v5, 3, v4
	v_ffbh_u32_e32 v7, v5
	v_min_u32_e32 v7, 32, v7
	v_subrev_u32_e32 v8, 29, v7
	v_bfe_u32 v6, v4, 2, 5
	v_lshlrev_b32_e32 v4, v8, v4
	v_sub_u32_e32 v7, 30, v7
	v_and_b32_e32 v4, 3, v4
	v_cmp_eq_u32_e32 vcc, 0, v6
	v_cndmask_b32_e32 v6, v6, v7, vcc
	v_cndmask_b32_e32 v4, v5, v4, vcc
	v_mov_b32_e32 v5, 0x37800000
	v_lshlrev_b32_e32 v4, 21, v4
	v_and_b32_e32 v3, 0x80000000, v3
	v_lshl_add_u32 v5, v6, 23, v5
	v_or3_b32 v3, v3, v5, v4
	v_cvt_i32_f32_e32 v3, v3
.LBB118_938:
	s_or_b64 exec, exec, s[0:1]
	s_mov_b64 s[0:1], 0
	s_branch .LBB118_944
.LBB118_939:
	s_mov_b64 s[42:43], -1
                                        ; implicit-def: $vgpr3
	s_branch .LBB118_950
.LBB118_940:
	s_andn2_saveexec_b64 s[0:1], s[0:1]
	s_cbranch_execz .LBB118_925
.LBB118_941:
	v_cmp_ne_u16_e32 vcc, 0, v4
	s_andn2_b64 s[42:43], s[42:43], exec
	s_and_b64 s[46:47], vcc, exec
	s_or_b64 s[42:43], s[42:43], s[46:47]
	s_or_b64 exec, exec, s[0:1]
	v_mov_b32_e32 v3, 0
	s_and_saveexec_b64 s[0:1], s[42:43]
	s_cbranch_execnz .LBB118_926
	s_branch .LBB118_927
.LBB118_942:
	s_mov_b64 s[0:1], -1
                                        ; implicit-def: $vgpr3
	s_branch .LBB118_947
.LBB118_943:
	s_mov_b64 s[0:1], -1
                                        ; implicit-def: $vgpr3
.LBB118_944:
	s_and_b64 vcc, exec, s[0:1]
	s_cbranch_vccz .LBB118_946
; %bb.945:
	global_load_ubyte v3, v[1:2], off
	s_mov_b32 s0, 0x7f800000
	s_waitcnt vmcnt(0)
	v_lshlrev_b32_e32 v3, 24, v3
	v_and_b32_e32 v4, 0x7f000000, v3
	v_ffbh_u32_e32 v5, v4
	v_min_u32_e32 v5, 32, v5
	v_sub_u32_e64 v5, v5, 4 clamp
	v_lshlrev_b32_e32 v7, v5, v4
	v_lshlrev_b32_e32 v5, 23, v5
	v_lshrrev_b32_e32 v7, 4, v7
	v_add_u32_e32 v6, 0x1000000, v4
	v_sub_u32_e32 v5, v7, v5
	v_ashrrev_i32_e32 v6, 8, v6
	v_add_u32_e32 v5, 0x3c000000, v5
	v_and_or_b32 v5, v6, s0, v5
	v_cmp_ne_u32_e32 vcc, 0, v4
	v_cndmask_b32_e32 v4, 0, v5, vcc
	s_brev_b32 s0, 1
	v_and_or_b32 v3, v3, s0, v4
	v_cvt_i32_f32_e32 v3, v3
.LBB118_946:
	s_mov_b64 s[0:1], 0
.LBB118_947:
	s_andn2_b64 vcc, exec, s[0:1]
	s_cbranch_vccnz .LBB118_949
; %bb.948:
	global_load_ubyte v3, v[1:2], off
	s_movk_i32 s0, 0x7f00
	s_brev_b32 s1, 16
	s_waitcnt vmcnt(0)
	v_lshlrev_b16_e32 v4, 8, v3
	v_lshlrev_b32_e32 v3, 25, v3
	v_lshrrev_b32_e32 v5, 4, v3
	v_and_or_b32 v6, v4, s0, 0.5
	v_or_b32_e32 v5, 0x70000000, v5
	v_add_f32_e32 v6, -0.5, v6
	v_mul_f32_e32 v5, 0x7800000, v5
	v_cmp_gt_u32_e32 vcc, s1, v3
	v_bfe_i32 v4, v4, 0, 16
	v_cndmask_b32_e32 v3, v5, v6, vcc
	s_brev_b32 s0, 1
	v_and_or_b32 v3, v4, s0, v3
	v_cvt_i32_f32_e32 v3, v3
.LBB118_949:
	s_mov_b64 s[42:43], 0
	s_mov_b64 s[0:1], -1
.LBB118_950:
	s_andn2_b64 vcc, exec, s[42:43]
	s_cbranch_vccnz .LBB118_963
; %bb.951:
	s_cmp_gt_i32 s45, 14
	s_cbranch_scc0 .LBB118_954
; %bb.952:
	s_cmp_eq_u32 s45, 15
	s_cbranch_scc0 .LBB118_957
; %bb.953:
	global_load_ushort v3, v[1:2], off
	s_mov_b64 s[0:1], -1
	s_mov_b64 s[40:41], 0
	s_waitcnt vmcnt(0)
	v_lshlrev_b32_e32 v3, 16, v3
	v_cvt_i32_f32_e32 v3, v3
	s_branch .LBB118_958
.LBB118_954:
	s_mov_b64 s[42:43], -1
                                        ; implicit-def: $vgpr3
	s_branch .LBB118_959
.LBB118_955:
	s_andn2_saveexec_b64 s[0:1], s[0:1]
	s_cbranch_execz .LBB118_936
.LBB118_956:
	v_cmp_ne_u16_e32 vcc, 0, v4
	s_andn2_b64 s[42:43], s[42:43], exec
	s_and_b64 s[46:47], vcc, exec
	s_or_b64 s[42:43], s[42:43], s[46:47]
	s_or_b64 exec, exec, s[0:1]
	v_mov_b32_e32 v3, 0
	s_and_saveexec_b64 s[0:1], s[42:43]
	s_cbranch_execnz .LBB118_937
	s_branch .LBB118_938
.LBB118_957:
	s_mov_b64 s[40:41], -1
                                        ; implicit-def: $vgpr3
.LBB118_958:
	s_mov_b64 s[42:43], 0
.LBB118_959:
	s_and_b64 vcc, exec, s[42:43]
	s_cbranch_vccz .LBB118_963
; %bb.960:
	s_cmp_eq_u32 s45, 11
	s_cbranch_scc0 .LBB118_962
; %bb.961:
	global_load_ubyte v3, v[1:2], off
	s_mov_b64 s[0:1], -1
	s_mov_b64 s[40:41], 0
	s_waitcnt vmcnt(0)
	v_cmp_ne_u16_e32 vcc, 0, v3
	v_cndmask_b32_e64 v3, 0, 1, vcc
	s_branch .LBB118_963
.LBB118_962:
	s_mov_b64 s[40:41], -1
                                        ; implicit-def: $vgpr3
.LBB118_963:
	s_mov_b64 s[42:43], 0
.LBB118_964:
	s_and_b64 vcc, exec, s[42:43]
	s_cbranch_vccz .LBB118_1013
; %bb.965:
	s_and_b32 s42, 0xffff, s44
	s_cmp_lt_i32 s42, 5
	s_cbranch_scc1 .LBB118_970
; %bb.966:
	s_cmp_lt_i32 s42, 8
	s_cbranch_scc1 .LBB118_971
; %bb.967:
	;; [unrolled: 3-line block ×3, first 2 shown]
	s_cmp_gt_i32 s42, 9
	s_cbranch_scc0 .LBB118_973
; %bb.969:
	global_load_dwordx2 v[3:4], v[1:2], off
	s_mov_b64 s[0:1], 0
	s_waitcnt vmcnt(0)
	v_cvt_i32_f64_e32 v3, v[3:4]
	s_branch .LBB118_974
.LBB118_970:
	s_mov_b64 s[0:1], -1
                                        ; implicit-def: $vgpr3
	s_branch .LBB118_992
.LBB118_971:
	s_mov_b64 s[0:1], -1
                                        ; implicit-def: $vgpr3
	s_branch .LBB118_980
.LBB118_972:
	s_mov_b64 s[0:1], -1
                                        ; implicit-def: $vgpr3
	s_branch .LBB118_977
.LBB118_973:
	s_mov_b64 s[0:1], -1
                                        ; implicit-def: $vgpr3
.LBB118_974:
	s_andn2_b64 vcc, exec, s[0:1]
	s_cbranch_vccnz .LBB118_976
; %bb.975:
	global_load_dword v3, v[1:2], off
	s_waitcnt vmcnt(0)
	v_cvt_i32_f32_e32 v3, v3
.LBB118_976:
	s_mov_b64 s[0:1], 0
.LBB118_977:
	s_andn2_b64 vcc, exec, s[0:1]
	s_cbranch_vccnz .LBB118_979
; %bb.978:
	global_load_dword v3, v[1:2], off
	s_waitcnt vmcnt(0)
	v_cvt_i16_f16_e32 v3, v3
.LBB118_979:
	s_mov_b64 s[0:1], 0
.LBB118_980:
	s_andn2_b64 vcc, exec, s[0:1]
	s_cbranch_vccnz .LBB118_991
; %bb.981:
	s_cmp_lt_i32 s42, 6
	s_cbranch_scc1 .LBB118_984
; %bb.982:
	s_cmp_gt_i32 s42, 6
	s_cbranch_scc0 .LBB118_985
; %bb.983:
	global_load_dwordx2 v[3:4], v[1:2], off
	s_mov_b64 s[0:1], 0
	s_waitcnt vmcnt(0)
	v_cvt_i32_f64_e32 v3, v[3:4]
	s_branch .LBB118_986
.LBB118_984:
	s_mov_b64 s[0:1], -1
                                        ; implicit-def: $vgpr3
	s_branch .LBB118_989
.LBB118_985:
	s_mov_b64 s[0:1], -1
                                        ; implicit-def: $vgpr3
.LBB118_986:
	s_andn2_b64 vcc, exec, s[0:1]
	s_cbranch_vccnz .LBB118_988
; %bb.987:
	global_load_dword v3, v[1:2], off
	s_waitcnt vmcnt(0)
	v_cvt_i32_f32_e32 v3, v3
.LBB118_988:
	s_mov_b64 s[0:1], 0
.LBB118_989:
	s_andn2_b64 vcc, exec, s[0:1]
	s_cbranch_vccnz .LBB118_991
; %bb.990:
	global_load_ushort v3, v[1:2], off
	s_waitcnt vmcnt(0)
	v_cvt_i16_f16_e32 v3, v3
.LBB118_991:
	s_mov_b64 s[0:1], 0
.LBB118_992:
	s_andn2_b64 vcc, exec, s[0:1]
	s_cbranch_vccnz .LBB118_1012
; %bb.993:
	s_cmp_lt_i32 s42, 2
	s_cbranch_scc1 .LBB118_997
; %bb.994:
	s_cmp_lt_i32 s42, 3
	s_cbranch_scc1 .LBB118_998
; %bb.995:
	s_cmp_gt_i32 s42, 3
	s_cbranch_scc0 .LBB118_999
; %bb.996:
	global_load_dwordx2 v[3:4], v[1:2], off
	s_mov_b64 s[0:1], 0
	s_branch .LBB118_1000
.LBB118_997:
	s_mov_b64 s[0:1], -1
                                        ; implicit-def: $vgpr3
	s_branch .LBB118_1006
.LBB118_998:
	s_mov_b64 s[0:1], -1
                                        ; implicit-def: $vgpr3
	s_branch .LBB118_1003
.LBB118_999:
	s_mov_b64 s[0:1], -1
                                        ; implicit-def: $vgpr3
.LBB118_1000:
	s_andn2_b64 vcc, exec, s[0:1]
	s_cbranch_vccnz .LBB118_1002
; %bb.1001:
	global_load_dword v3, v[1:2], off
.LBB118_1002:
	s_mov_b64 s[0:1], 0
.LBB118_1003:
	s_andn2_b64 vcc, exec, s[0:1]
	s_cbranch_vccnz .LBB118_1005
; %bb.1004:
	global_load_ushort v3, v[1:2], off
.LBB118_1005:
	s_mov_b64 s[0:1], 0
.LBB118_1006:
	s_andn2_b64 vcc, exec, s[0:1]
	s_cbranch_vccnz .LBB118_1012
; %bb.1007:
	s_cmp_gt_i32 s42, 0
	s_cbranch_scc0 .LBB118_1009
; %bb.1008:
	global_load_sbyte v3, v[1:2], off
	s_mov_b64 s[0:1], 0
	s_branch .LBB118_1010
.LBB118_1009:
	s_mov_b64 s[0:1], -1
                                        ; implicit-def: $vgpr3
.LBB118_1010:
	s_andn2_b64 vcc, exec, s[0:1]
	s_cbranch_vccnz .LBB118_1012
; %bb.1011:
	global_load_ubyte v3, v[1:2], off
.LBB118_1012:
	s_mov_b64 s[0:1], -1
.LBB118_1013:
	s_andn2_b64 vcc, exec, s[0:1]
	s_cbranch_vccnz .LBB118_1021
; %bb.1014:
	v_mul_lo_u32 v1, v14, s12
	v_mov_b32_e32 v2, s33
	v_cmp_lt_i16_e32 vcc, s2, v0
	s_waitcnt vmcnt(0)
	v_cndmask_b32_e32 v4, v2, v3, vcc
	v_ashrrev_i32_e32 v2, 31, v1
	v_mov_b32_e32 v3, s9
	s_and_b32 s48, s3, 0xff
	v_add_co_u32_e32 v0, vcc, s8, v1
	s_cmp_lt_i32 s48, 11
	v_addc_co_u32_e32 v1, vcc, v3, v2, vcc
	s_cbranch_scc1 .LBB118_1022
; %bb.1015:
	s_and_b32 s49, 0xffff, s48
	s_cmp_gt_i32 s49, 25
	s_cbranch_scc0 .LBB118_1023
; %bb.1016:
	s_cmp_gt_i32 s49, 28
	s_cbranch_scc0 .LBB118_1024
; %bb.1017:
	;; [unrolled: 3-line block ×4, first 2 shown]
	s_mov_b64 s[44:45], 0
	s_mov_b64 s[0:1], -1
	s_cmp_eq_u32 s49, 46
	s_mov_b64 s[42:43], 0
	s_cbranch_scc0 .LBB118_1027
; %bb.1020:
	v_cvt_f32_i32_sdwa v2, sext(v4) dst_sel:DWORD dst_unused:UNUSED_PAD src0_sel:WORD_0
	s_movk_i32 s0, 0x7fff
	s_mov_b64 s[42:43], -1
	v_bfe_u32 v3, v2, 16, 1
	v_add3_u32 v2, v2, v3, s0
	v_lshrrev_b32_e32 v2, 16, v2
	global_store_dword v[0:1], v2, off
	s_mov_b64 s[0:1], 0
	s_branch .LBB118_1027
.LBB118_1021:
	s_mov_b64 s[44:45], 0
                                        ; implicit-def: $vgpr14
	s_mov_b64 s[0:1], s[30:31]
	s_branch .LBB118_1137
.LBB118_1022:
	s_mov_b64 s[44:45], -1
	s_mov_b64 s[42:43], 0
	s_mov_b64 s[0:1], s[30:31]
	s_branch .LBB118_1096
.LBB118_1023:
	s_mov_b64 s[44:45], -1
	s_mov_b64 s[42:43], 0
	s_mov_b64 s[0:1], s[30:31]
	s_branch .LBB118_1054
.LBB118_1024:
	s_mov_b64 s[44:45], -1
	s_mov_b64 s[42:43], 0
	s_mov_b64 s[0:1], s[30:31]
	s_branch .LBB118_1037
.LBB118_1025:
	s_mov_b64 s[44:45], -1
	s_mov_b64 s[42:43], 0
	s_mov_b64 s[0:1], s[30:31]
	s_branch .LBB118_1033
.LBB118_1026:
	s_mov_b64 s[44:45], -1
	s_mov_b64 s[42:43], 0
	s_mov_b64 s[0:1], s[30:31]
.LBB118_1027:
	s_and_b64 vcc, exec, s[44:45]
	s_cbranch_vccz .LBB118_1032
; %bb.1028:
	s_cmp_eq_u32 s49, 44
	s_mov_b64 s[0:1], -1
	s_cbranch_scc0 .LBB118_1032
; %bb.1029:
	v_cvt_f32_i32_sdwa v2, sext(v4) dst_sel:DWORD dst_unused:UNUSED_PAD src0_sel:WORD_0
	s_movk_i32 s0, 0xff
	v_mov_b32_e32 v5, 0xff
	v_bfe_u32 v3, v2, 23, 8
	v_cmp_ne_u32_e32 vcc, s0, v3
	s_and_saveexec_b64 s[42:43], vcc
; %bb.1030:
	s_mov_b32 s0, 0x3fffff
	v_lshrrev_b32_e32 v5, 23, v2
	v_and_b32_e32 v6, 0x400000, v2
	v_and_or_b32 v2, v2, s0, v3
	v_cmp_ne_u32_e32 vcc, 0, v6
	v_cmp_ne_u32_e64 s[0:1], 0, v2
	s_and_b64 s[0:1], vcc, s[0:1]
	v_cndmask_b32_e64 v2, 0, 1, s[0:1]
	v_add_u32_e32 v5, v5, v2
; %bb.1031:
	s_or_b64 exec, exec, s[42:43]
	s_mov_b64 s[42:43], -1
	s_mov_b64 s[0:1], 0
	global_store_byte v[0:1], v5, off
.LBB118_1032:
	s_mov_b64 s[44:45], 0
.LBB118_1033:
	s_and_b64 vcc, exec, s[44:45]
	s_cbranch_vccz .LBB118_1036
; %bb.1034:
	s_cmp_eq_u32 s49, 29
	s_mov_b64 s[0:1], -1
	s_cbranch_scc0 .LBB118_1036
; %bb.1035:
	v_bfe_i32 v2, v4, 0, 16
	v_ashrrev_i32_e32 v3, 31, v2
	global_store_dwordx2 v[0:1], v[2:3], off
	s_mov_b64 s[42:43], -1
	s_mov_b64 s[0:1], 0
.LBB118_1036:
	s_mov_b64 s[44:45], 0
.LBB118_1037:
	s_and_b64 vcc, exec, s[44:45]
	s_cbranch_vccz .LBB118_1053
; %bb.1038:
	s_cmp_lt_i32 s49, 27
	s_mov_b64 s[42:43], -1
	s_cbranch_scc1 .LBB118_1044
; %bb.1039:
	s_cmp_gt_i32 s49, 27
	s_cbranch_scc0 .LBB118_1041
; %bb.1040:
	v_bfe_i32 v2, v4, 0, 16
	s_mov_b64 s[42:43], 0
	global_store_dword v[0:1], v2, off
.LBB118_1041:
	s_andn2_b64 vcc, exec, s[42:43]
	s_cbranch_vccnz .LBB118_1043
; %bb.1042:
	global_store_short v[0:1], v4, off
.LBB118_1043:
	s_mov_b64 s[42:43], 0
.LBB118_1044:
	s_andn2_b64 vcc, exec, s[42:43]
	s_cbranch_vccnz .LBB118_1052
; %bb.1045:
	v_cvt_f32_i32_sdwa v2, sext(v4) dst_sel:DWORD dst_unused:UNUSED_PAD src0_sel:WORD_0
	s_mov_b32 s42, 0x43800000
	v_mov_b32_e32 v5, 0x80
	v_and_b32_e32 v3, 0x7fffffff, v2
	v_cmp_gt_u32_e32 vcc, s42, v3
	s_and_saveexec_b64 s[42:43], vcc
	s_cbranch_execz .LBB118_1051
; %bb.1046:
	s_mov_b32 s44, 0x3bffffff
	v_cmp_lt_u32_e32 vcc, s44, v3
	s_mov_b64 s[44:45], 0
                                        ; implicit-def: $vgpr3
	s_and_saveexec_b64 s[46:47], vcc
	s_xor_b64 s[46:47], exec, s[46:47]
	s_cbranch_execz .LBB118_1153
; %bb.1047:
	v_bfe_u32 v3, v2, 20, 1
	s_mov_b32 s51, 0x487ffff
	v_add3_u32 v3, v2, v3, s51
	s_mov_b64 s[44:45], exec
	v_lshrrev_b32_e32 v3, 20, v3
	s_andn2_saveexec_b64 s[46:47], s[46:47]
	s_cbranch_execnz .LBB118_1154
.LBB118_1048:
	s_or_b64 exec, exec, s[46:47]
	v_mov_b32_e32 v5, 0
	s_and_saveexec_b64 s[46:47], s[44:45]
.LBB118_1049:
	v_lshrrev_b32_e32 v2, 24, v2
	s_movk_i32 s44, 0x80
	v_and_or_b32 v5, v2, s44, v3
.LBB118_1050:
	s_or_b64 exec, exec, s[46:47]
.LBB118_1051:
	s_or_b64 exec, exec, s[42:43]
	global_store_byte v[0:1], v5, off
.LBB118_1052:
	s_mov_b64 s[42:43], -1
.LBB118_1053:
	s_mov_b64 s[44:45], 0
.LBB118_1054:
	s_and_b64 vcc, exec, s[44:45]
	s_cbranch_vccz .LBB118_1095
; %bb.1055:
	s_cmp_gt_i32 s49, 22
	s_mov_b64 s[44:45], -1
	s_cbranch_scc0 .LBB118_1087
; %bb.1056:
	s_cmp_lt_i32 s49, 24
	s_mov_b64 s[42:43], -1
	s_cbranch_scc1 .LBB118_1076
; %bb.1057:
	s_cmp_gt_i32 s49, 24
	s_cbranch_scc0 .LBB118_1065
; %bb.1058:
	v_cvt_f32_i32_sdwa v2, sext(v4) dst_sel:DWORD dst_unused:UNUSED_PAD src0_sel:WORD_0
	s_mov_b32 s42, 0x47800000
	v_mov_b32_e32 v5, 0x80
	v_and_b32_e32 v3, 0x7fffffff, v2
	v_cmp_gt_u32_e32 vcc, s42, v3
	s_and_saveexec_b64 s[42:43], vcc
	s_cbranch_execz .LBB118_1064
; %bb.1059:
	s_mov_b32 s44, 0x37ffffff
	v_cmp_lt_u32_e32 vcc, s44, v3
	s_mov_b64 s[44:45], 0
                                        ; implicit-def: $vgpr3
	s_and_saveexec_b64 s[46:47], vcc
	s_xor_b64 s[46:47], exec, s[46:47]
	s_cbranch_execz .LBB118_2147
; %bb.1060:
	v_bfe_u32 v3, v2, 21, 1
	s_mov_b32 s51, 0x88fffff
	v_add3_u32 v3, v2, v3, s51
	s_mov_b64 s[44:45], exec
	v_lshrrev_b32_e32 v3, 21, v3
	s_andn2_saveexec_b64 s[46:47], s[46:47]
	s_cbranch_execnz .LBB118_2148
.LBB118_1061:
	s_or_b64 exec, exec, s[46:47]
	v_mov_b32_e32 v5, 0
	s_and_saveexec_b64 s[46:47], s[44:45]
.LBB118_1062:
	v_lshrrev_b32_e32 v2, 24, v2
	s_movk_i32 s44, 0x80
	v_and_or_b32 v5, v2, s44, v3
.LBB118_1063:
	s_or_b64 exec, exec, s[46:47]
.LBB118_1064:
	s_or_b64 exec, exec, s[42:43]
	s_mov_b64 s[42:43], 0
	global_store_byte v[0:1], v5, off
.LBB118_1065:
	s_and_b64 vcc, exec, s[42:43]
	s_cbranch_vccz .LBB118_1075
; %bb.1066:
	v_cvt_f32_i32_sdwa v2, sext(v4) dst_sel:DWORD dst_unused:UNUSED_PAD src0_sel:WORD_0
	s_mov_b32 s42, 0x43f00000
                                        ; implicit-def: $vgpr3
	v_and_b32_e32 v5, 0x7fffffff, v2
	v_cmp_gt_u32_e32 vcc, s42, v5
	s_and_saveexec_b64 s[42:43], vcc
	s_xor_b64 s[42:43], exec, s[42:43]
	s_cbranch_execz .LBB118_1072
; %bb.1067:
	s_mov_b32 s44, 0x3c7fffff
	v_cmp_lt_u32_e32 vcc, s44, v5
                                        ; implicit-def: $vgpr3
	s_and_saveexec_b64 s[44:45], vcc
	s_xor_b64 s[44:45], exec, s[44:45]
; %bb.1068:
	v_bfe_u32 v3, v2, 20, 1
	s_mov_b32 s46, 0x407ffff
	v_add3_u32 v3, v2, v3, s46
	v_lshrrev_b32_e32 v5, 20, v3
	v_and_b32_e32 v3, 0xff00000, v3
	s_mov_b32 s46, 0x7f00000
	v_mov_b32_e32 v6, 0x7e
	v_cmp_ne_u32_e32 vcc, s46, v3
	v_cndmask_b32_e32 v3, v6, v5, vcc
; %bb.1069:
	s_andn2_saveexec_b64 s[44:45], s[44:45]
; %bb.1070:
	s_mov_b32 s46, 0x46800000
	v_add_f32_e64 v3, |v2|, s46
; %bb.1071:
	s_or_b64 exec, exec, s[44:45]
                                        ; implicit-def: $vgpr5
.LBB118_1072:
	s_andn2_saveexec_b64 s[42:43], s[42:43]
; %bb.1073:
	s_mov_b32 s44, 0x7f800000
	v_mov_b32_e32 v3, 0x7e
	v_mov_b32_e32 v6, 0x7f
	v_cmp_lt_u32_e32 vcc, s44, v5
	v_cndmask_b32_e32 v3, v3, v6, vcc
; %bb.1074:
	s_or_b64 exec, exec, s[42:43]
	v_lshrrev_b32_e32 v2, 24, v2
	s_movk_i32 s42, 0x80
	v_and_or_b32 v2, v2, s42, v3
	global_store_byte v[0:1], v2, off
.LBB118_1075:
	s_mov_b64 s[42:43], 0
.LBB118_1076:
	s_andn2_b64 vcc, exec, s[42:43]
	s_cbranch_vccnz .LBB118_1086
; %bb.1077:
	v_cvt_f32_i32_sdwa v2, sext(v4) dst_sel:DWORD dst_unused:UNUSED_PAD src0_sel:WORD_0
	s_mov_b32 s42, 0x47800000
                                        ; implicit-def: $vgpr3
	v_and_b32_e32 v5, 0x7fffffff, v2
	v_cmp_gt_u32_e32 vcc, s42, v5
	s_and_saveexec_b64 s[42:43], vcc
	s_xor_b64 s[42:43], exec, s[42:43]
	s_cbranch_execz .LBB118_1083
; %bb.1078:
	s_mov_b32 s44, 0x387fffff
	v_cmp_lt_u32_e32 vcc, s44, v5
                                        ; implicit-def: $vgpr3
	s_and_saveexec_b64 s[44:45], vcc
	s_xor_b64 s[44:45], exec, s[44:45]
; %bb.1079:
	v_bfe_u32 v3, v2, 21, 1
	s_mov_b32 s46, 0x80fffff
	v_add3_u32 v3, v2, v3, s46
	v_lshrrev_b32_e32 v3, 21, v3
; %bb.1080:
	s_andn2_saveexec_b64 s[44:45], s[44:45]
; %bb.1081:
	s_mov_b32 s46, 0x43000000
	v_add_f32_e64 v3, |v2|, s46
; %bb.1082:
	s_or_b64 exec, exec, s[44:45]
                                        ; implicit-def: $vgpr5
.LBB118_1083:
	s_andn2_saveexec_b64 s[42:43], s[42:43]
; %bb.1084:
	s_mov_b32 s44, 0x7f800000
	v_mov_b32_e32 v3, 0x7c
	v_mov_b32_e32 v6, 0x7f
	v_cmp_lt_u32_e32 vcc, s44, v5
	v_cndmask_b32_e32 v3, v3, v6, vcc
; %bb.1085:
	s_or_b64 exec, exec, s[42:43]
	v_lshrrev_b32_e32 v2, 24, v2
	s_movk_i32 s42, 0x80
	v_and_or_b32 v2, v2, s42, v3
	global_store_byte v[0:1], v2, off
.LBB118_1086:
	s_mov_b64 s[44:45], 0
	s_mov_b64 s[42:43], -1
.LBB118_1087:
	s_andn2_b64 vcc, exec, s[44:45]
	s_cbranch_vccnz .LBB118_1095
; %bb.1088:
	s_cmp_gt_i32 s49, 14
	s_mov_b64 s[44:45], -1
	s_cbranch_scc0 .LBB118_1092
; %bb.1089:
	s_cmp_eq_u32 s49, 15
	s_mov_b64 s[0:1], -1
	s_cbranch_scc0 .LBB118_1091
; %bb.1090:
	v_cvt_f32_i32_sdwa v2, sext(v4) dst_sel:DWORD dst_unused:UNUSED_PAD src0_sel:WORD_0
	s_movk_i32 s0, 0x7fff
	s_mov_b64 s[42:43], -1
	v_bfe_u32 v3, v2, 16, 1
	v_add3_u32 v2, v2, v3, s0
	global_store_short_d16_hi v[0:1], v2, off
	s_mov_b64 s[0:1], 0
.LBB118_1091:
	s_mov_b64 s[44:45], 0
.LBB118_1092:
	s_and_b64 vcc, exec, s[44:45]
	s_cbranch_vccz .LBB118_1095
; %bb.1093:
	s_cmp_eq_u32 s49, 11
	s_mov_b64 s[0:1], -1
	s_cbranch_scc0 .LBB118_1095
; %bb.1094:
	v_cmp_ne_u16_e32 vcc, 0, v4
	v_cndmask_b32_e64 v2, 0, 1, vcc
	s_mov_b64 s[42:43], -1
	s_mov_b64 s[0:1], 0
	global_store_byte v[0:1], v2, off
.LBB118_1095:
	s_mov_b64 s[44:45], 0
.LBB118_1096:
	s_and_b64 vcc, exec, s[44:45]
	s_cbranch_vccz .LBB118_1135
; %bb.1097:
	s_and_b32 s44, 0xffff, s48
	s_cmp_lt_i32 s44, 5
	s_mov_b64 s[42:43], -1
	s_cbranch_scc1 .LBB118_1118
; %bb.1098:
	s_cmp_lt_i32 s44, 8
	s_cbranch_scc1 .LBB118_1108
; %bb.1099:
	s_cmp_lt_i32 s44, 9
	s_cbranch_scc1 .LBB118_1105
; %bb.1100:
	s_cmp_gt_i32 s44, 9
	s_cbranch_scc0 .LBB118_1102
; %bb.1101:
	v_bfe_i32 v2, v4, 0, 16
	v_cvt_f64_i32_e32 v[5:6], v2
	v_mov_b32_e32 v7, 0
	v_mov_b32_e32 v8, v7
	s_mov_b64 s[42:43], 0
	global_store_dwordx4 v[0:1], v[5:8], off
.LBB118_1102:
	s_andn2_b64 vcc, exec, s[42:43]
	s_cbranch_vccnz .LBB118_1104
; %bb.1103:
	v_cvt_f32_i32_sdwa v2, sext(v4) dst_sel:DWORD dst_unused:UNUSED_PAD src0_sel:WORD_0
	v_mov_b32_e32 v3, 0
	global_store_dwordx2 v[0:1], v[2:3], off
.LBB118_1104:
	s_mov_b64 s[42:43], 0
.LBB118_1105:
	s_andn2_b64 vcc, exec, s[42:43]
	s_cbranch_vccnz .LBB118_1107
; %bb.1106:
	v_cvt_f16_i16_e32 v2, v4
	global_store_dword v[0:1], v2, off
.LBB118_1107:
	s_mov_b64 s[42:43], 0
.LBB118_1108:
	s_andn2_b64 vcc, exec, s[42:43]
	s_cbranch_vccnz .LBB118_1117
; %bb.1109:
	s_cmp_lt_i32 s44, 6
	s_mov_b64 s[42:43], -1
	s_cbranch_scc1 .LBB118_1115
; %bb.1110:
	s_cmp_gt_i32 s44, 6
	s_cbranch_scc0 .LBB118_1112
; %bb.1111:
	v_bfe_i32 v2, v4, 0, 16
	v_cvt_f64_i32_e32 v[2:3], v2
	s_mov_b64 s[42:43], 0
	global_store_dwordx2 v[0:1], v[2:3], off
.LBB118_1112:
	s_andn2_b64 vcc, exec, s[42:43]
	s_cbranch_vccnz .LBB118_1114
; %bb.1113:
	v_cvt_f32_i32_sdwa v2, sext(v4) dst_sel:DWORD dst_unused:UNUSED_PAD src0_sel:WORD_0
	global_store_dword v[0:1], v2, off
.LBB118_1114:
	s_mov_b64 s[42:43], 0
.LBB118_1115:
	s_andn2_b64 vcc, exec, s[42:43]
	s_cbranch_vccnz .LBB118_1117
; %bb.1116:
	v_cvt_f16_i16_e32 v2, v4
	global_store_short v[0:1], v2, off
.LBB118_1117:
	s_mov_b64 s[42:43], 0
.LBB118_1118:
	s_andn2_b64 vcc, exec, s[42:43]
	s_cbranch_vccnz .LBB118_1134
; %bb.1119:
	s_cmp_lt_i32 s44, 2
	s_mov_b64 s[42:43], -1
	s_cbranch_scc1 .LBB118_1129
; %bb.1120:
	s_cmp_lt_i32 s44, 3
	s_cbranch_scc1 .LBB118_1126
; %bb.1121:
	s_cmp_gt_i32 s44, 3
	v_bfe_i32 v2, v4, 0, 16
	s_cbranch_scc0 .LBB118_1123
; %bb.1122:
	v_ashrrev_i32_e32 v3, 31, v2
	s_mov_b64 s[42:43], 0
	global_store_dwordx2 v[0:1], v[2:3], off
.LBB118_1123:
	s_andn2_b64 vcc, exec, s[42:43]
	s_cbranch_vccnz .LBB118_1125
; %bb.1124:
	global_store_dword v[0:1], v2, off
.LBB118_1125:
	s_mov_b64 s[42:43], 0
.LBB118_1126:
	s_andn2_b64 vcc, exec, s[42:43]
	s_cbranch_vccnz .LBB118_1128
; %bb.1127:
	global_store_short v[0:1], v4, off
.LBB118_1128:
	s_mov_b64 s[42:43], 0
.LBB118_1129:
	s_andn2_b64 vcc, exec, s[42:43]
	s_cbranch_vccnz .LBB118_1134
; %bb.1130:
	s_cmp_gt_i32 s44, 0
	s_mov_b64 s[42:43], -1
	s_cbranch_scc0 .LBB118_1132
; %bb.1131:
	s_mov_b64 s[42:43], 0
	global_store_byte v[0:1], v4, off
.LBB118_1132:
	s_andn2_b64 vcc, exec, s[42:43]
	s_cbranch_vccnz .LBB118_1134
; %bb.1133:
	global_store_byte v[0:1], v4, off
.LBB118_1134:
	s_mov_b64 s[42:43], -1
.LBB118_1135:
	s_andn2_b64 vcc, exec, s[42:43]
	s_cbranch_vccnz .LBB118_1148
; %bb.1136:
	v_add_u32_e32 v14, 0x80, v14
	s_mov_b64 s[44:45], -1
.LBB118_1137:
	s_andn2_b64 s[42:43], s[30:31], exec
	s_and_b64 s[0:1], s[0:1], exec
	s_or_b64 s[42:43], s[42:43], s[0:1]
	s_andn2_b64 s[0:1], s[28:29], exec
	s_and_b64 s[40:41], s[40:41], exec
	s_or_b64 s[40:41], s[0:1], s[40:41]
	;; [unrolled: 3-line block ×3, first 2 shown]
	s_orn2_b64 s[48:49], s[44:45], exec
.LBB118_1138:
	s_or_b64 exec, exec, s[36:37]
	s_mov_b64 s[44:45], 0
	s_mov_b64 s[38:39], 0
	;; [unrolled: 1-line block ×3, first 2 shown]
                                        ; implicit-def: $sgpr57
                                        ; implicit-def: $vgpr2_vgpr3
                                        ; implicit-def: $vgpr0
	s_and_saveexec_b64 s[36:37], s[48:49]
	s_cbranch_execz .LBB118_1218
; %bb.1139:
	v_cmp_gt_i32_e32 vcc, s50, v14
	s_mov_b64 s[48:49], 0
	s_mov_b64 s[50:51], s[0:1]
	;; [unrolled: 1-line block ×4, first 2 shown]
                                        ; implicit-def: $sgpr57
                                        ; implicit-def: $vgpr2_vgpr3
                                        ; implicit-def: $vgpr0
	s_and_saveexec_b64 s[38:39], vcc
	s_cbranch_execz .LBB118_1217
; %bb.1140:
	s_waitcnt vmcnt(0)
	v_mul_lo_u32 v0, v14, s13
	v_mov_b32_e32 v1, s11
	s_and_b32 s57, s56, 0xff
	s_cmp_lt_i32 s57, 11
	v_ashrrev_i32_e32 v3, 31, v0
	v_add_co_u32_e32 v2, vcc, s10, v0
	v_addc_co_u32_e32 v3, vcc, v1, v3, vcc
	s_cbranch_scc1 .LBB118_1147
; %bb.1141:
	s_and_b32 s52, 0xffff, s57
	s_cmp_gt_i32 s52, 25
	s_cbranch_scc0 .LBB118_1149
; %bb.1142:
	s_cmp_gt_i32 s52, 28
	s_cbranch_scc0 .LBB118_1150
; %bb.1143:
	;; [unrolled: 3-line block ×4, first 2 shown]
	s_cmp_eq_u32 s52, 46
	s_mov_b64 s[50:51], 0
	s_cbranch_scc0 .LBB118_1155
; %bb.1146:
	global_load_dword v0, v[2:3], off
	s_mov_b64 s[48:49], -1
	s_waitcnt vmcnt(0)
	v_lshlrev_b32_e32 v0, 16, v0
	v_cvt_i32_f32_e32 v0, v0
	s_branch .LBB118_1157
.LBB118_1147:
	s_mov_b64 s[50:51], -1
                                        ; implicit-def: $vgpr0
	s_mov_b64 s[44:45], s[0:1]
	s_branch .LBB118_1216
.LBB118_1148:
	s_mov_b64 s[44:45], 0
	s_branch .LBB118_894
.LBB118_1149:
	s_mov_b64 s[50:51], -1
	s_mov_b64 s[44:45], s[0:1]
                                        ; implicit-def: $vgpr0
	s_branch .LBB118_1184
.LBB118_1150:
	s_mov_b64 s[50:51], -1
	s_mov_b64 s[44:45], s[0:1]
                                        ; implicit-def: $vgpr0
	s_branch .LBB118_1167
.LBB118_1151:
	s_mov_b64 s[50:51], -1
	s_mov_b64 s[44:45], s[0:1]
                                        ; implicit-def: $vgpr0
	s_branch .LBB118_1162
.LBB118_1152:
	s_mov_b64 s[50:51], -1
	s_mov_b64 s[44:45], s[0:1]
	s_branch .LBB118_1156
.LBB118_1153:
	s_andn2_saveexec_b64 s[46:47], s[46:47]
	s_cbranch_execz .LBB118_1048
.LBB118_1154:
	s_mov_b32 s51, 0x46000000
	v_add_f32_e64 v3, |v2|, s51
	v_and_b32_e32 v3, 0xff, v3
	v_cmp_ne_u32_e32 vcc, 0, v3
	s_andn2_b64 s[44:45], s[44:45], exec
	s_and_b64 s[52:53], vcc, exec
	s_or_b64 s[44:45], s[44:45], s[52:53]
	s_or_b64 exec, exec, s[46:47]
	v_mov_b32_e32 v5, 0
	s_and_saveexec_b64 s[46:47], s[44:45]
	s_cbranch_execnz .LBB118_1049
	s_branch .LBB118_1050
.LBB118_1155:
	s_mov_b64 s[44:45], -1
.LBB118_1156:
                                        ; implicit-def: $vgpr0
.LBB118_1157:
	s_and_b64 vcc, exec, s[50:51]
	s_cbranch_vccz .LBB118_1161
; %bb.1158:
	s_cmp_eq_u32 s52, 44
	s_cbranch_scc0 .LBB118_1160
; %bb.1159:
	global_load_ubyte v0, v[2:3], off
	s_mov_b64 s[44:45], 0
	s_mov_b64 s[48:49], -1
	s_waitcnt vmcnt(0)
	v_lshlrev_b32_e32 v1, 23, v0
	v_cvt_i32_f32_e32 v1, v1
	v_cmp_ne_u32_e32 vcc, 0, v0
	v_cndmask_b32_e32 v0, 0, v1, vcc
	s_branch .LBB118_1161
.LBB118_1160:
	s_mov_b64 s[44:45], -1
                                        ; implicit-def: $vgpr0
.LBB118_1161:
	s_mov_b64 s[50:51], 0
.LBB118_1162:
	s_and_b64 vcc, exec, s[50:51]
	s_cbranch_vccz .LBB118_1166
; %bb.1163:
	s_cmp_eq_u32 s52, 29
	s_cbranch_scc0 .LBB118_1165
; %bb.1164:
	global_load_dwordx2 v[0:1], v[2:3], off
	s_mov_b64 s[44:45], 0
	s_mov_b64 s[48:49], -1
	s_branch .LBB118_1166
.LBB118_1165:
	s_mov_b64 s[44:45], -1
                                        ; implicit-def: $vgpr0
.LBB118_1166:
	s_mov_b64 s[50:51], 0
.LBB118_1167:
	s_and_b64 vcc, exec, s[50:51]
	s_cbranch_vccz .LBB118_1183
; %bb.1168:
	s_cmp_lt_i32 s52, 27
	s_cbranch_scc1 .LBB118_1171
; %bb.1169:
	s_cmp_gt_i32 s52, 27
	s_cbranch_scc0 .LBB118_1172
; %bb.1170:
	global_load_dword v0, v[2:3], off
	s_mov_b64 s[48:49], 0
	s_branch .LBB118_1173
.LBB118_1171:
	s_mov_b64 s[48:49], -1
                                        ; implicit-def: $vgpr0
	s_branch .LBB118_1176
.LBB118_1172:
	s_mov_b64 s[48:49], -1
                                        ; implicit-def: $vgpr0
.LBB118_1173:
	s_andn2_b64 vcc, exec, s[48:49]
	s_cbranch_vccnz .LBB118_1175
; %bb.1174:
	global_load_ushort v0, v[2:3], off
.LBB118_1175:
	s_mov_b64 s[48:49], 0
.LBB118_1176:
	s_andn2_b64 vcc, exec, s[48:49]
	s_cbranch_vccnz .LBB118_1182
; %bb.1177:
	global_load_ubyte v1, v[2:3], off
	s_movk_i32 s48, 0x7f
	s_mov_b64 s[50:51], 0
	s_waitcnt vmcnt(0)
	v_cmp_lt_i16_e32 vcc, s48, v1
	s_and_saveexec_b64 s[48:49], vcc
	s_xor_b64 s[48:49], exec, s[48:49]
	s_cbranch_execz .LBB118_1194
; %bb.1178:
	s_movk_i32 s50, 0x80
	v_cmp_ne_u16_e32 vcc, s50, v1
	s_and_b64 s[50:51], vcc, exec
	s_andn2_saveexec_b64 s[48:49], s[48:49]
	s_cbranch_execnz .LBB118_1195
.LBB118_1179:
	s_or_b64 exec, exec, s[48:49]
	v_mov_b32_e32 v0, 0
	s_and_saveexec_b64 s[48:49], s[50:51]
	s_cbranch_execz .LBB118_1181
.LBB118_1180:
	v_lshlrev_b32_e32 v0, 24, v1
	v_and_b32_e32 v1, 0xffff, v1
	v_and_b32_e32 v4, 7, v1
	v_ffbh_u32_e32 v6, v4
	v_min_u32_e32 v6, 32, v6
	v_subrev_u32_e32 v7, 28, v6
	v_bfe_u32 v5, v1, 3, 4
	v_lshlrev_b32_e32 v1, v7, v1
	v_sub_u32_e32 v6, 29, v6
	v_and_b32_e32 v1, 7, v1
	v_cmp_eq_u32_e32 vcc, 0, v5
	v_cndmask_b32_e32 v5, v5, v6, vcc
	v_cndmask_b32_e32 v1, v4, v1, vcc
	v_mov_b32_e32 v4, 0x3b800000
	v_lshlrev_b32_e32 v1, 20, v1
	v_and_b32_e32 v0, 0x80000000, v0
	v_lshl_add_u32 v4, v5, 23, v4
	v_or3_b32 v0, v0, v4, v1
	v_cvt_i32_f32_e32 v0, v0
.LBB118_1181:
	s_or_b64 exec, exec, s[48:49]
.LBB118_1182:
	s_mov_b64 s[48:49], -1
.LBB118_1183:
	s_mov_b64 s[50:51], 0
.LBB118_1184:
	s_and_b64 vcc, exec, s[50:51]
	s_cbranch_vccz .LBB118_1215
; %bb.1185:
	s_cmp_gt_i32 s52, 22
	s_cbranch_scc0 .LBB118_1193
; %bb.1186:
	s_cmp_lt_i32 s52, 24
	s_cbranch_scc1 .LBB118_1196
; %bb.1187:
	s_cmp_gt_i32 s52, 24
	s_cbranch_scc0 .LBB118_1197
; %bb.1188:
	global_load_ubyte v1, v[2:3], off
	s_movk_i32 s46, 0x7f
	s_mov_b64 s[48:49], 0
	s_waitcnt vmcnt(0)
	v_cmp_lt_i16_e32 vcc, s46, v1
	s_and_saveexec_b64 s[46:47], vcc
	s_xor_b64 s[46:47], exec, s[46:47]
	s_cbranch_execz .LBB118_1209
; %bb.1189:
	s_movk_i32 s48, 0x80
	v_cmp_ne_u16_e32 vcc, s48, v1
	s_and_b64 s[48:49], vcc, exec
	s_andn2_saveexec_b64 s[46:47], s[46:47]
	s_cbranch_execnz .LBB118_1210
.LBB118_1190:
	s_or_b64 exec, exec, s[46:47]
	v_mov_b32_e32 v0, 0
	s_and_saveexec_b64 s[46:47], s[48:49]
	s_cbranch_execz .LBB118_1192
.LBB118_1191:
	v_lshlrev_b32_e32 v0, 24, v1
	v_and_b32_e32 v1, 0xffff, v1
	v_and_b32_e32 v4, 3, v1
	v_ffbh_u32_e32 v6, v4
	v_min_u32_e32 v6, 32, v6
	v_subrev_u32_e32 v7, 29, v6
	v_bfe_u32 v5, v1, 2, 5
	v_lshlrev_b32_e32 v1, v7, v1
	v_sub_u32_e32 v6, 30, v6
	v_and_b32_e32 v1, 3, v1
	v_cmp_eq_u32_e32 vcc, 0, v5
	v_cndmask_b32_e32 v5, v5, v6, vcc
	v_cndmask_b32_e32 v1, v4, v1, vcc
	v_mov_b32_e32 v4, 0x37800000
	v_lshlrev_b32_e32 v1, 21, v1
	v_and_b32_e32 v0, 0x80000000, v0
	v_lshl_add_u32 v4, v5, 23, v4
	v_or3_b32 v0, v0, v4, v1
	v_cvt_i32_f32_e32 v0, v0
.LBB118_1192:
	s_or_b64 exec, exec, s[46:47]
	s_mov_b64 s[46:47], 0
	s_branch .LBB118_1198
.LBB118_1193:
	s_mov_b64 s[46:47], -1
                                        ; implicit-def: $vgpr0
	s_branch .LBB118_1204
.LBB118_1194:
	s_andn2_saveexec_b64 s[48:49], s[48:49]
	s_cbranch_execz .LBB118_1179
.LBB118_1195:
	v_cmp_ne_u16_e32 vcc, 0, v1
	s_andn2_b64 s[50:51], s[50:51], exec
	s_and_b64 s[54:55], vcc, exec
	s_or_b64 s[50:51], s[50:51], s[54:55]
	s_or_b64 exec, exec, s[48:49]
	v_mov_b32_e32 v0, 0
	s_and_saveexec_b64 s[48:49], s[50:51]
	s_cbranch_execnz .LBB118_1180
	s_branch .LBB118_1181
.LBB118_1196:
	s_mov_b64 s[46:47], -1
                                        ; implicit-def: $vgpr0
	s_branch .LBB118_1201
.LBB118_1197:
	s_mov_b64 s[46:47], -1
                                        ; implicit-def: $vgpr0
.LBB118_1198:
	s_and_b64 vcc, exec, s[46:47]
	s_cbranch_vccz .LBB118_1200
; %bb.1199:
	global_load_ubyte v0, v[2:3], off
	s_mov_b32 s46, 0x7f800000
	s_waitcnt vmcnt(0)
	v_lshlrev_b32_e32 v0, 24, v0
	v_and_b32_e32 v1, 0x7f000000, v0
	v_ffbh_u32_e32 v4, v1
	v_min_u32_e32 v4, 32, v4
	v_sub_u32_e64 v4, v4, 4 clamp
	v_lshlrev_b32_e32 v6, v4, v1
	v_lshlrev_b32_e32 v4, 23, v4
	v_lshrrev_b32_e32 v6, 4, v6
	v_add_u32_e32 v5, 0x1000000, v1
	v_sub_u32_e32 v4, v6, v4
	v_ashrrev_i32_e32 v5, 8, v5
	v_add_u32_e32 v4, 0x3c000000, v4
	v_and_or_b32 v4, v5, s46, v4
	v_cmp_ne_u32_e32 vcc, 0, v1
	v_cndmask_b32_e32 v1, 0, v4, vcc
	s_brev_b32 s46, 1
	v_and_or_b32 v0, v0, s46, v1
	v_cvt_i32_f32_e32 v0, v0
.LBB118_1200:
	s_mov_b64 s[46:47], 0
.LBB118_1201:
	s_andn2_b64 vcc, exec, s[46:47]
	s_cbranch_vccnz .LBB118_1203
; %bb.1202:
	global_load_ubyte v0, v[2:3], off
	s_movk_i32 s46, 0x7f00
	s_brev_b32 s47, 16
	s_waitcnt vmcnt(0)
	v_lshlrev_b16_e32 v1, 8, v0
	v_lshlrev_b32_e32 v0, 25, v0
	v_lshrrev_b32_e32 v4, 4, v0
	v_and_or_b32 v5, v1, s46, 0.5
	v_or_b32_e32 v4, 0x70000000, v4
	v_add_f32_e32 v5, -0.5, v5
	v_mul_f32_e32 v4, 0x7800000, v4
	v_cmp_gt_u32_e32 vcc, s47, v0
	v_bfe_i32 v1, v1, 0, 16
	v_cndmask_b32_e32 v0, v4, v5, vcc
	s_brev_b32 s46, 1
	v_and_or_b32 v0, v1, s46, v0
	v_cvt_i32_f32_e32 v0, v0
.LBB118_1203:
	s_mov_b64 s[46:47], 0
	s_mov_b64 s[48:49], -1
.LBB118_1204:
	s_andn2_b64 vcc, exec, s[46:47]
	s_mov_b64 s[46:47], 0
	s_cbranch_vccnz .LBB118_1215
; %bb.1205:
	s_cmp_gt_i32 s52, 14
	s_cbranch_scc0 .LBB118_1208
; %bb.1206:
	s_cmp_eq_u32 s52, 15
	s_cbranch_scc0 .LBB118_1211
; %bb.1207:
	global_load_ushort v0, v[2:3], off
	s_mov_b64 s[44:45], 0
	s_mov_b64 s[48:49], -1
	s_waitcnt vmcnt(0)
	v_lshlrev_b32_e32 v0, 16, v0
	v_cvt_i32_f32_e32 v0, v0
	s_branch .LBB118_1212
.LBB118_1208:
	s_mov_b64 s[50:51], -1
                                        ; implicit-def: $vgpr0
	s_branch .LBB118_1213
.LBB118_1209:
	s_andn2_saveexec_b64 s[46:47], s[46:47]
	s_cbranch_execz .LBB118_1190
.LBB118_1210:
	v_cmp_ne_u16_e32 vcc, 0, v1
	s_andn2_b64 s[48:49], s[48:49], exec
	s_and_b64 s[50:51], vcc, exec
	s_or_b64 s[48:49], s[48:49], s[50:51]
	s_or_b64 exec, exec, s[46:47]
	v_mov_b32_e32 v0, 0
	s_and_saveexec_b64 s[46:47], s[48:49]
	s_cbranch_execnz .LBB118_1191
	s_branch .LBB118_1192
.LBB118_1211:
	s_mov_b64 s[44:45], -1
                                        ; implicit-def: $vgpr0
.LBB118_1212:
	s_mov_b64 s[50:51], 0
.LBB118_1213:
	s_and_b64 vcc, exec, s[50:51]
	s_cbranch_vccz .LBB118_1215
; %bb.1214:
	s_cmp_lg_u32 s52, 11
	s_cselect_b64 s[50:51], -1, 0
	s_andn2_b64 s[44:45], s[44:45], exec
	s_and_b64 s[50:51], s[50:51], exec
	s_mov_b64 s[46:47], -1
	s_or_b64 s[44:45], s[44:45], s[50:51]
.LBB118_1215:
	s_mov_b64 s[50:51], 0
.LBB118_1216:
	s_and_b64 s[54:55], s[48:49], exec
	s_and_b64 s[48:49], s[46:47], exec
	s_andn2_b64 s[46:47], s[0:1], exec
	s_and_b64 s[44:45], s[44:45], exec
	s_and_b64 s[52:53], s[50:51], exec
	s_or_b64 s[50:51], s[46:47], s[44:45]
.LBB118_1217:
	s_or_b64 exec, exec, s[38:39]
	s_and_b64 s[44:45], s[48:49], exec
	s_andn2_b64 s[0:1], s[0:1], exec
	s_and_b64 s[48:49], s[50:51], exec
	s_and_b64 s[46:47], s[54:55], exec
	;; [unrolled: 1-line block ×3, first 2 shown]
	s_or_b64 s[0:1], s[0:1], s[48:49]
.LBB118_1218:
	s_or_b64 exec, exec, s[36:37]
	s_andn2_b64 s[30:31], s[30:31], exec
	s_and_b64 s[36:37], s[42:43], exec
	s_or_b64 s[30:31], s[30:31], s[36:37]
	s_andn2_b64 s[28:29], s[28:29], exec
	s_and_b64 s[36:37], s[40:41], exec
	s_andn2_b64 s[26:27], s[26:27], exec
	s_and_b64 s[0:1], s[0:1], exec
	s_or_b64 s[28:29], s[28:29], s[36:37]
	s_and_b64 s[40:41], s[46:47], exec
	s_and_b64 s[38:39], s[38:39], exec
	s_and_b64 s[36:37], s[44:45], exec
	s_or_b64 s[26:27], s[26:27], s[0:1]
.LBB118_1219:
	s_or_b64 exec, exec, s[34:35]
	s_andn2_b64 s[0:1], s[18:19], exec
	s_and_b64 s[18:19], s[30:31], exec
	s_or_b64 s[18:19], s[0:1], s[18:19]
	s_andn2_b64 s[0:1], s[20:21], exec
	s_and_b64 s[20:21], s[28:29], exec
	s_or_b64 s[20:21], s[0:1], s[20:21]
	s_andn2_b64 s[0:1], s[22:23], exec
	s_and_b64 s[22:23], s[26:27], exec
	s_and_b64 s[30:31], s[40:41], exec
	;; [unrolled: 1-line block ×4, first 2 shown]
	s_or_b64 s[22:23], s[0:1], s[22:23]
	s_or_b64 exec, exec, s[24:25]
	s_mov_b64 s[24:25], 0
	s_and_saveexec_b64 s[0:1], s[22:23]
	s_cbranch_execz .LBB118_385
.LBB118_1220:
	s_mov_b64 s[24:25], exec
	s_andn2_b64 s[28:29], s[28:29], exec
	s_trap 2
	s_or_b64 exec, exec, s[0:1]
	s_and_saveexec_b64 s[0:1], s[28:29]
	s_xor_b64 s[0:1], exec, s[0:1]
	s_cbranch_execnz .LBB118_386
.LBB118_1221:
	s_or_b64 exec, exec, s[0:1]
	s_and_saveexec_b64 s[0:1], s[34:35]
	s_cbranch_execz .LBB118_1267
.LBB118_1222:
	s_sext_i32_i16 s22, s57
	s_cmp_lt_i32 s22, 5
	s_cbranch_scc1 .LBB118_1227
; %bb.1223:
	s_cmp_lt_i32 s22, 8
	s_cbranch_scc1 .LBB118_1228
; %bb.1224:
	;; [unrolled: 3-line block ×3, first 2 shown]
	s_cmp_gt_i32 s22, 9
	s_cbranch_scc0 .LBB118_1230
; %bb.1226:
	s_waitcnt vmcnt(0)
	global_load_dwordx2 v[0:1], v[2:3], off
	s_mov_b64 s[22:23], 0
	s_waitcnt vmcnt(0)
	v_cvt_i32_f64_e32 v0, v[0:1]
	s_branch .LBB118_1231
.LBB118_1227:
                                        ; implicit-def: $vgpr0
	s_branch .LBB118_1248
.LBB118_1228:
                                        ; implicit-def: $vgpr0
	s_branch .LBB118_1237
.LBB118_1229:
	s_mov_b64 s[22:23], -1
                                        ; implicit-def: $vgpr0
	s_branch .LBB118_1234
.LBB118_1230:
	s_mov_b64 s[22:23], -1
                                        ; implicit-def: $vgpr0
.LBB118_1231:
	s_andn2_b64 vcc, exec, s[22:23]
	s_cbranch_vccnz .LBB118_1233
; %bb.1232:
	s_waitcnt vmcnt(0)
	global_load_dword v0, v[2:3], off
	s_waitcnt vmcnt(0)
	v_cvt_i32_f32_e32 v0, v0
.LBB118_1233:
	s_mov_b64 s[22:23], 0
.LBB118_1234:
	s_andn2_b64 vcc, exec, s[22:23]
	s_cbranch_vccnz .LBB118_1236
; %bb.1235:
	s_waitcnt vmcnt(0)
	global_load_dword v0, v[2:3], off
	s_waitcnt vmcnt(0)
	v_cvt_i16_f16_e32 v0, v0
.LBB118_1236:
	s_cbranch_execnz .LBB118_1247
.LBB118_1237:
	s_sext_i32_i16 s22, s57
	s_cmp_lt_i32 s22, 6
	s_cbranch_scc1 .LBB118_1240
; %bb.1238:
	s_cmp_gt_i32 s22, 6
	s_cbranch_scc0 .LBB118_1241
; %bb.1239:
	s_waitcnt vmcnt(0)
	global_load_dwordx2 v[0:1], v[2:3], off
	s_mov_b64 s[22:23], 0
	s_waitcnt vmcnt(0)
	v_cvt_i32_f64_e32 v0, v[0:1]
	s_branch .LBB118_1242
.LBB118_1240:
	s_mov_b64 s[22:23], -1
                                        ; implicit-def: $vgpr0
	s_branch .LBB118_1245
.LBB118_1241:
	s_mov_b64 s[22:23], -1
                                        ; implicit-def: $vgpr0
.LBB118_1242:
	s_andn2_b64 vcc, exec, s[22:23]
	s_cbranch_vccnz .LBB118_1244
; %bb.1243:
	s_waitcnt vmcnt(0)
	global_load_dword v0, v[2:3], off
	s_waitcnt vmcnt(0)
	v_cvt_i32_f32_e32 v0, v0
.LBB118_1244:
	s_mov_b64 s[22:23], 0
.LBB118_1245:
	s_andn2_b64 vcc, exec, s[22:23]
	s_cbranch_vccnz .LBB118_1247
; %bb.1246:
	s_waitcnt vmcnt(0)
	global_load_ushort v0, v[2:3], off
	s_waitcnt vmcnt(0)
	v_cvt_i16_f16_e32 v0, v0
.LBB118_1247:
	s_cbranch_execnz .LBB118_1266
.LBB118_1248:
	s_sext_i32_i16 s22, s57
	s_cmp_lt_i32 s22, 2
	s_cbranch_scc1 .LBB118_1252
; %bb.1249:
	s_cmp_lt_i32 s22, 3
	s_cbranch_scc1 .LBB118_1253
; %bb.1250:
	s_cmp_gt_i32 s22, 3
	s_cbranch_scc0 .LBB118_1254
; %bb.1251:
	s_waitcnt vmcnt(0)
	global_load_dwordx2 v[0:1], v[2:3], off
	s_mov_b64 s[22:23], 0
	s_branch .LBB118_1255
.LBB118_1252:
                                        ; implicit-def: $vgpr0
	s_branch .LBB118_1261
.LBB118_1253:
	s_mov_b64 s[22:23], -1
                                        ; implicit-def: $vgpr0
	s_branch .LBB118_1258
.LBB118_1254:
	s_mov_b64 s[22:23], -1
                                        ; implicit-def: $vgpr0
.LBB118_1255:
	s_andn2_b64 vcc, exec, s[22:23]
	s_cbranch_vccnz .LBB118_1257
; %bb.1256:
	s_waitcnt vmcnt(0)
	global_load_dword v0, v[2:3], off
.LBB118_1257:
	s_mov_b64 s[22:23], 0
.LBB118_1258:
	s_andn2_b64 vcc, exec, s[22:23]
	s_cbranch_vccnz .LBB118_1260
; %bb.1259:
	s_waitcnt vmcnt(0)
	global_load_ushort v0, v[2:3], off
.LBB118_1260:
	s_cbranch_execnz .LBB118_1266
.LBB118_1261:
	s_sext_i32_i16 s22, s57
	s_cmp_gt_i32 s22, 0
	s_cbranch_scc0 .LBB118_1263
; %bb.1262:
	s_waitcnt vmcnt(0)
	global_load_sbyte v0, v[2:3], off
	s_mov_b64 s[22:23], 0
	s_branch .LBB118_1264
.LBB118_1263:
	s_mov_b64 s[22:23], -1
                                        ; implicit-def: $vgpr0
.LBB118_1264:
	s_andn2_b64 vcc, exec, s[22:23]
	s_cbranch_vccnz .LBB118_1266
; %bb.1265:
	s_waitcnt vmcnt(0)
	global_load_ubyte v0, v[2:3], off
.LBB118_1266:
	s_or_b64 s[30:31], s[30:31], exec
.LBB118_1267:
	s_or_b64 exec, exec, s[0:1]
	s_mov_b64 s[28:29], 0
	s_mov_b64 s[34:35], 0
	;; [unrolled: 1-line block ×3, first 2 shown]
                                        ; implicit-def: $sgpr36
                                        ; implicit-def: $vgpr1_vgpr2
                                        ; implicit-def: $vgpr3
	s_and_saveexec_b64 s[0:1], s[30:31]
	s_cbranch_execz .LBB118_1275
; %bb.1268:
	s_waitcnt vmcnt(0)
	v_mul_lo_u32 v1, v14, s14
	v_mov_b32_e32 v2, s17
	s_and_b32 s36, s15, 0xff
	s_cmp_lt_i32 s36, 11
	v_ashrrev_i32_e32 v3, 31, v1
	v_add_co_u32_e32 v1, vcc, s16, v1
	v_addc_co_u32_e32 v2, vcc, v2, v3, vcc
	s_cbranch_scc1 .LBB118_1278
; %bb.1269:
	s_and_b32 s34, 0xffff, s36
	s_cmp_gt_i32 s34, 25
	s_cbranch_scc0 .LBB118_1279
; %bb.1270:
	s_cmp_gt_i32 s34, 28
	s_cbranch_scc0 .LBB118_1280
; %bb.1271:
	;; [unrolled: 3-line block ×4, first 2 shown]
	s_cmp_eq_u32 s34, 46
	s_mov_b64 s[30:31], 0
	s_cbranch_scc0 .LBB118_1283
; %bb.1274:
	global_load_dword v3, v[1:2], off
	s_mov_b64 s[22:23], 0
	s_mov_b64 s[26:27], -1
	s_waitcnt vmcnt(0)
	v_lshlrev_b32_e32 v3, 16, v3
	v_cvt_i32_f32_e32 v3, v3
	s_branch .LBB118_1285
.LBB118_1275:
	s_or_b64 exec, exec, s[0:1]
	s_and_saveexec_b64 s[0:1], s[20:21]
	s_cbranch_execnz .LBB118_1344
.LBB118_1276:
	s_or_b64 exec, exec, s[0:1]
	s_and_saveexec_b64 s[0:1], s[28:29]
	s_xor_b64 s[0:1], exec, s[0:1]
	s_cbranch_execz .LBB118_1345
.LBB118_1277:
	s_waitcnt vmcnt(0)
	global_load_ubyte v3, v[1:2], off
	s_or_b64 s[26:27], s[26:27], exec
	s_waitcnt vmcnt(0)
	v_cmp_ne_u16_e32 vcc, 0, v3
	v_cndmask_b32_e64 v3, 0, 1, vcc
	s_or_b64 exec, exec, s[0:1]
	s_and_saveexec_b64 s[0:1], s[34:35]
	s_cbranch_execz .LBB118_1391
	s_branch .LBB118_1346
.LBB118_1278:
	s_mov_b64 s[30:31], -1
                                        ; implicit-def: $vgpr3
	s_mov_b64 s[22:23], s[20:21]
	s_branch .LBB118_1343
.LBB118_1279:
	s_mov_b64 s[22:23], s[20:21]
                                        ; implicit-def: $vgpr3
	s_cbranch_execnz .LBB118_1312
	s_branch .LBB118_1342
.LBB118_1280:
	s_mov_b64 s[30:31], -1
	s_mov_b64 s[22:23], s[20:21]
                                        ; implicit-def: $vgpr3
	s_branch .LBB118_1295
.LBB118_1281:
	s_mov_b64 s[30:31], -1
	s_mov_b64 s[22:23], s[20:21]
                                        ; implicit-def: $vgpr3
	s_branch .LBB118_1290
.LBB118_1282:
	s_mov_b64 s[30:31], -1
	s_mov_b64 s[22:23], s[20:21]
	s_branch .LBB118_1284
.LBB118_1283:
	s_mov_b64 s[22:23], -1
.LBB118_1284:
                                        ; implicit-def: $vgpr3
.LBB118_1285:
	s_and_b64 vcc, exec, s[30:31]
	s_cbranch_vccz .LBB118_1289
; %bb.1286:
	s_cmp_eq_u32 s34, 44
	s_cbranch_scc0 .LBB118_1288
; %bb.1287:
	global_load_ubyte v3, v[1:2], off
	s_mov_b64 s[22:23], 0
	s_mov_b64 s[26:27], -1
	s_waitcnt vmcnt(0)
	v_lshlrev_b32_e32 v4, 23, v3
	v_cvt_i32_f32_e32 v4, v4
	v_cmp_ne_u32_e32 vcc, 0, v3
	v_cndmask_b32_e32 v3, 0, v4, vcc
	s_branch .LBB118_1289
.LBB118_1288:
	s_mov_b64 s[22:23], -1
                                        ; implicit-def: $vgpr3
.LBB118_1289:
	s_mov_b64 s[30:31], 0
.LBB118_1290:
	s_and_b64 vcc, exec, s[30:31]
	s_cbranch_vccz .LBB118_1294
; %bb.1291:
	s_cmp_eq_u32 s34, 29
	s_cbranch_scc0 .LBB118_1293
; %bb.1292:
	global_load_dwordx2 v[3:4], v[1:2], off
	s_mov_b64 s[22:23], 0
	s_mov_b64 s[26:27], -1
	s_branch .LBB118_1294
.LBB118_1293:
	s_mov_b64 s[22:23], -1
                                        ; implicit-def: $vgpr3
.LBB118_1294:
	s_mov_b64 s[30:31], 0
.LBB118_1295:
	s_and_b64 vcc, exec, s[30:31]
	s_cbranch_vccz .LBB118_1311
; %bb.1296:
	s_cmp_lt_i32 s34, 27
	s_cbranch_scc1 .LBB118_1299
; %bb.1297:
	s_cmp_gt_i32 s34, 27
	s_cbranch_scc0 .LBB118_1300
; %bb.1298:
	global_load_dword v3, v[1:2], off
	s_mov_b64 s[26:27], 0
	s_branch .LBB118_1301
.LBB118_1299:
	s_mov_b64 s[26:27], -1
                                        ; implicit-def: $vgpr3
	s_branch .LBB118_1304
.LBB118_1300:
	s_mov_b64 s[26:27], -1
                                        ; implicit-def: $vgpr3
.LBB118_1301:
	s_andn2_b64 vcc, exec, s[26:27]
	s_cbranch_vccnz .LBB118_1303
; %bb.1302:
	global_load_ushort v3, v[1:2], off
.LBB118_1303:
	s_mov_b64 s[26:27], 0
.LBB118_1304:
	s_andn2_b64 vcc, exec, s[26:27]
	s_cbranch_vccnz .LBB118_1310
; %bb.1305:
	global_load_ubyte v4, v[1:2], off
	s_movk_i32 s26, 0x7f
	s_mov_b64 s[30:31], 0
	s_waitcnt vmcnt(0)
	v_cmp_lt_i16_e32 vcc, s26, v4
	s_and_saveexec_b64 s[26:27], vcc
	s_xor_b64 s[26:27], exec, s[26:27]
	s_cbranch_execz .LBB118_1321
; %bb.1306:
	s_movk_i32 s30, 0x80
	v_cmp_ne_u16_e32 vcc, s30, v4
	s_and_b64 s[30:31], vcc, exec
	s_andn2_saveexec_b64 s[26:27], s[26:27]
	s_cbranch_execnz .LBB118_1322
.LBB118_1307:
	s_or_b64 exec, exec, s[26:27]
	v_mov_b32_e32 v3, 0
	s_and_saveexec_b64 s[26:27], s[30:31]
	s_cbranch_execz .LBB118_1309
.LBB118_1308:
	v_lshlrev_b32_e32 v3, 24, v4
	v_and_b32_e32 v4, 0xffff, v4
	v_and_b32_e32 v5, 7, v4
	v_ffbh_u32_e32 v7, v5
	v_min_u32_e32 v7, 32, v7
	v_subrev_u32_e32 v8, 28, v7
	v_bfe_u32 v6, v4, 3, 4
	v_lshlrev_b32_e32 v4, v8, v4
	v_sub_u32_e32 v7, 29, v7
	v_and_b32_e32 v4, 7, v4
	v_cmp_eq_u32_e32 vcc, 0, v6
	v_cndmask_b32_e32 v6, v6, v7, vcc
	v_cndmask_b32_e32 v4, v5, v4, vcc
	v_mov_b32_e32 v5, 0x3b800000
	v_lshlrev_b32_e32 v4, 20, v4
	v_and_b32_e32 v3, 0x80000000, v3
	v_lshl_add_u32 v5, v6, 23, v5
	v_or3_b32 v3, v3, v5, v4
	v_cvt_i32_f32_e32 v3, v3
.LBB118_1309:
	s_or_b64 exec, exec, s[26:27]
.LBB118_1310:
	s_mov_b64 s[26:27], -1
.LBB118_1311:
	s_branch .LBB118_1342
.LBB118_1312:
	s_cmp_gt_i32 s34, 22
	s_cbranch_scc0 .LBB118_1320
; %bb.1313:
	s_cmp_lt_i32 s34, 24
	s_cbranch_scc1 .LBB118_1323
; %bb.1314:
	s_cmp_gt_i32 s34, 24
	s_cbranch_scc0 .LBB118_1324
; %bb.1315:
	global_load_ubyte v4, v[1:2], off
	s_movk_i32 s26, 0x7f
	s_waitcnt vmcnt(0)
	v_cmp_lt_i16_e32 vcc, s26, v4
	s_and_saveexec_b64 s[26:27], vcc
	s_xor_b64 s[26:27], exec, s[26:27]
	s_cbranch_execz .LBB118_1336
; %bb.1316:
	s_movk_i32 s28, 0x80
	v_cmp_ne_u16_e32 vcc, s28, v4
	s_and_b64 s[28:29], vcc, exec
	s_andn2_saveexec_b64 s[26:27], s[26:27]
	s_cbranch_execnz .LBB118_1337
.LBB118_1317:
	s_or_b64 exec, exec, s[26:27]
	v_mov_b32_e32 v3, 0
	s_and_saveexec_b64 s[26:27], s[28:29]
	s_cbranch_execz .LBB118_1319
.LBB118_1318:
	v_lshlrev_b32_e32 v3, 24, v4
	v_and_b32_e32 v4, 0xffff, v4
	v_and_b32_e32 v5, 3, v4
	v_ffbh_u32_e32 v7, v5
	v_min_u32_e32 v7, 32, v7
	v_subrev_u32_e32 v8, 29, v7
	v_bfe_u32 v6, v4, 2, 5
	v_lshlrev_b32_e32 v4, v8, v4
	v_sub_u32_e32 v7, 30, v7
	v_and_b32_e32 v4, 3, v4
	v_cmp_eq_u32_e32 vcc, 0, v6
	v_cndmask_b32_e32 v6, v6, v7, vcc
	v_cndmask_b32_e32 v4, v5, v4, vcc
	v_mov_b32_e32 v5, 0x37800000
	v_lshlrev_b32_e32 v4, 21, v4
	v_and_b32_e32 v3, 0x80000000, v3
	v_lshl_add_u32 v5, v6, 23, v5
	v_or3_b32 v3, v3, v5, v4
	v_cvt_i32_f32_e32 v3, v3
.LBB118_1319:
	s_or_b64 exec, exec, s[26:27]
	s_mov_b64 s[26:27], 0
	s_branch .LBB118_1325
.LBB118_1320:
	s_mov_b64 s[28:29], -1
                                        ; implicit-def: $vgpr3
	s_branch .LBB118_1331
.LBB118_1321:
	s_andn2_saveexec_b64 s[26:27], s[26:27]
	s_cbranch_execz .LBB118_1307
.LBB118_1322:
	v_cmp_ne_u16_e32 vcc, 0, v4
	s_andn2_b64 s[30:31], s[30:31], exec
	s_and_b64 s[38:39], vcc, exec
	s_or_b64 s[30:31], s[30:31], s[38:39]
	s_or_b64 exec, exec, s[26:27]
	v_mov_b32_e32 v3, 0
	s_and_saveexec_b64 s[26:27], s[30:31]
	s_cbranch_execnz .LBB118_1308
	s_branch .LBB118_1309
.LBB118_1323:
	s_mov_b64 s[26:27], -1
                                        ; implicit-def: $vgpr3
	s_branch .LBB118_1328
.LBB118_1324:
	s_mov_b64 s[26:27], -1
                                        ; implicit-def: $vgpr3
.LBB118_1325:
	s_and_b64 vcc, exec, s[26:27]
	s_cbranch_vccz .LBB118_1327
; %bb.1326:
	global_load_ubyte v3, v[1:2], off
	s_mov_b32 s26, 0x7f800000
	s_waitcnt vmcnt(0)
	v_lshlrev_b32_e32 v3, 24, v3
	v_and_b32_e32 v4, 0x7f000000, v3
	v_ffbh_u32_e32 v5, v4
	v_min_u32_e32 v5, 32, v5
	v_sub_u32_e64 v5, v5, 4 clamp
	v_lshlrev_b32_e32 v7, v5, v4
	v_lshlrev_b32_e32 v5, 23, v5
	v_lshrrev_b32_e32 v7, 4, v7
	v_add_u32_e32 v6, 0x1000000, v4
	v_sub_u32_e32 v5, v7, v5
	v_ashrrev_i32_e32 v6, 8, v6
	v_add_u32_e32 v5, 0x3c000000, v5
	v_and_or_b32 v5, v6, s26, v5
	v_cmp_ne_u32_e32 vcc, 0, v4
	v_cndmask_b32_e32 v4, 0, v5, vcc
	s_brev_b32 s26, 1
	v_and_or_b32 v3, v3, s26, v4
	v_cvt_i32_f32_e32 v3, v3
.LBB118_1327:
	s_mov_b64 s[26:27], 0
.LBB118_1328:
	s_andn2_b64 vcc, exec, s[26:27]
	s_cbranch_vccnz .LBB118_1330
; %bb.1329:
	global_load_ubyte v3, v[1:2], off
	s_movk_i32 s26, 0x7f00
	s_brev_b32 s27, 16
	s_waitcnt vmcnt(0)
	v_lshlrev_b16_e32 v4, 8, v3
	v_lshlrev_b32_e32 v3, 25, v3
	v_lshrrev_b32_e32 v5, 4, v3
	v_and_or_b32 v6, v4, s26, 0.5
	v_or_b32_e32 v5, 0x70000000, v5
	v_add_f32_e32 v6, -0.5, v6
	v_mul_f32_e32 v5, 0x7800000, v5
	v_cmp_gt_u32_e32 vcc, s27, v3
	v_bfe_i32 v4, v4, 0, 16
	v_cndmask_b32_e32 v3, v5, v6, vcc
	s_brev_b32 s26, 1
	v_and_or_b32 v3, v4, s26, v3
	v_cvt_i32_f32_e32 v3, v3
.LBB118_1330:
	s_mov_b64 s[28:29], 0
	s_mov_b64 s[26:27], -1
.LBB118_1331:
	s_andn2_b64 vcc, exec, s[28:29]
	s_mov_b64 s[28:29], 0
	s_cbranch_vccnz .LBB118_1342
; %bb.1332:
	s_cmp_gt_i32 s34, 14
	s_cbranch_scc0 .LBB118_1335
; %bb.1333:
	s_cmp_eq_u32 s34, 15
	s_cbranch_scc0 .LBB118_1338
; %bb.1334:
	global_load_ushort v3, v[1:2], off
	s_mov_b64 s[22:23], 0
	s_mov_b64 s[26:27], -1
	s_waitcnt vmcnt(0)
	v_lshlrev_b32_e32 v3, 16, v3
	v_cvt_i32_f32_e32 v3, v3
	s_branch .LBB118_1339
.LBB118_1335:
	s_mov_b64 s[30:31], -1
                                        ; implicit-def: $vgpr3
	s_branch .LBB118_1340
.LBB118_1336:
	s_andn2_saveexec_b64 s[26:27], s[26:27]
	s_cbranch_execz .LBB118_1317
.LBB118_1337:
	v_cmp_ne_u16_e32 vcc, 0, v4
	s_andn2_b64 s[28:29], s[28:29], exec
	s_and_b64 s[30:31], vcc, exec
	s_or_b64 s[28:29], s[28:29], s[30:31]
	s_or_b64 exec, exec, s[26:27]
	v_mov_b32_e32 v3, 0
	s_and_saveexec_b64 s[26:27], s[28:29]
	s_cbranch_execnz .LBB118_1318
	s_branch .LBB118_1319
.LBB118_1338:
	s_mov_b64 s[22:23], -1
                                        ; implicit-def: $vgpr3
.LBB118_1339:
	s_mov_b64 s[30:31], 0
.LBB118_1340:
	s_and_b64 vcc, exec, s[30:31]
	s_cbranch_vccz .LBB118_1342
; %bb.1341:
	s_cmp_lg_u32 s34, 11
	s_cselect_b64 s[30:31], -1, 0
	s_andn2_b64 s[22:23], s[22:23], exec
	s_and_b64 s[30:31], s[30:31], exec
	s_mov_b64 s[28:29], -1
	s_or_b64 s[22:23], s[22:23], s[30:31]
.LBB118_1342:
	s_mov_b64 s[30:31], 0
.LBB118_1343:
	s_andn2_b64 s[20:21], s[20:21], exec
	s_and_b64 s[22:23], s[22:23], exec
	s_and_b64 s[26:27], s[26:27], exec
	;; [unrolled: 1-line block ×4, first 2 shown]
	s_or_b64 s[20:21], s[20:21], s[22:23]
	s_or_b64 exec, exec, s[0:1]
	s_and_saveexec_b64 s[0:1], s[20:21]
	s_cbranch_execz .LBB118_1276
.LBB118_1344:
	s_or_b64 s[24:25], s[24:25], exec
	s_andn2_b64 s[28:29], s[28:29], exec
	s_trap 2
	s_or_b64 exec, exec, s[0:1]
	s_and_saveexec_b64 s[0:1], s[28:29]
	s_xor_b64 s[0:1], exec, s[0:1]
	s_cbranch_execnz .LBB118_1277
.LBB118_1345:
	s_or_b64 exec, exec, s[0:1]
	s_and_saveexec_b64 s[0:1], s[34:35]
	s_cbranch_execz .LBB118_1391
.LBB118_1346:
	s_sext_i32_i16 s20, s36
	s_cmp_lt_i32 s20, 5
	s_cbranch_scc1 .LBB118_1351
; %bb.1347:
	s_cmp_lt_i32 s20, 8
	s_cbranch_scc1 .LBB118_1352
; %bb.1348:
	;; [unrolled: 3-line block ×3, first 2 shown]
	s_cmp_gt_i32 s20, 9
	s_cbranch_scc0 .LBB118_1354
; %bb.1350:
	s_waitcnt vmcnt(0)
	global_load_dwordx2 v[3:4], v[1:2], off
	s_mov_b64 s[20:21], 0
	s_waitcnt vmcnt(0)
	v_cvt_i32_f64_e32 v3, v[3:4]
	s_branch .LBB118_1355
.LBB118_1351:
                                        ; implicit-def: $vgpr3
	s_branch .LBB118_1372
.LBB118_1352:
                                        ; implicit-def: $vgpr3
	s_branch .LBB118_1361
.LBB118_1353:
	s_mov_b64 s[20:21], -1
                                        ; implicit-def: $vgpr3
	s_branch .LBB118_1358
.LBB118_1354:
	s_mov_b64 s[20:21], -1
                                        ; implicit-def: $vgpr3
.LBB118_1355:
	s_andn2_b64 vcc, exec, s[20:21]
	s_cbranch_vccnz .LBB118_1357
; %bb.1356:
	s_waitcnt vmcnt(0)
	global_load_dword v3, v[1:2], off
	s_waitcnt vmcnt(0)
	v_cvt_i32_f32_e32 v3, v3
.LBB118_1357:
	s_mov_b64 s[20:21], 0
.LBB118_1358:
	s_andn2_b64 vcc, exec, s[20:21]
	s_cbranch_vccnz .LBB118_1360
; %bb.1359:
	s_waitcnt vmcnt(0)
	global_load_dword v3, v[1:2], off
	s_waitcnt vmcnt(0)
	v_cvt_i16_f16_e32 v3, v3
.LBB118_1360:
	s_cbranch_execnz .LBB118_1371
.LBB118_1361:
	s_sext_i32_i16 s20, s36
	s_cmp_lt_i32 s20, 6
	s_cbranch_scc1 .LBB118_1364
; %bb.1362:
	s_cmp_gt_i32 s20, 6
	s_cbranch_scc0 .LBB118_1365
; %bb.1363:
	s_waitcnt vmcnt(0)
	global_load_dwordx2 v[3:4], v[1:2], off
	s_mov_b64 s[20:21], 0
	s_waitcnt vmcnt(0)
	v_cvt_i32_f64_e32 v3, v[3:4]
	s_branch .LBB118_1366
.LBB118_1364:
	s_mov_b64 s[20:21], -1
                                        ; implicit-def: $vgpr3
	s_branch .LBB118_1369
.LBB118_1365:
	s_mov_b64 s[20:21], -1
                                        ; implicit-def: $vgpr3
.LBB118_1366:
	s_andn2_b64 vcc, exec, s[20:21]
	s_cbranch_vccnz .LBB118_1368
; %bb.1367:
	s_waitcnt vmcnt(0)
	global_load_dword v3, v[1:2], off
	s_waitcnt vmcnt(0)
	v_cvt_i32_f32_e32 v3, v3
.LBB118_1368:
	s_mov_b64 s[20:21], 0
.LBB118_1369:
	s_andn2_b64 vcc, exec, s[20:21]
	s_cbranch_vccnz .LBB118_1371
; %bb.1370:
	s_waitcnt vmcnt(0)
	global_load_ushort v3, v[1:2], off
	s_waitcnt vmcnt(0)
	v_cvt_i16_f16_e32 v3, v3
.LBB118_1371:
	s_cbranch_execnz .LBB118_1390
.LBB118_1372:
	s_sext_i32_i16 s20, s36
	s_cmp_lt_i32 s20, 2
	s_cbranch_scc1 .LBB118_1376
; %bb.1373:
	s_cmp_lt_i32 s20, 3
	s_cbranch_scc1 .LBB118_1377
; %bb.1374:
	s_cmp_gt_i32 s20, 3
	s_cbranch_scc0 .LBB118_1378
; %bb.1375:
	s_waitcnt vmcnt(0)
	global_load_dwordx2 v[3:4], v[1:2], off
	s_mov_b64 s[20:21], 0
	s_branch .LBB118_1379
.LBB118_1376:
                                        ; implicit-def: $vgpr3
	s_branch .LBB118_1385
.LBB118_1377:
	s_mov_b64 s[20:21], -1
                                        ; implicit-def: $vgpr3
	s_branch .LBB118_1382
.LBB118_1378:
	s_mov_b64 s[20:21], -1
                                        ; implicit-def: $vgpr3
.LBB118_1379:
	s_andn2_b64 vcc, exec, s[20:21]
	s_cbranch_vccnz .LBB118_1381
; %bb.1380:
	s_waitcnt vmcnt(0)
	global_load_dword v3, v[1:2], off
.LBB118_1381:
	s_mov_b64 s[20:21], 0
.LBB118_1382:
	s_andn2_b64 vcc, exec, s[20:21]
	s_cbranch_vccnz .LBB118_1384
; %bb.1383:
	s_waitcnt vmcnt(0)
	global_load_ushort v3, v[1:2], off
.LBB118_1384:
	s_cbranch_execnz .LBB118_1390
.LBB118_1385:
	s_sext_i32_i16 s20, s36
	s_cmp_gt_i32 s20, 0
	s_cbranch_scc0 .LBB118_1387
; %bb.1386:
	s_waitcnt vmcnt(0)
	global_load_sbyte v3, v[1:2], off
	s_mov_b64 s[20:21], 0
	s_branch .LBB118_1388
.LBB118_1387:
	s_mov_b64 s[20:21], -1
                                        ; implicit-def: $vgpr3
.LBB118_1388:
	s_andn2_b64 vcc, exec, s[20:21]
	s_cbranch_vccnz .LBB118_1390
; %bb.1389:
	s_waitcnt vmcnt(0)
	global_load_ubyte v3, v[1:2], off
.LBB118_1390:
	s_or_b64 s[26:27], s[26:27], exec
.LBB118_1391:
	s_or_b64 exec, exec, s[0:1]
	s_mov_b64 s[28:29], 0
	s_mov_b64 s[22:23], 0
                                        ; implicit-def: $sgpr34
                                        ; implicit-def: $vgpr1_vgpr2
                                        ; implicit-def: $vgpr5
	s_and_saveexec_b64 s[20:21], s[26:27]
	s_cbranch_execz .LBB118_1399
; %bb.1392:
	s_waitcnt vmcnt(0)
	v_mul_lo_u32 v1, v14, s12
	v_mov_b32_e32 v2, s33
	v_cmp_lt_i16_e32 vcc, s2, v0
	v_cndmask_b32_e32 v5, v2, v3, vcc
	v_ashrrev_i32_e32 v0, 31, v1
	v_mov_b32_e32 v2, s9
	s_and_b32 s34, s3, 0xff
	v_add_co_u32_e32 v1, vcc, s8, v1
	s_cmp_lt_i32 s34, 11
	v_addc_co_u32_e32 v2, vcc, v2, v0, vcc
	s_cbranch_scc1 .LBB118_1402
; %bb.1393:
	s_and_b32 s35, 0xffff, s34
	s_mov_b64 s[26:27], -1
	s_cmp_gt_i32 s35, 25
	s_mov_b64 s[0:1], s[18:19]
	s_cbranch_scc0 .LBB118_1430
; %bb.1394:
	s_mov_b64 s[22:23], -1
	s_cmp_gt_i32 s35, 28
	s_mov_b64 s[0:1], s[18:19]
	s_cbranch_scc0 .LBB118_1414
; %bb.1395:
	s_cmp_gt_i32 s35, 43
	s_mov_b64 s[0:1], s[18:19]
	s_cbranch_scc0 .LBB118_1410
; %bb.1396:
	;; [unrolled: 4-line block ×3, first 2 shown]
	s_cmp_eq_u32 s35, 46
	s_mov_b64 s[0:1], -1
	s_cbranch_scc0 .LBB118_1403
; %bb.1398:
	v_cvt_f32_i32_sdwa v0, sext(v5) dst_sel:DWORD dst_unused:UNUSED_PAD src0_sel:WORD_0
	s_movk_i32 s0, 0x7fff
	s_mov_b64 s[22:23], 0
	v_bfe_u32 v3, v0, 16, 1
	v_add3_u32 v0, v0, v3, s0
	v_lshrrev_b32_e32 v0, 16, v0
	global_store_dword v[1:2], v0, off
	s_mov_b64 s[0:1], 0
	s_branch .LBB118_1404
.LBB118_1399:
	s_or_b64 exec, exec, s[20:21]
	s_and_saveexec_b64 s[0:1], s[18:19]
	s_cbranch_execnz .LBB118_1472
.LBB118_1400:
	s_or_b64 exec, exec, s[0:1]
	s_and_saveexec_b64 s[0:1], s[28:29]
	s_xor_b64 s[0:1], exec, s[0:1]
	s_cbranch_execz .LBB118_1473
.LBB118_1401:
	v_cmp_ne_u16_e32 vcc, 0, v5
	s_waitcnt vmcnt(0)
	v_cndmask_b32_e64 v0, 0, 1, vcc
	global_store_byte v[1:2], v0, off
	s_or_b64 exec, exec, s[0:1]
	s_and_saveexec_b64 s[0:1], s[22:23]
	s_xor_b64 s[0:1], exec, s[0:1]
	s_cbranch_execz .LBB118_1511
	s_branch .LBB118_1474
.LBB118_1402:
	s_mov_b64 s[26:27], 0
	s_mov_b64 s[22:23], -1
	s_mov_b64 s[0:1], s[18:19]
	s_branch .LBB118_1471
.LBB118_1403:
	s_mov_b64 s[22:23], 0
.LBB118_1404:
	s_and_b64 vcc, exec, s[22:23]
	s_cbranch_vccz .LBB118_1409
; %bb.1405:
	s_cmp_eq_u32 s35, 44
	s_mov_b64 s[0:1], -1
	s_cbranch_scc0 .LBB118_1409
; %bb.1406:
	v_cvt_f32_i32_sdwa v0, sext(v5) dst_sel:DWORD dst_unused:UNUSED_PAD src0_sel:WORD_0
	s_movk_i32 s0, 0xff
	v_mov_b32_e32 v4, 0xff
	v_bfe_u32 v3, v0, 23, 8
	v_cmp_ne_u32_e32 vcc, s0, v3
	s_and_saveexec_b64 s[22:23], vcc
; %bb.1407:
	s_mov_b32 s0, 0x3fffff
	v_lshrrev_b32_e32 v4, 23, v0
	v_and_b32_e32 v6, 0x400000, v0
	v_and_or_b32 v0, v0, s0, v3
	v_cmp_ne_u32_e32 vcc, 0, v6
	v_cmp_ne_u32_e64 s[0:1], 0, v0
	s_and_b64 s[0:1], vcc, s[0:1]
	v_cndmask_b32_e64 v0, 0, 1, s[0:1]
	v_add_u32_e32 v4, v4, v0
; %bb.1408:
	s_or_b64 exec, exec, s[22:23]
	s_mov_b64 s[0:1], 0
	global_store_byte v[1:2], v4, off
.LBB118_1409:
	s_mov_b64 s[22:23], 0
.LBB118_1410:
	s_and_b64 vcc, exec, s[22:23]
	s_cbranch_vccz .LBB118_1413
; %bb.1411:
	s_cmp_eq_u32 s35, 29
	s_mov_b64 s[0:1], -1
	s_cbranch_scc0 .LBB118_1413
; %bb.1412:
	v_bfe_i32 v3, v5, 0, 16
	v_ashrrev_i32_e32 v4, 31, v3
	global_store_dwordx2 v[1:2], v[3:4], off
	s_mov_b64 s[0:1], 0
.LBB118_1413:
	s_mov_b64 s[22:23], 0
.LBB118_1414:
	s_and_b64 vcc, exec, s[22:23]
	s_cbranch_vccz .LBB118_1429
; %bb.1415:
	s_cmp_lt_i32 s35, 27
	s_mov_b64 s[22:23], -1
	s_cbranch_scc1 .LBB118_1421
; %bb.1416:
	s_cmp_gt_i32 s35, 27
	s_cbranch_scc0 .LBB118_1418
; %bb.1417:
	v_bfe_i32 v0, v5, 0, 16
	s_mov_b64 s[22:23], 0
	global_store_dword v[1:2], v0, off
.LBB118_1418:
	s_andn2_b64 vcc, exec, s[22:23]
	s_cbranch_vccnz .LBB118_1420
; %bb.1419:
	global_store_short v[1:2], v5, off
.LBB118_1420:
	s_mov_b64 s[22:23], 0
.LBB118_1421:
	s_andn2_b64 vcc, exec, s[22:23]
	s_cbranch_vccnz .LBB118_1429
; %bb.1422:
	v_cvt_f32_i32_sdwa v0, sext(v5) dst_sel:DWORD dst_unused:UNUSED_PAD src0_sel:WORD_0
	s_mov_b32 s22, 0x43800000
	v_mov_b32_e32 v4, 0x80
	v_and_b32_e32 v3, 0x7fffffff, v0
	v_cmp_gt_u32_e32 vcc, s22, v3
	s_and_saveexec_b64 s[22:23], vcc
	s_cbranch_execz .LBB118_1428
; %bb.1423:
	s_mov_b32 s26, 0x3bffffff
	v_cmp_lt_u32_e32 vcc, s26, v3
	s_mov_b64 s[26:27], 0
                                        ; implicit-def: $vgpr3
	s_and_saveexec_b64 s[28:29], vcc
	s_xor_b64 s[28:29], exec, s[28:29]
	s_cbranch_execz .LBB118_1526
; %bb.1424:
	v_bfe_u32 v3, v0, 20, 1
	s_mov_b32 s30, 0x487ffff
	v_add3_u32 v3, v0, v3, s30
	s_mov_b64 s[26:27], exec
	v_lshrrev_b32_e32 v3, 20, v3
	s_andn2_saveexec_b64 s[28:29], s[28:29]
	s_cbranch_execnz .LBB118_1527
.LBB118_1425:
	s_or_b64 exec, exec, s[28:29]
	v_mov_b32_e32 v4, 0
	s_and_saveexec_b64 s[28:29], s[26:27]
.LBB118_1426:
	v_lshrrev_b32_e32 v0, 24, v0
	s_movk_i32 s26, 0x80
	v_and_or_b32 v4, v0, s26, v3
.LBB118_1427:
	s_or_b64 exec, exec, s[28:29]
.LBB118_1428:
	s_or_b64 exec, exec, s[22:23]
	global_store_byte v[1:2], v4, off
.LBB118_1429:
	s_mov_b64 s[26:27], 0
.LBB118_1430:
	s_mov_b64 s[22:23], 0
	s_and_b64 vcc, exec, s[26:27]
	s_cbranch_vccz .LBB118_1470
; %bb.1431:
	s_cmp_gt_i32 s35, 22
	s_mov_b64 s[26:27], -1
	s_cbranch_scc0 .LBB118_1463
; %bb.1432:
	s_cmp_lt_i32 s35, 24
	s_cbranch_scc1 .LBB118_1452
; %bb.1433:
	s_cmp_gt_i32 s35, 24
	s_cbranch_scc0 .LBB118_1441
; %bb.1434:
	v_cvt_f32_i32_sdwa v0, sext(v5) dst_sel:DWORD dst_unused:UNUSED_PAD src0_sel:WORD_0
	s_mov_b32 s26, 0x47800000
	v_mov_b32_e32 v4, 0x80
	v_and_b32_e32 v3, 0x7fffffff, v0
	v_cmp_gt_u32_e32 vcc, s26, v3
	s_and_saveexec_b64 s[26:27], vcc
	s_cbranch_execz .LBB118_1440
; %bb.1435:
	s_mov_b32 s28, 0x37ffffff
	v_cmp_lt_u32_e32 vcc, s28, v3
	s_mov_b64 s[28:29], 0
                                        ; implicit-def: $vgpr3
	s_and_saveexec_b64 s[30:31], vcc
	s_xor_b64 s[30:31], exec, s[30:31]
	s_cbranch_execz .LBB118_1646
; %bb.1436:
	v_bfe_u32 v3, v0, 21, 1
	s_mov_b32 s36, 0x88fffff
	v_add3_u32 v3, v0, v3, s36
	s_mov_b64 s[28:29], exec
	v_lshrrev_b32_e32 v3, 21, v3
	s_andn2_saveexec_b64 s[30:31], s[30:31]
	s_cbranch_execnz .LBB118_1647
.LBB118_1437:
	s_or_b64 exec, exec, s[30:31]
	v_mov_b32_e32 v4, 0
	s_and_saveexec_b64 s[30:31], s[28:29]
.LBB118_1438:
	v_lshrrev_b32_e32 v0, 24, v0
	s_movk_i32 s28, 0x80
	v_and_or_b32 v4, v0, s28, v3
.LBB118_1439:
	s_or_b64 exec, exec, s[30:31]
.LBB118_1440:
	s_or_b64 exec, exec, s[26:27]
	s_mov_b64 s[26:27], 0
	global_store_byte v[1:2], v4, off
.LBB118_1441:
	s_and_b64 vcc, exec, s[26:27]
	s_cbranch_vccz .LBB118_1451
; %bb.1442:
	v_cvt_f32_i32_sdwa v0, sext(v5) dst_sel:DWORD dst_unused:UNUSED_PAD src0_sel:WORD_0
	s_mov_b32 s26, 0x43f00000
                                        ; implicit-def: $vgpr3
	v_and_b32_e32 v4, 0x7fffffff, v0
	v_cmp_gt_u32_e32 vcc, s26, v4
	s_and_saveexec_b64 s[26:27], vcc
	s_xor_b64 s[26:27], exec, s[26:27]
	s_cbranch_execz .LBB118_1448
; %bb.1443:
	s_mov_b32 s28, 0x3c7fffff
	v_cmp_lt_u32_e32 vcc, s28, v4
                                        ; implicit-def: $vgpr3
	s_and_saveexec_b64 s[28:29], vcc
	s_xor_b64 s[28:29], exec, s[28:29]
; %bb.1444:
	v_bfe_u32 v3, v0, 20, 1
	s_mov_b32 s30, 0x407ffff
	v_add3_u32 v3, v0, v3, s30
	v_lshrrev_b32_e32 v4, 20, v3
	v_and_b32_e32 v3, 0xff00000, v3
	s_mov_b32 s30, 0x7f00000
	v_mov_b32_e32 v6, 0x7e
	v_cmp_ne_u32_e32 vcc, s30, v3
	v_cndmask_b32_e32 v3, v6, v4, vcc
; %bb.1445:
	s_andn2_saveexec_b64 s[28:29], s[28:29]
; %bb.1446:
	s_mov_b32 s30, 0x46800000
	v_add_f32_e64 v3, |v0|, s30
; %bb.1447:
	s_or_b64 exec, exec, s[28:29]
                                        ; implicit-def: $vgpr4
.LBB118_1448:
	s_andn2_saveexec_b64 s[26:27], s[26:27]
; %bb.1449:
	s_mov_b32 s28, 0x7f800000
	v_mov_b32_e32 v3, 0x7e
	v_mov_b32_e32 v6, 0x7f
	v_cmp_lt_u32_e32 vcc, s28, v4
	v_cndmask_b32_e32 v3, v3, v6, vcc
; %bb.1450:
	s_or_b64 exec, exec, s[26:27]
	v_lshrrev_b32_e32 v0, 24, v0
	s_movk_i32 s26, 0x80
	v_and_or_b32 v0, v0, s26, v3
	global_store_byte v[1:2], v0, off
.LBB118_1451:
	s_mov_b64 s[26:27], 0
.LBB118_1452:
	s_andn2_b64 vcc, exec, s[26:27]
	s_cbranch_vccnz .LBB118_1462
; %bb.1453:
	v_cvt_f32_i32_sdwa v0, sext(v5) dst_sel:DWORD dst_unused:UNUSED_PAD src0_sel:WORD_0
	s_mov_b32 s26, 0x47800000
                                        ; implicit-def: $vgpr3
	v_and_b32_e32 v4, 0x7fffffff, v0
	v_cmp_gt_u32_e32 vcc, s26, v4
	s_and_saveexec_b64 s[26:27], vcc
	s_xor_b64 s[26:27], exec, s[26:27]
	s_cbranch_execz .LBB118_1459
; %bb.1454:
	s_mov_b32 s28, 0x387fffff
	v_cmp_lt_u32_e32 vcc, s28, v4
                                        ; implicit-def: $vgpr3
	s_and_saveexec_b64 s[28:29], vcc
	s_xor_b64 s[28:29], exec, s[28:29]
; %bb.1455:
	v_bfe_u32 v3, v0, 21, 1
	s_mov_b32 s30, 0x80fffff
	v_add3_u32 v3, v0, v3, s30
	v_lshrrev_b32_e32 v3, 21, v3
; %bb.1456:
	s_andn2_saveexec_b64 s[28:29], s[28:29]
; %bb.1457:
	s_mov_b32 s30, 0x43000000
	v_add_f32_e64 v3, |v0|, s30
; %bb.1458:
	s_or_b64 exec, exec, s[28:29]
                                        ; implicit-def: $vgpr4
.LBB118_1459:
	s_andn2_saveexec_b64 s[26:27], s[26:27]
; %bb.1460:
	s_mov_b32 s28, 0x7f800000
	v_mov_b32_e32 v3, 0x7c
	v_mov_b32_e32 v6, 0x7f
	v_cmp_lt_u32_e32 vcc, s28, v4
	v_cndmask_b32_e32 v3, v3, v6, vcc
; %bb.1461:
	s_or_b64 exec, exec, s[26:27]
	v_lshrrev_b32_e32 v0, 24, v0
	s_movk_i32 s26, 0x80
	v_and_or_b32 v0, v0, s26, v3
	global_store_byte v[1:2], v0, off
.LBB118_1462:
	s_mov_b64 s[26:27], 0
.LBB118_1463:
	s_andn2_b64 vcc, exec, s[26:27]
	s_mov_b64 s[26:27], 0
	s_cbranch_vccnz .LBB118_1471
; %bb.1464:
	s_cmp_gt_i32 s35, 14
	s_mov_b64 s[28:29], -1
	s_cbranch_scc0 .LBB118_1468
; %bb.1465:
	s_cmp_eq_u32 s35, 15
	s_mov_b64 s[0:1], -1
	s_cbranch_scc0 .LBB118_1467
; %bb.1466:
	v_cvt_f32_i32_sdwa v0, sext(v5) dst_sel:DWORD dst_unused:UNUSED_PAD src0_sel:WORD_0
	s_movk_i32 s0, 0x7fff
	v_bfe_u32 v3, v0, 16, 1
	v_add3_u32 v0, v0, v3, s0
	global_store_short_d16_hi v[1:2], v0, off
	s_mov_b64 s[0:1], 0
.LBB118_1467:
	s_mov_b64 s[28:29], 0
.LBB118_1468:
	s_and_b64 vcc, exec, s[28:29]
	s_cbranch_vccz .LBB118_1471
; %bb.1469:
	s_cmp_lg_u32 s35, 11
	s_cselect_b64 s[28:29], -1, 0
	s_andn2_b64 s[0:1], s[0:1], exec
	s_and_b64 s[28:29], s[28:29], exec
	s_mov_b64 s[26:27], -1
	s_or_b64 s[0:1], s[0:1], s[28:29]
	s_branch .LBB118_1471
.LBB118_1470:
	s_mov_b64 s[26:27], 0
.LBB118_1471:
	s_andn2_b64 s[18:19], s[18:19], exec
	s_and_b64 s[0:1], s[0:1], exec
	s_and_b64 s[22:23], s[22:23], exec
	;; [unrolled: 1-line block ×3, first 2 shown]
	s_or_b64 s[18:19], s[18:19], s[0:1]
	s_or_b64 exec, exec, s[20:21]
	s_and_saveexec_b64 s[0:1], s[18:19]
	s_cbranch_execz .LBB118_1400
.LBB118_1472:
	s_or_b64 s[24:25], s[24:25], exec
	s_andn2_b64 s[28:29], s[28:29], exec
	s_trap 2
	s_or_b64 exec, exec, s[0:1]
	s_and_saveexec_b64 s[0:1], s[28:29]
	s_xor_b64 s[0:1], exec, s[0:1]
	s_cbranch_execnz .LBB118_1401
.LBB118_1473:
	s_or_b64 exec, exec, s[0:1]
	s_and_saveexec_b64 s[0:1], s[22:23]
	s_xor_b64 s[0:1], exec, s[0:1]
	s_cbranch_execz .LBB118_1511
.LBB118_1474:
	s_sext_i32_i16 s20, s34
	s_cmp_lt_i32 s20, 5
	s_mov_b64 s[18:19], -1
	s_cbranch_scc1 .LBB118_1495
; %bb.1475:
	s_cmp_lt_i32 s20, 8
	s_cbranch_scc1 .LBB118_1485
; %bb.1476:
	s_cmp_lt_i32 s20, 9
	s_cbranch_scc1 .LBB118_1482
; %bb.1477:
	s_cmp_gt_i32 s20, 9
	s_cbranch_scc0 .LBB118_1479
; %bb.1478:
	s_waitcnt vmcnt(0)
	v_bfe_i32 v0, v5, 0, 16
	v_cvt_f64_i32_e32 v[6:7], v0
	v_mov_b32_e32 v8, 0
	v_mov_b32_e32 v9, v8
	s_mov_b64 s[18:19], 0
	global_store_dwordx4 v[1:2], v[6:9], off
.LBB118_1479:
	s_andn2_b64 vcc, exec, s[18:19]
	s_cbranch_vccnz .LBB118_1481
; %bb.1480:
	s_waitcnt vmcnt(0)
	v_cvt_f32_i32_sdwa v3, sext(v5) dst_sel:DWORD dst_unused:UNUSED_PAD src0_sel:WORD_0
	v_mov_b32_e32 v4, 0
	global_store_dwordx2 v[1:2], v[3:4], off
.LBB118_1481:
	s_mov_b64 s[18:19], 0
.LBB118_1482:
	s_andn2_b64 vcc, exec, s[18:19]
	s_cbranch_vccnz .LBB118_1484
; %bb.1483:
	s_waitcnt vmcnt(0)
	v_cvt_f16_i16_e32 v0, v5
	global_store_dword v[1:2], v0, off
.LBB118_1484:
	s_mov_b64 s[18:19], 0
.LBB118_1485:
	s_andn2_b64 vcc, exec, s[18:19]
	s_cbranch_vccnz .LBB118_1494
; %bb.1486:
	s_sext_i32_i16 s20, s34
	s_cmp_lt_i32 s20, 6
	s_mov_b64 s[18:19], -1
	s_cbranch_scc1 .LBB118_1492
; %bb.1487:
	s_cmp_gt_i32 s20, 6
	s_cbranch_scc0 .LBB118_1489
; %bb.1488:
	s_waitcnt vmcnt(0)
	v_bfe_i32 v0, v5, 0, 16
	v_cvt_f64_i32_e32 v[3:4], v0
	s_mov_b64 s[18:19], 0
	global_store_dwordx2 v[1:2], v[3:4], off
.LBB118_1489:
	s_andn2_b64 vcc, exec, s[18:19]
	s_cbranch_vccnz .LBB118_1491
; %bb.1490:
	s_waitcnt vmcnt(0)
	v_cvt_f32_i32_sdwa v0, sext(v5) dst_sel:DWORD dst_unused:UNUSED_PAD src0_sel:WORD_0
	global_store_dword v[1:2], v0, off
.LBB118_1491:
	s_mov_b64 s[18:19], 0
.LBB118_1492:
	s_andn2_b64 vcc, exec, s[18:19]
	s_cbranch_vccnz .LBB118_1494
; %bb.1493:
	s_waitcnt vmcnt(0)
	v_cvt_f16_i16_e32 v0, v5
	global_store_short v[1:2], v0, off
.LBB118_1494:
	s_mov_b64 s[18:19], 0
.LBB118_1495:
	s_andn2_b64 vcc, exec, s[18:19]
	s_cbranch_vccnz .LBB118_1511
; %bb.1496:
	s_sext_i32_i16 s20, s34
	s_cmp_lt_i32 s20, 2
	s_mov_b64 s[18:19], -1
	s_cbranch_scc1 .LBB118_1506
; %bb.1497:
	s_cmp_lt_i32 s20, 3
	s_cbranch_scc1 .LBB118_1503
; %bb.1498:
	s_cmp_gt_i32 s20, 3
	s_waitcnt vmcnt(0)
	v_bfe_i32 v3, v5, 0, 16
	s_cbranch_scc0 .LBB118_1500
; %bb.1499:
	v_ashrrev_i32_e32 v4, 31, v3
	s_mov_b64 s[18:19], 0
	global_store_dwordx2 v[1:2], v[3:4], off
.LBB118_1500:
	s_andn2_b64 vcc, exec, s[18:19]
	s_cbranch_vccnz .LBB118_1502
; %bb.1501:
	global_store_dword v[1:2], v3, off
.LBB118_1502:
	s_mov_b64 s[18:19], 0
.LBB118_1503:
	s_andn2_b64 vcc, exec, s[18:19]
	s_cbranch_vccnz .LBB118_1505
; %bb.1504:
	s_waitcnt vmcnt(0)
	global_store_short v[1:2], v5, off
.LBB118_1505:
	s_mov_b64 s[18:19], 0
.LBB118_1506:
	s_andn2_b64 vcc, exec, s[18:19]
	s_cbranch_vccnz .LBB118_1511
; %bb.1507:
	s_sext_i32_i16 s18, s34
	s_cmp_gt_i32 s18, 0
	s_mov_b64 s[18:19], -1
	s_cbranch_scc0 .LBB118_1509
; %bb.1508:
	s_mov_b64 s[18:19], 0
	s_waitcnt vmcnt(0)
	global_store_byte v[1:2], v5, off
.LBB118_1509:
	s_andn2_b64 vcc, exec, s[18:19]
	s_cbranch_vccnz .LBB118_1511
; %bb.1510:
	s_waitcnt vmcnt(0)
	global_store_byte v[1:2], v5, off
.LBB118_1511:
	s_or_b64 exec, exec, s[0:1]
	s_and_b64 s[18:19], s[24:25], exec
                                        ; implicit-def: $vgpr14
.LBB118_1512:
	s_or_saveexec_b64 s[6:7], s[6:7]
	s_mov_b64 s[0:1], 0
                                        ; implicit-def: $sgpr22
                                        ; implicit-def: $vgpr0_vgpr1
                                        ; implicit-def: $vgpr4
	s_xor_b64 exec, exec, s[6:7]
	s_cbranch_execz .LBB118_2949
; %bb.1513:
	v_mul_lo_u32 v5, s13, v14
	s_waitcnt vmcnt(0)
	v_mov_b32_e32 v0, s11
	s_and_b32 s26, s56, 0xff
	s_cmp_lt_i32 s26, 11
	v_ashrrev_i32_e32 v1, 31, v5
	v_add_co_u32_e32 v2, vcc, s10, v5
	v_addc_co_u32_e32 v3, vcc, v0, v1, vcc
	s_cbranch_scc1 .LBB118_1520
; %bb.1514:
	s_and_b32 s24, 0xffff, s26
	s_cmp_gt_i32 s24, 25
	s_cbranch_scc0 .LBB118_1522
; %bb.1515:
	s_cmp_gt_i32 s24, 28
	s_cbranch_scc0 .LBB118_1523
; %bb.1516:
	;; [unrolled: 3-line block ×4, first 2 shown]
	s_cmp_eq_u32 s24, 46
	s_mov_b64 s[20:21], 0
	s_cbranch_scc0 .LBB118_1528
; %bb.1519:
	global_load_dword v0, v[2:3], off
	s_mov_b64 s[22:23], -1
	s_waitcnt vmcnt(0)
	v_lshlrev_b32_e32 v0, 16, v0
	v_cvt_i32_f32_e32 v0, v0
	s_branch .LBB118_1529
.LBB118_1520:
	s_mov_b64 s[22:23], 0
                                        ; implicit-def: $vgpr0
	s_mov_b64 s[20:21], s[18:19]
	s_cbranch_execnz .LBB118_1587
.LBB118_1521:
	s_andn2_b64 vcc, exec, s[22:23]
	s_cbranch_vccz .LBB118_1632
	s_branch .LBB118_2947
.LBB118_1522:
	s_mov_b64 s[22:23], 0
                                        ; implicit-def: $vgpr0
	s_cbranch_execnz .LBB118_1554
	s_branch .LBB118_1583
.LBB118_1523:
	s_mov_b64 s[22:23], 0
                                        ; implicit-def: $vgpr0
	s_cbranch_execz .LBB118_1553
	s_branch .LBB118_1538
.LBB118_1524:
	s_mov_b64 s[22:23], 0
                                        ; implicit-def: $vgpr0
	s_cbranch_execnz .LBB118_1534
	s_branch .LBB118_1537
.LBB118_1525:
	s_mov_b64 s[20:21], -1
	s_mov_b64 s[22:23], 0
                                        ; implicit-def: $vgpr0
	s_branch .LBB118_1529
.LBB118_1526:
	s_andn2_saveexec_b64 s[28:29], s[28:29]
	s_cbranch_execz .LBB118_1425
.LBB118_1527:
	s_mov_b32 s30, 0x46000000
	v_add_f32_e64 v3, |v0|, s30
	v_and_b32_e32 v3, 0xff, v3
	v_cmp_ne_u32_e32 vcc, 0, v3
	s_andn2_b64 s[26:27], s[26:27], exec
	s_and_b64 s[30:31], vcc, exec
	s_or_b64 s[26:27], s[26:27], s[30:31]
	s_or_b64 exec, exec, s[28:29]
	v_mov_b32_e32 v4, 0
	s_and_saveexec_b64 s[28:29], s[26:27]
	s_cbranch_execnz .LBB118_1426
	s_branch .LBB118_1427
.LBB118_1528:
	s_mov_b64 s[0:1], -1
                                        ; implicit-def: $vgpr0
	s_mov_b64 s[22:23], 0
.LBB118_1529:
	s_and_b64 vcc, exec, s[20:21]
	s_cbranch_vccz .LBB118_1532
; %bb.1530:
	s_cmp_eq_u32 s24, 44
	s_cbranch_scc0 .LBB118_1533
; %bb.1531:
	global_load_ubyte v0, v[2:3], off
	s_mov_b64 s[0:1], 0
	s_mov_b64 s[22:23], -1
	s_waitcnt vmcnt(0)
	v_lshlrev_b32_e32 v1, 23, v0
	v_cvt_i32_f32_e32 v1, v1
	v_cmp_ne_u32_e32 vcc, 0, v0
	v_cndmask_b32_e32 v0, 0, v1, vcc
.LBB118_1532:
	s_branch .LBB118_1537
.LBB118_1533:
	s_mov_b64 s[0:1], -1
                                        ; implicit-def: $vgpr0
	s_branch .LBB118_1537
.LBB118_1534:
	s_cmp_eq_u32 s24, 29
	s_cbranch_scc0 .LBB118_1536
; %bb.1535:
	global_load_dwordx2 v[0:1], v[2:3], off
	s_mov_b64 s[0:1], 0
	s_mov_b64 s[22:23], -1
	s_branch .LBB118_1537
.LBB118_1536:
	s_mov_b64 s[0:1], -1
                                        ; implicit-def: $vgpr0
.LBB118_1537:
	s_branch .LBB118_1553
.LBB118_1538:
	s_cmp_lt_i32 s24, 27
	s_cbranch_scc1 .LBB118_1541
; %bb.1539:
	s_cmp_gt_i32 s24, 27
	s_cbranch_scc0 .LBB118_1542
; %bb.1540:
	global_load_dword v0, v[2:3], off
	s_mov_b64 s[20:21], 0
	s_branch .LBB118_1543
.LBB118_1541:
	s_mov_b64 s[20:21], -1
                                        ; implicit-def: $vgpr0
	s_branch .LBB118_1546
.LBB118_1542:
	s_mov_b64 s[20:21], -1
                                        ; implicit-def: $vgpr0
.LBB118_1543:
	s_andn2_b64 vcc, exec, s[20:21]
	s_cbranch_vccnz .LBB118_1545
; %bb.1544:
	global_load_ushort v0, v[2:3], off
.LBB118_1545:
	s_mov_b64 s[20:21], 0
.LBB118_1546:
	s_andn2_b64 vcc, exec, s[20:21]
	s_cbranch_vccnz .LBB118_1552
; %bb.1547:
	global_load_ubyte v1, v[2:3], off
	s_movk_i32 s20, 0x7f
	s_mov_b64 s[22:23], 0
	s_waitcnt vmcnt(0)
	v_cmp_lt_i16_e32 vcc, s20, v1
	s_and_saveexec_b64 s[20:21], vcc
	s_xor_b64 s[20:21], exec, s[20:21]
	s_cbranch_execz .LBB118_1563
; %bb.1548:
	s_movk_i32 s22, 0x80
	v_cmp_ne_u16_e32 vcc, s22, v1
	s_and_b64 s[22:23], vcc, exec
	s_andn2_saveexec_b64 s[20:21], s[20:21]
	s_cbranch_execnz .LBB118_1564
.LBB118_1549:
	s_or_b64 exec, exec, s[20:21]
	v_mov_b32_e32 v0, 0
	s_and_saveexec_b64 s[20:21], s[22:23]
	s_cbranch_execz .LBB118_1551
.LBB118_1550:
	v_lshlrev_b32_e32 v0, 24, v1
	v_and_b32_e32 v1, 0xffff, v1
	v_and_b32_e32 v4, 7, v1
	v_ffbh_u32_e32 v7, v4
	v_min_u32_e32 v7, 32, v7
	v_subrev_u32_e32 v8, 28, v7
	v_bfe_u32 v6, v1, 3, 4
	v_lshlrev_b32_e32 v1, v8, v1
	v_sub_u32_e32 v7, 29, v7
	v_and_b32_e32 v1, 7, v1
	v_cmp_eq_u32_e32 vcc, 0, v6
	v_cndmask_b32_e32 v6, v6, v7, vcc
	v_cndmask_b32_e32 v1, v4, v1, vcc
	v_mov_b32_e32 v4, 0x3b800000
	v_lshlrev_b32_e32 v1, 20, v1
	v_and_b32_e32 v0, 0x80000000, v0
	v_lshl_add_u32 v4, v6, 23, v4
	v_or3_b32 v0, v0, v4, v1
	v_cvt_i32_f32_e32 v0, v0
.LBB118_1551:
	s_or_b64 exec, exec, s[20:21]
.LBB118_1552:
	s_mov_b64 s[22:23], -1
.LBB118_1553:
	s_branch .LBB118_1583
.LBB118_1554:
	s_cmp_gt_i32 s24, 22
	s_cbranch_scc0 .LBB118_1562
; %bb.1555:
	s_cmp_lt_i32 s24, 24
	s_cbranch_scc1 .LBB118_1565
; %bb.1556:
	s_cmp_gt_i32 s24, 24
	s_cbranch_scc0 .LBB118_1566
; %bb.1557:
	global_load_ubyte v1, v[2:3], off
	s_movk_i32 s4, 0x7f
	s_mov_b64 s[20:21], 0
	s_waitcnt vmcnt(0)
	v_cmp_lt_i16_e32 vcc, s4, v1
	s_and_saveexec_b64 s[4:5], vcc
	s_xor_b64 s[4:5], exec, s[4:5]
	s_cbranch_execz .LBB118_1577
; %bb.1558:
	s_movk_i32 s20, 0x80
	v_cmp_ne_u16_e32 vcc, s20, v1
	s_and_b64 s[20:21], vcc, exec
	s_andn2_saveexec_b64 s[4:5], s[4:5]
	s_cbranch_execnz .LBB118_1578
.LBB118_1559:
	s_or_b64 exec, exec, s[4:5]
	v_mov_b32_e32 v0, 0
	s_and_saveexec_b64 s[4:5], s[20:21]
	s_cbranch_execz .LBB118_1561
.LBB118_1560:
	v_lshlrev_b32_e32 v0, 24, v1
	v_and_b32_e32 v1, 0xffff, v1
	v_and_b32_e32 v4, 3, v1
	v_ffbh_u32_e32 v7, v4
	v_min_u32_e32 v7, 32, v7
	v_subrev_u32_e32 v8, 29, v7
	v_bfe_u32 v6, v1, 2, 5
	v_lshlrev_b32_e32 v1, v8, v1
	v_sub_u32_e32 v7, 30, v7
	v_and_b32_e32 v1, 3, v1
	v_cmp_eq_u32_e32 vcc, 0, v6
	v_cndmask_b32_e32 v6, v6, v7, vcc
	v_cndmask_b32_e32 v1, v4, v1, vcc
	v_mov_b32_e32 v4, 0x37800000
	v_lshlrev_b32_e32 v1, 21, v1
	v_and_b32_e32 v0, 0x80000000, v0
	v_lshl_add_u32 v4, v6, 23, v4
	v_or3_b32 v0, v0, v4, v1
	v_cvt_i32_f32_e32 v0, v0
.LBB118_1561:
	s_or_b64 exec, exec, s[4:5]
	s_mov_b64 s[4:5], 0
	s_branch .LBB118_1567
.LBB118_1562:
                                        ; implicit-def: $vgpr0
	s_mov_b64 s[4:5], 0
	s_branch .LBB118_1573
.LBB118_1563:
	s_andn2_saveexec_b64 s[20:21], s[20:21]
	s_cbranch_execz .LBB118_1549
.LBB118_1564:
	v_cmp_ne_u16_e32 vcc, 0, v1
	s_andn2_b64 s[22:23], s[22:23], exec
	s_and_b64 s[28:29], vcc, exec
	s_or_b64 s[22:23], s[22:23], s[28:29]
	s_or_b64 exec, exec, s[20:21]
	v_mov_b32_e32 v0, 0
	s_and_saveexec_b64 s[20:21], s[22:23]
	s_cbranch_execnz .LBB118_1550
	s_branch .LBB118_1551
.LBB118_1565:
	s_mov_b64 s[4:5], -1
                                        ; implicit-def: $vgpr0
	s_branch .LBB118_1570
.LBB118_1566:
	s_mov_b64 s[4:5], -1
                                        ; implicit-def: $vgpr0
.LBB118_1567:
	s_and_b64 vcc, exec, s[4:5]
	s_cbranch_vccz .LBB118_1569
; %bb.1568:
	global_load_ubyte v0, v[2:3], off
	s_mov_b32 s4, 0x7f800000
	s_waitcnt vmcnt(0)
	v_lshlrev_b32_e32 v0, 24, v0
	v_and_b32_e32 v1, 0x7f000000, v0
	v_ffbh_u32_e32 v4, v1
	v_min_u32_e32 v4, 32, v4
	v_sub_u32_e64 v4, v4, 4 clamp
	v_lshlrev_b32_e32 v7, v4, v1
	v_lshlrev_b32_e32 v4, 23, v4
	v_lshrrev_b32_e32 v7, 4, v7
	v_add_u32_e32 v6, 0x1000000, v1
	v_sub_u32_e32 v4, v7, v4
	v_ashrrev_i32_e32 v6, 8, v6
	v_add_u32_e32 v4, 0x3c000000, v4
	v_and_or_b32 v4, v6, s4, v4
	v_cmp_ne_u32_e32 vcc, 0, v1
	v_cndmask_b32_e32 v1, 0, v4, vcc
	s_brev_b32 s4, 1
	v_and_or_b32 v0, v0, s4, v1
	v_cvt_i32_f32_e32 v0, v0
.LBB118_1569:
	s_mov_b64 s[4:5], 0
.LBB118_1570:
	s_andn2_b64 vcc, exec, s[4:5]
	s_cbranch_vccnz .LBB118_1572
; %bb.1571:
	global_load_ubyte v0, v[2:3], off
	s_movk_i32 s4, 0x7f00
	s_brev_b32 s5, 16
	s_waitcnt vmcnt(0)
	v_lshlrev_b16_e32 v1, 8, v0
	v_lshlrev_b32_e32 v0, 25, v0
	v_lshrrev_b32_e32 v4, 4, v0
	v_and_or_b32 v6, v1, s4, 0.5
	v_or_b32_e32 v4, 0x70000000, v4
	v_add_f32_e32 v6, -0.5, v6
	v_mul_f32_e32 v4, 0x7800000, v4
	v_cmp_gt_u32_e32 vcc, s5, v0
	v_bfe_i32 v1, v1, 0, 16
	v_cndmask_b32_e32 v0, v4, v6, vcc
	s_brev_b32 s4, 1
	v_and_or_b32 v0, v1, s4, v0
	v_cvt_i32_f32_e32 v0, v0
.LBB118_1572:
	s_mov_b64 s[22:23], -1
	s_mov_b64 s[4:5], 0
	s_cbranch_execnz .LBB118_1583
.LBB118_1573:
	s_cmp_gt_i32 s24, 14
	s_cbranch_scc0 .LBB118_1576
; %bb.1574:
	s_cmp_eq_u32 s24, 15
	s_cbranch_scc0 .LBB118_1579
; %bb.1575:
	global_load_ushort v0, v[2:3], off
	s_mov_b64 s[0:1], 0
	s_mov_b64 s[22:23], -1
	s_waitcnt vmcnt(0)
	v_lshlrev_b32_e32 v0, 16, v0
	v_cvt_i32_f32_e32 v0, v0
	s_branch .LBB118_1580
.LBB118_1576:
	s_mov_b64 s[20:21], -1
                                        ; implicit-def: $vgpr0
	s_branch .LBB118_1581
.LBB118_1577:
	s_andn2_saveexec_b64 s[4:5], s[4:5]
	s_cbranch_execz .LBB118_1559
.LBB118_1578:
	v_cmp_ne_u16_e32 vcc, 0, v1
	s_andn2_b64 s[20:21], s[20:21], exec
	s_and_b64 s[22:23], vcc, exec
	s_or_b64 s[20:21], s[20:21], s[22:23]
	s_or_b64 exec, exec, s[4:5]
	v_mov_b32_e32 v0, 0
	s_and_saveexec_b64 s[4:5], s[20:21]
	s_cbranch_execnz .LBB118_1560
	s_branch .LBB118_1561
.LBB118_1579:
	s_mov_b64 s[0:1], -1
                                        ; implicit-def: $vgpr0
.LBB118_1580:
	s_mov_b64 s[20:21], 0
.LBB118_1581:
	s_and_b64 vcc, exec, s[20:21]
	s_cbranch_vccz .LBB118_1583
; %bb.1582:
	s_cmp_lg_u32 s24, 11
	s_mov_b64 s[4:5], -1
	s_cselect_b64 s[0:1], -1, 0
.LBB118_1583:
	s_and_b64 vcc, exec, s[0:1]
	s_mov_b64 s[20:21], s[18:19]
	s_cbranch_vccnz .LBB118_1644
; %bb.1584:
	s_andn2_b64 vcc, exec, s[4:5]
	s_cbranch_vccnz .LBB118_1586
.LBB118_1585:
	global_load_ubyte v0, v[2:3], off
	s_mov_b64 s[22:23], -1
	s_waitcnt vmcnt(0)
	v_cmp_ne_u16_e32 vcc, 0, v0
	v_cndmask_b32_e64 v0, 0, 1, vcc
.LBB118_1586:
	s_branch .LBB118_1521
.LBB118_1587:
	s_and_b32 s4, 0xffff, s26
	s_cmp_lt_i32 s4, 5
	s_cbranch_scc1 .LBB118_1592
; %bb.1588:
	s_cmp_lt_i32 s4, 8
	s_cbranch_scc1 .LBB118_1593
; %bb.1589:
	;; [unrolled: 3-line block ×3, first 2 shown]
	s_cmp_gt_i32 s4, 9
	s_cbranch_scc0 .LBB118_1595
; %bb.1591:
	global_load_dwordx2 v[0:1], v[2:3], off
	s_mov_b64 s[0:1], 0
	s_waitcnt vmcnt(0)
	v_cvt_i32_f64_e32 v0, v[0:1]
	s_branch .LBB118_1596
.LBB118_1592:
                                        ; implicit-def: $vgpr0
	s_branch .LBB118_1613
.LBB118_1593:
                                        ; implicit-def: $vgpr0
	s_branch .LBB118_1602
.LBB118_1594:
	s_mov_b64 s[0:1], -1
                                        ; implicit-def: $vgpr0
	s_branch .LBB118_1599
.LBB118_1595:
	s_mov_b64 s[0:1], -1
                                        ; implicit-def: $vgpr0
.LBB118_1596:
	s_andn2_b64 vcc, exec, s[0:1]
	s_cbranch_vccnz .LBB118_1598
; %bb.1597:
	global_load_dword v0, v[2:3], off
	s_waitcnt vmcnt(0)
	v_cvt_i32_f32_e32 v0, v0
.LBB118_1598:
	s_mov_b64 s[0:1], 0
.LBB118_1599:
	s_andn2_b64 vcc, exec, s[0:1]
	s_cbranch_vccnz .LBB118_1601
; %bb.1600:
	global_load_dword v0, v[2:3], off
	s_waitcnt vmcnt(0)
	v_cvt_i16_f16_e32 v0, v0
.LBB118_1601:
	s_cbranch_execnz .LBB118_1612
.LBB118_1602:
	s_cmp_lt_i32 s4, 6
	s_cbranch_scc1 .LBB118_1605
; %bb.1603:
	s_cmp_gt_i32 s4, 6
	s_cbranch_scc0 .LBB118_1606
; %bb.1604:
	global_load_dwordx2 v[0:1], v[2:3], off
	s_mov_b64 s[0:1], 0
	s_waitcnt vmcnt(0)
	v_cvt_i32_f64_e32 v0, v[0:1]
	s_branch .LBB118_1607
.LBB118_1605:
	s_mov_b64 s[0:1], -1
                                        ; implicit-def: $vgpr0
	s_branch .LBB118_1610
.LBB118_1606:
	s_mov_b64 s[0:1], -1
                                        ; implicit-def: $vgpr0
.LBB118_1607:
	s_andn2_b64 vcc, exec, s[0:1]
	s_cbranch_vccnz .LBB118_1609
; %bb.1608:
	global_load_dword v0, v[2:3], off
	s_waitcnt vmcnt(0)
	v_cvt_i32_f32_e32 v0, v0
.LBB118_1609:
	s_mov_b64 s[0:1], 0
.LBB118_1610:
	s_andn2_b64 vcc, exec, s[0:1]
	s_cbranch_vccnz .LBB118_1612
; %bb.1611:
	global_load_ushort v0, v[2:3], off
	s_waitcnt vmcnt(0)
	v_cvt_i16_f16_e32 v0, v0
.LBB118_1612:
	s_cbranch_execnz .LBB118_1631
.LBB118_1613:
	s_cmp_lt_i32 s4, 2
	s_cbranch_scc1 .LBB118_1617
; %bb.1614:
	s_cmp_lt_i32 s4, 3
	s_cbranch_scc1 .LBB118_1618
; %bb.1615:
	s_cmp_gt_i32 s4, 3
	s_cbranch_scc0 .LBB118_1619
; %bb.1616:
	global_load_dwordx2 v[0:1], v[2:3], off
	s_mov_b64 s[0:1], 0
	s_branch .LBB118_1620
.LBB118_1617:
                                        ; implicit-def: $vgpr0
	s_branch .LBB118_1626
.LBB118_1618:
	s_mov_b64 s[0:1], -1
                                        ; implicit-def: $vgpr0
	s_branch .LBB118_1623
.LBB118_1619:
	s_mov_b64 s[0:1], -1
                                        ; implicit-def: $vgpr0
.LBB118_1620:
	s_andn2_b64 vcc, exec, s[0:1]
	s_cbranch_vccnz .LBB118_1622
; %bb.1621:
	global_load_dword v0, v[2:3], off
.LBB118_1622:
	s_mov_b64 s[0:1], 0
.LBB118_1623:
	s_andn2_b64 vcc, exec, s[0:1]
	s_cbranch_vccnz .LBB118_1625
; %bb.1624:
	global_load_ushort v0, v[2:3], off
.LBB118_1625:
	s_cbranch_execnz .LBB118_1631
.LBB118_1626:
	s_cmp_gt_i32 s4, 0
	s_cbranch_scc0 .LBB118_1628
; %bb.1627:
	global_load_sbyte v0, v[2:3], off
	s_mov_b64 s[0:1], 0
	s_branch .LBB118_1629
.LBB118_1628:
	s_mov_b64 s[0:1], -1
                                        ; implicit-def: $vgpr0
.LBB118_1629:
	s_andn2_b64 vcc, exec, s[0:1]
	s_cbranch_vccnz .LBB118_1631
; %bb.1630:
	global_load_ubyte v0, v[2:3], off
.LBB118_1631:
.LBB118_1632:
	v_mul_lo_u32 v6, s14, v14
	v_mov_b32_e32 v2, s17
	s_and_b32 s27, s15, 0xff
	s_cmp_lt_i32 s27, 11
	v_ashrrev_i32_e32 v3, 31, v6
	s_waitcnt vmcnt(0)
	v_add_co_u32_e32 v1, vcc, s16, v6
	v_addc_co_u32_e32 v2, vcc, v2, v3, vcc
	s_cbranch_scc1 .LBB118_1639
; %bb.1633:
	s_and_b32 s15, 0xffff, s27
	s_cmp_gt_i32 s15, 25
	s_mov_b64 s[4:5], 0
	s_cbranch_scc0 .LBB118_1641
; %bb.1634:
	s_cmp_gt_i32 s15, 28
	s_cbranch_scc0 .LBB118_1642
; %bb.1635:
	s_cmp_gt_i32 s15, 43
	;; [unrolled: 3-line block ×3, first 2 shown]
	s_cbranch_scc0 .LBB118_1645
; %bb.1637:
	s_cmp_eq_u32 s15, 46
	s_mov_b64 s[24:25], 0
	s_cbranch_scc0 .LBB118_1648
; %bb.1638:
	global_load_dword v3, v[1:2], off
	s_mov_b64 s[0:1], 0
	s_mov_b64 s[22:23], -1
	s_waitcnt vmcnt(0)
	v_lshlrev_b32_e32 v3, 16, v3
	v_cvt_i32_f32_e32 v3, v3
	s_branch .LBB118_1649
.LBB118_1639:
	s_mov_b64 s[22:23], 0
                                        ; implicit-def: $vgpr3
	s_cbranch_execnz .LBB118_1710
.LBB118_1640:
	s_andn2_b64 vcc, exec, s[22:23]
	s_cbranch_vccnz .LBB118_2947
	s_branch .LBB118_1757
.LBB118_1641:
	s_mov_b64 s[22:23], 0
	s_mov_b64 s[0:1], 0
                                        ; implicit-def: $vgpr3
	s_cbranch_execnz .LBB118_1676
	s_branch .LBB118_1706
.LBB118_1642:
	s_mov_b64 s[24:25], -1
	s_mov_b64 s[22:23], 0
	s_mov_b64 s[0:1], 0
                                        ; implicit-def: $vgpr3
	s_branch .LBB118_1659
.LBB118_1643:
	s_mov_b64 s[24:25], -1
	s_mov_b64 s[22:23], 0
	s_mov_b64 s[0:1], 0
                                        ; implicit-def: $vgpr3
	s_branch .LBB118_1654
.LBB118_1644:
	s_or_b64 s[20:21], s[18:19], exec
	s_trap 2
	s_cbranch_execz .LBB118_1585
	s_branch .LBB118_1586
.LBB118_1645:
	s_mov_b64 s[24:25], -1
	s_mov_b64 s[22:23], 0
	s_mov_b64 s[0:1], 0
                                        ; implicit-def: $vgpr3
	s_branch .LBB118_1649
.LBB118_1646:
	s_andn2_saveexec_b64 s[30:31], s[30:31]
	s_cbranch_execz .LBB118_1437
.LBB118_1647:
	s_mov_b32 s36, 0x42800000
	v_add_f32_e64 v3, |v0|, s36
	v_and_b32_e32 v3, 0xff, v3
	v_cmp_ne_u32_e32 vcc, 0, v3
	s_andn2_b64 s[28:29], s[28:29], exec
	s_and_b64 s[36:37], vcc, exec
	s_or_b64 s[28:29], s[28:29], s[36:37]
	s_or_b64 exec, exec, s[30:31]
	v_mov_b32_e32 v4, 0
	s_and_saveexec_b64 s[30:31], s[28:29]
	s_cbranch_execnz .LBB118_1438
	s_branch .LBB118_1439
.LBB118_1648:
	s_mov_b64 s[0:1], -1
                                        ; implicit-def: $vgpr3
	s_mov_b64 s[22:23], 0
.LBB118_1649:
	s_and_b64 vcc, exec, s[24:25]
	s_cbranch_vccz .LBB118_1653
; %bb.1650:
	s_cmp_eq_u32 s15, 44
	s_cbranch_scc0 .LBB118_1652
; %bb.1651:
	global_load_ubyte v3, v[1:2], off
	s_mov_b64 s[0:1], 0
	s_mov_b64 s[22:23], -1
	s_waitcnt vmcnt(0)
	v_lshlrev_b32_e32 v4, 23, v3
	v_cvt_i32_f32_e32 v4, v4
	v_cmp_ne_u32_e32 vcc, 0, v3
	v_cndmask_b32_e32 v3, 0, v4, vcc
	s_branch .LBB118_1653
.LBB118_1652:
	s_mov_b64 s[0:1], -1
                                        ; implicit-def: $vgpr3
.LBB118_1653:
	s_mov_b64 s[24:25], 0
.LBB118_1654:
	s_and_b64 vcc, exec, s[24:25]
	s_cbranch_vccz .LBB118_1658
; %bb.1655:
	s_cmp_eq_u32 s15, 29
	s_cbranch_scc0 .LBB118_1657
; %bb.1656:
	global_load_dwordx2 v[3:4], v[1:2], off
	s_mov_b64 s[0:1], 0
	s_mov_b64 s[22:23], -1
	s_branch .LBB118_1658
.LBB118_1657:
	s_mov_b64 s[0:1], -1
                                        ; implicit-def: $vgpr3
.LBB118_1658:
	s_mov_b64 s[24:25], 0
.LBB118_1659:
	s_and_b64 vcc, exec, s[24:25]
	s_cbranch_vccz .LBB118_1675
; %bb.1660:
	s_cmp_lt_i32 s15, 27
	s_cbranch_scc1 .LBB118_1663
; %bb.1661:
	s_cmp_gt_i32 s15, 27
	s_cbranch_scc0 .LBB118_1664
; %bb.1662:
	global_load_dword v3, v[1:2], off
	s_mov_b64 s[22:23], 0
	s_branch .LBB118_1665
.LBB118_1663:
	s_mov_b64 s[22:23], -1
                                        ; implicit-def: $vgpr3
	s_branch .LBB118_1668
.LBB118_1664:
	s_mov_b64 s[22:23], -1
                                        ; implicit-def: $vgpr3
.LBB118_1665:
	s_andn2_b64 vcc, exec, s[22:23]
	s_cbranch_vccnz .LBB118_1667
; %bb.1666:
	global_load_ushort v3, v[1:2], off
.LBB118_1667:
	s_mov_b64 s[22:23], 0
.LBB118_1668:
	s_andn2_b64 vcc, exec, s[22:23]
	s_cbranch_vccnz .LBB118_1674
; %bb.1669:
	global_load_ubyte v4, v[1:2], off
	s_movk_i32 s22, 0x7f
	s_mov_b64 s[24:25], 0
	s_waitcnt vmcnt(0)
	v_cmp_lt_i16_e32 vcc, s22, v4
	s_and_saveexec_b64 s[22:23], vcc
	s_xor_b64 s[22:23], exec, s[22:23]
	s_cbranch_execz .LBB118_1685
; %bb.1670:
	s_movk_i32 s24, 0x80
	v_cmp_ne_u16_e32 vcc, s24, v4
	s_and_b64 s[24:25], vcc, exec
	s_andn2_saveexec_b64 s[22:23], s[22:23]
	s_cbranch_execnz .LBB118_1686
.LBB118_1671:
	s_or_b64 exec, exec, s[22:23]
	v_mov_b32_e32 v3, 0
	s_and_saveexec_b64 s[22:23], s[24:25]
	s_cbranch_execz .LBB118_1673
.LBB118_1672:
	v_lshlrev_b32_e32 v3, 24, v4
	v_and_b32_e32 v4, 0xffff, v4
	v_and_b32_e32 v7, 7, v4
	v_ffbh_u32_e32 v9, v7
	v_min_u32_e32 v9, 32, v9
	v_subrev_u32_e32 v10, 28, v9
	v_bfe_u32 v8, v4, 3, 4
	v_lshlrev_b32_e32 v4, v10, v4
	v_sub_u32_e32 v9, 29, v9
	v_and_b32_e32 v4, 7, v4
	v_cmp_eq_u32_e32 vcc, 0, v8
	v_cndmask_b32_e32 v8, v8, v9, vcc
	v_cndmask_b32_e32 v4, v7, v4, vcc
	v_mov_b32_e32 v7, 0x3b800000
	v_lshlrev_b32_e32 v4, 20, v4
	v_and_b32_e32 v3, 0x80000000, v3
	v_lshl_add_u32 v7, v8, 23, v7
	v_or3_b32 v3, v3, v7, v4
	v_cvt_i32_f32_e32 v3, v3
.LBB118_1673:
	s_or_b64 exec, exec, s[22:23]
.LBB118_1674:
	s_mov_b64 s[22:23], -1
.LBB118_1675:
	s_branch .LBB118_1706
.LBB118_1676:
	s_cmp_gt_i32 s15, 22
	s_cbranch_scc0 .LBB118_1684
; %bb.1677:
	s_cmp_lt_i32 s15, 24
	s_cbranch_scc1 .LBB118_1687
; %bb.1678:
	s_cmp_gt_i32 s15, 24
	s_cbranch_scc0 .LBB118_1688
; %bb.1679:
	global_load_ubyte v4, v[1:2], off
	s_movk_i32 s4, 0x7f
	s_mov_b64 s[22:23], 0
	s_waitcnt vmcnt(0)
	v_cmp_lt_i16_e32 vcc, s4, v4
	s_and_saveexec_b64 s[4:5], vcc
	s_xor_b64 s[4:5], exec, s[4:5]
	s_cbranch_execz .LBB118_1700
; %bb.1680:
	s_movk_i32 s22, 0x80
	v_cmp_ne_u16_e32 vcc, s22, v4
	s_and_b64 s[22:23], vcc, exec
	s_andn2_saveexec_b64 s[4:5], s[4:5]
	s_cbranch_execnz .LBB118_1701
.LBB118_1681:
	s_or_b64 exec, exec, s[4:5]
	v_mov_b32_e32 v3, 0
	s_and_saveexec_b64 s[4:5], s[22:23]
	s_cbranch_execz .LBB118_1683
.LBB118_1682:
	v_lshlrev_b32_e32 v3, 24, v4
	v_and_b32_e32 v4, 0xffff, v4
	v_and_b32_e32 v7, 3, v4
	v_ffbh_u32_e32 v9, v7
	v_min_u32_e32 v9, 32, v9
	v_subrev_u32_e32 v10, 29, v9
	v_bfe_u32 v8, v4, 2, 5
	v_lshlrev_b32_e32 v4, v10, v4
	v_sub_u32_e32 v9, 30, v9
	v_and_b32_e32 v4, 3, v4
	v_cmp_eq_u32_e32 vcc, 0, v8
	v_cndmask_b32_e32 v8, v8, v9, vcc
	v_cndmask_b32_e32 v4, v7, v4, vcc
	v_mov_b32_e32 v7, 0x37800000
	v_lshlrev_b32_e32 v4, 21, v4
	v_and_b32_e32 v3, 0x80000000, v3
	v_lshl_add_u32 v7, v8, 23, v7
	v_or3_b32 v3, v3, v7, v4
	v_cvt_i32_f32_e32 v3, v3
.LBB118_1683:
	s_or_b64 exec, exec, s[4:5]
	s_mov_b64 s[4:5], 0
	s_branch .LBB118_1689
.LBB118_1684:
	s_mov_b64 s[4:5], -1
                                        ; implicit-def: $vgpr3
	s_branch .LBB118_1695
.LBB118_1685:
	s_andn2_saveexec_b64 s[22:23], s[22:23]
	s_cbranch_execz .LBB118_1671
.LBB118_1686:
	v_cmp_ne_u16_e32 vcc, 0, v4
	s_andn2_b64 s[24:25], s[24:25], exec
	s_and_b64 s[28:29], vcc, exec
	s_or_b64 s[24:25], s[24:25], s[28:29]
	s_or_b64 exec, exec, s[22:23]
	v_mov_b32_e32 v3, 0
	s_and_saveexec_b64 s[22:23], s[24:25]
	s_cbranch_execnz .LBB118_1672
	s_branch .LBB118_1673
.LBB118_1687:
	s_mov_b64 s[4:5], -1
                                        ; implicit-def: $vgpr3
	s_branch .LBB118_1692
.LBB118_1688:
	s_mov_b64 s[4:5], -1
                                        ; implicit-def: $vgpr3
.LBB118_1689:
	s_and_b64 vcc, exec, s[4:5]
	s_cbranch_vccz .LBB118_1691
; %bb.1690:
	global_load_ubyte v3, v[1:2], off
	s_mov_b32 s4, 0x7f800000
	s_waitcnt vmcnt(0)
	v_lshlrev_b32_e32 v3, 24, v3
	v_and_b32_e32 v4, 0x7f000000, v3
	v_ffbh_u32_e32 v7, v4
	v_min_u32_e32 v7, 32, v7
	v_sub_u32_e64 v7, v7, 4 clamp
	v_lshlrev_b32_e32 v9, v7, v4
	v_lshlrev_b32_e32 v7, 23, v7
	v_lshrrev_b32_e32 v9, 4, v9
	v_add_u32_e32 v8, 0x1000000, v4
	v_sub_u32_e32 v7, v9, v7
	v_ashrrev_i32_e32 v8, 8, v8
	v_add_u32_e32 v7, 0x3c000000, v7
	v_and_or_b32 v7, v8, s4, v7
	v_cmp_ne_u32_e32 vcc, 0, v4
	v_cndmask_b32_e32 v4, 0, v7, vcc
	s_brev_b32 s4, 1
	v_and_or_b32 v3, v3, s4, v4
	v_cvt_i32_f32_e32 v3, v3
.LBB118_1691:
	s_mov_b64 s[4:5], 0
.LBB118_1692:
	s_andn2_b64 vcc, exec, s[4:5]
	s_cbranch_vccnz .LBB118_1694
; %bb.1693:
	global_load_ubyte v3, v[1:2], off
	s_movk_i32 s4, 0x7f00
	s_brev_b32 s5, 16
	s_waitcnt vmcnt(0)
	v_lshlrev_b16_e32 v4, 8, v3
	v_lshlrev_b32_e32 v3, 25, v3
	v_lshrrev_b32_e32 v7, 4, v3
	v_and_or_b32 v8, v4, s4, 0.5
	v_or_b32_e32 v7, 0x70000000, v7
	v_add_f32_e32 v8, -0.5, v8
	v_mul_f32_e32 v7, 0x7800000, v7
	v_cmp_gt_u32_e32 vcc, s5, v3
	v_bfe_i32 v4, v4, 0, 16
	v_cndmask_b32_e32 v3, v7, v8, vcc
	s_brev_b32 s4, 1
	v_and_or_b32 v3, v4, s4, v3
	v_cvt_i32_f32_e32 v3, v3
.LBB118_1694:
	s_mov_b64 s[4:5], 0
	s_mov_b64 s[22:23], -1
.LBB118_1695:
	s_andn2_b64 vcc, exec, s[4:5]
	s_mov_b64 s[4:5], 0
	s_cbranch_vccnz .LBB118_1706
; %bb.1696:
	s_cmp_gt_i32 s15, 14
	s_cbranch_scc0 .LBB118_1699
; %bb.1697:
	s_cmp_eq_u32 s15, 15
	s_cbranch_scc0 .LBB118_1702
; %bb.1698:
	global_load_ushort v3, v[1:2], off
	s_mov_b64 s[0:1], 0
	s_mov_b64 s[22:23], -1
	s_waitcnt vmcnt(0)
	v_lshlrev_b32_e32 v3, 16, v3
	v_cvt_i32_f32_e32 v3, v3
	s_branch .LBB118_1703
.LBB118_1699:
	s_mov_b64 s[24:25], -1
                                        ; implicit-def: $vgpr3
	s_branch .LBB118_1704
.LBB118_1700:
	s_andn2_saveexec_b64 s[4:5], s[4:5]
	s_cbranch_execz .LBB118_1681
.LBB118_1701:
	v_cmp_ne_u16_e32 vcc, 0, v4
	s_andn2_b64 s[22:23], s[22:23], exec
	s_and_b64 s[24:25], vcc, exec
	s_or_b64 s[22:23], s[22:23], s[24:25]
	s_or_b64 exec, exec, s[4:5]
	v_mov_b32_e32 v3, 0
	s_and_saveexec_b64 s[4:5], s[22:23]
	s_cbranch_execnz .LBB118_1682
	s_branch .LBB118_1683
.LBB118_1702:
	s_mov_b64 s[0:1], -1
                                        ; implicit-def: $vgpr3
.LBB118_1703:
	s_mov_b64 s[24:25], 0
.LBB118_1704:
	s_and_b64 vcc, exec, s[24:25]
	s_cbranch_vccz .LBB118_1706
; %bb.1705:
	s_cmp_lg_u32 s15, 11
	s_mov_b64 s[4:5], -1
	s_cselect_b64 s[0:1], -1, 0
.LBB118_1706:
	s_and_b64 vcc, exec, s[0:1]
	s_cbranch_vccnz .LBB118_1769
; %bb.1707:
	s_andn2_b64 vcc, exec, s[4:5]
	s_cbranch_vccnz .LBB118_1709
.LBB118_1708:
	global_load_ubyte v3, v[1:2], off
	s_mov_b64 s[22:23], -1
	s_waitcnt vmcnt(0)
	v_cmp_ne_u16_e32 vcc, 0, v3
	v_cndmask_b32_e64 v3, 0, 1, vcc
.LBB118_1709:
	s_branch .LBB118_1640
.LBB118_1710:
	s_and_b32 s4, 0xffff, s27
	s_cmp_lt_i32 s4, 5
	s_cbranch_scc1 .LBB118_1715
; %bb.1711:
	s_cmp_lt_i32 s4, 8
	s_cbranch_scc1 .LBB118_1716
; %bb.1712:
	;; [unrolled: 3-line block ×3, first 2 shown]
	s_cmp_gt_i32 s4, 9
	s_cbranch_scc0 .LBB118_1718
; %bb.1714:
	global_load_dwordx2 v[3:4], v[1:2], off
	s_mov_b64 s[0:1], 0
	s_waitcnt vmcnt(0)
	v_cvt_i32_f64_e32 v3, v[3:4]
	s_branch .LBB118_1719
.LBB118_1715:
                                        ; implicit-def: $vgpr3
	s_branch .LBB118_1737
.LBB118_1716:
	s_mov_b64 s[0:1], -1
                                        ; implicit-def: $vgpr3
	s_branch .LBB118_1725
.LBB118_1717:
	s_mov_b64 s[0:1], -1
                                        ; implicit-def: $vgpr3
	s_branch .LBB118_1722
.LBB118_1718:
	s_mov_b64 s[0:1], -1
                                        ; implicit-def: $vgpr3
.LBB118_1719:
	s_andn2_b64 vcc, exec, s[0:1]
	s_cbranch_vccnz .LBB118_1721
; %bb.1720:
	global_load_dword v3, v[1:2], off
	s_waitcnt vmcnt(0)
	v_cvt_i32_f32_e32 v3, v3
.LBB118_1721:
	s_mov_b64 s[0:1], 0
.LBB118_1722:
	s_andn2_b64 vcc, exec, s[0:1]
	s_cbranch_vccnz .LBB118_1724
; %bb.1723:
	global_load_dword v3, v[1:2], off
	s_waitcnt vmcnt(0)
	v_cvt_i16_f16_e32 v3, v3
.LBB118_1724:
	s_mov_b64 s[0:1], 0
.LBB118_1725:
	s_andn2_b64 vcc, exec, s[0:1]
	s_cbranch_vccnz .LBB118_1736
; %bb.1726:
	s_cmp_lt_i32 s4, 6
	s_cbranch_scc1 .LBB118_1729
; %bb.1727:
	s_cmp_gt_i32 s4, 6
	s_cbranch_scc0 .LBB118_1730
; %bb.1728:
	global_load_dwordx2 v[3:4], v[1:2], off
	s_mov_b64 s[0:1], 0
	s_waitcnt vmcnt(0)
	v_cvt_i32_f64_e32 v3, v[3:4]
	s_branch .LBB118_1731
.LBB118_1729:
	s_mov_b64 s[0:1], -1
                                        ; implicit-def: $vgpr3
	s_branch .LBB118_1734
.LBB118_1730:
	s_mov_b64 s[0:1], -1
                                        ; implicit-def: $vgpr3
.LBB118_1731:
	s_andn2_b64 vcc, exec, s[0:1]
	s_cbranch_vccnz .LBB118_1733
; %bb.1732:
	global_load_dword v3, v[1:2], off
	s_waitcnt vmcnt(0)
	v_cvt_i32_f32_e32 v3, v3
.LBB118_1733:
	s_mov_b64 s[0:1], 0
.LBB118_1734:
	s_andn2_b64 vcc, exec, s[0:1]
	s_cbranch_vccnz .LBB118_1736
; %bb.1735:
	global_load_ushort v3, v[1:2], off
	s_waitcnt vmcnt(0)
	v_cvt_i16_f16_e32 v3, v3
.LBB118_1736:
	s_cbranch_execnz .LBB118_1756
.LBB118_1737:
	s_cmp_lt_i32 s4, 2
	s_cbranch_scc1 .LBB118_1741
; %bb.1738:
	s_cmp_lt_i32 s4, 3
	s_cbranch_scc1 .LBB118_1742
; %bb.1739:
	s_cmp_gt_i32 s4, 3
	s_cbranch_scc0 .LBB118_1743
; %bb.1740:
	global_load_dwordx2 v[3:4], v[1:2], off
	s_mov_b64 s[0:1], 0
	s_branch .LBB118_1744
.LBB118_1741:
	s_mov_b64 s[0:1], -1
                                        ; implicit-def: $vgpr3
	s_branch .LBB118_1750
.LBB118_1742:
	s_mov_b64 s[0:1], -1
                                        ; implicit-def: $vgpr3
	s_branch .LBB118_1747
.LBB118_1743:
	s_mov_b64 s[0:1], -1
                                        ; implicit-def: $vgpr3
.LBB118_1744:
	s_andn2_b64 vcc, exec, s[0:1]
	s_cbranch_vccnz .LBB118_1746
; %bb.1745:
	global_load_dword v3, v[1:2], off
.LBB118_1746:
	s_mov_b64 s[0:1], 0
.LBB118_1747:
	s_andn2_b64 vcc, exec, s[0:1]
	s_cbranch_vccnz .LBB118_1749
; %bb.1748:
	global_load_ushort v3, v[1:2], off
.LBB118_1749:
	s_mov_b64 s[0:1], 0
.LBB118_1750:
	s_andn2_b64 vcc, exec, s[0:1]
	s_cbranch_vccnz .LBB118_1756
; %bb.1751:
	s_cmp_gt_i32 s4, 0
	s_cbranch_scc0 .LBB118_1753
; %bb.1752:
	global_load_sbyte v3, v[1:2], off
	s_mov_b64 s[0:1], 0
	s_branch .LBB118_1754
.LBB118_1753:
	s_mov_b64 s[0:1], -1
                                        ; implicit-def: $vgpr3
.LBB118_1754:
	s_andn2_b64 vcc, exec, s[0:1]
	s_cbranch_vccnz .LBB118_1756
; %bb.1755:
	global_load_ubyte v3, v[1:2], off
.LBB118_1756:
.LBB118_1757:
	s_lshl_b32 s13, s13, 7
	v_add_u32_e32 v8, s13, v5
	v_ashrrev_i32_e32 v1, 31, v8
	v_mov_b32_e32 v2, s11
	s_waitcnt vmcnt(0)
	v_add_co_u32_e32 v4, vcc, s10, v8
	s_cmp_lt_i32 s26, 11
	v_addc_co_u32_e32 v5, vcc, v2, v1, vcc
	s_cbranch_scc1 .LBB118_1764
; %bb.1758:
	s_and_b32 s15, 0xffff, s26
	s_cmp_gt_i32 s15, 25
	s_mov_b64 s[4:5], 0
	s_cbranch_scc0 .LBB118_1766
; %bb.1759:
	s_cmp_gt_i32 s15, 28
	s_cbranch_scc0 .LBB118_1767
; %bb.1760:
	s_cmp_gt_i32 s15, 43
	;; [unrolled: 3-line block ×3, first 2 shown]
	s_cbranch_scc0 .LBB118_1770
; %bb.1762:
	s_cmp_eq_u32 s15, 46
	s_mov_b64 s[24:25], 0
	s_cbranch_scc0 .LBB118_1771
; %bb.1763:
	global_load_dword v1, v[4:5], off
	s_mov_b64 s[0:1], 0
	s_mov_b64 s[22:23], -1
	s_waitcnt vmcnt(0)
	v_lshlrev_b32_e32 v1, 16, v1
	v_cvt_i32_f32_e32 v1, v1
	s_branch .LBB118_1772
.LBB118_1764:
	s_mov_b64 s[22:23], 0
                                        ; implicit-def: $vgpr1
	s_cbranch_execnz .LBB118_1834
.LBB118_1765:
	s_andn2_b64 vcc, exec, s[22:23]
	s_cbranch_vccnz .LBB118_2947
	s_branch .LBB118_1882
.LBB118_1766:
	s_mov_b64 s[24:25], -1
	s_mov_b64 s[22:23], 0
	s_mov_b64 s[0:1], 0
                                        ; implicit-def: $vgpr1
	s_branch .LBB118_1799
.LBB118_1767:
	s_mov_b64 s[24:25], -1
	s_mov_b64 s[22:23], 0
	s_mov_b64 s[0:1], 0
                                        ; implicit-def: $vgpr1
	s_branch .LBB118_1782
.LBB118_1768:
	s_mov_b64 s[24:25], -1
	s_mov_b64 s[22:23], 0
	s_mov_b64 s[0:1], 0
                                        ; implicit-def: $vgpr1
	s_branch .LBB118_1777
.LBB118_1769:
	s_trap 2
	s_or_b64 s[20:21], s[20:21], exec
	s_cbranch_execz .LBB118_1708
	s_branch .LBB118_1709
.LBB118_1770:
	s_mov_b64 s[24:25], -1
	s_mov_b64 s[22:23], 0
	s_mov_b64 s[0:1], 0
                                        ; implicit-def: $vgpr1
	s_branch .LBB118_1772
.LBB118_1771:
	s_mov_b64 s[0:1], -1
                                        ; implicit-def: $vgpr1
	s_mov_b64 s[22:23], 0
.LBB118_1772:
	s_and_b64 vcc, exec, s[24:25]
	s_cbranch_vccz .LBB118_1776
; %bb.1773:
	s_cmp_eq_u32 s15, 44
	s_cbranch_scc0 .LBB118_1775
; %bb.1774:
	global_load_ubyte v1, v[4:5], off
	s_mov_b64 s[0:1], 0
	s_mov_b64 s[22:23], -1
	s_waitcnt vmcnt(0)
	v_lshlrev_b32_e32 v2, 23, v1
	v_cvt_i32_f32_e32 v2, v2
	v_cmp_ne_u32_e32 vcc, 0, v1
	v_cndmask_b32_e32 v1, 0, v2, vcc
	s_branch .LBB118_1776
.LBB118_1775:
	s_mov_b64 s[0:1], -1
                                        ; implicit-def: $vgpr1
.LBB118_1776:
	s_mov_b64 s[24:25], 0
.LBB118_1777:
	s_and_b64 vcc, exec, s[24:25]
	s_cbranch_vccz .LBB118_1781
; %bb.1778:
	s_cmp_eq_u32 s15, 29
	s_cbranch_scc0 .LBB118_1780
; %bb.1779:
	global_load_dwordx2 v[1:2], v[4:5], off
	s_mov_b64 s[0:1], 0
	s_mov_b64 s[22:23], -1
	s_branch .LBB118_1781
.LBB118_1780:
	s_mov_b64 s[0:1], -1
                                        ; implicit-def: $vgpr1
.LBB118_1781:
	s_mov_b64 s[24:25], 0
.LBB118_1782:
	s_and_b64 vcc, exec, s[24:25]
	s_cbranch_vccz .LBB118_1798
; %bb.1783:
	s_cmp_lt_i32 s15, 27
	s_cbranch_scc1 .LBB118_1786
; %bb.1784:
	s_cmp_gt_i32 s15, 27
	s_cbranch_scc0 .LBB118_1787
; %bb.1785:
	global_load_dword v1, v[4:5], off
	s_mov_b64 s[22:23], 0
	s_branch .LBB118_1788
.LBB118_1786:
	s_mov_b64 s[22:23], -1
                                        ; implicit-def: $vgpr1
	s_branch .LBB118_1791
.LBB118_1787:
	s_mov_b64 s[22:23], -1
                                        ; implicit-def: $vgpr1
.LBB118_1788:
	s_andn2_b64 vcc, exec, s[22:23]
	s_cbranch_vccnz .LBB118_1790
; %bb.1789:
	global_load_ushort v1, v[4:5], off
.LBB118_1790:
	s_mov_b64 s[22:23], 0
.LBB118_1791:
	s_andn2_b64 vcc, exec, s[22:23]
	s_cbranch_vccnz .LBB118_1797
; %bb.1792:
	global_load_ubyte v2, v[4:5], off
	s_movk_i32 s22, 0x7f
	s_mov_b64 s[24:25], 0
	s_waitcnt vmcnt(0)
	v_cmp_lt_i16_e32 vcc, s22, v2
	s_and_saveexec_b64 s[22:23], vcc
	s_xor_b64 s[22:23], exec, s[22:23]
	s_cbranch_execz .LBB118_1809
; %bb.1793:
	s_movk_i32 s24, 0x80
	v_cmp_ne_u16_e32 vcc, s24, v2
	s_and_b64 s[24:25], vcc, exec
	s_andn2_saveexec_b64 s[22:23], s[22:23]
	s_cbranch_execnz .LBB118_1810
.LBB118_1794:
	s_or_b64 exec, exec, s[22:23]
	v_mov_b32_e32 v1, 0
	s_and_saveexec_b64 s[22:23], s[24:25]
	s_cbranch_execz .LBB118_1796
.LBB118_1795:
	v_lshlrev_b32_e32 v1, 24, v2
	v_and_b32_e32 v2, 0xffff, v2
	v_and_b32_e32 v7, 7, v2
	v_ffbh_u32_e32 v10, v7
	v_min_u32_e32 v10, 32, v10
	v_subrev_u32_e32 v11, 28, v10
	v_bfe_u32 v9, v2, 3, 4
	v_lshlrev_b32_e32 v2, v11, v2
	v_sub_u32_e32 v10, 29, v10
	v_and_b32_e32 v2, 7, v2
	v_cmp_eq_u32_e32 vcc, 0, v9
	v_cndmask_b32_e32 v9, v9, v10, vcc
	v_cndmask_b32_e32 v2, v7, v2, vcc
	v_mov_b32_e32 v7, 0x3b800000
	v_lshlrev_b32_e32 v2, 20, v2
	v_and_b32_e32 v1, 0x80000000, v1
	v_lshl_add_u32 v7, v9, 23, v7
	v_or3_b32 v1, v1, v7, v2
	v_cvt_i32_f32_e32 v1, v1
.LBB118_1796:
	s_or_b64 exec, exec, s[22:23]
.LBB118_1797:
	s_mov_b64 s[22:23], -1
.LBB118_1798:
	s_mov_b64 s[24:25], 0
.LBB118_1799:
	s_and_b64 vcc, exec, s[24:25]
	s_cbranch_vccz .LBB118_1830
; %bb.1800:
	s_cmp_gt_i32 s15, 22
	s_cbranch_scc0 .LBB118_1808
; %bb.1801:
	s_cmp_lt_i32 s15, 24
	s_cbranch_scc1 .LBB118_1811
; %bb.1802:
	s_cmp_gt_i32 s15, 24
	s_cbranch_scc0 .LBB118_1812
; %bb.1803:
	global_load_ubyte v2, v[4:5], off
	s_movk_i32 s4, 0x7f
	s_mov_b64 s[22:23], 0
	s_waitcnt vmcnt(0)
	v_cmp_lt_i16_e32 vcc, s4, v2
	s_and_saveexec_b64 s[4:5], vcc
	s_xor_b64 s[4:5], exec, s[4:5]
	s_cbranch_execz .LBB118_1824
; %bb.1804:
	s_movk_i32 s22, 0x80
	v_cmp_ne_u16_e32 vcc, s22, v2
	s_and_b64 s[22:23], vcc, exec
	s_andn2_saveexec_b64 s[4:5], s[4:5]
	s_cbranch_execnz .LBB118_1825
.LBB118_1805:
	s_or_b64 exec, exec, s[4:5]
	v_mov_b32_e32 v1, 0
	s_and_saveexec_b64 s[4:5], s[22:23]
	s_cbranch_execz .LBB118_1807
.LBB118_1806:
	v_lshlrev_b32_e32 v1, 24, v2
	v_and_b32_e32 v2, 0xffff, v2
	v_and_b32_e32 v7, 3, v2
	v_ffbh_u32_e32 v10, v7
	v_min_u32_e32 v10, 32, v10
	v_subrev_u32_e32 v11, 29, v10
	v_bfe_u32 v9, v2, 2, 5
	v_lshlrev_b32_e32 v2, v11, v2
	v_sub_u32_e32 v10, 30, v10
	v_and_b32_e32 v2, 3, v2
	v_cmp_eq_u32_e32 vcc, 0, v9
	v_cndmask_b32_e32 v9, v9, v10, vcc
	v_cndmask_b32_e32 v2, v7, v2, vcc
	v_mov_b32_e32 v7, 0x37800000
	v_lshlrev_b32_e32 v2, 21, v2
	v_and_b32_e32 v1, 0x80000000, v1
	v_lshl_add_u32 v7, v9, 23, v7
	v_or3_b32 v1, v1, v7, v2
	v_cvt_i32_f32_e32 v1, v1
.LBB118_1807:
	s_or_b64 exec, exec, s[4:5]
	s_mov_b64 s[4:5], 0
	s_branch .LBB118_1813
.LBB118_1808:
	s_mov_b64 s[4:5], -1
                                        ; implicit-def: $vgpr1
	s_branch .LBB118_1819
.LBB118_1809:
	s_andn2_saveexec_b64 s[22:23], s[22:23]
	s_cbranch_execz .LBB118_1794
.LBB118_1810:
	v_cmp_ne_u16_e32 vcc, 0, v2
	s_andn2_b64 s[24:25], s[24:25], exec
	s_and_b64 s[28:29], vcc, exec
	s_or_b64 s[24:25], s[24:25], s[28:29]
	s_or_b64 exec, exec, s[22:23]
	v_mov_b32_e32 v1, 0
	s_and_saveexec_b64 s[22:23], s[24:25]
	s_cbranch_execnz .LBB118_1795
	s_branch .LBB118_1796
.LBB118_1811:
	s_mov_b64 s[4:5], -1
                                        ; implicit-def: $vgpr1
	s_branch .LBB118_1816
.LBB118_1812:
	s_mov_b64 s[4:5], -1
                                        ; implicit-def: $vgpr1
.LBB118_1813:
	s_and_b64 vcc, exec, s[4:5]
	s_cbranch_vccz .LBB118_1815
; %bb.1814:
	global_load_ubyte v1, v[4:5], off
	s_mov_b32 s4, 0x7f800000
	s_waitcnt vmcnt(0)
	v_lshlrev_b32_e32 v1, 24, v1
	v_and_b32_e32 v2, 0x7f000000, v1
	v_ffbh_u32_e32 v7, v2
	v_min_u32_e32 v7, 32, v7
	v_sub_u32_e64 v7, v7, 4 clamp
	v_lshlrev_b32_e32 v10, v7, v2
	v_lshlrev_b32_e32 v7, 23, v7
	v_lshrrev_b32_e32 v10, 4, v10
	v_add_u32_e32 v9, 0x1000000, v2
	v_sub_u32_e32 v7, v10, v7
	v_ashrrev_i32_e32 v9, 8, v9
	v_add_u32_e32 v7, 0x3c000000, v7
	v_and_or_b32 v7, v9, s4, v7
	v_cmp_ne_u32_e32 vcc, 0, v2
	v_cndmask_b32_e32 v2, 0, v7, vcc
	s_brev_b32 s4, 1
	v_and_or_b32 v1, v1, s4, v2
	v_cvt_i32_f32_e32 v1, v1
.LBB118_1815:
	s_mov_b64 s[4:5], 0
.LBB118_1816:
	s_andn2_b64 vcc, exec, s[4:5]
	s_cbranch_vccnz .LBB118_1818
; %bb.1817:
	global_load_ubyte v1, v[4:5], off
	s_movk_i32 s4, 0x7f00
	s_brev_b32 s5, 16
	s_waitcnt vmcnt(0)
	v_lshlrev_b16_e32 v2, 8, v1
	v_lshlrev_b32_e32 v1, 25, v1
	v_lshrrev_b32_e32 v7, 4, v1
	v_and_or_b32 v9, v2, s4, 0.5
	v_or_b32_e32 v7, 0x70000000, v7
	v_add_f32_e32 v9, -0.5, v9
	v_mul_f32_e32 v7, 0x7800000, v7
	v_cmp_gt_u32_e32 vcc, s5, v1
	v_bfe_i32 v2, v2, 0, 16
	v_cndmask_b32_e32 v1, v7, v9, vcc
	s_brev_b32 s4, 1
	v_and_or_b32 v1, v2, s4, v1
	v_cvt_i32_f32_e32 v1, v1
.LBB118_1818:
	s_mov_b64 s[4:5], 0
	s_mov_b64 s[22:23], -1
.LBB118_1819:
	s_andn2_b64 vcc, exec, s[4:5]
	s_mov_b64 s[4:5], 0
	s_cbranch_vccnz .LBB118_1830
; %bb.1820:
	s_cmp_gt_i32 s15, 14
	s_cbranch_scc0 .LBB118_1823
; %bb.1821:
	s_cmp_eq_u32 s15, 15
	s_cbranch_scc0 .LBB118_1826
; %bb.1822:
	global_load_ushort v1, v[4:5], off
	s_mov_b64 s[0:1], 0
	s_mov_b64 s[22:23], -1
	s_waitcnt vmcnt(0)
	v_lshlrev_b32_e32 v1, 16, v1
	v_cvt_i32_f32_e32 v1, v1
	s_branch .LBB118_1827
.LBB118_1823:
	s_mov_b64 s[24:25], -1
                                        ; implicit-def: $vgpr1
	s_branch .LBB118_1828
.LBB118_1824:
	s_andn2_saveexec_b64 s[4:5], s[4:5]
	s_cbranch_execz .LBB118_1805
.LBB118_1825:
	v_cmp_ne_u16_e32 vcc, 0, v2
	s_andn2_b64 s[22:23], s[22:23], exec
	s_and_b64 s[24:25], vcc, exec
	s_or_b64 s[22:23], s[22:23], s[24:25]
	s_or_b64 exec, exec, s[4:5]
	v_mov_b32_e32 v1, 0
	s_and_saveexec_b64 s[4:5], s[22:23]
	s_cbranch_execnz .LBB118_1806
	s_branch .LBB118_1807
.LBB118_1826:
	s_mov_b64 s[0:1], -1
                                        ; implicit-def: $vgpr1
.LBB118_1827:
	s_mov_b64 s[24:25], 0
.LBB118_1828:
	s_and_b64 vcc, exec, s[24:25]
	s_cbranch_vccz .LBB118_1830
; %bb.1829:
	s_cmp_lg_u32 s15, 11
	s_mov_b64 s[4:5], -1
	s_cselect_b64 s[0:1], -1, 0
.LBB118_1830:
	s_and_b64 vcc, exec, s[0:1]
	s_cbranch_vccnz .LBB118_1893
; %bb.1831:
	s_andn2_b64 vcc, exec, s[4:5]
	s_cbranch_vccnz .LBB118_1833
.LBB118_1832:
	global_load_ubyte v1, v[4:5], off
	s_mov_b64 s[22:23], -1
	s_waitcnt vmcnt(0)
	v_cmp_ne_u16_e32 vcc, 0, v1
	v_cndmask_b32_e64 v1, 0, 1, vcc
.LBB118_1833:
	s_branch .LBB118_1765
.LBB118_1834:
	s_and_b32 s4, 0xffff, s26
	s_cmp_lt_i32 s4, 5
	s_cbranch_scc1 .LBB118_1839
; %bb.1835:
	s_cmp_lt_i32 s4, 8
	s_cbranch_scc1 .LBB118_1840
; %bb.1836:
	;; [unrolled: 3-line block ×3, first 2 shown]
	s_cmp_gt_i32 s4, 9
	s_cbranch_scc0 .LBB118_1842
; %bb.1838:
	global_load_dwordx2 v[1:2], v[4:5], off
	s_mov_b64 s[0:1], 0
	s_waitcnt vmcnt(0)
	v_cvt_i32_f64_e32 v1, v[1:2]
	s_branch .LBB118_1843
.LBB118_1839:
	s_mov_b64 s[0:1], -1
                                        ; implicit-def: $vgpr1
	s_branch .LBB118_1861
.LBB118_1840:
	s_mov_b64 s[0:1], -1
                                        ; implicit-def: $vgpr1
	s_branch .LBB118_1849
.LBB118_1841:
	s_mov_b64 s[0:1], -1
                                        ; implicit-def: $vgpr1
	s_branch .LBB118_1846
.LBB118_1842:
	s_mov_b64 s[0:1], -1
                                        ; implicit-def: $vgpr1
.LBB118_1843:
	s_andn2_b64 vcc, exec, s[0:1]
	s_cbranch_vccnz .LBB118_1845
; %bb.1844:
	global_load_dword v1, v[4:5], off
	s_waitcnt vmcnt(0)
	v_cvt_i32_f32_e32 v1, v1
.LBB118_1845:
	s_mov_b64 s[0:1], 0
.LBB118_1846:
	s_andn2_b64 vcc, exec, s[0:1]
	s_cbranch_vccnz .LBB118_1848
; %bb.1847:
	global_load_dword v1, v[4:5], off
	s_waitcnt vmcnt(0)
	v_cvt_i16_f16_e32 v1, v1
.LBB118_1848:
	s_mov_b64 s[0:1], 0
.LBB118_1849:
	s_andn2_b64 vcc, exec, s[0:1]
	s_cbranch_vccnz .LBB118_1860
; %bb.1850:
	s_cmp_lt_i32 s4, 6
	s_cbranch_scc1 .LBB118_1853
; %bb.1851:
	s_cmp_gt_i32 s4, 6
	s_cbranch_scc0 .LBB118_1854
; %bb.1852:
	global_load_dwordx2 v[1:2], v[4:5], off
	s_mov_b64 s[0:1], 0
	s_waitcnt vmcnt(0)
	v_cvt_i32_f64_e32 v1, v[1:2]
	s_branch .LBB118_1855
.LBB118_1853:
	s_mov_b64 s[0:1], -1
                                        ; implicit-def: $vgpr1
	s_branch .LBB118_1858
.LBB118_1854:
	s_mov_b64 s[0:1], -1
                                        ; implicit-def: $vgpr1
.LBB118_1855:
	s_andn2_b64 vcc, exec, s[0:1]
	s_cbranch_vccnz .LBB118_1857
; %bb.1856:
	global_load_dword v1, v[4:5], off
	s_waitcnt vmcnt(0)
	v_cvt_i32_f32_e32 v1, v1
.LBB118_1857:
	s_mov_b64 s[0:1], 0
.LBB118_1858:
	s_andn2_b64 vcc, exec, s[0:1]
	s_cbranch_vccnz .LBB118_1860
; %bb.1859:
	global_load_ushort v1, v[4:5], off
	s_waitcnt vmcnt(0)
	v_cvt_i16_f16_e32 v1, v1
.LBB118_1860:
	s_mov_b64 s[0:1], 0
.LBB118_1861:
	s_andn2_b64 vcc, exec, s[0:1]
	s_cbranch_vccnz .LBB118_1881
; %bb.1862:
	s_cmp_lt_i32 s4, 2
	s_cbranch_scc1 .LBB118_1866
; %bb.1863:
	s_cmp_lt_i32 s4, 3
	s_cbranch_scc1 .LBB118_1867
; %bb.1864:
	s_cmp_gt_i32 s4, 3
	s_cbranch_scc0 .LBB118_1868
; %bb.1865:
	global_load_dwordx2 v[1:2], v[4:5], off
	s_mov_b64 s[0:1], 0
	s_branch .LBB118_1869
.LBB118_1866:
	s_mov_b64 s[0:1], -1
                                        ; implicit-def: $vgpr1
	s_branch .LBB118_1875
.LBB118_1867:
	s_mov_b64 s[0:1], -1
                                        ; implicit-def: $vgpr1
	s_branch .LBB118_1872
.LBB118_1868:
	s_mov_b64 s[0:1], -1
                                        ; implicit-def: $vgpr1
.LBB118_1869:
	s_andn2_b64 vcc, exec, s[0:1]
	s_cbranch_vccnz .LBB118_1871
; %bb.1870:
	global_load_dword v1, v[4:5], off
.LBB118_1871:
	s_mov_b64 s[0:1], 0
.LBB118_1872:
	s_andn2_b64 vcc, exec, s[0:1]
	s_cbranch_vccnz .LBB118_1874
; %bb.1873:
	global_load_ushort v1, v[4:5], off
.LBB118_1874:
	s_mov_b64 s[0:1], 0
.LBB118_1875:
	s_andn2_b64 vcc, exec, s[0:1]
	s_cbranch_vccnz .LBB118_1881
; %bb.1876:
	s_cmp_gt_i32 s4, 0
	s_cbranch_scc0 .LBB118_1878
; %bb.1877:
	global_load_sbyte v1, v[4:5], off
	s_mov_b64 s[0:1], 0
	s_branch .LBB118_1879
.LBB118_1878:
	s_mov_b64 s[0:1], -1
                                        ; implicit-def: $vgpr1
.LBB118_1879:
	s_andn2_b64 vcc, exec, s[0:1]
	s_cbranch_vccnz .LBB118_1881
; %bb.1880:
	global_load_ubyte v1, v[4:5], off
.LBB118_1881:
.LBB118_1882:
	s_lshl_b32 s24, s14, 7
	s_waitcnt vmcnt(0)
	v_add_u32_e32 v2, s24, v6
	v_ashrrev_i32_e32 v5, 31, v2
	v_mov_b32_e32 v6, s17
	v_add_co_u32_e32 v4, vcc, s16, v2
	s_cmp_lt_i32 s27, 11
	v_addc_co_u32_e32 v5, vcc, v6, v5, vcc
	s_cbranch_scc1 .LBB118_1889
; %bb.1883:
	s_and_b32 s25, 0xffff, s27
	s_cmp_gt_i32 s25, 25
	s_mov_b64 s[4:5], 0
	s_cbranch_scc0 .LBB118_1890
; %bb.1884:
	s_cmp_gt_i32 s25, 28
	s_cbranch_scc0 .LBB118_1891
; %bb.1885:
	s_cmp_gt_i32 s25, 43
	;; [unrolled: 3-line block ×3, first 2 shown]
	s_cbranch_scc0 .LBB118_1894
; %bb.1887:
	s_cmp_eq_u32 s25, 46
	s_mov_b64 s[22:23], 0
	s_cbranch_scc0 .LBB118_1895
; %bb.1888:
	global_load_dword v6, v[4:5], off
	s_mov_b64 s[0:1], 0
	s_mov_b64 s[14:15], -1
	s_waitcnt vmcnt(0)
	v_lshlrev_b32_e32 v6, 16, v6
	v_cvt_i32_f32_e32 v6, v6
	s_branch .LBB118_1896
.LBB118_1889:
	s_mov_b64 s[0:1], -1
	s_mov_b64 s[14:15], 0
                                        ; implicit-def: $vgpr6
	s_branch .LBB118_1958
.LBB118_1890:
	s_mov_b64 s[22:23], -1
	s_mov_b64 s[14:15], 0
	s_mov_b64 s[0:1], 0
                                        ; implicit-def: $vgpr6
	s_branch .LBB118_1923
.LBB118_1891:
	s_mov_b64 s[22:23], -1
	s_mov_b64 s[14:15], 0
	s_mov_b64 s[0:1], 0
                                        ; implicit-def: $vgpr6
	s_branch .LBB118_1906
.LBB118_1892:
	s_mov_b64 s[22:23], -1
	s_mov_b64 s[14:15], 0
	s_mov_b64 s[0:1], 0
                                        ; implicit-def: $vgpr6
	s_branch .LBB118_1901
.LBB118_1893:
	s_trap 2
	s_or_b64 s[20:21], s[20:21], exec
	s_cbranch_execz .LBB118_1832
	s_branch .LBB118_1833
.LBB118_1894:
	s_mov_b64 s[22:23], -1
	s_mov_b64 s[14:15], 0
	s_mov_b64 s[0:1], 0
                                        ; implicit-def: $vgpr6
	s_branch .LBB118_1896
.LBB118_1895:
	s_mov_b64 s[0:1], -1
                                        ; implicit-def: $vgpr6
	s_mov_b64 s[14:15], 0
.LBB118_1896:
	s_and_b64 vcc, exec, s[22:23]
	s_cbranch_vccz .LBB118_1900
; %bb.1897:
	s_cmp_eq_u32 s25, 44
	s_cbranch_scc0 .LBB118_1899
; %bb.1898:
	global_load_ubyte v6, v[4:5], off
	s_mov_b64 s[0:1], 0
	s_mov_b64 s[14:15], -1
	s_waitcnt vmcnt(0)
	v_lshlrev_b32_e32 v7, 23, v6
	v_cvt_i32_f32_e32 v7, v7
	v_cmp_ne_u32_e32 vcc, 0, v6
	v_cndmask_b32_e32 v6, 0, v7, vcc
	s_branch .LBB118_1900
.LBB118_1899:
	s_mov_b64 s[0:1], -1
                                        ; implicit-def: $vgpr6
.LBB118_1900:
	s_mov_b64 s[22:23], 0
.LBB118_1901:
	s_and_b64 vcc, exec, s[22:23]
	s_cbranch_vccz .LBB118_1905
; %bb.1902:
	s_cmp_eq_u32 s25, 29
	s_cbranch_scc0 .LBB118_1904
; %bb.1903:
	global_load_dwordx2 v[6:7], v[4:5], off
	s_mov_b64 s[0:1], 0
	s_mov_b64 s[14:15], -1
	s_branch .LBB118_1905
.LBB118_1904:
	s_mov_b64 s[0:1], -1
                                        ; implicit-def: $vgpr6
.LBB118_1905:
	s_mov_b64 s[22:23], 0
.LBB118_1906:
	s_and_b64 vcc, exec, s[22:23]
	s_cbranch_vccz .LBB118_1922
; %bb.1907:
	s_cmp_lt_i32 s25, 27
	s_cbranch_scc1 .LBB118_1910
; %bb.1908:
	s_cmp_gt_i32 s25, 27
	s_cbranch_scc0 .LBB118_1911
; %bb.1909:
	global_load_dword v6, v[4:5], off
	s_mov_b64 s[14:15], 0
	s_branch .LBB118_1912
.LBB118_1910:
	s_mov_b64 s[14:15], -1
                                        ; implicit-def: $vgpr6
	s_branch .LBB118_1915
.LBB118_1911:
	s_mov_b64 s[14:15], -1
                                        ; implicit-def: $vgpr6
.LBB118_1912:
	s_andn2_b64 vcc, exec, s[14:15]
	s_cbranch_vccnz .LBB118_1914
; %bb.1913:
	global_load_ushort v6, v[4:5], off
.LBB118_1914:
	s_mov_b64 s[14:15], 0
.LBB118_1915:
	s_andn2_b64 vcc, exec, s[14:15]
	s_cbranch_vccnz .LBB118_1921
; %bb.1916:
	global_load_ubyte v7, v[4:5], off
	s_movk_i32 s14, 0x7f
	s_mov_b64 s[22:23], 0
	s_waitcnt vmcnt(0)
	v_cmp_lt_i16_e32 vcc, s14, v7
	s_and_saveexec_b64 s[14:15], vcc
	s_xor_b64 s[14:15], exec, s[14:15]
	s_cbranch_execz .LBB118_1933
; %bb.1917:
	s_movk_i32 s22, 0x80
	v_cmp_ne_u16_e32 vcc, s22, v7
	s_and_b64 s[22:23], vcc, exec
	s_andn2_saveexec_b64 s[14:15], s[14:15]
	s_cbranch_execnz .LBB118_1934
.LBB118_1918:
	s_or_b64 exec, exec, s[14:15]
	v_mov_b32_e32 v6, 0
	s_and_saveexec_b64 s[14:15], s[22:23]
	s_cbranch_execz .LBB118_1920
.LBB118_1919:
	v_lshlrev_b32_e32 v6, 24, v7
	v_and_b32_e32 v7, 0xffff, v7
	v_and_b32_e32 v9, 7, v7
	v_ffbh_u32_e32 v11, v9
	v_min_u32_e32 v11, 32, v11
	v_subrev_u32_e32 v12, 28, v11
	v_bfe_u32 v10, v7, 3, 4
	v_lshlrev_b32_e32 v7, v12, v7
	v_sub_u32_e32 v11, 29, v11
	v_and_b32_e32 v7, 7, v7
	v_cmp_eq_u32_e32 vcc, 0, v10
	v_cndmask_b32_e32 v10, v10, v11, vcc
	v_cndmask_b32_e32 v7, v9, v7, vcc
	v_mov_b32_e32 v9, 0x3b800000
	v_lshlrev_b32_e32 v7, 20, v7
	v_and_b32_e32 v6, 0x80000000, v6
	v_lshl_add_u32 v9, v10, 23, v9
	v_or3_b32 v6, v6, v9, v7
	v_cvt_i32_f32_e32 v6, v6
.LBB118_1920:
	s_or_b64 exec, exec, s[14:15]
.LBB118_1921:
	s_mov_b64 s[14:15], -1
.LBB118_1922:
	s_mov_b64 s[22:23], 0
.LBB118_1923:
	s_and_b64 vcc, exec, s[22:23]
	s_cbranch_vccz .LBB118_1954
; %bb.1924:
	s_cmp_gt_i32 s25, 22
	s_cbranch_scc0 .LBB118_1932
; %bb.1925:
	s_cmp_lt_i32 s25, 24
	s_cbranch_scc1 .LBB118_1935
; %bb.1926:
	s_cmp_gt_i32 s25, 24
	s_cbranch_scc0 .LBB118_1936
; %bb.1927:
	global_load_ubyte v7, v[4:5], off
	s_movk_i32 s4, 0x7f
	s_mov_b64 s[14:15], 0
	s_waitcnt vmcnt(0)
	v_cmp_lt_i16_e32 vcc, s4, v7
	s_and_saveexec_b64 s[4:5], vcc
	s_xor_b64 s[4:5], exec, s[4:5]
	s_cbranch_execz .LBB118_1948
; %bb.1928:
	s_movk_i32 s14, 0x80
	v_cmp_ne_u16_e32 vcc, s14, v7
	s_and_b64 s[14:15], vcc, exec
	s_andn2_saveexec_b64 s[4:5], s[4:5]
	s_cbranch_execnz .LBB118_1949
.LBB118_1929:
	s_or_b64 exec, exec, s[4:5]
	v_mov_b32_e32 v6, 0
	s_and_saveexec_b64 s[4:5], s[14:15]
	s_cbranch_execz .LBB118_1931
.LBB118_1930:
	v_lshlrev_b32_e32 v6, 24, v7
	v_and_b32_e32 v7, 0xffff, v7
	v_and_b32_e32 v9, 3, v7
	v_ffbh_u32_e32 v11, v9
	v_min_u32_e32 v11, 32, v11
	v_subrev_u32_e32 v12, 29, v11
	v_bfe_u32 v10, v7, 2, 5
	v_lshlrev_b32_e32 v7, v12, v7
	v_sub_u32_e32 v11, 30, v11
	v_and_b32_e32 v7, 3, v7
	v_cmp_eq_u32_e32 vcc, 0, v10
	v_cndmask_b32_e32 v10, v10, v11, vcc
	v_cndmask_b32_e32 v7, v9, v7, vcc
	v_mov_b32_e32 v9, 0x37800000
	v_lshlrev_b32_e32 v7, 21, v7
	v_and_b32_e32 v6, 0x80000000, v6
	v_lshl_add_u32 v9, v10, 23, v9
	v_or3_b32 v6, v6, v9, v7
	v_cvt_i32_f32_e32 v6, v6
.LBB118_1931:
	s_or_b64 exec, exec, s[4:5]
	s_mov_b64 s[4:5], 0
	s_branch .LBB118_1937
.LBB118_1932:
	s_mov_b64 s[4:5], -1
                                        ; implicit-def: $vgpr6
	s_branch .LBB118_1943
.LBB118_1933:
	s_andn2_saveexec_b64 s[14:15], s[14:15]
	s_cbranch_execz .LBB118_1918
.LBB118_1934:
	v_cmp_ne_u16_e32 vcc, 0, v7
	s_andn2_b64 s[22:23], s[22:23], exec
	s_and_b64 s[28:29], vcc, exec
	s_or_b64 s[22:23], s[22:23], s[28:29]
	s_or_b64 exec, exec, s[14:15]
	v_mov_b32_e32 v6, 0
	s_and_saveexec_b64 s[14:15], s[22:23]
	s_cbranch_execnz .LBB118_1919
	s_branch .LBB118_1920
.LBB118_1935:
	s_mov_b64 s[4:5], -1
                                        ; implicit-def: $vgpr6
	s_branch .LBB118_1940
.LBB118_1936:
	s_mov_b64 s[4:5], -1
                                        ; implicit-def: $vgpr6
.LBB118_1937:
	s_and_b64 vcc, exec, s[4:5]
	s_cbranch_vccz .LBB118_1939
; %bb.1938:
	global_load_ubyte v6, v[4:5], off
	s_mov_b32 s4, 0x7f800000
	s_waitcnt vmcnt(0)
	v_lshlrev_b32_e32 v6, 24, v6
	v_and_b32_e32 v7, 0x7f000000, v6
	v_ffbh_u32_e32 v9, v7
	v_min_u32_e32 v9, 32, v9
	v_sub_u32_e64 v9, v9, 4 clamp
	v_lshlrev_b32_e32 v11, v9, v7
	v_lshlrev_b32_e32 v9, 23, v9
	v_lshrrev_b32_e32 v11, 4, v11
	v_add_u32_e32 v10, 0x1000000, v7
	v_sub_u32_e32 v9, v11, v9
	v_ashrrev_i32_e32 v10, 8, v10
	v_add_u32_e32 v9, 0x3c000000, v9
	v_and_or_b32 v9, v10, s4, v9
	v_cmp_ne_u32_e32 vcc, 0, v7
	v_cndmask_b32_e32 v7, 0, v9, vcc
	s_brev_b32 s4, 1
	v_and_or_b32 v6, v6, s4, v7
	v_cvt_i32_f32_e32 v6, v6
.LBB118_1939:
	s_mov_b64 s[4:5], 0
.LBB118_1940:
	s_andn2_b64 vcc, exec, s[4:5]
	s_cbranch_vccnz .LBB118_1942
; %bb.1941:
	global_load_ubyte v6, v[4:5], off
	s_movk_i32 s4, 0x7f00
	s_brev_b32 s5, 16
	s_waitcnt vmcnt(0)
	v_lshlrev_b16_e32 v7, 8, v6
	v_lshlrev_b32_e32 v6, 25, v6
	v_lshrrev_b32_e32 v9, 4, v6
	v_and_or_b32 v10, v7, s4, 0.5
	v_or_b32_e32 v9, 0x70000000, v9
	v_add_f32_e32 v10, -0.5, v10
	v_mul_f32_e32 v9, 0x7800000, v9
	v_cmp_gt_u32_e32 vcc, s5, v6
	v_bfe_i32 v7, v7, 0, 16
	v_cndmask_b32_e32 v6, v9, v10, vcc
	s_brev_b32 s4, 1
	v_and_or_b32 v6, v7, s4, v6
	v_cvt_i32_f32_e32 v6, v6
.LBB118_1942:
	s_mov_b64 s[4:5], 0
	s_mov_b64 s[14:15], -1
.LBB118_1943:
	s_andn2_b64 vcc, exec, s[4:5]
	s_mov_b64 s[4:5], 0
	s_cbranch_vccnz .LBB118_1954
; %bb.1944:
	s_cmp_gt_i32 s25, 14
	s_cbranch_scc0 .LBB118_1947
; %bb.1945:
	s_cmp_eq_u32 s25, 15
	s_cbranch_scc0 .LBB118_1950
; %bb.1946:
	global_load_ushort v6, v[4:5], off
	s_mov_b64 s[0:1], 0
	s_mov_b64 s[14:15], -1
	s_waitcnt vmcnt(0)
	v_lshlrev_b32_e32 v6, 16, v6
	v_cvt_i32_f32_e32 v6, v6
	s_branch .LBB118_1951
.LBB118_1947:
	s_mov_b64 s[22:23], -1
                                        ; implicit-def: $vgpr6
	s_branch .LBB118_1952
.LBB118_1948:
	s_andn2_saveexec_b64 s[4:5], s[4:5]
	s_cbranch_execz .LBB118_1929
.LBB118_1949:
	v_cmp_ne_u16_e32 vcc, 0, v7
	s_andn2_b64 s[14:15], s[14:15], exec
	s_and_b64 s[22:23], vcc, exec
	s_or_b64 s[14:15], s[14:15], s[22:23]
	s_or_b64 exec, exec, s[4:5]
	v_mov_b32_e32 v6, 0
	s_and_saveexec_b64 s[4:5], s[14:15]
	s_cbranch_execnz .LBB118_1930
	s_branch .LBB118_1931
.LBB118_1950:
	s_mov_b64 s[0:1], -1
                                        ; implicit-def: $vgpr6
.LBB118_1951:
	s_mov_b64 s[22:23], 0
.LBB118_1952:
	s_and_b64 vcc, exec, s[22:23]
	s_cbranch_vccz .LBB118_1954
; %bb.1953:
	s_cmp_lg_u32 s25, 11
	s_mov_b64 s[4:5], -1
	s_cselect_b64 s[0:1], -1, 0
.LBB118_1954:
	s_and_b64 vcc, exec, s[0:1]
	s_cbranch_vccnz .LBB118_2019
; %bb.1955:
	s_andn2_b64 vcc, exec, s[4:5]
	s_cbranch_vccnz .LBB118_1957
.LBB118_1956:
	global_load_ubyte v6, v[4:5], off
	s_mov_b64 s[14:15], -1
	s_waitcnt vmcnt(0)
	v_cmp_ne_u16_e32 vcc, 0, v6
	v_cndmask_b32_e64 v6, 0, 1, vcc
.LBB118_1957:
	s_mov_b64 s[0:1], 0
.LBB118_1958:
	s_and_b64 vcc, exec, s[0:1]
	s_cbranch_vccz .LBB118_2007
; %bb.1959:
	s_and_b32 s4, 0xffff, s27
	s_cmp_lt_i32 s4, 5
	s_cbranch_scc1 .LBB118_1964
; %bb.1960:
	s_cmp_lt_i32 s4, 8
	s_cbranch_scc1 .LBB118_1965
; %bb.1961:
	;; [unrolled: 3-line block ×3, first 2 shown]
	s_cmp_gt_i32 s4, 9
	s_cbranch_scc0 .LBB118_1967
; %bb.1963:
	global_load_dwordx2 v[6:7], v[4:5], off
	s_mov_b64 s[0:1], 0
	s_waitcnt vmcnt(0)
	v_cvt_i32_f64_e32 v6, v[6:7]
	s_branch .LBB118_1968
.LBB118_1964:
	s_mov_b64 s[0:1], -1
                                        ; implicit-def: $vgpr6
	s_branch .LBB118_1986
.LBB118_1965:
	s_mov_b64 s[0:1], -1
                                        ; implicit-def: $vgpr6
	s_branch .LBB118_1974
.LBB118_1966:
	s_mov_b64 s[0:1], -1
                                        ; implicit-def: $vgpr6
	s_branch .LBB118_1971
.LBB118_1967:
	s_mov_b64 s[0:1], -1
                                        ; implicit-def: $vgpr6
.LBB118_1968:
	s_andn2_b64 vcc, exec, s[0:1]
	s_cbranch_vccnz .LBB118_1970
; %bb.1969:
	global_load_dword v6, v[4:5], off
	s_waitcnt vmcnt(0)
	v_cvt_i32_f32_e32 v6, v6
.LBB118_1970:
	s_mov_b64 s[0:1], 0
.LBB118_1971:
	s_andn2_b64 vcc, exec, s[0:1]
	s_cbranch_vccnz .LBB118_1973
; %bb.1972:
	global_load_dword v6, v[4:5], off
	s_waitcnt vmcnt(0)
	v_cvt_i16_f16_e32 v6, v6
.LBB118_1973:
	s_mov_b64 s[0:1], 0
.LBB118_1974:
	s_andn2_b64 vcc, exec, s[0:1]
	s_cbranch_vccnz .LBB118_1985
; %bb.1975:
	s_cmp_lt_i32 s4, 6
	s_cbranch_scc1 .LBB118_1978
; %bb.1976:
	s_cmp_gt_i32 s4, 6
	s_cbranch_scc0 .LBB118_1979
; %bb.1977:
	global_load_dwordx2 v[6:7], v[4:5], off
	s_mov_b64 s[0:1], 0
	s_waitcnt vmcnt(0)
	v_cvt_i32_f64_e32 v6, v[6:7]
	s_branch .LBB118_1980
.LBB118_1978:
	s_mov_b64 s[0:1], -1
                                        ; implicit-def: $vgpr6
	s_branch .LBB118_1983
.LBB118_1979:
	s_mov_b64 s[0:1], -1
                                        ; implicit-def: $vgpr6
.LBB118_1980:
	s_andn2_b64 vcc, exec, s[0:1]
	s_cbranch_vccnz .LBB118_1982
; %bb.1981:
	global_load_dword v6, v[4:5], off
	s_waitcnt vmcnt(0)
	v_cvt_i32_f32_e32 v6, v6
.LBB118_1982:
	s_mov_b64 s[0:1], 0
.LBB118_1983:
	s_andn2_b64 vcc, exec, s[0:1]
	s_cbranch_vccnz .LBB118_1985
; %bb.1984:
	global_load_ushort v6, v[4:5], off
	s_waitcnt vmcnt(0)
	v_cvt_i16_f16_e32 v6, v6
.LBB118_1985:
	s_mov_b64 s[0:1], 0
.LBB118_1986:
	s_andn2_b64 vcc, exec, s[0:1]
	s_cbranch_vccnz .LBB118_2006
; %bb.1987:
	s_cmp_lt_i32 s4, 2
	s_cbranch_scc1 .LBB118_1991
; %bb.1988:
	s_cmp_lt_i32 s4, 3
	s_cbranch_scc1 .LBB118_1992
; %bb.1989:
	s_cmp_gt_i32 s4, 3
	s_cbranch_scc0 .LBB118_1993
; %bb.1990:
	global_load_dwordx2 v[6:7], v[4:5], off
	s_mov_b64 s[0:1], 0
	s_branch .LBB118_1994
.LBB118_1991:
	s_mov_b64 s[0:1], -1
                                        ; implicit-def: $vgpr6
	s_branch .LBB118_2000
.LBB118_1992:
	s_mov_b64 s[0:1], -1
                                        ; implicit-def: $vgpr6
	s_branch .LBB118_1997
.LBB118_1993:
	s_mov_b64 s[0:1], -1
                                        ; implicit-def: $vgpr6
.LBB118_1994:
	s_andn2_b64 vcc, exec, s[0:1]
	s_cbranch_vccnz .LBB118_1996
; %bb.1995:
	global_load_dword v6, v[4:5], off
.LBB118_1996:
	s_mov_b64 s[0:1], 0
.LBB118_1997:
	s_andn2_b64 vcc, exec, s[0:1]
	s_cbranch_vccnz .LBB118_1999
; %bb.1998:
	global_load_ushort v6, v[4:5], off
.LBB118_1999:
	s_mov_b64 s[0:1], 0
.LBB118_2000:
	s_andn2_b64 vcc, exec, s[0:1]
	s_cbranch_vccnz .LBB118_2006
; %bb.2001:
	s_cmp_gt_i32 s4, 0
	s_cbranch_scc0 .LBB118_2003
; %bb.2002:
	global_load_sbyte v6, v[4:5], off
	s_mov_b64 s[0:1], 0
	s_branch .LBB118_2004
.LBB118_2003:
	s_mov_b64 s[0:1], -1
                                        ; implicit-def: $vgpr6
.LBB118_2004:
	s_andn2_b64 vcc, exec, s[0:1]
	s_cbranch_vccnz .LBB118_2006
; %bb.2005:
	global_load_ubyte v6, v[4:5], off
.LBB118_2006:
	s_mov_b64 s[14:15], -1
.LBB118_2007:
	s_andn2_b64 vcc, exec, s[14:15]
	s_cbranch_vccnz .LBB118_2947
; %bb.2008:
	v_add_u32_e32 v11, s13, v8
	v_ashrrev_i32_e32 v4, 31, v11
	v_mov_b32_e32 v5, s11
	s_waitcnt vmcnt(0)
	v_add_co_u32_e32 v7, vcc, s10, v11
	s_cmp_lt_i32 s26, 11
	v_addc_co_u32_e32 v8, vcc, v5, v4, vcc
	s_cbranch_scc1 .LBB118_2015
; %bb.2009:
	s_and_b32 s25, 0xffff, s26
	s_cmp_gt_i32 s25, 25
	s_mov_b64 s[4:5], 0
	s_cbranch_scc0 .LBB118_2016
; %bb.2010:
	s_cmp_gt_i32 s25, 28
	s_cbranch_scc0 .LBB118_2017
; %bb.2011:
	s_cmp_gt_i32 s25, 43
	;; [unrolled: 3-line block ×3, first 2 shown]
	s_cbranch_scc0 .LBB118_2020
; %bb.2013:
	s_cmp_eq_u32 s25, 46
	s_mov_b64 s[22:23], 0
	s_cbranch_scc0 .LBB118_2021
; %bb.2014:
	global_load_dword v4, v[7:8], off
	s_mov_b64 s[0:1], 0
	s_mov_b64 s[14:15], -1
	s_waitcnt vmcnt(0)
	v_lshlrev_b32_e32 v4, 16, v4
	v_cvt_i32_f32_e32 v4, v4
	s_branch .LBB118_2022
.LBB118_2015:
	s_mov_b64 s[0:1], -1
	s_mov_b64 s[14:15], 0
                                        ; implicit-def: $vgpr4
	s_branch .LBB118_2084
.LBB118_2016:
	s_mov_b64 s[22:23], -1
	s_mov_b64 s[14:15], 0
	s_mov_b64 s[0:1], 0
                                        ; implicit-def: $vgpr4
	s_branch .LBB118_2049
.LBB118_2017:
	s_mov_b64 s[22:23], -1
	s_mov_b64 s[14:15], 0
	s_mov_b64 s[0:1], 0
                                        ; implicit-def: $vgpr4
	s_branch .LBB118_2032
.LBB118_2018:
	s_mov_b64 s[22:23], -1
	s_mov_b64 s[14:15], 0
	s_mov_b64 s[0:1], 0
                                        ; implicit-def: $vgpr4
	s_branch .LBB118_2027
.LBB118_2019:
	s_trap 2
	s_or_b64 s[20:21], s[20:21], exec
	s_cbranch_execz .LBB118_1956
	s_branch .LBB118_1957
.LBB118_2020:
	s_mov_b64 s[22:23], -1
	s_mov_b64 s[14:15], 0
	s_mov_b64 s[0:1], 0
                                        ; implicit-def: $vgpr4
	s_branch .LBB118_2022
.LBB118_2021:
	s_mov_b64 s[0:1], -1
                                        ; implicit-def: $vgpr4
	s_mov_b64 s[14:15], 0
.LBB118_2022:
	s_and_b64 vcc, exec, s[22:23]
	s_cbranch_vccz .LBB118_2026
; %bb.2023:
	s_cmp_eq_u32 s25, 44
	s_cbranch_scc0 .LBB118_2025
; %bb.2024:
	global_load_ubyte v4, v[7:8], off
	s_mov_b64 s[0:1], 0
	s_mov_b64 s[14:15], -1
	s_waitcnt vmcnt(0)
	v_lshlrev_b32_e32 v5, 23, v4
	v_cvt_i32_f32_e32 v5, v5
	v_cmp_ne_u32_e32 vcc, 0, v4
	v_cndmask_b32_e32 v4, 0, v5, vcc
	s_branch .LBB118_2026
.LBB118_2025:
	s_mov_b64 s[0:1], -1
                                        ; implicit-def: $vgpr4
.LBB118_2026:
	s_mov_b64 s[22:23], 0
.LBB118_2027:
	s_and_b64 vcc, exec, s[22:23]
	s_cbranch_vccz .LBB118_2031
; %bb.2028:
	s_cmp_eq_u32 s25, 29
	s_cbranch_scc0 .LBB118_2030
; %bb.2029:
	global_load_dwordx2 v[4:5], v[7:8], off
	s_mov_b64 s[0:1], 0
	s_mov_b64 s[14:15], -1
	s_branch .LBB118_2031
.LBB118_2030:
	s_mov_b64 s[0:1], -1
                                        ; implicit-def: $vgpr4
.LBB118_2031:
	s_mov_b64 s[22:23], 0
.LBB118_2032:
	s_and_b64 vcc, exec, s[22:23]
	s_cbranch_vccz .LBB118_2048
; %bb.2033:
	s_cmp_lt_i32 s25, 27
	s_cbranch_scc1 .LBB118_2036
; %bb.2034:
	s_cmp_gt_i32 s25, 27
	s_cbranch_scc0 .LBB118_2037
; %bb.2035:
	global_load_dword v4, v[7:8], off
	s_mov_b64 s[14:15], 0
	s_branch .LBB118_2038
.LBB118_2036:
	s_mov_b64 s[14:15], -1
                                        ; implicit-def: $vgpr4
	s_branch .LBB118_2041
.LBB118_2037:
	s_mov_b64 s[14:15], -1
                                        ; implicit-def: $vgpr4
.LBB118_2038:
	s_andn2_b64 vcc, exec, s[14:15]
	s_cbranch_vccnz .LBB118_2040
; %bb.2039:
	global_load_ushort v4, v[7:8], off
.LBB118_2040:
	s_mov_b64 s[14:15], 0
.LBB118_2041:
	s_andn2_b64 vcc, exec, s[14:15]
	s_cbranch_vccnz .LBB118_2047
; %bb.2042:
	global_load_ubyte v5, v[7:8], off
	s_movk_i32 s14, 0x7f
	s_mov_b64 s[22:23], 0
	s_waitcnt vmcnt(0)
	v_cmp_lt_i16_e32 vcc, s14, v5
	s_and_saveexec_b64 s[14:15], vcc
	s_xor_b64 s[14:15], exec, s[14:15]
	s_cbranch_execz .LBB118_2059
; %bb.2043:
	s_movk_i32 s22, 0x80
	v_cmp_ne_u16_e32 vcc, s22, v5
	s_and_b64 s[22:23], vcc, exec
	s_andn2_saveexec_b64 s[14:15], s[14:15]
	s_cbranch_execnz .LBB118_2060
.LBB118_2044:
	s_or_b64 exec, exec, s[14:15]
	v_mov_b32_e32 v4, 0
	s_and_saveexec_b64 s[14:15], s[22:23]
	s_cbranch_execz .LBB118_2046
.LBB118_2045:
	v_lshlrev_b32_e32 v4, 24, v5
	v_and_b32_e32 v5, 0xffff, v5
	v_and_b32_e32 v9, 7, v5
	v_ffbh_u32_e32 v12, v9
	v_min_u32_e32 v12, 32, v12
	v_subrev_u32_e32 v13, 28, v12
	v_bfe_u32 v10, v5, 3, 4
	v_lshlrev_b32_e32 v5, v13, v5
	v_sub_u32_e32 v12, 29, v12
	v_and_b32_e32 v5, 7, v5
	v_cmp_eq_u32_e32 vcc, 0, v10
	v_cndmask_b32_e32 v10, v10, v12, vcc
	v_cndmask_b32_e32 v5, v9, v5, vcc
	v_mov_b32_e32 v9, 0x3b800000
	v_lshlrev_b32_e32 v5, 20, v5
	v_and_b32_e32 v4, 0x80000000, v4
	v_lshl_add_u32 v9, v10, 23, v9
	v_or3_b32 v4, v4, v9, v5
	v_cvt_i32_f32_e32 v4, v4
.LBB118_2046:
	s_or_b64 exec, exec, s[14:15]
.LBB118_2047:
	s_mov_b64 s[14:15], -1
.LBB118_2048:
	s_mov_b64 s[22:23], 0
.LBB118_2049:
	s_and_b64 vcc, exec, s[22:23]
	s_cbranch_vccz .LBB118_2080
; %bb.2050:
	s_cmp_gt_i32 s25, 22
	s_cbranch_scc0 .LBB118_2058
; %bb.2051:
	s_cmp_lt_i32 s25, 24
	s_cbranch_scc1 .LBB118_2061
; %bb.2052:
	s_cmp_gt_i32 s25, 24
	s_cbranch_scc0 .LBB118_2062
; %bb.2053:
	global_load_ubyte v5, v[7:8], off
	s_movk_i32 s4, 0x7f
	s_mov_b64 s[14:15], 0
	s_waitcnt vmcnt(0)
	v_cmp_lt_i16_e32 vcc, s4, v5
	s_and_saveexec_b64 s[4:5], vcc
	s_xor_b64 s[4:5], exec, s[4:5]
	s_cbranch_execz .LBB118_2074
; %bb.2054:
	s_movk_i32 s14, 0x80
	v_cmp_ne_u16_e32 vcc, s14, v5
	s_and_b64 s[14:15], vcc, exec
	s_andn2_saveexec_b64 s[4:5], s[4:5]
	s_cbranch_execnz .LBB118_2075
.LBB118_2055:
	s_or_b64 exec, exec, s[4:5]
	v_mov_b32_e32 v4, 0
	s_and_saveexec_b64 s[4:5], s[14:15]
	s_cbranch_execz .LBB118_2057
.LBB118_2056:
	v_lshlrev_b32_e32 v4, 24, v5
	v_and_b32_e32 v5, 0xffff, v5
	v_and_b32_e32 v9, 3, v5
	v_ffbh_u32_e32 v12, v9
	v_min_u32_e32 v12, 32, v12
	v_subrev_u32_e32 v13, 29, v12
	v_bfe_u32 v10, v5, 2, 5
	v_lshlrev_b32_e32 v5, v13, v5
	v_sub_u32_e32 v12, 30, v12
	v_and_b32_e32 v5, 3, v5
	v_cmp_eq_u32_e32 vcc, 0, v10
	v_cndmask_b32_e32 v10, v10, v12, vcc
	v_cndmask_b32_e32 v5, v9, v5, vcc
	v_mov_b32_e32 v9, 0x37800000
	v_lshlrev_b32_e32 v5, 21, v5
	v_and_b32_e32 v4, 0x80000000, v4
	v_lshl_add_u32 v9, v10, 23, v9
	v_or3_b32 v4, v4, v9, v5
	v_cvt_i32_f32_e32 v4, v4
.LBB118_2057:
	s_or_b64 exec, exec, s[4:5]
	s_mov_b64 s[4:5], 0
	s_branch .LBB118_2063
.LBB118_2058:
	s_mov_b64 s[4:5], -1
                                        ; implicit-def: $vgpr4
	s_branch .LBB118_2069
.LBB118_2059:
	s_andn2_saveexec_b64 s[14:15], s[14:15]
	s_cbranch_execz .LBB118_2044
.LBB118_2060:
	v_cmp_ne_u16_e32 vcc, 0, v5
	s_andn2_b64 s[22:23], s[22:23], exec
	s_and_b64 s[28:29], vcc, exec
	s_or_b64 s[22:23], s[22:23], s[28:29]
	s_or_b64 exec, exec, s[14:15]
	v_mov_b32_e32 v4, 0
	s_and_saveexec_b64 s[14:15], s[22:23]
	s_cbranch_execnz .LBB118_2045
	s_branch .LBB118_2046
.LBB118_2061:
	s_mov_b64 s[4:5], -1
                                        ; implicit-def: $vgpr4
	s_branch .LBB118_2066
.LBB118_2062:
	s_mov_b64 s[4:5], -1
                                        ; implicit-def: $vgpr4
.LBB118_2063:
	s_and_b64 vcc, exec, s[4:5]
	s_cbranch_vccz .LBB118_2065
; %bb.2064:
	global_load_ubyte v4, v[7:8], off
	s_mov_b32 s4, 0x7f800000
	s_waitcnt vmcnt(0)
	v_lshlrev_b32_e32 v4, 24, v4
	v_and_b32_e32 v5, 0x7f000000, v4
	v_ffbh_u32_e32 v9, v5
	v_min_u32_e32 v9, 32, v9
	v_sub_u32_e64 v9, v9, 4 clamp
	v_lshlrev_b32_e32 v12, v9, v5
	v_lshlrev_b32_e32 v9, 23, v9
	v_lshrrev_b32_e32 v12, 4, v12
	v_add_u32_e32 v10, 0x1000000, v5
	v_sub_u32_e32 v9, v12, v9
	v_ashrrev_i32_e32 v10, 8, v10
	v_add_u32_e32 v9, 0x3c000000, v9
	v_and_or_b32 v9, v10, s4, v9
	v_cmp_ne_u32_e32 vcc, 0, v5
	v_cndmask_b32_e32 v5, 0, v9, vcc
	s_brev_b32 s4, 1
	v_and_or_b32 v4, v4, s4, v5
	v_cvt_i32_f32_e32 v4, v4
.LBB118_2065:
	s_mov_b64 s[4:5], 0
.LBB118_2066:
	s_andn2_b64 vcc, exec, s[4:5]
	s_cbranch_vccnz .LBB118_2068
; %bb.2067:
	global_load_ubyte v4, v[7:8], off
	s_movk_i32 s4, 0x7f00
	s_brev_b32 s5, 16
	s_waitcnt vmcnt(0)
	v_lshlrev_b16_e32 v5, 8, v4
	v_lshlrev_b32_e32 v4, 25, v4
	v_lshrrev_b32_e32 v9, 4, v4
	v_and_or_b32 v10, v5, s4, 0.5
	v_or_b32_e32 v9, 0x70000000, v9
	v_add_f32_e32 v10, -0.5, v10
	v_mul_f32_e32 v9, 0x7800000, v9
	v_cmp_gt_u32_e32 vcc, s5, v4
	v_bfe_i32 v5, v5, 0, 16
	v_cndmask_b32_e32 v4, v9, v10, vcc
	s_brev_b32 s4, 1
	v_and_or_b32 v4, v5, s4, v4
	v_cvt_i32_f32_e32 v4, v4
.LBB118_2068:
	s_mov_b64 s[4:5], 0
	s_mov_b64 s[14:15], -1
.LBB118_2069:
	s_andn2_b64 vcc, exec, s[4:5]
	s_mov_b64 s[4:5], 0
	s_cbranch_vccnz .LBB118_2080
; %bb.2070:
	s_cmp_gt_i32 s25, 14
	s_cbranch_scc0 .LBB118_2073
; %bb.2071:
	s_cmp_eq_u32 s25, 15
	s_cbranch_scc0 .LBB118_2076
; %bb.2072:
	global_load_ushort v4, v[7:8], off
	s_mov_b64 s[0:1], 0
	s_mov_b64 s[14:15], -1
	s_waitcnt vmcnt(0)
	v_lshlrev_b32_e32 v4, 16, v4
	v_cvt_i32_f32_e32 v4, v4
	s_branch .LBB118_2077
.LBB118_2073:
	s_mov_b64 s[22:23], -1
                                        ; implicit-def: $vgpr4
	s_branch .LBB118_2078
.LBB118_2074:
	s_andn2_saveexec_b64 s[4:5], s[4:5]
	s_cbranch_execz .LBB118_2055
.LBB118_2075:
	v_cmp_ne_u16_e32 vcc, 0, v5
	s_andn2_b64 s[14:15], s[14:15], exec
	s_and_b64 s[22:23], vcc, exec
	s_or_b64 s[14:15], s[14:15], s[22:23]
	s_or_b64 exec, exec, s[4:5]
	v_mov_b32_e32 v4, 0
	s_and_saveexec_b64 s[4:5], s[14:15]
	s_cbranch_execnz .LBB118_2056
	s_branch .LBB118_2057
.LBB118_2076:
	s_mov_b64 s[0:1], -1
                                        ; implicit-def: $vgpr4
.LBB118_2077:
	s_mov_b64 s[22:23], 0
.LBB118_2078:
	s_and_b64 vcc, exec, s[22:23]
	s_cbranch_vccz .LBB118_2080
; %bb.2079:
	s_cmp_lg_u32 s25, 11
	s_mov_b64 s[4:5], -1
	s_cselect_b64 s[0:1], -1, 0
.LBB118_2080:
	s_and_b64 vcc, exec, s[0:1]
	s_cbranch_vccnz .LBB118_2145
; %bb.2081:
	s_andn2_b64 vcc, exec, s[4:5]
	s_cbranch_vccnz .LBB118_2083
.LBB118_2082:
	global_load_ubyte v4, v[7:8], off
	s_mov_b64 s[14:15], -1
	s_waitcnt vmcnt(0)
	v_cmp_ne_u16_e32 vcc, 0, v4
	v_cndmask_b32_e64 v4, 0, 1, vcc
.LBB118_2083:
	s_mov_b64 s[0:1], 0
.LBB118_2084:
	s_and_b64 vcc, exec, s[0:1]
	s_cbranch_vccz .LBB118_2133
; %bb.2085:
	s_and_b32 s4, 0xffff, s26
	s_cmp_lt_i32 s4, 5
	s_cbranch_scc1 .LBB118_2090
; %bb.2086:
	s_cmp_lt_i32 s4, 8
	s_cbranch_scc1 .LBB118_2091
; %bb.2087:
	;; [unrolled: 3-line block ×3, first 2 shown]
	s_cmp_gt_i32 s4, 9
	s_cbranch_scc0 .LBB118_2093
; %bb.2089:
	global_load_dwordx2 v[4:5], v[7:8], off
	s_mov_b64 s[0:1], 0
	s_waitcnt vmcnt(0)
	v_cvt_i32_f64_e32 v4, v[4:5]
	s_branch .LBB118_2094
.LBB118_2090:
	s_mov_b64 s[0:1], -1
                                        ; implicit-def: $vgpr4
	s_branch .LBB118_2112
.LBB118_2091:
	s_mov_b64 s[0:1], -1
                                        ; implicit-def: $vgpr4
	s_branch .LBB118_2100
.LBB118_2092:
	s_mov_b64 s[0:1], -1
                                        ; implicit-def: $vgpr4
	s_branch .LBB118_2097
.LBB118_2093:
	s_mov_b64 s[0:1], -1
                                        ; implicit-def: $vgpr4
.LBB118_2094:
	s_andn2_b64 vcc, exec, s[0:1]
	s_cbranch_vccnz .LBB118_2096
; %bb.2095:
	global_load_dword v4, v[7:8], off
	s_waitcnt vmcnt(0)
	v_cvt_i32_f32_e32 v4, v4
.LBB118_2096:
	s_mov_b64 s[0:1], 0
.LBB118_2097:
	s_andn2_b64 vcc, exec, s[0:1]
	s_cbranch_vccnz .LBB118_2099
; %bb.2098:
	global_load_dword v4, v[7:8], off
	s_waitcnt vmcnt(0)
	v_cvt_i16_f16_e32 v4, v4
.LBB118_2099:
	s_mov_b64 s[0:1], 0
.LBB118_2100:
	s_andn2_b64 vcc, exec, s[0:1]
	s_cbranch_vccnz .LBB118_2111
; %bb.2101:
	s_cmp_lt_i32 s4, 6
	s_cbranch_scc1 .LBB118_2104
; %bb.2102:
	s_cmp_gt_i32 s4, 6
	s_cbranch_scc0 .LBB118_2105
; %bb.2103:
	global_load_dwordx2 v[4:5], v[7:8], off
	s_mov_b64 s[0:1], 0
	s_waitcnt vmcnt(0)
	v_cvt_i32_f64_e32 v4, v[4:5]
	s_branch .LBB118_2106
.LBB118_2104:
	s_mov_b64 s[0:1], -1
                                        ; implicit-def: $vgpr4
	s_branch .LBB118_2109
.LBB118_2105:
	s_mov_b64 s[0:1], -1
                                        ; implicit-def: $vgpr4
.LBB118_2106:
	s_andn2_b64 vcc, exec, s[0:1]
	s_cbranch_vccnz .LBB118_2108
; %bb.2107:
	global_load_dword v4, v[7:8], off
	s_waitcnt vmcnt(0)
	v_cvt_i32_f32_e32 v4, v4
.LBB118_2108:
	s_mov_b64 s[0:1], 0
.LBB118_2109:
	s_andn2_b64 vcc, exec, s[0:1]
	s_cbranch_vccnz .LBB118_2111
; %bb.2110:
	global_load_ushort v4, v[7:8], off
	s_waitcnt vmcnt(0)
	v_cvt_i16_f16_e32 v4, v4
.LBB118_2111:
	s_mov_b64 s[0:1], 0
.LBB118_2112:
	s_andn2_b64 vcc, exec, s[0:1]
	s_cbranch_vccnz .LBB118_2132
; %bb.2113:
	s_cmp_lt_i32 s4, 2
	s_cbranch_scc1 .LBB118_2117
; %bb.2114:
	s_cmp_lt_i32 s4, 3
	s_cbranch_scc1 .LBB118_2118
; %bb.2115:
	s_cmp_gt_i32 s4, 3
	s_cbranch_scc0 .LBB118_2119
; %bb.2116:
	global_load_dwordx2 v[4:5], v[7:8], off
	s_mov_b64 s[0:1], 0
	s_branch .LBB118_2120
.LBB118_2117:
	s_mov_b64 s[0:1], -1
                                        ; implicit-def: $vgpr4
	s_branch .LBB118_2126
.LBB118_2118:
	s_mov_b64 s[0:1], -1
                                        ; implicit-def: $vgpr4
	s_branch .LBB118_2123
.LBB118_2119:
	s_mov_b64 s[0:1], -1
                                        ; implicit-def: $vgpr4
.LBB118_2120:
	s_andn2_b64 vcc, exec, s[0:1]
	s_cbranch_vccnz .LBB118_2122
; %bb.2121:
	global_load_dword v4, v[7:8], off
.LBB118_2122:
	s_mov_b64 s[0:1], 0
.LBB118_2123:
	s_andn2_b64 vcc, exec, s[0:1]
	s_cbranch_vccnz .LBB118_2125
; %bb.2124:
	global_load_ushort v4, v[7:8], off
.LBB118_2125:
	s_mov_b64 s[0:1], 0
.LBB118_2126:
	s_andn2_b64 vcc, exec, s[0:1]
	s_cbranch_vccnz .LBB118_2132
; %bb.2127:
	s_cmp_gt_i32 s4, 0
	s_cbranch_scc0 .LBB118_2129
; %bb.2128:
	global_load_sbyte v4, v[7:8], off
	s_mov_b64 s[0:1], 0
	s_branch .LBB118_2130
.LBB118_2129:
	s_mov_b64 s[0:1], -1
                                        ; implicit-def: $vgpr4
.LBB118_2130:
	s_andn2_b64 vcc, exec, s[0:1]
	s_cbranch_vccnz .LBB118_2132
; %bb.2131:
	global_load_ubyte v4, v[7:8], off
.LBB118_2132:
	s_mov_b64 s[14:15], -1
.LBB118_2133:
	s_andn2_b64 vcc, exec, s[14:15]
	s_cbranch_vccnz .LBB118_2947
; %bb.2134:
	v_add_u32_e32 v2, s24, v2
	s_waitcnt vmcnt(0)
	v_ashrrev_i32_e32 v5, 31, v2
	v_mov_b32_e32 v8, s17
	v_add_co_u32_e32 v7, vcc, s16, v2
	s_cmp_lt_i32 s27, 11
	v_addc_co_u32_e32 v8, vcc, v8, v5, vcc
	s_cbranch_scc1 .LBB118_2141
; %bb.2135:
	s_and_b32 s25, 0xffff, s27
	s_cmp_gt_i32 s25, 25
	s_mov_b64 s[4:5], 0
	s_cbranch_scc0 .LBB118_2142
; %bb.2136:
	s_cmp_gt_i32 s25, 28
	s_cbranch_scc0 .LBB118_2143
; %bb.2137:
	s_cmp_gt_i32 s25, 43
	;; [unrolled: 3-line block ×3, first 2 shown]
	s_cbranch_scc0 .LBB118_2146
; %bb.2139:
	s_cmp_eq_u32 s25, 46
	s_mov_b64 s[22:23], 0
	s_cbranch_scc0 .LBB118_2149
; %bb.2140:
	global_load_dword v5, v[7:8], off
	s_mov_b64 s[0:1], 0
	s_mov_b64 s[14:15], -1
	s_waitcnt vmcnt(0)
	v_lshlrev_b32_e32 v5, 16, v5
	v_cvt_i32_f32_e32 v9, v5
	s_branch .LBB118_2150
.LBB118_2141:
	s_mov_b64 s[0:1], -1
	s_mov_b64 s[14:15], 0
                                        ; implicit-def: $vgpr9
	s_branch .LBB118_2212
.LBB118_2142:
	s_mov_b64 s[22:23], -1
	s_mov_b64 s[14:15], 0
	s_mov_b64 s[0:1], 0
                                        ; implicit-def: $vgpr9
	s_branch .LBB118_2177
.LBB118_2143:
	s_mov_b64 s[22:23], -1
	s_mov_b64 s[14:15], 0
	s_mov_b64 s[0:1], 0
                                        ; implicit-def: $vgpr9
	s_branch .LBB118_2160
.LBB118_2144:
	s_mov_b64 s[22:23], -1
	s_mov_b64 s[14:15], 0
	s_mov_b64 s[0:1], 0
                                        ; implicit-def: $vgpr9
	s_branch .LBB118_2155
.LBB118_2145:
	s_trap 2
	s_or_b64 s[20:21], s[20:21], exec
	s_cbranch_execz .LBB118_2082
	s_branch .LBB118_2083
.LBB118_2146:
	s_mov_b64 s[22:23], -1
	s_mov_b64 s[14:15], 0
	s_mov_b64 s[0:1], 0
                                        ; implicit-def: $vgpr9
	s_branch .LBB118_2150
.LBB118_2147:
	s_andn2_saveexec_b64 s[46:47], s[46:47]
	s_cbranch_execz .LBB118_1061
.LBB118_2148:
	s_mov_b32 s51, 0x42800000
	v_add_f32_e64 v3, |v2|, s51
	v_and_b32_e32 v3, 0xff, v3
	v_cmp_ne_u32_e32 vcc, 0, v3
	s_andn2_b64 s[44:45], s[44:45], exec
	s_and_b64 s[52:53], vcc, exec
	s_or_b64 s[44:45], s[44:45], s[52:53]
	s_or_b64 exec, exec, s[46:47]
	v_mov_b32_e32 v5, 0
	s_and_saveexec_b64 s[46:47], s[44:45]
	s_cbranch_execnz .LBB118_1062
	s_branch .LBB118_1063
.LBB118_2149:
	s_mov_b64 s[0:1], -1
                                        ; implicit-def: $vgpr9
	s_mov_b64 s[14:15], 0
.LBB118_2150:
	s_and_b64 vcc, exec, s[22:23]
	s_cbranch_vccz .LBB118_2154
; %bb.2151:
	s_cmp_eq_u32 s25, 44
	s_cbranch_scc0 .LBB118_2153
; %bb.2152:
	global_load_ubyte v5, v[7:8], off
	s_mov_b64 s[0:1], 0
	s_mov_b64 s[14:15], -1
	s_waitcnt vmcnt(0)
	v_lshlrev_b32_e32 v9, 23, v5
	v_cvt_i32_f32_e32 v9, v9
	v_cmp_ne_u32_e32 vcc, 0, v5
	v_cndmask_b32_e32 v9, 0, v9, vcc
	s_branch .LBB118_2154
.LBB118_2153:
	s_mov_b64 s[0:1], -1
                                        ; implicit-def: $vgpr9
.LBB118_2154:
	s_mov_b64 s[22:23], 0
.LBB118_2155:
	s_and_b64 vcc, exec, s[22:23]
	s_cbranch_vccz .LBB118_2159
; %bb.2156:
	s_cmp_eq_u32 s25, 29
	s_cbranch_scc0 .LBB118_2158
; %bb.2157:
	global_load_dwordx2 v[9:10], v[7:8], off
	s_mov_b64 s[0:1], 0
	s_mov_b64 s[14:15], -1
	s_branch .LBB118_2159
.LBB118_2158:
	s_mov_b64 s[0:1], -1
                                        ; implicit-def: $vgpr9
.LBB118_2159:
	s_mov_b64 s[22:23], 0
.LBB118_2160:
	s_and_b64 vcc, exec, s[22:23]
	s_cbranch_vccz .LBB118_2176
; %bb.2161:
	s_cmp_lt_i32 s25, 27
	s_cbranch_scc1 .LBB118_2164
; %bb.2162:
	s_cmp_gt_i32 s25, 27
	s_cbranch_scc0 .LBB118_2165
; %bb.2163:
	global_load_dword v9, v[7:8], off
	s_mov_b64 s[14:15], 0
	s_branch .LBB118_2166
.LBB118_2164:
	s_mov_b64 s[14:15], -1
                                        ; implicit-def: $vgpr9
	s_branch .LBB118_2169
.LBB118_2165:
	s_mov_b64 s[14:15], -1
                                        ; implicit-def: $vgpr9
.LBB118_2166:
	s_andn2_b64 vcc, exec, s[14:15]
	s_cbranch_vccnz .LBB118_2168
; %bb.2167:
	global_load_ushort v9, v[7:8], off
.LBB118_2168:
	s_mov_b64 s[14:15], 0
.LBB118_2169:
	s_andn2_b64 vcc, exec, s[14:15]
	s_cbranch_vccnz .LBB118_2175
; %bb.2170:
	global_load_ubyte v5, v[7:8], off
	s_movk_i32 s14, 0x7f
	s_mov_b64 s[22:23], 0
	s_waitcnt vmcnt(0)
	v_cmp_lt_i16_e32 vcc, s14, v5
	s_and_saveexec_b64 s[14:15], vcc
	s_xor_b64 s[14:15], exec, s[14:15]
	s_cbranch_execz .LBB118_2187
; %bb.2171:
	s_movk_i32 s22, 0x80
	v_cmp_ne_u16_e32 vcc, s22, v5
	s_and_b64 s[22:23], vcc, exec
	s_andn2_saveexec_b64 s[14:15], s[14:15]
	s_cbranch_execnz .LBB118_2188
.LBB118_2172:
	s_or_b64 exec, exec, s[14:15]
	v_mov_b32_e32 v9, 0
	s_and_saveexec_b64 s[14:15], s[22:23]
	s_cbranch_execz .LBB118_2174
.LBB118_2173:
	v_lshlrev_b32_e32 v9, 24, v5
	v_and_b32_e32 v5, 0xffff, v5
	v_and_b32_e32 v10, 7, v5
	v_ffbh_u32_e32 v13, v10
	v_min_u32_e32 v13, 32, v13
	v_subrev_u32_e32 v15, 28, v13
	v_bfe_u32 v12, v5, 3, 4
	v_lshlrev_b32_e32 v5, v15, v5
	v_sub_u32_e32 v13, 29, v13
	v_and_b32_e32 v5, 7, v5
	v_cmp_eq_u32_e32 vcc, 0, v12
	v_cndmask_b32_e32 v12, v12, v13, vcc
	v_cndmask_b32_e32 v5, v10, v5, vcc
	v_mov_b32_e32 v10, 0x3b800000
	v_lshlrev_b32_e32 v5, 20, v5
	v_and_b32_e32 v9, 0x80000000, v9
	v_lshl_add_u32 v10, v12, 23, v10
	v_or3_b32 v5, v9, v10, v5
	v_cvt_i32_f32_e32 v9, v5
.LBB118_2174:
	s_or_b64 exec, exec, s[14:15]
.LBB118_2175:
	s_mov_b64 s[14:15], -1
.LBB118_2176:
	s_mov_b64 s[22:23], 0
.LBB118_2177:
	s_and_b64 vcc, exec, s[22:23]
	s_cbranch_vccz .LBB118_2208
; %bb.2178:
	s_cmp_gt_i32 s25, 22
	s_cbranch_scc0 .LBB118_2186
; %bb.2179:
	s_cmp_lt_i32 s25, 24
	s_cbranch_scc1 .LBB118_2189
; %bb.2180:
	s_cmp_gt_i32 s25, 24
	s_cbranch_scc0 .LBB118_2190
; %bb.2181:
	global_load_ubyte v5, v[7:8], off
	s_movk_i32 s4, 0x7f
	s_mov_b64 s[14:15], 0
	s_waitcnt vmcnt(0)
	v_cmp_lt_i16_e32 vcc, s4, v5
	s_and_saveexec_b64 s[4:5], vcc
	s_xor_b64 s[4:5], exec, s[4:5]
	s_cbranch_execz .LBB118_2202
; %bb.2182:
	s_movk_i32 s14, 0x80
	v_cmp_ne_u16_e32 vcc, s14, v5
	s_and_b64 s[14:15], vcc, exec
	s_andn2_saveexec_b64 s[4:5], s[4:5]
	s_cbranch_execnz .LBB118_2203
.LBB118_2183:
	s_or_b64 exec, exec, s[4:5]
	v_mov_b32_e32 v9, 0
	s_and_saveexec_b64 s[4:5], s[14:15]
	s_cbranch_execz .LBB118_2185
.LBB118_2184:
	v_lshlrev_b32_e32 v9, 24, v5
	v_and_b32_e32 v5, 0xffff, v5
	v_and_b32_e32 v10, 3, v5
	v_ffbh_u32_e32 v13, v10
	v_min_u32_e32 v13, 32, v13
	v_subrev_u32_e32 v15, 29, v13
	v_bfe_u32 v12, v5, 2, 5
	v_lshlrev_b32_e32 v5, v15, v5
	v_sub_u32_e32 v13, 30, v13
	v_and_b32_e32 v5, 3, v5
	v_cmp_eq_u32_e32 vcc, 0, v12
	v_cndmask_b32_e32 v12, v12, v13, vcc
	v_cndmask_b32_e32 v5, v10, v5, vcc
	v_mov_b32_e32 v10, 0x37800000
	v_lshlrev_b32_e32 v5, 21, v5
	v_and_b32_e32 v9, 0x80000000, v9
	v_lshl_add_u32 v10, v12, 23, v10
	v_or3_b32 v5, v9, v10, v5
	v_cvt_i32_f32_e32 v9, v5
.LBB118_2185:
	s_or_b64 exec, exec, s[4:5]
	s_mov_b64 s[4:5], 0
	s_branch .LBB118_2191
.LBB118_2186:
	s_mov_b64 s[4:5], -1
                                        ; implicit-def: $vgpr9
	s_branch .LBB118_2197
.LBB118_2187:
	s_andn2_saveexec_b64 s[14:15], s[14:15]
	s_cbranch_execz .LBB118_2172
.LBB118_2188:
	v_cmp_ne_u16_e32 vcc, 0, v5
	s_andn2_b64 s[22:23], s[22:23], exec
	s_and_b64 s[28:29], vcc, exec
	s_or_b64 s[22:23], s[22:23], s[28:29]
	s_or_b64 exec, exec, s[14:15]
	v_mov_b32_e32 v9, 0
	s_and_saveexec_b64 s[14:15], s[22:23]
	s_cbranch_execnz .LBB118_2173
	s_branch .LBB118_2174
.LBB118_2189:
	s_mov_b64 s[4:5], -1
                                        ; implicit-def: $vgpr9
	s_branch .LBB118_2194
.LBB118_2190:
	s_mov_b64 s[4:5], -1
                                        ; implicit-def: $vgpr9
.LBB118_2191:
	s_and_b64 vcc, exec, s[4:5]
	s_cbranch_vccz .LBB118_2193
; %bb.2192:
	global_load_ubyte v5, v[7:8], off
	s_mov_b32 s4, 0x7f800000
	s_waitcnt vmcnt(0)
	v_lshlrev_b32_e32 v5, 24, v5
	v_and_b32_e32 v9, 0x7f000000, v5
	v_ffbh_u32_e32 v10, v9
	v_min_u32_e32 v10, 32, v10
	v_sub_u32_e64 v10, v10, 4 clamp
	v_lshlrev_b32_e32 v13, v10, v9
	v_lshlrev_b32_e32 v10, 23, v10
	v_lshrrev_b32_e32 v13, 4, v13
	v_add_u32_e32 v12, 0x1000000, v9
	v_sub_u32_e32 v10, v13, v10
	v_ashrrev_i32_e32 v12, 8, v12
	v_add_u32_e32 v10, 0x3c000000, v10
	v_and_or_b32 v10, v12, s4, v10
	v_cmp_ne_u32_e32 vcc, 0, v9
	v_cndmask_b32_e32 v9, 0, v10, vcc
	s_brev_b32 s4, 1
	v_and_or_b32 v5, v5, s4, v9
	v_cvt_i32_f32_e32 v9, v5
.LBB118_2193:
	s_mov_b64 s[4:5], 0
.LBB118_2194:
	s_andn2_b64 vcc, exec, s[4:5]
	s_cbranch_vccnz .LBB118_2196
; %bb.2195:
	global_load_ubyte v5, v[7:8], off
	s_movk_i32 s4, 0x7f00
	s_brev_b32 s5, 16
	s_waitcnt vmcnt(0)
	v_lshlrev_b16_e32 v9, 8, v5
	v_lshlrev_b32_e32 v5, 25, v5
	v_lshrrev_b32_e32 v10, 4, v5
	v_and_or_b32 v12, v9, s4, 0.5
	v_or_b32_e32 v10, 0x70000000, v10
	v_add_f32_e32 v12, -0.5, v12
	v_mul_f32_e32 v10, 0x7800000, v10
	v_cmp_gt_u32_e32 vcc, s5, v5
	v_bfe_i32 v9, v9, 0, 16
	v_cndmask_b32_e32 v5, v10, v12, vcc
	s_brev_b32 s4, 1
	v_and_or_b32 v5, v9, s4, v5
	v_cvt_i32_f32_e32 v9, v5
.LBB118_2196:
	s_mov_b64 s[4:5], 0
	s_mov_b64 s[14:15], -1
.LBB118_2197:
	s_andn2_b64 vcc, exec, s[4:5]
	s_mov_b64 s[4:5], 0
	s_cbranch_vccnz .LBB118_2208
; %bb.2198:
	s_cmp_gt_i32 s25, 14
	s_cbranch_scc0 .LBB118_2201
; %bb.2199:
	s_cmp_eq_u32 s25, 15
	s_cbranch_scc0 .LBB118_2204
; %bb.2200:
	global_load_ushort v5, v[7:8], off
	s_mov_b64 s[0:1], 0
	s_mov_b64 s[14:15], -1
	s_waitcnt vmcnt(0)
	v_lshlrev_b32_e32 v5, 16, v5
	v_cvt_i32_f32_e32 v9, v5
	s_branch .LBB118_2205
.LBB118_2201:
	s_mov_b64 s[22:23], -1
                                        ; implicit-def: $vgpr9
	s_branch .LBB118_2206
.LBB118_2202:
	s_andn2_saveexec_b64 s[4:5], s[4:5]
	s_cbranch_execz .LBB118_2183
.LBB118_2203:
	v_cmp_ne_u16_e32 vcc, 0, v5
	s_andn2_b64 s[14:15], s[14:15], exec
	s_and_b64 s[22:23], vcc, exec
	s_or_b64 s[14:15], s[14:15], s[22:23]
	s_or_b64 exec, exec, s[4:5]
	v_mov_b32_e32 v9, 0
	s_and_saveexec_b64 s[4:5], s[14:15]
	s_cbranch_execnz .LBB118_2184
	s_branch .LBB118_2185
.LBB118_2204:
	s_mov_b64 s[0:1], -1
                                        ; implicit-def: $vgpr9
.LBB118_2205:
	s_mov_b64 s[22:23], 0
.LBB118_2206:
	s_and_b64 vcc, exec, s[22:23]
	s_cbranch_vccz .LBB118_2208
; %bb.2207:
	s_cmp_lg_u32 s25, 11
	s_mov_b64 s[4:5], -1
	s_cselect_b64 s[0:1], -1, 0
.LBB118_2208:
	s_and_b64 vcc, exec, s[0:1]
	s_cbranch_vccnz .LBB118_2273
; %bb.2209:
	s_andn2_b64 vcc, exec, s[4:5]
	s_cbranch_vccnz .LBB118_2211
.LBB118_2210:
	global_load_ubyte v5, v[7:8], off
	s_mov_b64 s[14:15], -1
	s_waitcnt vmcnt(0)
	v_cmp_ne_u16_e32 vcc, 0, v5
	v_cndmask_b32_e64 v9, 0, 1, vcc
.LBB118_2211:
	s_mov_b64 s[0:1], 0
.LBB118_2212:
	s_and_b64 vcc, exec, s[0:1]
	s_cbranch_vccz .LBB118_2261
; %bb.2213:
	s_and_b32 s4, 0xffff, s27
	s_cmp_lt_i32 s4, 5
	s_cbranch_scc1 .LBB118_2218
; %bb.2214:
	s_cmp_lt_i32 s4, 8
	s_cbranch_scc1 .LBB118_2219
; %bb.2215:
	;; [unrolled: 3-line block ×3, first 2 shown]
	s_cmp_gt_i32 s4, 9
	s_cbranch_scc0 .LBB118_2221
; %bb.2217:
	global_load_dwordx2 v[9:10], v[7:8], off
	s_mov_b64 s[0:1], 0
	s_waitcnt vmcnt(0)
	v_cvt_i32_f64_e32 v9, v[9:10]
	s_branch .LBB118_2222
.LBB118_2218:
	s_mov_b64 s[0:1], -1
                                        ; implicit-def: $vgpr9
	s_branch .LBB118_2240
.LBB118_2219:
	s_mov_b64 s[0:1], -1
                                        ; implicit-def: $vgpr9
	s_branch .LBB118_2228
.LBB118_2220:
	s_mov_b64 s[0:1], -1
                                        ; implicit-def: $vgpr9
	s_branch .LBB118_2225
.LBB118_2221:
	s_mov_b64 s[0:1], -1
                                        ; implicit-def: $vgpr9
.LBB118_2222:
	s_andn2_b64 vcc, exec, s[0:1]
	s_cbranch_vccnz .LBB118_2224
; %bb.2223:
	global_load_dword v5, v[7:8], off
	s_waitcnt vmcnt(0)
	v_cvt_i32_f32_e32 v9, v5
.LBB118_2224:
	s_mov_b64 s[0:1], 0
.LBB118_2225:
	s_andn2_b64 vcc, exec, s[0:1]
	s_cbranch_vccnz .LBB118_2227
; %bb.2226:
	global_load_dword v5, v[7:8], off
	s_waitcnt vmcnt(0)
	v_cvt_i16_f16_e32 v9, v5
.LBB118_2227:
	s_mov_b64 s[0:1], 0
.LBB118_2228:
	s_andn2_b64 vcc, exec, s[0:1]
	s_cbranch_vccnz .LBB118_2239
; %bb.2229:
	s_cmp_lt_i32 s4, 6
	s_cbranch_scc1 .LBB118_2232
; %bb.2230:
	s_cmp_gt_i32 s4, 6
	s_cbranch_scc0 .LBB118_2233
; %bb.2231:
	global_load_dwordx2 v[9:10], v[7:8], off
	s_mov_b64 s[0:1], 0
	s_waitcnt vmcnt(0)
	v_cvt_i32_f64_e32 v9, v[9:10]
	s_branch .LBB118_2234
.LBB118_2232:
	s_mov_b64 s[0:1], -1
                                        ; implicit-def: $vgpr9
	s_branch .LBB118_2237
.LBB118_2233:
	s_mov_b64 s[0:1], -1
                                        ; implicit-def: $vgpr9
.LBB118_2234:
	s_andn2_b64 vcc, exec, s[0:1]
	s_cbranch_vccnz .LBB118_2236
; %bb.2235:
	global_load_dword v5, v[7:8], off
	s_waitcnt vmcnt(0)
	v_cvt_i32_f32_e32 v9, v5
.LBB118_2236:
	s_mov_b64 s[0:1], 0
.LBB118_2237:
	s_andn2_b64 vcc, exec, s[0:1]
	s_cbranch_vccnz .LBB118_2239
; %bb.2238:
	global_load_ushort v5, v[7:8], off
	s_waitcnt vmcnt(0)
	v_cvt_i16_f16_e32 v9, v5
.LBB118_2239:
	s_mov_b64 s[0:1], 0
.LBB118_2240:
	s_andn2_b64 vcc, exec, s[0:1]
	s_cbranch_vccnz .LBB118_2260
; %bb.2241:
	s_cmp_lt_i32 s4, 2
	s_cbranch_scc1 .LBB118_2245
; %bb.2242:
	s_cmp_lt_i32 s4, 3
	s_cbranch_scc1 .LBB118_2246
; %bb.2243:
	s_cmp_gt_i32 s4, 3
	s_cbranch_scc0 .LBB118_2247
; %bb.2244:
	global_load_dwordx2 v[9:10], v[7:8], off
	s_mov_b64 s[0:1], 0
	s_branch .LBB118_2248
.LBB118_2245:
	s_mov_b64 s[0:1], -1
                                        ; implicit-def: $vgpr9
	s_branch .LBB118_2254
.LBB118_2246:
	s_mov_b64 s[0:1], -1
                                        ; implicit-def: $vgpr9
	s_branch .LBB118_2251
.LBB118_2247:
	s_mov_b64 s[0:1], -1
                                        ; implicit-def: $vgpr9
.LBB118_2248:
	s_andn2_b64 vcc, exec, s[0:1]
	s_cbranch_vccnz .LBB118_2250
; %bb.2249:
	global_load_dword v9, v[7:8], off
.LBB118_2250:
	s_mov_b64 s[0:1], 0
.LBB118_2251:
	s_andn2_b64 vcc, exec, s[0:1]
	s_cbranch_vccnz .LBB118_2253
; %bb.2252:
	global_load_ushort v9, v[7:8], off
.LBB118_2253:
	s_mov_b64 s[0:1], 0
.LBB118_2254:
	s_andn2_b64 vcc, exec, s[0:1]
	s_cbranch_vccnz .LBB118_2260
; %bb.2255:
	s_cmp_gt_i32 s4, 0
	s_cbranch_scc0 .LBB118_2257
; %bb.2256:
	global_load_sbyte v9, v[7:8], off
	s_mov_b64 s[0:1], 0
	s_branch .LBB118_2258
.LBB118_2257:
	s_mov_b64 s[0:1], -1
                                        ; implicit-def: $vgpr9
.LBB118_2258:
	s_andn2_b64 vcc, exec, s[0:1]
	s_cbranch_vccnz .LBB118_2260
; %bb.2259:
	global_load_ubyte v9, v[7:8], off
.LBB118_2260:
	s_mov_b64 s[14:15], -1
.LBB118_2261:
	s_andn2_b64 vcc, exec, s[14:15]
	s_cbranch_vccnz .LBB118_2947
; %bb.2262:
	v_add_u32_e32 v5, s13, v11
	v_ashrrev_i32_e32 v7, 31, v5
	v_mov_b32_e32 v8, s11
	s_waitcnt vmcnt(0)
	v_add_co_u32_e32 v10, vcc, s10, v5
	s_cmp_lt_i32 s26, 11
	v_addc_co_u32_e32 v11, vcc, v8, v7, vcc
	s_cbranch_scc1 .LBB118_2269
; %bb.2263:
	s_and_b32 s13, 0xffff, s26
	s_cmp_gt_i32 s13, 25
	s_mov_b64 s[4:5], 0
	s_cbranch_scc0 .LBB118_2270
; %bb.2264:
	s_cmp_gt_i32 s13, 28
	s_cbranch_scc0 .LBB118_2271
; %bb.2265:
	s_cmp_gt_i32 s13, 43
	;; [unrolled: 3-line block ×3, first 2 shown]
	s_cbranch_scc0 .LBB118_2274
; %bb.2267:
	s_cmp_eq_u32 s13, 46
	s_mov_b64 s[14:15], 0
	s_cbranch_scc0 .LBB118_2275
; %bb.2268:
	global_load_dword v5, v[10:11], off
	s_mov_b64 s[0:1], 0
	s_mov_b64 s[10:11], -1
	s_waitcnt vmcnt(0)
	v_lshlrev_b32_e32 v5, 16, v5
	v_cvt_i32_f32_e32 v7, v5
	s_branch .LBB118_2276
.LBB118_2269:
	s_mov_b64 s[0:1], -1
	s_mov_b64 s[10:11], 0
                                        ; implicit-def: $vgpr7
	s_branch .LBB118_2338
.LBB118_2270:
	s_mov_b64 s[14:15], -1
	s_mov_b64 s[10:11], 0
	s_mov_b64 s[0:1], 0
                                        ; implicit-def: $vgpr7
	s_branch .LBB118_2303
.LBB118_2271:
	s_mov_b64 s[14:15], -1
	s_mov_b64 s[10:11], 0
	s_mov_b64 s[0:1], 0
                                        ; implicit-def: $vgpr7
	s_branch .LBB118_2286
.LBB118_2272:
	s_mov_b64 s[14:15], -1
	s_mov_b64 s[10:11], 0
	s_mov_b64 s[0:1], 0
                                        ; implicit-def: $vgpr7
	s_branch .LBB118_2281
.LBB118_2273:
	s_trap 2
	s_or_b64 s[20:21], s[20:21], exec
	s_cbranch_execz .LBB118_2210
	s_branch .LBB118_2211
.LBB118_2274:
	s_mov_b64 s[14:15], -1
	s_mov_b64 s[10:11], 0
	s_mov_b64 s[0:1], 0
                                        ; implicit-def: $vgpr7
	s_branch .LBB118_2276
.LBB118_2275:
	s_mov_b64 s[0:1], -1
                                        ; implicit-def: $vgpr7
	s_mov_b64 s[10:11], 0
.LBB118_2276:
	s_and_b64 vcc, exec, s[14:15]
	s_cbranch_vccz .LBB118_2280
; %bb.2277:
	s_cmp_eq_u32 s13, 44
	s_cbranch_scc0 .LBB118_2279
; %bb.2278:
	global_load_ubyte v5, v[10:11], off
	s_mov_b64 s[0:1], 0
	s_mov_b64 s[10:11], -1
	s_waitcnt vmcnt(0)
	v_lshlrev_b32_e32 v7, 23, v5
	v_cvt_i32_f32_e32 v7, v7
	v_cmp_ne_u32_e32 vcc, 0, v5
	v_cndmask_b32_e32 v7, 0, v7, vcc
	s_branch .LBB118_2280
.LBB118_2279:
	s_mov_b64 s[0:1], -1
                                        ; implicit-def: $vgpr7
.LBB118_2280:
	s_mov_b64 s[14:15], 0
.LBB118_2281:
	s_and_b64 vcc, exec, s[14:15]
	s_cbranch_vccz .LBB118_2285
; %bb.2282:
	s_cmp_eq_u32 s13, 29
	s_cbranch_scc0 .LBB118_2284
; %bb.2283:
	global_load_dwordx2 v[7:8], v[10:11], off
	s_mov_b64 s[0:1], 0
	s_mov_b64 s[10:11], -1
	s_branch .LBB118_2285
.LBB118_2284:
	s_mov_b64 s[0:1], -1
                                        ; implicit-def: $vgpr7
.LBB118_2285:
	s_mov_b64 s[14:15], 0
.LBB118_2286:
	s_and_b64 vcc, exec, s[14:15]
	s_cbranch_vccz .LBB118_2302
; %bb.2287:
	s_cmp_lt_i32 s13, 27
	s_cbranch_scc1 .LBB118_2290
; %bb.2288:
	s_cmp_gt_i32 s13, 27
	s_cbranch_scc0 .LBB118_2291
; %bb.2289:
	global_load_dword v7, v[10:11], off
	s_mov_b64 s[10:11], 0
	s_branch .LBB118_2292
.LBB118_2290:
	s_mov_b64 s[10:11], -1
                                        ; implicit-def: $vgpr7
	s_branch .LBB118_2295
.LBB118_2291:
	s_mov_b64 s[10:11], -1
                                        ; implicit-def: $vgpr7
.LBB118_2292:
	s_andn2_b64 vcc, exec, s[10:11]
	s_cbranch_vccnz .LBB118_2294
; %bb.2293:
	global_load_ushort v7, v[10:11], off
.LBB118_2294:
	s_mov_b64 s[10:11], 0
.LBB118_2295:
	s_andn2_b64 vcc, exec, s[10:11]
	s_cbranch_vccnz .LBB118_2301
; %bb.2296:
	global_load_ubyte v5, v[10:11], off
	s_movk_i32 s10, 0x7f
	s_mov_b64 s[14:15], 0
	s_waitcnt vmcnt(0)
	v_cmp_lt_i16_e32 vcc, s10, v5
	s_and_saveexec_b64 s[10:11], vcc
	s_xor_b64 s[10:11], exec, s[10:11]
	s_cbranch_execz .LBB118_2313
; %bb.2297:
	s_movk_i32 s14, 0x80
	v_cmp_ne_u16_e32 vcc, s14, v5
	s_and_b64 s[14:15], vcc, exec
	s_andn2_saveexec_b64 s[10:11], s[10:11]
	s_cbranch_execnz .LBB118_2314
.LBB118_2298:
	s_or_b64 exec, exec, s[10:11]
	v_mov_b32_e32 v7, 0
	s_and_saveexec_b64 s[10:11], s[14:15]
	s_cbranch_execz .LBB118_2300
.LBB118_2299:
	v_lshlrev_b32_e32 v7, 24, v5
	v_and_b32_e32 v5, 0xffff, v5
	v_and_b32_e32 v8, 7, v5
	v_ffbh_u32_e32 v13, v8
	v_min_u32_e32 v13, 32, v13
	v_subrev_u32_e32 v15, 28, v13
	v_bfe_u32 v12, v5, 3, 4
	v_lshlrev_b32_e32 v5, v15, v5
	v_sub_u32_e32 v13, 29, v13
	v_and_b32_e32 v5, 7, v5
	v_cmp_eq_u32_e32 vcc, 0, v12
	v_cndmask_b32_e32 v12, v12, v13, vcc
	v_cndmask_b32_e32 v5, v8, v5, vcc
	v_mov_b32_e32 v8, 0x3b800000
	v_lshlrev_b32_e32 v5, 20, v5
	v_and_b32_e32 v7, 0x80000000, v7
	v_lshl_add_u32 v8, v12, 23, v8
	v_or3_b32 v5, v7, v8, v5
	v_cvt_i32_f32_e32 v7, v5
.LBB118_2300:
	s_or_b64 exec, exec, s[10:11]
.LBB118_2301:
	s_mov_b64 s[10:11], -1
.LBB118_2302:
	s_mov_b64 s[14:15], 0
.LBB118_2303:
	s_and_b64 vcc, exec, s[14:15]
	s_cbranch_vccz .LBB118_2334
; %bb.2304:
	s_cmp_gt_i32 s13, 22
	s_cbranch_scc0 .LBB118_2312
; %bb.2305:
	s_cmp_lt_i32 s13, 24
	s_cbranch_scc1 .LBB118_2315
; %bb.2306:
	s_cmp_gt_i32 s13, 24
	s_cbranch_scc0 .LBB118_2316
; %bb.2307:
	global_load_ubyte v5, v[10:11], off
	s_movk_i32 s4, 0x7f
	s_mov_b64 s[10:11], 0
	s_waitcnt vmcnt(0)
	v_cmp_lt_i16_e32 vcc, s4, v5
	s_and_saveexec_b64 s[4:5], vcc
	s_xor_b64 s[4:5], exec, s[4:5]
	s_cbranch_execz .LBB118_2328
; %bb.2308:
	s_movk_i32 s10, 0x80
	v_cmp_ne_u16_e32 vcc, s10, v5
	s_and_b64 s[10:11], vcc, exec
	s_andn2_saveexec_b64 s[4:5], s[4:5]
	s_cbranch_execnz .LBB118_2329
.LBB118_2309:
	s_or_b64 exec, exec, s[4:5]
	v_mov_b32_e32 v7, 0
	s_and_saveexec_b64 s[4:5], s[10:11]
	s_cbranch_execz .LBB118_2311
.LBB118_2310:
	v_lshlrev_b32_e32 v7, 24, v5
	v_and_b32_e32 v5, 0xffff, v5
	v_and_b32_e32 v8, 3, v5
	v_ffbh_u32_e32 v13, v8
	v_min_u32_e32 v13, 32, v13
	v_subrev_u32_e32 v15, 29, v13
	v_bfe_u32 v12, v5, 2, 5
	v_lshlrev_b32_e32 v5, v15, v5
	v_sub_u32_e32 v13, 30, v13
	v_and_b32_e32 v5, 3, v5
	v_cmp_eq_u32_e32 vcc, 0, v12
	v_cndmask_b32_e32 v12, v12, v13, vcc
	v_cndmask_b32_e32 v5, v8, v5, vcc
	v_mov_b32_e32 v8, 0x37800000
	v_lshlrev_b32_e32 v5, 21, v5
	v_and_b32_e32 v7, 0x80000000, v7
	v_lshl_add_u32 v8, v12, 23, v8
	v_or3_b32 v5, v7, v8, v5
	v_cvt_i32_f32_e32 v7, v5
.LBB118_2311:
	s_or_b64 exec, exec, s[4:5]
	s_mov_b64 s[4:5], 0
	s_branch .LBB118_2317
.LBB118_2312:
	s_mov_b64 s[4:5], -1
                                        ; implicit-def: $vgpr7
	s_branch .LBB118_2323
.LBB118_2313:
	s_andn2_saveexec_b64 s[10:11], s[10:11]
	s_cbranch_execz .LBB118_2298
.LBB118_2314:
	v_cmp_ne_u16_e32 vcc, 0, v5
	s_andn2_b64 s[14:15], s[14:15], exec
	s_and_b64 s[22:23], vcc, exec
	s_or_b64 s[14:15], s[14:15], s[22:23]
	s_or_b64 exec, exec, s[10:11]
	v_mov_b32_e32 v7, 0
	s_and_saveexec_b64 s[10:11], s[14:15]
	s_cbranch_execnz .LBB118_2299
	s_branch .LBB118_2300
.LBB118_2315:
	s_mov_b64 s[4:5], -1
                                        ; implicit-def: $vgpr7
	s_branch .LBB118_2320
.LBB118_2316:
	s_mov_b64 s[4:5], -1
                                        ; implicit-def: $vgpr7
.LBB118_2317:
	s_and_b64 vcc, exec, s[4:5]
	s_cbranch_vccz .LBB118_2319
; %bb.2318:
	global_load_ubyte v5, v[10:11], off
	s_mov_b32 s4, 0x7f800000
	s_waitcnt vmcnt(0)
	v_lshlrev_b32_e32 v5, 24, v5
	v_and_b32_e32 v7, 0x7f000000, v5
	v_ffbh_u32_e32 v8, v7
	v_min_u32_e32 v8, 32, v8
	v_sub_u32_e64 v8, v8, 4 clamp
	v_lshlrev_b32_e32 v13, v8, v7
	v_lshlrev_b32_e32 v8, 23, v8
	v_lshrrev_b32_e32 v13, 4, v13
	v_add_u32_e32 v12, 0x1000000, v7
	v_sub_u32_e32 v8, v13, v8
	v_ashrrev_i32_e32 v12, 8, v12
	v_add_u32_e32 v8, 0x3c000000, v8
	v_and_or_b32 v8, v12, s4, v8
	v_cmp_ne_u32_e32 vcc, 0, v7
	v_cndmask_b32_e32 v7, 0, v8, vcc
	s_brev_b32 s4, 1
	v_and_or_b32 v5, v5, s4, v7
	v_cvt_i32_f32_e32 v7, v5
.LBB118_2319:
	s_mov_b64 s[4:5], 0
.LBB118_2320:
	s_andn2_b64 vcc, exec, s[4:5]
	s_cbranch_vccnz .LBB118_2322
; %bb.2321:
	global_load_ubyte v5, v[10:11], off
	s_movk_i32 s4, 0x7f00
	s_brev_b32 s5, 16
	s_waitcnt vmcnt(0)
	v_lshlrev_b16_e32 v7, 8, v5
	v_lshlrev_b32_e32 v5, 25, v5
	v_lshrrev_b32_e32 v8, 4, v5
	v_and_or_b32 v12, v7, s4, 0.5
	v_or_b32_e32 v8, 0x70000000, v8
	v_add_f32_e32 v12, -0.5, v12
	v_mul_f32_e32 v8, 0x7800000, v8
	v_cmp_gt_u32_e32 vcc, s5, v5
	v_bfe_i32 v7, v7, 0, 16
	v_cndmask_b32_e32 v5, v8, v12, vcc
	s_brev_b32 s4, 1
	v_and_or_b32 v5, v7, s4, v5
	v_cvt_i32_f32_e32 v7, v5
.LBB118_2322:
	s_mov_b64 s[4:5], 0
	s_mov_b64 s[10:11], -1
.LBB118_2323:
	s_andn2_b64 vcc, exec, s[4:5]
	s_mov_b64 s[4:5], 0
	s_cbranch_vccnz .LBB118_2334
; %bb.2324:
	s_cmp_gt_i32 s13, 14
	s_cbranch_scc0 .LBB118_2327
; %bb.2325:
	s_cmp_eq_u32 s13, 15
	s_cbranch_scc0 .LBB118_2330
; %bb.2326:
	global_load_ushort v5, v[10:11], off
	s_mov_b64 s[0:1], 0
	s_mov_b64 s[10:11], -1
	s_waitcnt vmcnt(0)
	v_lshlrev_b32_e32 v5, 16, v5
	v_cvt_i32_f32_e32 v7, v5
	s_branch .LBB118_2331
.LBB118_2327:
	s_mov_b64 s[14:15], -1
                                        ; implicit-def: $vgpr7
	s_branch .LBB118_2332
.LBB118_2328:
	s_andn2_saveexec_b64 s[4:5], s[4:5]
	s_cbranch_execz .LBB118_2309
.LBB118_2329:
	v_cmp_ne_u16_e32 vcc, 0, v5
	s_andn2_b64 s[10:11], s[10:11], exec
	s_and_b64 s[14:15], vcc, exec
	s_or_b64 s[10:11], s[10:11], s[14:15]
	s_or_b64 exec, exec, s[4:5]
	v_mov_b32_e32 v7, 0
	s_and_saveexec_b64 s[4:5], s[10:11]
	s_cbranch_execnz .LBB118_2310
	s_branch .LBB118_2311
.LBB118_2330:
	s_mov_b64 s[0:1], -1
                                        ; implicit-def: $vgpr7
.LBB118_2331:
	s_mov_b64 s[14:15], 0
.LBB118_2332:
	s_and_b64 vcc, exec, s[14:15]
	s_cbranch_vccz .LBB118_2334
; %bb.2333:
	s_cmp_lg_u32 s13, 11
	s_mov_b64 s[4:5], -1
	s_cselect_b64 s[0:1], -1, 0
.LBB118_2334:
	s_and_b64 vcc, exec, s[0:1]
	s_cbranch_vccnz .LBB118_2399
; %bb.2335:
	s_andn2_b64 vcc, exec, s[4:5]
	s_cbranch_vccnz .LBB118_2337
.LBB118_2336:
	global_load_ubyte v5, v[10:11], off
	s_mov_b64 s[10:11], -1
	s_waitcnt vmcnt(0)
	v_cmp_ne_u16_e32 vcc, 0, v5
	v_cndmask_b32_e64 v7, 0, 1, vcc
.LBB118_2337:
	s_mov_b64 s[0:1], 0
.LBB118_2338:
	s_and_b64 vcc, exec, s[0:1]
	s_cbranch_vccz .LBB118_2387
; %bb.2339:
	s_and_b32 s4, 0xffff, s26
	s_cmp_lt_i32 s4, 5
	s_cbranch_scc1 .LBB118_2344
; %bb.2340:
	s_cmp_lt_i32 s4, 8
	s_cbranch_scc1 .LBB118_2345
; %bb.2341:
	;; [unrolled: 3-line block ×3, first 2 shown]
	s_cmp_gt_i32 s4, 9
	s_cbranch_scc0 .LBB118_2347
; %bb.2343:
	global_load_dwordx2 v[7:8], v[10:11], off
	s_mov_b64 s[0:1], 0
	s_waitcnt vmcnt(0)
	v_cvt_i32_f64_e32 v7, v[7:8]
	s_branch .LBB118_2348
.LBB118_2344:
	s_mov_b64 s[0:1], -1
                                        ; implicit-def: $vgpr7
	s_branch .LBB118_2366
.LBB118_2345:
	s_mov_b64 s[0:1], -1
                                        ; implicit-def: $vgpr7
	s_branch .LBB118_2354
.LBB118_2346:
	s_mov_b64 s[0:1], -1
                                        ; implicit-def: $vgpr7
	s_branch .LBB118_2351
.LBB118_2347:
	s_mov_b64 s[0:1], -1
                                        ; implicit-def: $vgpr7
.LBB118_2348:
	s_andn2_b64 vcc, exec, s[0:1]
	s_cbranch_vccnz .LBB118_2350
; %bb.2349:
	global_load_dword v5, v[10:11], off
	s_waitcnt vmcnt(0)
	v_cvt_i32_f32_e32 v7, v5
.LBB118_2350:
	s_mov_b64 s[0:1], 0
.LBB118_2351:
	s_andn2_b64 vcc, exec, s[0:1]
	s_cbranch_vccnz .LBB118_2353
; %bb.2352:
	global_load_dword v5, v[10:11], off
	s_waitcnt vmcnt(0)
	v_cvt_i16_f16_e32 v7, v5
.LBB118_2353:
	s_mov_b64 s[0:1], 0
.LBB118_2354:
	s_andn2_b64 vcc, exec, s[0:1]
	s_cbranch_vccnz .LBB118_2365
; %bb.2355:
	s_cmp_lt_i32 s4, 6
	s_cbranch_scc1 .LBB118_2358
; %bb.2356:
	s_cmp_gt_i32 s4, 6
	s_cbranch_scc0 .LBB118_2359
; %bb.2357:
	global_load_dwordx2 v[7:8], v[10:11], off
	s_mov_b64 s[0:1], 0
	s_waitcnt vmcnt(0)
	v_cvt_i32_f64_e32 v7, v[7:8]
	s_branch .LBB118_2360
.LBB118_2358:
	s_mov_b64 s[0:1], -1
                                        ; implicit-def: $vgpr7
	s_branch .LBB118_2363
.LBB118_2359:
	s_mov_b64 s[0:1], -1
                                        ; implicit-def: $vgpr7
.LBB118_2360:
	s_andn2_b64 vcc, exec, s[0:1]
	s_cbranch_vccnz .LBB118_2362
; %bb.2361:
	global_load_dword v5, v[10:11], off
	s_waitcnt vmcnt(0)
	v_cvt_i32_f32_e32 v7, v5
.LBB118_2362:
	s_mov_b64 s[0:1], 0
.LBB118_2363:
	s_andn2_b64 vcc, exec, s[0:1]
	s_cbranch_vccnz .LBB118_2365
; %bb.2364:
	global_load_ushort v5, v[10:11], off
	s_waitcnt vmcnt(0)
	v_cvt_i16_f16_e32 v7, v5
.LBB118_2365:
	s_mov_b64 s[0:1], 0
.LBB118_2366:
	s_andn2_b64 vcc, exec, s[0:1]
	s_cbranch_vccnz .LBB118_2386
; %bb.2367:
	s_cmp_lt_i32 s4, 2
	s_cbranch_scc1 .LBB118_2371
; %bb.2368:
	s_cmp_lt_i32 s4, 3
	s_cbranch_scc1 .LBB118_2372
; %bb.2369:
	s_cmp_gt_i32 s4, 3
	s_cbranch_scc0 .LBB118_2373
; %bb.2370:
	global_load_dwordx2 v[7:8], v[10:11], off
	s_mov_b64 s[0:1], 0
	s_branch .LBB118_2374
.LBB118_2371:
	s_mov_b64 s[0:1], -1
                                        ; implicit-def: $vgpr7
	s_branch .LBB118_2380
.LBB118_2372:
	s_mov_b64 s[0:1], -1
                                        ; implicit-def: $vgpr7
	s_branch .LBB118_2377
.LBB118_2373:
	s_mov_b64 s[0:1], -1
                                        ; implicit-def: $vgpr7
.LBB118_2374:
	s_andn2_b64 vcc, exec, s[0:1]
	s_cbranch_vccnz .LBB118_2376
; %bb.2375:
	global_load_dword v7, v[10:11], off
.LBB118_2376:
	s_mov_b64 s[0:1], 0
.LBB118_2377:
	s_andn2_b64 vcc, exec, s[0:1]
	s_cbranch_vccnz .LBB118_2379
; %bb.2378:
	global_load_ushort v7, v[10:11], off
.LBB118_2379:
	s_mov_b64 s[0:1], 0
.LBB118_2380:
	s_andn2_b64 vcc, exec, s[0:1]
	s_cbranch_vccnz .LBB118_2386
; %bb.2381:
	s_cmp_gt_i32 s4, 0
	s_cbranch_scc0 .LBB118_2383
; %bb.2382:
	global_load_sbyte v7, v[10:11], off
	s_mov_b64 s[0:1], 0
	s_branch .LBB118_2384
.LBB118_2383:
	s_mov_b64 s[0:1], -1
                                        ; implicit-def: $vgpr7
.LBB118_2384:
	s_andn2_b64 vcc, exec, s[0:1]
	s_cbranch_vccnz .LBB118_2386
; %bb.2385:
	global_load_ubyte v7, v[10:11], off
.LBB118_2386:
	s_mov_b64 s[10:11], -1
.LBB118_2387:
	s_andn2_b64 vcc, exec, s[10:11]
	s_cbranch_vccnz .LBB118_2947
; %bb.2388:
	v_add_u32_e32 v2, s24, v2
	v_ashrrev_i32_e32 v5, 31, v2
	s_waitcnt vmcnt(0)
	v_mov_b32_e32 v8, s17
	v_add_co_u32_e32 v12, vcc, s16, v2
	s_cmp_lt_i32 s27, 11
	v_addc_co_u32_e32 v13, vcc, v8, v5, vcc
	s_cbranch_scc1 .LBB118_2395
; %bb.2389:
	s_and_b32 s13, 0xffff, s27
	s_cmp_gt_i32 s13, 25
	s_mov_b64 s[4:5], 0
	s_cbranch_scc0 .LBB118_2396
; %bb.2390:
	s_cmp_gt_i32 s13, 28
	s_cbranch_scc0 .LBB118_2397
; %bb.2391:
	s_cmp_gt_i32 s13, 43
	s_cbranch_scc0 .LBB118_2398
; %bb.2392:
	s_cmp_gt_i32 s13, 45
	s_cbranch_scc0 .LBB118_2400
; %bb.2393:
	s_cmp_eq_u32 s13, 46
	s_mov_b64 s[14:15], 0
	s_cbranch_scc0 .LBB118_2401
; %bb.2394:
	global_load_dword v2, v[12:13], off
	s_mov_b64 s[0:1], 0
	s_mov_b64 s[10:11], -1
	s_waitcnt vmcnt(0)
	v_lshlrev_b32_e32 v2, 16, v2
	v_cvt_i32_f32_e32 v10, v2
	s_branch .LBB118_2402
.LBB118_2395:
	s_mov_b64 s[0:1], -1
	s_mov_b64 s[10:11], 0
                                        ; implicit-def: $vgpr10
	s_branch .LBB118_2464
.LBB118_2396:
	s_mov_b64 s[14:15], -1
	s_mov_b64 s[10:11], 0
	s_mov_b64 s[0:1], 0
                                        ; implicit-def: $vgpr10
	s_branch .LBB118_2429
.LBB118_2397:
	s_mov_b64 s[14:15], -1
	s_mov_b64 s[10:11], 0
	s_mov_b64 s[0:1], 0
                                        ; implicit-def: $vgpr10
	s_branch .LBB118_2412
.LBB118_2398:
	s_mov_b64 s[14:15], -1
	s_mov_b64 s[10:11], 0
	s_mov_b64 s[0:1], 0
                                        ; implicit-def: $vgpr10
	s_branch .LBB118_2407
.LBB118_2399:
	s_trap 2
	s_or_b64 s[20:21], s[20:21], exec
	s_cbranch_execz .LBB118_2336
	s_branch .LBB118_2337
.LBB118_2400:
	s_mov_b64 s[14:15], -1
	s_mov_b64 s[10:11], 0
	s_mov_b64 s[0:1], 0
                                        ; implicit-def: $vgpr10
	s_branch .LBB118_2402
.LBB118_2401:
	s_mov_b64 s[0:1], -1
                                        ; implicit-def: $vgpr10
	s_mov_b64 s[10:11], 0
.LBB118_2402:
	s_and_b64 vcc, exec, s[14:15]
	s_cbranch_vccz .LBB118_2406
; %bb.2403:
	s_cmp_eq_u32 s13, 44
	s_cbranch_scc0 .LBB118_2405
; %bb.2404:
	global_load_ubyte v2, v[12:13], off
	s_mov_b64 s[0:1], 0
	s_mov_b64 s[10:11], -1
	s_waitcnt vmcnt(0)
	v_lshlrev_b32_e32 v5, 23, v2
	v_cvt_i32_f32_e32 v5, v5
	v_cmp_ne_u32_e32 vcc, 0, v2
	v_cndmask_b32_e32 v10, 0, v5, vcc
	s_branch .LBB118_2406
.LBB118_2405:
	s_mov_b64 s[0:1], -1
                                        ; implicit-def: $vgpr10
.LBB118_2406:
	s_mov_b64 s[14:15], 0
.LBB118_2407:
	s_and_b64 vcc, exec, s[14:15]
	s_cbranch_vccz .LBB118_2411
; %bb.2408:
	s_cmp_eq_u32 s13, 29
	s_cbranch_scc0 .LBB118_2410
; %bb.2409:
	global_load_dwordx2 v[10:11], v[12:13], off
	s_mov_b64 s[0:1], 0
	s_mov_b64 s[10:11], -1
	s_branch .LBB118_2411
.LBB118_2410:
	s_mov_b64 s[0:1], -1
                                        ; implicit-def: $vgpr10
.LBB118_2411:
	s_mov_b64 s[14:15], 0
.LBB118_2412:
	s_and_b64 vcc, exec, s[14:15]
	s_cbranch_vccz .LBB118_2428
; %bb.2413:
	s_cmp_lt_i32 s13, 27
	s_cbranch_scc1 .LBB118_2416
; %bb.2414:
	s_cmp_gt_i32 s13, 27
	s_cbranch_scc0 .LBB118_2417
; %bb.2415:
	global_load_dword v10, v[12:13], off
	s_mov_b64 s[10:11], 0
	s_branch .LBB118_2418
.LBB118_2416:
	s_mov_b64 s[10:11], -1
                                        ; implicit-def: $vgpr10
	s_branch .LBB118_2421
.LBB118_2417:
	s_mov_b64 s[10:11], -1
                                        ; implicit-def: $vgpr10
.LBB118_2418:
	s_andn2_b64 vcc, exec, s[10:11]
	s_cbranch_vccnz .LBB118_2420
; %bb.2419:
	global_load_ushort v10, v[12:13], off
.LBB118_2420:
	s_mov_b64 s[10:11], 0
.LBB118_2421:
	s_andn2_b64 vcc, exec, s[10:11]
	s_cbranch_vccnz .LBB118_2427
; %bb.2422:
	global_load_ubyte v2, v[12:13], off
	s_movk_i32 s10, 0x7f
	s_mov_b64 s[14:15], 0
	s_waitcnt vmcnt(0)
	v_cmp_lt_i16_e32 vcc, s10, v2
	s_and_saveexec_b64 s[10:11], vcc
	s_xor_b64 s[10:11], exec, s[10:11]
	s_cbranch_execz .LBB118_2439
; %bb.2423:
	s_movk_i32 s14, 0x80
	v_cmp_ne_u16_e32 vcc, s14, v2
	s_and_b64 s[14:15], vcc, exec
	s_andn2_saveexec_b64 s[10:11], s[10:11]
	s_cbranch_execnz .LBB118_2440
.LBB118_2424:
	s_or_b64 exec, exec, s[10:11]
	v_mov_b32_e32 v10, 0
	s_and_saveexec_b64 s[10:11], s[14:15]
	s_cbranch_execz .LBB118_2426
.LBB118_2425:
	v_lshlrev_b32_e32 v5, 24, v2
	v_and_b32_e32 v2, 0xffff, v2
	v_and_b32_e32 v8, 7, v2
	v_ffbh_u32_e32 v11, v8
	v_min_u32_e32 v11, 32, v11
	v_subrev_u32_e32 v15, 28, v11
	v_bfe_u32 v10, v2, 3, 4
	v_lshlrev_b32_e32 v2, v15, v2
	v_sub_u32_e32 v11, 29, v11
	v_and_b32_e32 v2, 7, v2
	v_cmp_eq_u32_e32 vcc, 0, v10
	v_cndmask_b32_e32 v10, v10, v11, vcc
	v_cndmask_b32_e32 v2, v8, v2, vcc
	v_mov_b32_e32 v8, 0x3b800000
	v_lshlrev_b32_e32 v2, 20, v2
	v_and_b32_e32 v5, 0x80000000, v5
	v_lshl_add_u32 v8, v10, 23, v8
	v_or3_b32 v2, v5, v8, v2
	v_cvt_i32_f32_e32 v10, v2
.LBB118_2426:
	s_or_b64 exec, exec, s[10:11]
.LBB118_2427:
	s_mov_b64 s[10:11], -1
.LBB118_2428:
	s_mov_b64 s[14:15], 0
.LBB118_2429:
	s_and_b64 vcc, exec, s[14:15]
	s_cbranch_vccz .LBB118_2460
; %bb.2430:
	s_cmp_gt_i32 s13, 22
	s_cbranch_scc0 .LBB118_2438
; %bb.2431:
	s_cmp_lt_i32 s13, 24
	s_cbranch_scc1 .LBB118_2441
; %bb.2432:
	s_cmp_gt_i32 s13, 24
	s_cbranch_scc0 .LBB118_2442
; %bb.2433:
	global_load_ubyte v2, v[12:13], off
	s_movk_i32 s4, 0x7f
	s_mov_b64 s[10:11], 0
	s_waitcnt vmcnt(0)
	v_cmp_lt_i16_e32 vcc, s4, v2
	s_and_saveexec_b64 s[4:5], vcc
	s_xor_b64 s[4:5], exec, s[4:5]
	s_cbranch_execz .LBB118_2454
; %bb.2434:
	s_movk_i32 s10, 0x80
	v_cmp_ne_u16_e32 vcc, s10, v2
	s_and_b64 s[10:11], vcc, exec
	s_andn2_saveexec_b64 s[4:5], s[4:5]
	s_cbranch_execnz .LBB118_2455
.LBB118_2435:
	s_or_b64 exec, exec, s[4:5]
	v_mov_b32_e32 v10, 0
	s_and_saveexec_b64 s[4:5], s[10:11]
	s_cbranch_execz .LBB118_2437
.LBB118_2436:
	v_lshlrev_b32_e32 v5, 24, v2
	v_and_b32_e32 v2, 0xffff, v2
	v_and_b32_e32 v8, 3, v2
	v_ffbh_u32_e32 v11, v8
	v_min_u32_e32 v11, 32, v11
	v_subrev_u32_e32 v15, 29, v11
	v_bfe_u32 v10, v2, 2, 5
	v_lshlrev_b32_e32 v2, v15, v2
	v_sub_u32_e32 v11, 30, v11
	v_and_b32_e32 v2, 3, v2
	v_cmp_eq_u32_e32 vcc, 0, v10
	v_cndmask_b32_e32 v10, v10, v11, vcc
	v_cndmask_b32_e32 v2, v8, v2, vcc
	v_mov_b32_e32 v8, 0x37800000
	v_lshlrev_b32_e32 v2, 21, v2
	v_and_b32_e32 v5, 0x80000000, v5
	v_lshl_add_u32 v8, v10, 23, v8
	v_or3_b32 v2, v5, v8, v2
	v_cvt_i32_f32_e32 v10, v2
.LBB118_2437:
	s_or_b64 exec, exec, s[4:5]
	s_mov_b64 s[4:5], 0
	s_branch .LBB118_2443
.LBB118_2438:
	s_mov_b64 s[4:5], -1
                                        ; implicit-def: $vgpr10
	s_branch .LBB118_2449
.LBB118_2439:
	s_andn2_saveexec_b64 s[10:11], s[10:11]
	s_cbranch_execz .LBB118_2424
.LBB118_2440:
	v_cmp_ne_u16_e32 vcc, 0, v2
	s_andn2_b64 s[14:15], s[14:15], exec
	s_and_b64 s[16:17], vcc, exec
	s_or_b64 s[14:15], s[14:15], s[16:17]
	s_or_b64 exec, exec, s[10:11]
	v_mov_b32_e32 v10, 0
	s_and_saveexec_b64 s[10:11], s[14:15]
	s_cbranch_execnz .LBB118_2425
	s_branch .LBB118_2426
.LBB118_2441:
	s_mov_b64 s[4:5], -1
                                        ; implicit-def: $vgpr10
	s_branch .LBB118_2446
.LBB118_2442:
	s_mov_b64 s[4:5], -1
                                        ; implicit-def: $vgpr10
.LBB118_2443:
	s_and_b64 vcc, exec, s[4:5]
	s_cbranch_vccz .LBB118_2445
; %bb.2444:
	global_load_ubyte v2, v[12:13], off
	s_mov_b32 s4, 0x7f800000
	s_waitcnt vmcnt(0)
	v_lshlrev_b32_e32 v2, 24, v2
	v_and_b32_e32 v5, 0x7f000000, v2
	v_ffbh_u32_e32 v8, v5
	v_min_u32_e32 v8, 32, v8
	v_sub_u32_e64 v8, v8, 4 clamp
	v_lshlrev_b32_e32 v11, v8, v5
	v_lshlrev_b32_e32 v8, 23, v8
	v_lshrrev_b32_e32 v11, 4, v11
	v_add_u32_e32 v10, 0x1000000, v5
	v_sub_u32_e32 v8, v11, v8
	v_ashrrev_i32_e32 v10, 8, v10
	v_add_u32_e32 v8, 0x3c000000, v8
	v_and_or_b32 v8, v10, s4, v8
	v_cmp_ne_u32_e32 vcc, 0, v5
	v_cndmask_b32_e32 v5, 0, v8, vcc
	s_brev_b32 s4, 1
	v_and_or_b32 v2, v2, s4, v5
	v_cvt_i32_f32_e32 v10, v2
.LBB118_2445:
	s_mov_b64 s[4:5], 0
.LBB118_2446:
	s_andn2_b64 vcc, exec, s[4:5]
	s_cbranch_vccnz .LBB118_2448
; %bb.2447:
	global_load_ubyte v2, v[12:13], off
	s_movk_i32 s4, 0x7f00
	s_brev_b32 s5, 16
	s_waitcnt vmcnt(0)
	v_lshlrev_b16_e32 v5, 8, v2
	v_lshlrev_b32_e32 v2, 25, v2
	v_lshrrev_b32_e32 v8, 4, v2
	v_and_or_b32 v10, v5, s4, 0.5
	v_or_b32_e32 v8, 0x70000000, v8
	v_add_f32_e32 v10, -0.5, v10
	v_mul_f32_e32 v8, 0x7800000, v8
	v_cmp_gt_u32_e32 vcc, s5, v2
	v_bfe_i32 v5, v5, 0, 16
	v_cndmask_b32_e32 v2, v8, v10, vcc
	s_brev_b32 s4, 1
	v_and_or_b32 v2, v5, s4, v2
	v_cvt_i32_f32_e32 v10, v2
.LBB118_2448:
	s_mov_b64 s[4:5], 0
	s_mov_b64 s[10:11], -1
.LBB118_2449:
	s_andn2_b64 vcc, exec, s[4:5]
	s_mov_b64 s[4:5], 0
	s_cbranch_vccnz .LBB118_2460
; %bb.2450:
	s_cmp_gt_i32 s13, 14
	s_cbranch_scc0 .LBB118_2453
; %bb.2451:
	s_cmp_eq_u32 s13, 15
	s_cbranch_scc0 .LBB118_2456
; %bb.2452:
	global_load_ushort v2, v[12:13], off
	s_mov_b64 s[0:1], 0
	s_mov_b64 s[10:11], -1
	s_waitcnt vmcnt(0)
	v_lshlrev_b32_e32 v2, 16, v2
	v_cvt_i32_f32_e32 v10, v2
	s_branch .LBB118_2457
.LBB118_2453:
	s_mov_b64 s[14:15], -1
                                        ; implicit-def: $vgpr10
	s_branch .LBB118_2458
.LBB118_2454:
	s_andn2_saveexec_b64 s[4:5], s[4:5]
	s_cbranch_execz .LBB118_2435
.LBB118_2455:
	v_cmp_ne_u16_e32 vcc, 0, v2
	s_andn2_b64 s[10:11], s[10:11], exec
	s_and_b64 s[14:15], vcc, exec
	s_or_b64 s[10:11], s[10:11], s[14:15]
	s_or_b64 exec, exec, s[4:5]
	v_mov_b32_e32 v10, 0
	s_and_saveexec_b64 s[4:5], s[10:11]
	s_cbranch_execnz .LBB118_2436
	s_branch .LBB118_2437
.LBB118_2456:
	s_mov_b64 s[0:1], -1
                                        ; implicit-def: $vgpr10
.LBB118_2457:
	s_mov_b64 s[14:15], 0
.LBB118_2458:
	s_and_b64 vcc, exec, s[14:15]
	s_cbranch_vccz .LBB118_2460
; %bb.2459:
	s_cmp_lg_u32 s13, 11
	s_mov_b64 s[4:5], -1
	s_cselect_b64 s[0:1], -1, 0
.LBB118_2460:
	s_and_b64 vcc, exec, s[0:1]
	s_cbranch_vccnz .LBB118_2993
; %bb.2461:
	s_andn2_b64 vcc, exec, s[4:5]
	s_cbranch_vccnz .LBB118_2463
.LBB118_2462:
	global_load_ubyte v2, v[12:13], off
	s_mov_b64 s[10:11], -1
	s_waitcnt vmcnt(0)
	v_cmp_ne_u16_e32 vcc, 0, v2
	v_cndmask_b32_e64 v10, 0, 1, vcc
.LBB118_2463:
	s_mov_b64 s[0:1], 0
.LBB118_2464:
	s_and_b64 vcc, exec, s[0:1]
	s_cbranch_vccz .LBB118_2513
; %bb.2465:
	s_and_b32 s4, 0xffff, s27
	s_cmp_lt_i32 s4, 5
	s_cbranch_scc1 .LBB118_2470
; %bb.2466:
	s_cmp_lt_i32 s4, 8
	s_cbranch_scc1 .LBB118_2471
; %bb.2467:
	s_cmp_lt_i32 s4, 9
	s_cbranch_scc1 .LBB118_2472
; %bb.2468:
	s_cmp_gt_i32 s4, 9
	s_cbranch_scc0 .LBB118_2473
; %bb.2469:
	global_load_dwordx2 v[10:11], v[12:13], off
	s_mov_b64 s[0:1], 0
	s_waitcnt vmcnt(0)
	v_cvt_i32_f64_e32 v10, v[10:11]
	s_branch .LBB118_2474
.LBB118_2470:
	s_mov_b64 s[0:1], -1
                                        ; implicit-def: $vgpr10
	s_branch .LBB118_2492
.LBB118_2471:
	s_mov_b64 s[0:1], -1
                                        ; implicit-def: $vgpr10
	s_branch .LBB118_2480
.LBB118_2472:
	s_mov_b64 s[0:1], -1
                                        ; implicit-def: $vgpr10
	s_branch .LBB118_2477
.LBB118_2473:
	s_mov_b64 s[0:1], -1
                                        ; implicit-def: $vgpr10
.LBB118_2474:
	s_andn2_b64 vcc, exec, s[0:1]
	s_cbranch_vccnz .LBB118_2476
; %bb.2475:
	global_load_dword v2, v[12:13], off
	s_waitcnt vmcnt(0)
	v_cvt_i32_f32_e32 v10, v2
.LBB118_2476:
	s_mov_b64 s[0:1], 0
.LBB118_2477:
	s_andn2_b64 vcc, exec, s[0:1]
	s_cbranch_vccnz .LBB118_2479
; %bb.2478:
	global_load_dword v2, v[12:13], off
	s_waitcnt vmcnt(0)
	v_cvt_i16_f16_e32 v10, v2
.LBB118_2479:
	s_mov_b64 s[0:1], 0
.LBB118_2480:
	s_andn2_b64 vcc, exec, s[0:1]
	s_cbranch_vccnz .LBB118_2491
; %bb.2481:
	s_cmp_lt_i32 s4, 6
	s_cbranch_scc1 .LBB118_2484
; %bb.2482:
	s_cmp_gt_i32 s4, 6
	s_cbranch_scc0 .LBB118_2485
; %bb.2483:
	global_load_dwordx2 v[10:11], v[12:13], off
	s_mov_b64 s[0:1], 0
	s_waitcnt vmcnt(0)
	v_cvt_i32_f64_e32 v10, v[10:11]
	s_branch .LBB118_2486
.LBB118_2484:
	s_mov_b64 s[0:1], -1
                                        ; implicit-def: $vgpr10
	s_branch .LBB118_2489
.LBB118_2485:
	s_mov_b64 s[0:1], -1
                                        ; implicit-def: $vgpr10
.LBB118_2486:
	s_andn2_b64 vcc, exec, s[0:1]
	s_cbranch_vccnz .LBB118_2488
; %bb.2487:
	global_load_dword v2, v[12:13], off
	s_waitcnt vmcnt(0)
	v_cvt_i32_f32_e32 v10, v2
.LBB118_2488:
	s_mov_b64 s[0:1], 0
.LBB118_2489:
	s_andn2_b64 vcc, exec, s[0:1]
	s_cbranch_vccnz .LBB118_2491
; %bb.2490:
	global_load_ushort v2, v[12:13], off
	s_waitcnt vmcnt(0)
	v_cvt_i16_f16_e32 v10, v2
.LBB118_2491:
	s_mov_b64 s[0:1], 0
.LBB118_2492:
	s_andn2_b64 vcc, exec, s[0:1]
	s_cbranch_vccnz .LBB118_2512
; %bb.2493:
	s_cmp_lt_i32 s4, 2
	s_cbranch_scc1 .LBB118_2497
; %bb.2494:
	s_cmp_lt_i32 s4, 3
	s_cbranch_scc1 .LBB118_2498
; %bb.2495:
	s_cmp_gt_i32 s4, 3
	s_cbranch_scc0 .LBB118_2499
; %bb.2496:
	global_load_dwordx2 v[10:11], v[12:13], off
	s_mov_b64 s[0:1], 0
	s_branch .LBB118_2500
.LBB118_2497:
	s_mov_b64 s[0:1], -1
                                        ; implicit-def: $vgpr10
	s_branch .LBB118_2506
.LBB118_2498:
	s_mov_b64 s[0:1], -1
                                        ; implicit-def: $vgpr10
	s_branch .LBB118_2503
.LBB118_2499:
	s_mov_b64 s[0:1], -1
                                        ; implicit-def: $vgpr10
.LBB118_2500:
	s_andn2_b64 vcc, exec, s[0:1]
	s_cbranch_vccnz .LBB118_2502
; %bb.2501:
	global_load_dword v10, v[12:13], off
.LBB118_2502:
	s_mov_b64 s[0:1], 0
.LBB118_2503:
	s_andn2_b64 vcc, exec, s[0:1]
	s_cbranch_vccnz .LBB118_2505
; %bb.2504:
	global_load_ushort v10, v[12:13], off
.LBB118_2505:
	s_mov_b64 s[0:1], 0
.LBB118_2506:
	s_andn2_b64 vcc, exec, s[0:1]
	s_cbranch_vccnz .LBB118_2512
; %bb.2507:
	s_cmp_gt_i32 s4, 0
	s_cbranch_scc0 .LBB118_2509
; %bb.2508:
	global_load_sbyte v10, v[12:13], off
	s_mov_b64 s[0:1], 0
	s_branch .LBB118_2510
.LBB118_2509:
	s_mov_b64 s[0:1], -1
                                        ; implicit-def: $vgpr10
.LBB118_2510:
	s_andn2_b64 vcc, exec, s[0:1]
	s_cbranch_vccnz .LBB118_2512
; %bb.2511:
	global_load_ubyte v10, v[12:13], off
.LBB118_2512:
	s_mov_b64 s[10:11], -1
.LBB118_2513:
	s_andn2_b64 vcc, exec, s[10:11]
	s_cbranch_vccnz .LBB118_2947
; %bb.2514:
	v_mul_lo_u32 v5, s12, v14
	v_mov_b32_e32 v2, s33
	v_cmp_lt_i16_e32 vcc, s2, v0
	v_cndmask_b32_e32 v0, v2, v3, vcc
	v_ashrrev_i32_e32 v3, 31, v5
	v_mov_b32_e32 v8, s9
	s_and_b32 s22, s3, 0xff
	v_add_co_u32_e32 v2, vcc, s8, v5
	s_cmp_lt_i32 s22, 11
	v_addc_co_u32_e32 v3, vcc, v8, v3, vcc
	s_cbranch_scc1 .LBB118_2592
; %bb.2515:
	s_and_b32 s3, 0xffff, s22
	s_mov_b64 s[14:15], -1
	s_mov_b64 s[4:5], 0
	s_cmp_gt_i32 s3, 25
	s_mov_b64 s[10:11], 0
	s_mov_b64 s[0:1], 0
	s_cbranch_scc0 .LBB118_2548
; %bb.2516:
	s_cmp_gt_i32 s3, 28
	s_cbranch_scc0 .LBB118_2531
; %bb.2517:
	s_cmp_gt_i32 s3, 43
	;; [unrolled: 3-line block ×3, first 2 shown]
	s_cbranch_scc0 .LBB118_2521
; %bb.2519:
	s_mov_b64 s[0:1], -1
	s_mov_b64 s[14:15], 0
	s_cmp_eq_u32 s3, 46
	s_cbranch_scc0 .LBB118_2521
; %bb.2520:
	v_cvt_f32_i32_sdwa v8, sext(v0) dst_sel:DWORD dst_unused:UNUSED_PAD src0_sel:WORD_0
	s_movk_i32 s10, 0x7fff
	s_mov_b64 s[0:1], 0
	s_waitcnt vmcnt(0)
	v_bfe_u32 v11, v8, 16, 1
	v_add3_u32 v8, v8, v11, s10
	v_lshrrev_b32_e32 v8, 16, v8
	global_store_dword v[2:3], v8, off
	s_mov_b64 s[10:11], -1
.LBB118_2521:
	s_and_b64 vcc, exec, s[14:15]
	s_cbranch_vccz .LBB118_2526
; %bb.2522:
	s_cmp_eq_u32 s3, 44
	s_mov_b64 s[0:1], -1
	s_cbranch_scc0 .LBB118_2526
; %bb.2523:
	v_cvt_f32_i32_sdwa v8, sext(v0) dst_sel:DWORD dst_unused:UNUSED_PAD src0_sel:WORD_0
	s_movk_i32 s0, 0xff
	v_mov_b32_e32 v12, 0xff
	s_waitcnt vmcnt(0)
	v_bfe_u32 v11, v8, 23, 8
	v_cmp_ne_u32_e32 vcc, s0, v11
	s_and_saveexec_b64 s[10:11], vcc
; %bb.2524:
	s_mov_b32 s0, 0x3fffff
	v_lshrrev_b32_e32 v12, 23, v8
	v_and_b32_e32 v13, 0x400000, v8
	v_and_or_b32 v8, v8, s0, v11
	v_cmp_ne_u32_e32 vcc, 0, v13
	v_cmp_ne_u32_e64 s[0:1], 0, v8
	s_and_b64 s[0:1], vcc, s[0:1]
	v_cndmask_b32_e64 v8, 0, 1, s[0:1]
	v_add_u32_e32 v12, v12, v8
; %bb.2525:
	s_or_b64 exec, exec, s[10:11]
	s_mov_b64 s[0:1], 0
	s_mov_b64 s[10:11], -1
	global_store_byte v[2:3], v12, off
.LBB118_2526:
	s_mov_b64 s[14:15], 0
.LBB118_2527:
	s_and_b64 vcc, exec, s[14:15]
	s_cbranch_vccz .LBB118_2530
; %bb.2528:
	s_cmp_eq_u32 s3, 29
	s_mov_b64 s[0:1], -1
	s_cbranch_scc0 .LBB118_2530
; %bb.2529:
	s_waitcnt vmcnt(0)
	v_bfe_i32 v11, v0, 0, 16
	v_ashrrev_i32_e32 v12, 31, v11
	global_store_dwordx2 v[2:3], v[11:12], off
	s_mov_b64 s[0:1], 0
	s_mov_b64 s[10:11], -1
.LBB118_2530:
	s_mov_b64 s[14:15], 0
.LBB118_2531:
	s_and_b64 vcc, exec, s[14:15]
	s_cbranch_vccz .LBB118_2547
; %bb.2532:
	s_cmp_lt_i32 s3, 27
	s_mov_b64 s[10:11], -1
	s_cbranch_scc1 .LBB118_2538
; %bb.2533:
	s_cmp_gt_i32 s3, 27
	s_cbranch_scc0 .LBB118_2535
; %bb.2534:
	v_bfe_i32 v8, v0, 0, 16
	s_mov_b64 s[10:11], 0
	global_store_dword v[2:3], v8, off
.LBB118_2535:
	s_andn2_b64 vcc, exec, s[10:11]
	s_cbranch_vccnz .LBB118_2537
; %bb.2536:
	global_store_short v[2:3], v0, off
.LBB118_2537:
	s_mov_b64 s[10:11], 0
.LBB118_2538:
	s_andn2_b64 vcc, exec, s[10:11]
	s_cbranch_vccnz .LBB118_2546
; %bb.2539:
	v_cvt_f32_i32_sdwa v8, sext(v0) dst_sel:DWORD dst_unused:UNUSED_PAD src0_sel:WORD_0
	s_mov_b32 s10, 0x43800000
	v_mov_b32_e32 v12, 0x80
	s_waitcnt vmcnt(0)
	v_and_b32_e32 v11, 0x7fffffff, v8
	v_cmp_gt_u32_e32 vcc, s10, v11
	s_and_saveexec_b64 s[10:11], vcc
	s_cbranch_execz .LBB118_2545
; %bb.2540:
	s_mov_b32 s13, 0x3bffffff
	v_cmp_lt_u32_e32 vcc, s13, v11
	s_mov_b64 s[14:15], 0
                                        ; implicit-def: $vgpr11
	s_and_saveexec_b64 s[16:17], vcc
	s_xor_b64 s[16:17], exec, s[16:17]
	s_cbranch_execz .LBB118_2994
; %bb.2541:
	v_bfe_u32 v11, v8, 20, 1
	s_mov_b32 s13, 0x487ffff
	v_add3_u32 v11, v8, v11, s13
	s_mov_b64 s[14:15], exec
	v_lshrrev_b32_e32 v11, 20, v11
	s_andn2_saveexec_b64 s[16:17], s[16:17]
	s_cbranch_execnz .LBB118_2995
.LBB118_2542:
	s_or_b64 exec, exec, s[16:17]
	v_mov_b32_e32 v12, 0
	s_and_saveexec_b64 s[16:17], s[14:15]
.LBB118_2543:
	v_lshrrev_b32_e32 v8, 24, v8
	s_movk_i32 s13, 0x80
	v_and_or_b32 v12, v8, s13, v11
.LBB118_2544:
	s_or_b64 exec, exec, s[16:17]
.LBB118_2545:
	s_or_b64 exec, exec, s[10:11]
	global_store_byte v[2:3], v12, off
.LBB118_2546:
	s_mov_b64 s[10:11], -1
.LBB118_2547:
	s_mov_b64 s[14:15], 0
.LBB118_2548:
	s_and_b64 vcc, exec, s[14:15]
	s_cbranch_vccz .LBB118_2588
; %bb.2549:
	s_cmp_gt_i32 s3, 22
	s_mov_b64 s[4:5], -1
	s_cbranch_scc0 .LBB118_2581
; %bb.2550:
	s_cmp_lt_i32 s3, 24
	s_cbranch_scc1 .LBB118_2570
; %bb.2551:
	s_cmp_gt_i32 s3, 24
	s_cbranch_scc0 .LBB118_2559
; %bb.2552:
	v_cvt_f32_i32_sdwa v8, sext(v0) dst_sel:DWORD dst_unused:UNUSED_PAD src0_sel:WORD_0
	s_mov_b32 s4, 0x47800000
	v_mov_b32_e32 v12, 0x80
	s_waitcnt vmcnt(0)
	v_and_b32_e32 v11, 0x7fffffff, v8
	v_cmp_gt_u32_e32 vcc, s4, v11
	s_and_saveexec_b64 s[4:5], vcc
	s_cbranch_execz .LBB118_2558
; %bb.2553:
	s_mov_b32 s10, 0x37ffffff
	v_cmp_lt_u32_e32 vcc, s10, v11
	s_mov_b64 s[10:11], 0
                                        ; implicit-def: $vgpr11
	s_and_saveexec_b64 s[14:15], vcc
	s_xor_b64 s[14:15], exec, s[14:15]
	s_cbranch_execz .LBB118_2997
; %bb.2554:
	v_bfe_u32 v11, v8, 21, 1
	s_mov_b32 s13, 0x88fffff
	v_add3_u32 v11, v8, v11, s13
	s_mov_b64 s[10:11], exec
	v_lshrrev_b32_e32 v11, 21, v11
	s_andn2_saveexec_b64 s[14:15], s[14:15]
	s_cbranch_execnz .LBB118_2998
.LBB118_2555:
	s_or_b64 exec, exec, s[14:15]
	v_mov_b32_e32 v12, 0
	s_and_saveexec_b64 s[14:15], s[10:11]
.LBB118_2556:
	v_lshrrev_b32_e32 v8, 24, v8
	s_movk_i32 s10, 0x80
	v_and_or_b32 v12, v8, s10, v11
.LBB118_2557:
	s_or_b64 exec, exec, s[14:15]
.LBB118_2558:
	s_or_b64 exec, exec, s[4:5]
	s_mov_b64 s[4:5], 0
	global_store_byte v[2:3], v12, off
.LBB118_2559:
	s_and_b64 vcc, exec, s[4:5]
	s_cbranch_vccz .LBB118_2569
; %bb.2560:
	v_cvt_f32_i32_sdwa v8, sext(v0) dst_sel:DWORD dst_unused:UNUSED_PAD src0_sel:WORD_0
	s_mov_b32 s4, 0x43f00000
                                        ; implicit-def: $vgpr11
	v_and_b32_e32 v12, 0x7fffffff, v8
	v_cmp_gt_u32_e32 vcc, s4, v12
	s_and_saveexec_b64 s[4:5], vcc
	s_xor_b64 s[4:5], exec, s[4:5]
	s_cbranch_execz .LBB118_2566
; %bb.2561:
	s_mov_b32 s10, 0x3c7fffff
	v_cmp_lt_u32_e32 vcc, s10, v12
                                        ; implicit-def: $vgpr11
	s_and_saveexec_b64 s[10:11], vcc
	s_xor_b64 s[10:11], exec, s[10:11]
	s_cbranch_execz .LBB118_2563
; %bb.2562:
	s_waitcnt vmcnt(0)
	v_bfe_u32 v11, v8, 20, 1
	s_mov_b32 s13, 0x407ffff
	v_add3_u32 v11, v8, v11, s13
	v_lshrrev_b32_e32 v12, 20, v11
	v_and_b32_e32 v11, 0xff00000, v11
	s_mov_b32 s13, 0x7f00000
	v_mov_b32_e32 v13, 0x7e
	v_cmp_ne_u32_e32 vcc, s13, v11
	v_cndmask_b32_e32 v11, v13, v12, vcc
.LBB118_2563:
	s_andn2_saveexec_b64 s[10:11], s[10:11]
	s_cbranch_execz .LBB118_2565
; %bb.2564:
	s_mov_b32 s13, 0x46800000
	s_waitcnt vmcnt(0)
	v_add_f32_e64 v11, |v8|, s13
.LBB118_2565:
	s_or_b64 exec, exec, s[10:11]
                                        ; implicit-def: $vgpr12
.LBB118_2566:
	s_andn2_saveexec_b64 s[4:5], s[4:5]
	s_cbranch_execz .LBB118_2568
; %bb.2567:
	s_mov_b32 s10, 0x7f800000
	s_waitcnt vmcnt(0)
	v_mov_b32_e32 v11, 0x7e
	v_mov_b32_e32 v13, 0x7f
	v_cmp_lt_u32_e32 vcc, s10, v12
	v_cndmask_b32_e32 v11, v11, v13, vcc
.LBB118_2568:
	s_or_b64 exec, exec, s[4:5]
	v_lshrrev_b32_e32 v8, 24, v8
	s_movk_i32 s4, 0x80
	s_waitcnt vmcnt(0)
	v_and_or_b32 v8, v8, s4, v11
	global_store_byte v[2:3], v8, off
.LBB118_2569:
	s_mov_b64 s[4:5], 0
.LBB118_2570:
	s_andn2_b64 vcc, exec, s[4:5]
	s_cbranch_vccnz .LBB118_2580
; %bb.2571:
	v_cvt_f32_i32_sdwa v8, sext(v0) dst_sel:DWORD dst_unused:UNUSED_PAD src0_sel:WORD_0
	s_mov_b32 s4, 0x47800000
                                        ; implicit-def: $vgpr11
	v_and_b32_e32 v12, 0x7fffffff, v8
	v_cmp_gt_u32_e32 vcc, s4, v12
	s_and_saveexec_b64 s[4:5], vcc
	s_xor_b64 s[4:5], exec, s[4:5]
	s_cbranch_execz .LBB118_2577
; %bb.2572:
	s_mov_b32 s10, 0x387fffff
	v_cmp_lt_u32_e32 vcc, s10, v12
                                        ; implicit-def: $vgpr11
	s_and_saveexec_b64 s[10:11], vcc
	s_xor_b64 s[10:11], exec, s[10:11]
	s_cbranch_execz .LBB118_2574
; %bb.2573:
	s_waitcnt vmcnt(0)
	v_bfe_u32 v11, v8, 21, 1
	s_mov_b32 s13, 0x80fffff
	v_add3_u32 v11, v8, v11, s13
	v_lshrrev_b32_e32 v11, 21, v11
.LBB118_2574:
	s_andn2_saveexec_b64 s[10:11], s[10:11]
	s_cbranch_execz .LBB118_2576
; %bb.2575:
	s_mov_b32 s13, 0x43000000
	s_waitcnt vmcnt(0)
	v_add_f32_e64 v11, |v8|, s13
.LBB118_2576:
	s_or_b64 exec, exec, s[10:11]
                                        ; implicit-def: $vgpr12
.LBB118_2577:
	s_andn2_saveexec_b64 s[4:5], s[4:5]
	s_cbranch_execz .LBB118_2579
; %bb.2578:
	s_mov_b32 s10, 0x7f800000
	s_waitcnt vmcnt(0)
	v_mov_b32_e32 v11, 0x7c
	v_mov_b32_e32 v13, 0x7f
	v_cmp_lt_u32_e32 vcc, s10, v12
	v_cndmask_b32_e32 v11, v11, v13, vcc
.LBB118_2579:
	s_or_b64 exec, exec, s[4:5]
	v_lshrrev_b32_e32 v8, 24, v8
	s_movk_i32 s4, 0x80
	s_waitcnt vmcnt(0)
	v_and_or_b32 v8, v8, s4, v11
	global_store_byte v[2:3], v8, off
.LBB118_2580:
	s_mov_b64 s[4:5], 0
	s_mov_b64 s[10:11], -1
.LBB118_2581:
	s_andn2_b64 vcc, exec, s[4:5]
	s_mov_b64 s[4:5], 0
	s_cbranch_vccnz .LBB118_2588
; %bb.2582:
	s_cmp_gt_i32 s3, 14
	s_mov_b64 s[14:15], -1
	s_cbranch_scc0 .LBB118_2586
; %bb.2583:
	s_cmp_eq_u32 s3, 15
	s_mov_b64 s[0:1], -1
	s_cbranch_scc0 .LBB118_2585
; %bb.2584:
	v_cvt_f32_i32_sdwa v8, sext(v0) dst_sel:DWORD dst_unused:UNUSED_PAD src0_sel:WORD_0
	s_movk_i32 s4, 0x7fff
	s_mov_b64 s[0:1], 0
	s_mov_b64 s[10:11], -1
	s_waitcnt vmcnt(0)
	v_bfe_u32 v11, v8, 16, 1
	v_add3_u32 v8, v8, v11, s4
	global_store_short_d16_hi v[2:3], v8, off
.LBB118_2585:
	s_mov_b64 s[14:15], 0
.LBB118_2586:
	s_mov_b64 s[4:5], 0
	s_and_b64 vcc, exec, s[14:15]
	s_cbranch_vccz .LBB118_2588
; %bb.2587:
	s_cmp_lg_u32 s3, 11
	s_mov_b64 s[4:5], -1
	s_cselect_b64 s[0:1], -1, 0
.LBB118_2588:
	s_and_b64 vcc, exec, s[0:1]
	s_cbranch_vccnz .LBB118_2996
; %bb.2589:
	s_andn2_b64 vcc, exec, s[4:5]
	s_cbranch_vccnz .LBB118_2591
.LBB118_2590:
	v_cmp_ne_u16_e32 vcc, 0, v0
	v_cndmask_b32_e64 v8, 0, 1, vcc
	s_mov_b64 s[10:11], -1
	global_store_byte v[2:3], v8, off
.LBB118_2591:
	s_mov_b64 s[0:1], 0
	s_branch .LBB118_2593
.LBB118_2592:
	s_mov_b64 s[0:1], -1
	s_mov_b64 s[10:11], 0
.LBB118_2593:
	s_and_b64 vcc, exec, s[0:1]
	s_cbranch_vccz .LBB118_2632
; %bb.2594:
	s_and_b32 s3, 0xffff, s22
	s_cmp_lt_i32 s3, 5
	s_mov_b64 s[0:1], -1
	s_cbranch_scc1 .LBB118_2615
; %bb.2595:
	s_cmp_lt_i32 s3, 8
	s_cbranch_scc1 .LBB118_2605
; %bb.2596:
	s_cmp_lt_i32 s3, 9
	s_cbranch_scc1 .LBB118_2602
; %bb.2597:
	s_cmp_gt_i32 s3, 9
	s_cbranch_scc0 .LBB118_2599
; %bb.2598:
	v_bfe_i32 v8, v0, 0, 16
	s_waitcnt vmcnt(0)
	v_cvt_f64_i32_e32 v[11:12], v8
	v_mov_b32_e32 v13, 0
	v_mov_b32_e32 v14, v13
	s_mov_b64 s[0:1], 0
	global_store_dwordx4 v[2:3], v[11:14], off
.LBB118_2599:
	s_andn2_b64 vcc, exec, s[0:1]
	s_cbranch_vccnz .LBB118_2601
; %bb.2600:
	s_waitcnt vmcnt(0)
	v_cvt_f32_i32_sdwa v11, sext(v0) dst_sel:DWORD dst_unused:UNUSED_PAD src0_sel:WORD_0
	v_mov_b32_e32 v12, 0
	global_store_dwordx2 v[2:3], v[11:12], off
.LBB118_2601:
	s_mov_b64 s[0:1], 0
.LBB118_2602:
	s_andn2_b64 vcc, exec, s[0:1]
	s_cbranch_vccnz .LBB118_2604
; %bb.2603:
	v_cvt_f16_i16_e32 v8, v0
	global_store_dword v[2:3], v8, off
.LBB118_2604:
	s_mov_b64 s[0:1], 0
.LBB118_2605:
	s_andn2_b64 vcc, exec, s[0:1]
	s_cbranch_vccnz .LBB118_2614
; %bb.2606:
	s_cmp_lt_i32 s3, 6
	s_mov_b64 s[0:1], -1
	s_cbranch_scc1 .LBB118_2612
; %bb.2607:
	s_cmp_gt_i32 s3, 6
	s_cbranch_scc0 .LBB118_2609
; %bb.2608:
	v_bfe_i32 v8, v0, 0, 16
	s_waitcnt vmcnt(0)
	v_cvt_f64_i32_e32 v[11:12], v8
	s_mov_b64 s[0:1], 0
	global_store_dwordx2 v[2:3], v[11:12], off
.LBB118_2609:
	s_andn2_b64 vcc, exec, s[0:1]
	s_cbranch_vccnz .LBB118_2611
; %bb.2610:
	v_cvt_f32_i32_sdwa v8, sext(v0) dst_sel:DWORD dst_unused:UNUSED_PAD src0_sel:WORD_0
	global_store_dword v[2:3], v8, off
.LBB118_2611:
	s_mov_b64 s[0:1], 0
.LBB118_2612:
	s_andn2_b64 vcc, exec, s[0:1]
	s_cbranch_vccnz .LBB118_2614
; %bb.2613:
	v_cvt_f16_i16_e32 v8, v0
	global_store_short v[2:3], v8, off
.LBB118_2614:
	s_mov_b64 s[0:1], 0
.LBB118_2615:
	s_andn2_b64 vcc, exec, s[0:1]
	s_cbranch_vccnz .LBB118_2631
; %bb.2616:
	s_cmp_lt_i32 s3, 2
	s_mov_b64 s[0:1], -1
	s_cbranch_scc1 .LBB118_2626
; %bb.2617:
	s_cmp_lt_i32 s3, 3
	s_cbranch_scc1 .LBB118_2623
; %bb.2618:
	s_cmp_gt_i32 s3, 3
	s_waitcnt vmcnt(0)
	v_bfe_i32 v11, v0, 0, 16
	s_cbranch_scc0 .LBB118_2620
; %bb.2619:
	v_ashrrev_i32_e32 v12, 31, v11
	global_store_dwordx2 v[2:3], v[11:12], off
	s_mov_b64 s[0:1], 0
.LBB118_2620:
	s_andn2_b64 vcc, exec, s[0:1]
	s_cbranch_vccnz .LBB118_2622
; %bb.2621:
	global_store_dword v[2:3], v11, off
.LBB118_2622:
	s_mov_b64 s[0:1], 0
.LBB118_2623:
	s_andn2_b64 vcc, exec, s[0:1]
	s_cbranch_vccnz .LBB118_2625
; %bb.2624:
	global_store_short v[2:3], v0, off
.LBB118_2625:
	s_mov_b64 s[0:1], 0
.LBB118_2626:
	s_andn2_b64 vcc, exec, s[0:1]
	s_cbranch_vccnz .LBB118_2631
; %bb.2627:
	s_cmp_gt_i32 s3, 0
	s_mov_b64 s[0:1], -1
	s_cbranch_scc0 .LBB118_2629
; %bb.2628:
	global_store_byte v[2:3], v0, off
	s_mov_b64 s[0:1], 0
.LBB118_2629:
	s_andn2_b64 vcc, exec, s[0:1]
	s_cbranch_vccnz .LBB118_2631
; %bb.2630:
	global_store_byte v[2:3], v0, off
.LBB118_2631:
	s_mov_b64 s[10:11], -1
.LBB118_2632:
	s_andn2_b64 vcc, exec, s[10:11]
	s_cbranch_vccnz .LBB118_2947
; %bb.2633:
	s_lshl_b32 s3, s12, 7
	v_mov_b32_e32 v0, s33
	v_cmp_lt_i16_e32 vcc, s2, v1
	v_add_u32_e32 v5, s3, v5
	v_cndmask_b32_e32 v6, v0, v6, vcc
	v_ashrrev_i32_e32 v1, 31, v5
	v_mov_b32_e32 v2, s9
	v_add_co_u32_e32 v0, vcc, s8, v5
	s_cmp_lt_i32 s22, 11
	v_addc_co_u32_e32 v1, vcc, v2, v1, vcc
	s_cbranch_scc1 .LBB118_2711
; %bb.2634:
	s_and_b32 s16, 0xffff, s22
	s_mov_b64 s[12:13], -1
	s_mov_b64 s[4:5], 0
	s_cmp_gt_i32 s16, 25
	s_mov_b64 s[10:11], 0
	s_mov_b64 s[0:1], 0
	s_cbranch_scc0 .LBB118_2667
; %bb.2635:
	s_cmp_gt_i32 s16, 28
	s_cbranch_scc0 .LBB118_2650
; %bb.2636:
	s_cmp_gt_i32 s16, 43
	;; [unrolled: 3-line block ×3, first 2 shown]
	s_cbranch_scc0 .LBB118_2640
; %bb.2638:
	s_mov_b64 s[0:1], -1
	s_mov_b64 s[12:13], 0
	s_cmp_eq_u32 s16, 46
	s_cbranch_scc0 .LBB118_2640
; %bb.2639:
	v_cvt_f32_i32_sdwa v2, sext(v6) dst_sel:DWORD dst_unused:UNUSED_PAD src0_sel:WORD_0
	s_movk_i32 s10, 0x7fff
	s_mov_b64 s[0:1], 0
	v_bfe_u32 v3, v2, 16, 1
	v_add3_u32 v2, v2, v3, s10
	v_lshrrev_b32_e32 v2, 16, v2
	global_store_dword v[0:1], v2, off
	s_mov_b64 s[10:11], -1
.LBB118_2640:
	s_and_b64 vcc, exec, s[12:13]
	s_cbranch_vccz .LBB118_2645
; %bb.2641:
	s_cmp_eq_u32 s16, 44
	s_mov_b64 s[0:1], -1
	s_cbranch_scc0 .LBB118_2645
; %bb.2642:
	v_cvt_f32_i32_sdwa v2, sext(v6) dst_sel:DWORD dst_unused:UNUSED_PAD src0_sel:WORD_0
	s_movk_i32 s0, 0xff
	v_mov_b32_e32 v8, 0xff
	v_bfe_u32 v3, v2, 23, 8
	v_cmp_ne_u32_e32 vcc, s0, v3
	s_and_saveexec_b64 s[10:11], vcc
	s_cbranch_execz .LBB118_2644
; %bb.2643:
	s_mov_b32 s0, 0x3fffff
	v_lshrrev_b32_e32 v8, 23, v2
	s_waitcnt vmcnt(0)
	v_and_b32_e32 v11, 0x400000, v2
	v_and_or_b32 v2, v2, s0, v3
	v_cmp_ne_u32_e32 vcc, 0, v11
	v_cmp_ne_u32_e64 s[0:1], 0, v2
	s_and_b64 s[0:1], vcc, s[0:1]
	v_cndmask_b32_e64 v2, 0, 1, s[0:1]
	v_add_u32_e32 v8, v8, v2
.LBB118_2644:
	s_or_b64 exec, exec, s[10:11]
	s_mov_b64 s[0:1], 0
	s_mov_b64 s[10:11], -1
	global_store_byte v[0:1], v8, off
.LBB118_2645:
	s_mov_b64 s[12:13], 0
.LBB118_2646:
	s_and_b64 vcc, exec, s[12:13]
	s_cbranch_vccz .LBB118_2649
; %bb.2647:
	s_cmp_eq_u32 s16, 29
	s_mov_b64 s[0:1], -1
	s_cbranch_scc0 .LBB118_2649
; %bb.2648:
	v_bfe_i32 v2, v6, 0, 16
	v_ashrrev_i32_e32 v3, 31, v2
	global_store_dwordx2 v[0:1], v[2:3], off
	s_mov_b64 s[0:1], 0
	s_mov_b64 s[10:11], -1
.LBB118_2649:
	s_mov_b64 s[12:13], 0
.LBB118_2650:
	s_and_b64 vcc, exec, s[12:13]
	s_cbranch_vccz .LBB118_2666
; %bb.2651:
	s_cmp_lt_i32 s16, 27
	s_mov_b64 s[10:11], -1
	s_cbranch_scc1 .LBB118_2657
; %bb.2652:
	s_cmp_gt_i32 s16, 27
	s_cbranch_scc0 .LBB118_2654
; %bb.2653:
	v_bfe_i32 v2, v6, 0, 16
	s_mov_b64 s[10:11], 0
	global_store_dword v[0:1], v2, off
.LBB118_2654:
	s_andn2_b64 vcc, exec, s[10:11]
	s_cbranch_vccnz .LBB118_2656
; %bb.2655:
	global_store_short v[0:1], v6, off
.LBB118_2656:
	s_mov_b64 s[10:11], 0
.LBB118_2657:
	s_andn2_b64 vcc, exec, s[10:11]
	s_cbranch_vccnz .LBB118_2665
; %bb.2658:
	v_cvt_f32_i32_sdwa v2, sext(v6) dst_sel:DWORD dst_unused:UNUSED_PAD src0_sel:WORD_0
	s_mov_b32 s10, 0x43800000
	v_mov_b32_e32 v8, 0x80
	v_and_b32_e32 v3, 0x7fffffff, v2
	v_cmp_gt_u32_e32 vcc, s10, v3
	s_and_saveexec_b64 s[10:11], vcc
	s_cbranch_execz .LBB118_2664
; %bb.2659:
	s_mov_b32 s12, 0x3bffffff
	v_cmp_lt_u32_e32 vcc, s12, v3
	s_mov_b64 s[12:13], 0
                                        ; implicit-def: $vgpr3
	s_and_saveexec_b64 s[14:15], vcc
	s_xor_b64 s[14:15], exec, s[14:15]
	s_cbranch_execz .LBB118_2999
; %bb.2660:
	v_bfe_u32 v3, v2, 20, 1
	s_mov_b32 s17, 0x487ffff
	v_add3_u32 v3, v2, v3, s17
	s_mov_b64 s[12:13], exec
	v_lshrrev_b32_e32 v3, 20, v3
	s_andn2_saveexec_b64 s[14:15], s[14:15]
	s_cbranch_execnz .LBB118_3000
.LBB118_2661:
	s_or_b64 exec, exec, s[14:15]
	v_mov_b32_e32 v8, 0
	s_and_saveexec_b64 s[14:15], s[12:13]
.LBB118_2662:
	v_lshrrev_b32_e32 v2, 24, v2
	s_movk_i32 s12, 0x80
	v_and_or_b32 v8, v2, s12, v3
.LBB118_2663:
	s_or_b64 exec, exec, s[14:15]
.LBB118_2664:
	s_or_b64 exec, exec, s[10:11]
	global_store_byte v[0:1], v8, off
.LBB118_2665:
	s_mov_b64 s[10:11], -1
.LBB118_2666:
	s_mov_b64 s[12:13], 0
.LBB118_2667:
	s_and_b64 vcc, exec, s[12:13]
	s_cbranch_vccz .LBB118_2707
; %bb.2668:
	s_cmp_gt_i32 s16, 22
	s_mov_b64 s[4:5], -1
	s_cbranch_scc0 .LBB118_2700
; %bb.2669:
	s_cmp_lt_i32 s16, 24
	s_cbranch_scc1 .LBB118_2689
; %bb.2670:
	s_cmp_gt_i32 s16, 24
	s_cbranch_scc0 .LBB118_2678
; %bb.2671:
	v_cvt_f32_i32_sdwa v2, sext(v6) dst_sel:DWORD dst_unused:UNUSED_PAD src0_sel:WORD_0
	s_mov_b32 s4, 0x47800000
	v_mov_b32_e32 v8, 0x80
	v_and_b32_e32 v3, 0x7fffffff, v2
	v_cmp_gt_u32_e32 vcc, s4, v3
	s_and_saveexec_b64 s[4:5], vcc
	s_cbranch_execz .LBB118_2677
; %bb.2672:
	s_mov_b32 s10, 0x37ffffff
	v_cmp_lt_u32_e32 vcc, s10, v3
	s_mov_b64 s[10:11], 0
                                        ; implicit-def: $vgpr3
	s_and_saveexec_b64 s[12:13], vcc
	s_xor_b64 s[12:13], exec, s[12:13]
	s_cbranch_execz .LBB118_3002
; %bb.2673:
	v_bfe_u32 v3, v2, 21, 1
	s_mov_b32 s14, 0x88fffff
	v_add3_u32 v3, v2, v3, s14
	s_mov_b64 s[10:11], exec
	v_lshrrev_b32_e32 v3, 21, v3
	s_andn2_saveexec_b64 s[12:13], s[12:13]
	s_cbranch_execnz .LBB118_3003
.LBB118_2674:
	s_or_b64 exec, exec, s[12:13]
	v_mov_b32_e32 v8, 0
	s_and_saveexec_b64 s[12:13], s[10:11]
.LBB118_2675:
	v_lshrrev_b32_e32 v2, 24, v2
	s_movk_i32 s10, 0x80
	v_and_or_b32 v8, v2, s10, v3
.LBB118_2676:
	s_or_b64 exec, exec, s[12:13]
.LBB118_2677:
	s_or_b64 exec, exec, s[4:5]
	s_mov_b64 s[4:5], 0
	global_store_byte v[0:1], v8, off
.LBB118_2678:
	s_and_b64 vcc, exec, s[4:5]
	s_cbranch_vccz .LBB118_2688
; %bb.2679:
	v_cvt_f32_i32_sdwa v2, sext(v6) dst_sel:DWORD dst_unused:UNUSED_PAD src0_sel:WORD_0
	s_mov_b32 s4, 0x43f00000
                                        ; implicit-def: $vgpr3
	v_and_b32_e32 v8, 0x7fffffff, v2
	v_cmp_gt_u32_e32 vcc, s4, v8
	s_and_saveexec_b64 s[4:5], vcc
	s_xor_b64 s[4:5], exec, s[4:5]
	s_cbranch_execz .LBB118_2685
; %bb.2680:
	s_mov_b32 s10, 0x3c7fffff
	v_cmp_lt_u32_e32 vcc, s10, v8
                                        ; implicit-def: $vgpr3
	s_and_saveexec_b64 s[10:11], vcc
	s_xor_b64 s[10:11], exec, s[10:11]
	s_cbranch_execz .LBB118_2682
; %bb.2681:
	v_bfe_u32 v3, v2, 20, 1
	s_mov_b32 s12, 0x407ffff
	v_add3_u32 v3, v2, v3, s12
	v_lshrrev_b32_e32 v8, 20, v3
	v_and_b32_e32 v3, 0xff00000, v3
	s_mov_b32 s12, 0x7f00000
	s_waitcnt vmcnt(0)
	v_mov_b32_e32 v11, 0x7e
	v_cmp_ne_u32_e32 vcc, s12, v3
	v_cndmask_b32_e32 v3, v11, v8, vcc
.LBB118_2682:
	s_andn2_saveexec_b64 s[10:11], s[10:11]
; %bb.2683:
	s_mov_b32 s12, 0x46800000
	v_add_f32_e64 v3, |v2|, s12
; %bb.2684:
	s_or_b64 exec, exec, s[10:11]
                                        ; implicit-def: $vgpr8
.LBB118_2685:
	s_andn2_saveexec_b64 s[4:5], s[4:5]
	s_cbranch_execz .LBB118_2687
; %bb.2686:
	s_mov_b32 s10, 0x7f800000
	v_mov_b32_e32 v3, 0x7e
	s_waitcnt vmcnt(0)
	v_mov_b32_e32 v11, 0x7f
	v_cmp_lt_u32_e32 vcc, s10, v8
	v_cndmask_b32_e32 v3, v3, v11, vcc
.LBB118_2687:
	s_or_b64 exec, exec, s[4:5]
	v_lshrrev_b32_e32 v2, 24, v2
	s_movk_i32 s4, 0x80
	v_and_or_b32 v2, v2, s4, v3
	global_store_byte v[0:1], v2, off
.LBB118_2688:
	s_mov_b64 s[4:5], 0
.LBB118_2689:
	s_andn2_b64 vcc, exec, s[4:5]
	s_cbranch_vccnz .LBB118_2699
; %bb.2690:
	v_cvt_f32_i32_sdwa v2, sext(v6) dst_sel:DWORD dst_unused:UNUSED_PAD src0_sel:WORD_0
	s_mov_b32 s4, 0x47800000
                                        ; implicit-def: $vgpr3
	v_and_b32_e32 v8, 0x7fffffff, v2
	v_cmp_gt_u32_e32 vcc, s4, v8
	s_and_saveexec_b64 s[4:5], vcc
	s_xor_b64 s[4:5], exec, s[4:5]
	s_cbranch_execz .LBB118_2696
; %bb.2691:
	s_mov_b32 s10, 0x387fffff
	v_cmp_lt_u32_e32 vcc, s10, v8
                                        ; implicit-def: $vgpr3
	s_and_saveexec_b64 s[10:11], vcc
	s_xor_b64 s[10:11], exec, s[10:11]
; %bb.2692:
	v_bfe_u32 v3, v2, 21, 1
	s_mov_b32 s12, 0x80fffff
	v_add3_u32 v3, v2, v3, s12
	v_lshrrev_b32_e32 v3, 21, v3
; %bb.2693:
	s_andn2_saveexec_b64 s[10:11], s[10:11]
; %bb.2694:
	s_mov_b32 s12, 0x43000000
	v_add_f32_e64 v3, |v2|, s12
; %bb.2695:
	s_or_b64 exec, exec, s[10:11]
                                        ; implicit-def: $vgpr8
.LBB118_2696:
	s_andn2_saveexec_b64 s[4:5], s[4:5]
	s_cbranch_execz .LBB118_2698
; %bb.2697:
	s_mov_b32 s10, 0x7f800000
	v_mov_b32_e32 v3, 0x7c
	s_waitcnt vmcnt(0)
	v_mov_b32_e32 v11, 0x7f
	v_cmp_lt_u32_e32 vcc, s10, v8
	v_cndmask_b32_e32 v3, v3, v11, vcc
.LBB118_2698:
	s_or_b64 exec, exec, s[4:5]
	v_lshrrev_b32_e32 v2, 24, v2
	s_movk_i32 s4, 0x80
	v_and_or_b32 v2, v2, s4, v3
	global_store_byte v[0:1], v2, off
.LBB118_2699:
	s_mov_b64 s[4:5], 0
	s_mov_b64 s[10:11], -1
.LBB118_2700:
	s_andn2_b64 vcc, exec, s[4:5]
	s_mov_b64 s[4:5], 0
	s_cbranch_vccnz .LBB118_2707
; %bb.2701:
	s_cmp_gt_i32 s16, 14
	s_mov_b64 s[12:13], -1
	s_cbranch_scc0 .LBB118_2705
; %bb.2702:
	s_cmp_eq_u32 s16, 15
	s_mov_b64 s[0:1], -1
	s_cbranch_scc0 .LBB118_2704
; %bb.2703:
	v_cvt_f32_i32_sdwa v2, sext(v6) dst_sel:DWORD dst_unused:UNUSED_PAD src0_sel:WORD_0
	s_movk_i32 s4, 0x7fff
	s_mov_b64 s[0:1], 0
	s_mov_b64 s[10:11], -1
	v_bfe_u32 v3, v2, 16, 1
	v_add3_u32 v2, v2, v3, s4
	global_store_short_d16_hi v[0:1], v2, off
.LBB118_2704:
	s_mov_b64 s[12:13], 0
.LBB118_2705:
	s_mov_b64 s[4:5], 0
	s_and_b64 vcc, exec, s[12:13]
	s_cbranch_vccz .LBB118_2707
; %bb.2706:
	s_cmp_lg_u32 s16, 11
	s_mov_b64 s[4:5], -1
	s_cselect_b64 s[0:1], -1, 0
.LBB118_2707:
	s_and_b64 vcc, exec, s[0:1]
	s_cbranch_vccnz .LBB118_3001
; %bb.2708:
	s_andn2_b64 vcc, exec, s[4:5]
	s_cbranch_vccnz .LBB118_2710
.LBB118_2709:
	v_cmp_ne_u16_e32 vcc, 0, v6
	v_cndmask_b32_e64 v2, 0, 1, vcc
	s_mov_b64 s[10:11], -1
	global_store_byte v[0:1], v2, off
.LBB118_2710:
	s_mov_b64 s[0:1], 0
	s_branch .LBB118_2712
.LBB118_2711:
	s_mov_b64 s[0:1], -1
	s_mov_b64 s[10:11], 0
.LBB118_2712:
	s_and_b64 vcc, exec, s[0:1]
	s_cbranch_vccz .LBB118_2751
; %bb.2713:
	s_and_b32 s4, 0xffff, s22
	s_cmp_lt_i32 s4, 5
	s_mov_b64 s[0:1], -1
	s_cbranch_scc1 .LBB118_2734
; %bb.2714:
	s_cmp_lt_i32 s4, 8
	s_cbranch_scc1 .LBB118_2724
; %bb.2715:
	s_cmp_lt_i32 s4, 9
	s_cbranch_scc1 .LBB118_2721
; %bb.2716:
	s_cmp_gt_i32 s4, 9
	s_cbranch_scc0 .LBB118_2718
; %bb.2717:
	v_bfe_i32 v2, v6, 0, 16
	s_waitcnt vmcnt(0)
	v_cvt_f64_i32_e32 v[11:12], v2
	v_mov_b32_e32 v13, 0
	v_mov_b32_e32 v14, v13
	s_mov_b64 s[0:1], 0
	global_store_dwordx4 v[0:1], v[11:14], off
.LBB118_2718:
	s_andn2_b64 vcc, exec, s[0:1]
	s_cbranch_vccnz .LBB118_2720
; %bb.2719:
	v_cvt_f32_i32_sdwa v2, sext(v6) dst_sel:DWORD dst_unused:UNUSED_PAD src0_sel:WORD_0
	v_mov_b32_e32 v3, 0
	global_store_dwordx2 v[0:1], v[2:3], off
.LBB118_2720:
	s_mov_b64 s[0:1], 0
.LBB118_2721:
	s_andn2_b64 vcc, exec, s[0:1]
	s_cbranch_vccnz .LBB118_2723
; %bb.2722:
	v_cvt_f16_i16_e32 v2, v6
	global_store_dword v[0:1], v2, off
.LBB118_2723:
	s_mov_b64 s[0:1], 0
.LBB118_2724:
	s_andn2_b64 vcc, exec, s[0:1]
	s_cbranch_vccnz .LBB118_2733
; %bb.2725:
	s_cmp_lt_i32 s4, 6
	s_mov_b64 s[0:1], -1
	s_cbranch_scc1 .LBB118_2731
; %bb.2726:
	s_cmp_gt_i32 s4, 6
	s_cbranch_scc0 .LBB118_2728
; %bb.2727:
	v_bfe_i32 v2, v6, 0, 16
	v_cvt_f64_i32_e32 v[2:3], v2
	s_mov_b64 s[0:1], 0
	global_store_dwordx2 v[0:1], v[2:3], off
.LBB118_2728:
	s_andn2_b64 vcc, exec, s[0:1]
	s_cbranch_vccnz .LBB118_2730
; %bb.2729:
	v_cvt_f32_i32_sdwa v2, sext(v6) dst_sel:DWORD dst_unused:UNUSED_PAD src0_sel:WORD_0
	global_store_dword v[0:1], v2, off
.LBB118_2730:
	s_mov_b64 s[0:1], 0
.LBB118_2731:
	s_andn2_b64 vcc, exec, s[0:1]
	s_cbranch_vccnz .LBB118_2733
; %bb.2732:
	v_cvt_f16_i16_e32 v2, v6
	global_store_short v[0:1], v2, off
.LBB118_2733:
	s_mov_b64 s[0:1], 0
.LBB118_2734:
	s_andn2_b64 vcc, exec, s[0:1]
	s_cbranch_vccnz .LBB118_2750
; %bb.2735:
	s_cmp_lt_i32 s4, 2
	s_mov_b64 s[0:1], -1
	s_cbranch_scc1 .LBB118_2745
; %bb.2736:
	s_cmp_lt_i32 s4, 3
	s_cbranch_scc1 .LBB118_2742
; %bb.2737:
	s_cmp_gt_i32 s4, 3
	v_bfe_i32 v2, v6, 0, 16
	s_cbranch_scc0 .LBB118_2739
; %bb.2738:
	v_ashrrev_i32_e32 v3, 31, v2
	global_store_dwordx2 v[0:1], v[2:3], off
	s_mov_b64 s[0:1], 0
.LBB118_2739:
	s_andn2_b64 vcc, exec, s[0:1]
	s_cbranch_vccnz .LBB118_2741
; %bb.2740:
	global_store_dword v[0:1], v2, off
.LBB118_2741:
	s_mov_b64 s[0:1], 0
.LBB118_2742:
	s_andn2_b64 vcc, exec, s[0:1]
	s_cbranch_vccnz .LBB118_2744
; %bb.2743:
	global_store_short v[0:1], v6, off
.LBB118_2744:
	s_mov_b64 s[0:1], 0
.LBB118_2745:
	s_andn2_b64 vcc, exec, s[0:1]
	s_cbranch_vccnz .LBB118_2750
; %bb.2746:
	s_cmp_gt_i32 s4, 0
	s_mov_b64 s[0:1], -1
	s_cbranch_scc0 .LBB118_2748
; %bb.2747:
	global_store_byte v[0:1], v6, off
	s_mov_b64 s[0:1], 0
.LBB118_2748:
	s_andn2_b64 vcc, exec, s[0:1]
	s_cbranch_vccnz .LBB118_2750
; %bb.2749:
	global_store_byte v[0:1], v6, off
.LBB118_2750:
	s_mov_b64 s[10:11], -1
.LBB118_2751:
	s_andn2_b64 vcc, exec, s[10:11]
	s_cbranch_vccnz .LBB118_2947
; %bb.2752:
	v_mov_b32_e32 v0, s33
	v_cmp_lt_i16_e32 vcc, s2, v4
	v_add_u32_e32 v5, s3, v5
	v_cndmask_b32_e32 v4, v0, v9, vcc
	v_ashrrev_i32_e32 v1, 31, v5
	v_mov_b32_e32 v2, s9
	v_add_co_u32_e32 v0, vcc, s8, v5
	s_cmp_lt_i32 s22, 11
	v_addc_co_u32_e32 v1, vcc, v2, v1, vcc
	s_cbranch_scc1 .LBB118_2830
; %bb.2753:
	s_and_b32 s16, 0xffff, s22
	s_mov_b64 s[12:13], -1
	s_mov_b64 s[4:5], 0
	s_cmp_gt_i32 s16, 25
	s_mov_b64 s[10:11], 0
	s_mov_b64 s[0:1], 0
	s_cbranch_scc0 .LBB118_2786
; %bb.2754:
	s_cmp_gt_i32 s16, 28
	s_cbranch_scc0 .LBB118_2769
; %bb.2755:
	s_cmp_gt_i32 s16, 43
	;; [unrolled: 3-line block ×3, first 2 shown]
	s_cbranch_scc0 .LBB118_2759
; %bb.2757:
	s_mov_b64 s[0:1], -1
	s_mov_b64 s[12:13], 0
	s_cmp_eq_u32 s16, 46
	s_cbranch_scc0 .LBB118_2759
; %bb.2758:
	v_cvt_f32_i32_sdwa v2, sext(v4) dst_sel:DWORD dst_unused:UNUSED_PAD src0_sel:WORD_0
	s_movk_i32 s10, 0x7fff
	s_mov_b64 s[0:1], 0
	v_bfe_u32 v3, v2, 16, 1
	v_add3_u32 v2, v2, v3, s10
	v_lshrrev_b32_e32 v2, 16, v2
	global_store_dword v[0:1], v2, off
	s_mov_b64 s[10:11], -1
.LBB118_2759:
	s_and_b64 vcc, exec, s[12:13]
	s_cbranch_vccz .LBB118_2764
; %bb.2760:
	s_cmp_eq_u32 s16, 44
	s_mov_b64 s[0:1], -1
	s_cbranch_scc0 .LBB118_2764
; %bb.2761:
	v_cvt_f32_i32_sdwa v2, sext(v4) dst_sel:DWORD dst_unused:UNUSED_PAD src0_sel:WORD_0
	s_movk_i32 s0, 0xff
	v_mov_b32_e32 v6, 0xff
	v_bfe_u32 v3, v2, 23, 8
	v_cmp_ne_u32_e32 vcc, s0, v3
	s_and_saveexec_b64 s[10:11], vcc
; %bb.2762:
	s_mov_b32 s0, 0x3fffff
	v_lshrrev_b32_e32 v6, 23, v2
	v_and_b32_e32 v8, 0x400000, v2
	v_and_or_b32 v2, v2, s0, v3
	v_cmp_ne_u32_e32 vcc, 0, v8
	v_cmp_ne_u32_e64 s[0:1], 0, v2
	s_and_b64 s[0:1], vcc, s[0:1]
	v_cndmask_b32_e64 v2, 0, 1, s[0:1]
	v_add_u32_e32 v6, v6, v2
; %bb.2763:
	s_or_b64 exec, exec, s[10:11]
	s_mov_b64 s[0:1], 0
	s_mov_b64 s[10:11], -1
	global_store_byte v[0:1], v6, off
.LBB118_2764:
	s_mov_b64 s[12:13], 0
.LBB118_2765:
	s_and_b64 vcc, exec, s[12:13]
	s_cbranch_vccz .LBB118_2768
; %bb.2766:
	s_cmp_eq_u32 s16, 29
	s_mov_b64 s[0:1], -1
	s_cbranch_scc0 .LBB118_2768
; %bb.2767:
	v_bfe_i32 v2, v4, 0, 16
	v_ashrrev_i32_e32 v3, 31, v2
	global_store_dwordx2 v[0:1], v[2:3], off
	s_mov_b64 s[0:1], 0
	s_mov_b64 s[10:11], -1
.LBB118_2768:
	s_mov_b64 s[12:13], 0
.LBB118_2769:
	s_and_b64 vcc, exec, s[12:13]
	s_cbranch_vccz .LBB118_2785
; %bb.2770:
	s_cmp_lt_i32 s16, 27
	s_mov_b64 s[10:11], -1
	s_cbranch_scc1 .LBB118_2776
; %bb.2771:
	s_cmp_gt_i32 s16, 27
	s_cbranch_scc0 .LBB118_2773
; %bb.2772:
	v_bfe_i32 v2, v4, 0, 16
	s_mov_b64 s[10:11], 0
	global_store_dword v[0:1], v2, off
.LBB118_2773:
	s_andn2_b64 vcc, exec, s[10:11]
	s_cbranch_vccnz .LBB118_2775
; %bb.2774:
	global_store_short v[0:1], v4, off
.LBB118_2775:
	s_mov_b64 s[10:11], 0
.LBB118_2776:
	s_andn2_b64 vcc, exec, s[10:11]
	s_cbranch_vccnz .LBB118_2784
; %bb.2777:
	v_cvt_f32_i32_sdwa v2, sext(v4) dst_sel:DWORD dst_unused:UNUSED_PAD src0_sel:WORD_0
	s_mov_b32 s10, 0x43800000
	v_mov_b32_e32 v6, 0x80
	v_and_b32_e32 v3, 0x7fffffff, v2
	v_cmp_gt_u32_e32 vcc, s10, v3
	s_and_saveexec_b64 s[10:11], vcc
	s_cbranch_execz .LBB118_2783
; %bb.2778:
	s_mov_b32 s12, 0x3bffffff
	v_cmp_lt_u32_e32 vcc, s12, v3
	s_mov_b64 s[12:13], 0
                                        ; implicit-def: $vgpr3
	s_and_saveexec_b64 s[14:15], vcc
	s_xor_b64 s[14:15], exec, s[14:15]
	s_cbranch_execz .LBB118_3004
; %bb.2779:
	v_bfe_u32 v3, v2, 20, 1
	s_mov_b32 s17, 0x487ffff
	v_add3_u32 v3, v2, v3, s17
	s_mov_b64 s[12:13], exec
	v_lshrrev_b32_e32 v3, 20, v3
	s_andn2_saveexec_b64 s[14:15], s[14:15]
	s_cbranch_execnz .LBB118_3005
.LBB118_2780:
	s_or_b64 exec, exec, s[14:15]
	v_mov_b32_e32 v6, 0
	s_and_saveexec_b64 s[14:15], s[12:13]
.LBB118_2781:
	v_lshrrev_b32_e32 v2, 24, v2
	s_movk_i32 s12, 0x80
	v_and_or_b32 v6, v2, s12, v3
.LBB118_2782:
	s_or_b64 exec, exec, s[14:15]
.LBB118_2783:
	s_or_b64 exec, exec, s[10:11]
	global_store_byte v[0:1], v6, off
.LBB118_2784:
	s_mov_b64 s[10:11], -1
.LBB118_2785:
	s_mov_b64 s[12:13], 0
.LBB118_2786:
	s_and_b64 vcc, exec, s[12:13]
	s_cbranch_vccz .LBB118_2826
; %bb.2787:
	s_cmp_gt_i32 s16, 22
	s_mov_b64 s[4:5], -1
	s_cbranch_scc0 .LBB118_2819
; %bb.2788:
	s_cmp_lt_i32 s16, 24
	s_cbranch_scc1 .LBB118_2808
; %bb.2789:
	s_cmp_gt_i32 s16, 24
	s_cbranch_scc0 .LBB118_2797
; %bb.2790:
	v_cvt_f32_i32_sdwa v2, sext(v4) dst_sel:DWORD dst_unused:UNUSED_PAD src0_sel:WORD_0
	s_mov_b32 s4, 0x47800000
	v_mov_b32_e32 v6, 0x80
	v_and_b32_e32 v3, 0x7fffffff, v2
	v_cmp_gt_u32_e32 vcc, s4, v3
	s_and_saveexec_b64 s[4:5], vcc
	s_cbranch_execz .LBB118_2796
; %bb.2791:
	s_mov_b32 s10, 0x37ffffff
	v_cmp_lt_u32_e32 vcc, s10, v3
	s_mov_b64 s[10:11], 0
                                        ; implicit-def: $vgpr3
	s_and_saveexec_b64 s[12:13], vcc
	s_xor_b64 s[12:13], exec, s[12:13]
	s_cbranch_execz .LBB118_3007
; %bb.2792:
	v_bfe_u32 v3, v2, 21, 1
	s_mov_b32 s14, 0x88fffff
	v_add3_u32 v3, v2, v3, s14
	s_mov_b64 s[10:11], exec
	v_lshrrev_b32_e32 v3, 21, v3
	s_andn2_saveexec_b64 s[12:13], s[12:13]
	s_cbranch_execnz .LBB118_3008
.LBB118_2793:
	s_or_b64 exec, exec, s[12:13]
	v_mov_b32_e32 v6, 0
	s_and_saveexec_b64 s[12:13], s[10:11]
.LBB118_2794:
	v_lshrrev_b32_e32 v2, 24, v2
	s_movk_i32 s10, 0x80
	v_and_or_b32 v6, v2, s10, v3
.LBB118_2795:
	s_or_b64 exec, exec, s[12:13]
.LBB118_2796:
	s_or_b64 exec, exec, s[4:5]
	s_mov_b64 s[4:5], 0
	global_store_byte v[0:1], v6, off
.LBB118_2797:
	s_and_b64 vcc, exec, s[4:5]
	s_cbranch_vccz .LBB118_2807
; %bb.2798:
	v_cvt_f32_i32_sdwa v2, sext(v4) dst_sel:DWORD dst_unused:UNUSED_PAD src0_sel:WORD_0
	s_mov_b32 s4, 0x43f00000
                                        ; implicit-def: $vgpr3
	v_and_b32_e32 v6, 0x7fffffff, v2
	v_cmp_gt_u32_e32 vcc, s4, v6
	s_and_saveexec_b64 s[4:5], vcc
	s_xor_b64 s[4:5], exec, s[4:5]
	s_cbranch_execz .LBB118_2804
; %bb.2799:
	s_mov_b32 s10, 0x3c7fffff
	v_cmp_lt_u32_e32 vcc, s10, v6
                                        ; implicit-def: $vgpr3
	s_and_saveexec_b64 s[10:11], vcc
	s_xor_b64 s[10:11], exec, s[10:11]
; %bb.2800:
	v_bfe_u32 v3, v2, 20, 1
	s_mov_b32 s12, 0x407ffff
	v_add3_u32 v3, v2, v3, s12
	v_lshrrev_b32_e32 v6, 20, v3
	v_and_b32_e32 v3, 0xff00000, v3
	s_mov_b32 s12, 0x7f00000
	v_mov_b32_e32 v8, 0x7e
	v_cmp_ne_u32_e32 vcc, s12, v3
	v_cndmask_b32_e32 v3, v8, v6, vcc
; %bb.2801:
	s_andn2_saveexec_b64 s[10:11], s[10:11]
; %bb.2802:
	s_mov_b32 s12, 0x46800000
	v_add_f32_e64 v3, |v2|, s12
; %bb.2803:
	s_or_b64 exec, exec, s[10:11]
                                        ; implicit-def: $vgpr6
.LBB118_2804:
	s_andn2_saveexec_b64 s[4:5], s[4:5]
; %bb.2805:
	s_mov_b32 s10, 0x7f800000
	v_mov_b32_e32 v3, 0x7e
	v_mov_b32_e32 v8, 0x7f
	v_cmp_lt_u32_e32 vcc, s10, v6
	v_cndmask_b32_e32 v3, v3, v8, vcc
; %bb.2806:
	s_or_b64 exec, exec, s[4:5]
	v_lshrrev_b32_e32 v2, 24, v2
	s_movk_i32 s4, 0x80
	v_and_or_b32 v2, v2, s4, v3
	global_store_byte v[0:1], v2, off
.LBB118_2807:
	s_mov_b64 s[4:5], 0
.LBB118_2808:
	s_andn2_b64 vcc, exec, s[4:5]
	s_cbranch_vccnz .LBB118_2818
; %bb.2809:
	v_cvt_f32_i32_sdwa v2, sext(v4) dst_sel:DWORD dst_unused:UNUSED_PAD src0_sel:WORD_0
	s_mov_b32 s4, 0x47800000
                                        ; implicit-def: $vgpr3
	v_and_b32_e32 v6, 0x7fffffff, v2
	v_cmp_gt_u32_e32 vcc, s4, v6
	s_and_saveexec_b64 s[4:5], vcc
	s_xor_b64 s[4:5], exec, s[4:5]
	s_cbranch_execz .LBB118_2815
; %bb.2810:
	s_mov_b32 s10, 0x387fffff
	v_cmp_lt_u32_e32 vcc, s10, v6
                                        ; implicit-def: $vgpr3
	s_and_saveexec_b64 s[10:11], vcc
	s_xor_b64 s[10:11], exec, s[10:11]
; %bb.2811:
	v_bfe_u32 v3, v2, 21, 1
	s_mov_b32 s12, 0x80fffff
	v_add3_u32 v3, v2, v3, s12
	v_lshrrev_b32_e32 v3, 21, v3
; %bb.2812:
	s_andn2_saveexec_b64 s[10:11], s[10:11]
; %bb.2813:
	s_mov_b32 s12, 0x43000000
	v_add_f32_e64 v3, |v2|, s12
; %bb.2814:
	s_or_b64 exec, exec, s[10:11]
                                        ; implicit-def: $vgpr6
.LBB118_2815:
	s_andn2_saveexec_b64 s[4:5], s[4:5]
; %bb.2816:
	s_mov_b32 s10, 0x7f800000
	v_mov_b32_e32 v3, 0x7c
	v_mov_b32_e32 v8, 0x7f
	v_cmp_lt_u32_e32 vcc, s10, v6
	v_cndmask_b32_e32 v3, v3, v8, vcc
; %bb.2817:
	s_or_b64 exec, exec, s[4:5]
	v_lshrrev_b32_e32 v2, 24, v2
	s_movk_i32 s4, 0x80
	v_and_or_b32 v2, v2, s4, v3
	global_store_byte v[0:1], v2, off
.LBB118_2818:
	s_mov_b64 s[4:5], 0
	s_mov_b64 s[10:11], -1
.LBB118_2819:
	s_andn2_b64 vcc, exec, s[4:5]
	s_mov_b64 s[4:5], 0
	s_cbranch_vccnz .LBB118_2826
; %bb.2820:
	s_cmp_gt_i32 s16, 14
	s_mov_b64 s[12:13], -1
	s_cbranch_scc0 .LBB118_2824
; %bb.2821:
	s_cmp_eq_u32 s16, 15
	s_mov_b64 s[0:1], -1
	s_cbranch_scc0 .LBB118_2823
; %bb.2822:
	v_cvt_f32_i32_sdwa v2, sext(v4) dst_sel:DWORD dst_unused:UNUSED_PAD src0_sel:WORD_0
	s_movk_i32 s4, 0x7fff
	s_mov_b64 s[0:1], 0
	s_mov_b64 s[10:11], -1
	v_bfe_u32 v3, v2, 16, 1
	v_add3_u32 v2, v2, v3, s4
	global_store_short_d16_hi v[0:1], v2, off
.LBB118_2823:
	s_mov_b64 s[12:13], 0
.LBB118_2824:
	s_mov_b64 s[4:5], 0
	s_and_b64 vcc, exec, s[12:13]
	s_cbranch_vccz .LBB118_2826
; %bb.2825:
	s_cmp_lg_u32 s16, 11
	s_mov_b64 s[4:5], -1
	s_cselect_b64 s[0:1], -1, 0
.LBB118_2826:
	s_and_b64 vcc, exec, s[0:1]
	s_cbranch_vccnz .LBB118_3006
; %bb.2827:
	s_andn2_b64 vcc, exec, s[4:5]
	s_cbranch_vccnz .LBB118_2829
.LBB118_2828:
	v_cmp_ne_u16_e32 vcc, 0, v4
	v_cndmask_b32_e64 v2, 0, 1, vcc
	s_mov_b64 s[10:11], -1
	global_store_byte v[0:1], v2, off
.LBB118_2829:
	s_mov_b64 s[0:1], 0
	s_branch .LBB118_2831
.LBB118_2830:
	s_mov_b64 s[0:1], -1
	s_mov_b64 s[10:11], 0
.LBB118_2831:
	s_and_b64 vcc, exec, s[0:1]
	s_cbranch_vccz .LBB118_2870
; %bb.2832:
	s_and_b32 s4, 0xffff, s22
	s_cmp_lt_i32 s4, 5
	s_mov_b64 s[0:1], -1
	s_cbranch_scc1 .LBB118_2853
; %bb.2833:
	s_cmp_lt_i32 s4, 8
	s_cbranch_scc1 .LBB118_2843
; %bb.2834:
	s_cmp_lt_i32 s4, 9
	s_cbranch_scc1 .LBB118_2840
; %bb.2835:
	s_cmp_gt_i32 s4, 9
	s_cbranch_scc0 .LBB118_2837
; %bb.2836:
	v_bfe_i32 v2, v4, 0, 16
	s_waitcnt vmcnt(0)
	v_cvt_f64_i32_e32 v[11:12], v2
	v_mov_b32_e32 v13, 0
	v_mov_b32_e32 v14, v13
	s_mov_b64 s[0:1], 0
	global_store_dwordx4 v[0:1], v[11:14], off
.LBB118_2837:
	s_andn2_b64 vcc, exec, s[0:1]
	s_cbranch_vccnz .LBB118_2839
; %bb.2838:
	v_cvt_f32_i32_sdwa v2, sext(v4) dst_sel:DWORD dst_unused:UNUSED_PAD src0_sel:WORD_0
	v_mov_b32_e32 v3, 0
	global_store_dwordx2 v[0:1], v[2:3], off
.LBB118_2839:
	s_mov_b64 s[0:1], 0
.LBB118_2840:
	s_andn2_b64 vcc, exec, s[0:1]
	s_cbranch_vccnz .LBB118_2842
; %bb.2841:
	v_cvt_f16_i16_e32 v2, v4
	global_store_dword v[0:1], v2, off
.LBB118_2842:
	s_mov_b64 s[0:1], 0
.LBB118_2843:
	s_andn2_b64 vcc, exec, s[0:1]
	s_cbranch_vccnz .LBB118_2852
; %bb.2844:
	s_cmp_lt_i32 s4, 6
	s_mov_b64 s[0:1], -1
	s_cbranch_scc1 .LBB118_2850
; %bb.2845:
	s_cmp_gt_i32 s4, 6
	s_cbranch_scc0 .LBB118_2847
; %bb.2846:
	v_bfe_i32 v2, v4, 0, 16
	v_cvt_f64_i32_e32 v[2:3], v2
	s_mov_b64 s[0:1], 0
	global_store_dwordx2 v[0:1], v[2:3], off
.LBB118_2847:
	s_andn2_b64 vcc, exec, s[0:1]
	s_cbranch_vccnz .LBB118_2849
; %bb.2848:
	v_cvt_f32_i32_sdwa v2, sext(v4) dst_sel:DWORD dst_unused:UNUSED_PAD src0_sel:WORD_0
	global_store_dword v[0:1], v2, off
.LBB118_2849:
	s_mov_b64 s[0:1], 0
.LBB118_2850:
	s_andn2_b64 vcc, exec, s[0:1]
	s_cbranch_vccnz .LBB118_2852
; %bb.2851:
	v_cvt_f16_i16_e32 v2, v4
	global_store_short v[0:1], v2, off
.LBB118_2852:
	s_mov_b64 s[0:1], 0
.LBB118_2853:
	s_andn2_b64 vcc, exec, s[0:1]
	s_cbranch_vccnz .LBB118_2869
; %bb.2854:
	s_cmp_lt_i32 s4, 2
	s_mov_b64 s[0:1], -1
	s_cbranch_scc1 .LBB118_2864
; %bb.2855:
	s_cmp_lt_i32 s4, 3
	s_cbranch_scc1 .LBB118_2861
; %bb.2856:
	s_cmp_gt_i32 s4, 3
	v_bfe_i32 v2, v4, 0, 16
	s_cbranch_scc0 .LBB118_2858
; %bb.2857:
	v_ashrrev_i32_e32 v3, 31, v2
	global_store_dwordx2 v[0:1], v[2:3], off
	s_mov_b64 s[0:1], 0
.LBB118_2858:
	s_andn2_b64 vcc, exec, s[0:1]
	s_cbranch_vccnz .LBB118_2860
; %bb.2859:
	global_store_dword v[0:1], v2, off
.LBB118_2860:
	s_mov_b64 s[0:1], 0
.LBB118_2861:
	s_andn2_b64 vcc, exec, s[0:1]
	s_cbranch_vccnz .LBB118_2863
; %bb.2862:
	global_store_short v[0:1], v4, off
.LBB118_2863:
	s_mov_b64 s[0:1], 0
.LBB118_2864:
	s_andn2_b64 vcc, exec, s[0:1]
	s_cbranch_vccnz .LBB118_2869
; %bb.2865:
	s_cmp_gt_i32 s4, 0
	s_mov_b64 s[0:1], -1
	s_cbranch_scc0 .LBB118_2867
; %bb.2866:
	global_store_byte v[0:1], v4, off
	s_mov_b64 s[0:1], 0
.LBB118_2867:
	s_andn2_b64 vcc, exec, s[0:1]
	s_cbranch_vccnz .LBB118_2869
; %bb.2868:
	global_store_byte v[0:1], v4, off
.LBB118_2869:
	s_mov_b64 s[10:11], -1
.LBB118_2870:
	s_andn2_b64 vcc, exec, s[10:11]
	s_cbranch_vccnz .LBB118_2947
; %bb.2871:
	v_mov_b32_e32 v0, s33
	v_cmp_lt_i16_e32 vcc, s2, v7
	s_waitcnt vmcnt(0)
	v_cndmask_b32_e32 v4, v0, v10, vcc
	v_add_u32_e32 v0, s3, v5
	v_ashrrev_i32_e32 v1, 31, v0
	v_mov_b32_e32 v2, s9
	v_add_co_u32_e32 v0, vcc, s8, v0
	s_cmp_lt_i32 s22, 11
	v_addc_co_u32_e32 v1, vcc, v2, v1, vcc
	s_cbranch_scc1 .LBB118_2992
; %bb.2872:
	s_and_b32 s12, 0xffff, s22
	s_mov_b64 s[4:5], -1
	s_mov_b64 s[2:3], 0
	s_cmp_gt_i32 s12, 25
	s_mov_b64 s[0:1], 0
	s_cbranch_scc0 .LBB118_2905
; %bb.2873:
	s_cmp_gt_i32 s12, 28
	s_cbranch_scc0 .LBB118_2889
; %bb.2874:
	s_cmp_gt_i32 s12, 43
	;; [unrolled: 3-line block ×3, first 2 shown]
	s_cbranch_scc0 .LBB118_2879
; %bb.2876:
	s_cmp_eq_u32 s12, 46
	s_mov_b64 s[0:1], -1
	s_cbranch_scc0 .LBB118_2878
; %bb.2877:
	v_cvt_f32_i32_sdwa v2, sext(v4) dst_sel:DWORD dst_unused:UNUSED_PAD src0_sel:WORD_0
	s_movk_i32 s0, 0x7fff
	v_bfe_u32 v3, v2, 16, 1
	v_add3_u32 v2, v2, v3, s0
	v_lshrrev_b32_e32 v2, 16, v2
	global_store_dword v[0:1], v2, off
	s_mov_b64 s[0:1], 0
.LBB118_2878:
	s_mov_b64 s[4:5], 0
.LBB118_2879:
	s_and_b64 vcc, exec, s[4:5]
	s_cbranch_vccz .LBB118_2884
; %bb.2880:
	s_cmp_eq_u32 s12, 44
	s_mov_b64 s[0:1], -1
	s_cbranch_scc0 .LBB118_2884
; %bb.2881:
	v_cvt_f32_i32_sdwa v2, sext(v4) dst_sel:DWORD dst_unused:UNUSED_PAD src0_sel:WORD_0
	s_movk_i32 s0, 0xff
	v_mov_b32_e32 v5, 0xff
	v_bfe_u32 v3, v2, 23, 8
	v_cmp_ne_u32_e32 vcc, s0, v3
	s_and_saveexec_b64 s[4:5], vcc
; %bb.2882:
	s_mov_b32 s0, 0x3fffff
	v_lshrrev_b32_e32 v5, 23, v2
	v_and_b32_e32 v6, 0x400000, v2
	v_and_or_b32 v2, v2, s0, v3
	v_cmp_ne_u32_e32 vcc, 0, v6
	v_cmp_ne_u32_e64 s[0:1], 0, v2
	s_and_b64 s[0:1], vcc, s[0:1]
	v_cndmask_b32_e64 v2, 0, 1, s[0:1]
	v_add_u32_e32 v5, v5, v2
; %bb.2883:
	s_or_b64 exec, exec, s[4:5]
	s_mov_b64 s[0:1], 0
	global_store_byte v[0:1], v5, off
.LBB118_2884:
	s_mov_b64 s[4:5], 0
.LBB118_2885:
	s_and_b64 vcc, exec, s[4:5]
	s_cbranch_vccz .LBB118_2888
; %bb.2886:
	s_cmp_eq_u32 s12, 29
	s_mov_b64 s[0:1], -1
	s_cbranch_scc0 .LBB118_2888
; %bb.2887:
	v_bfe_i32 v2, v4, 0, 16
	v_ashrrev_i32_e32 v3, 31, v2
	global_store_dwordx2 v[0:1], v[2:3], off
	s_mov_b64 s[0:1], 0
.LBB118_2888:
	s_mov_b64 s[4:5], 0
.LBB118_2889:
	s_and_b64 vcc, exec, s[4:5]
	s_cbranch_vccz .LBB118_2904
; %bb.2890:
	s_cmp_lt_i32 s12, 27
	s_mov_b64 s[4:5], -1
	s_cbranch_scc1 .LBB118_2896
; %bb.2891:
	s_cmp_gt_i32 s12, 27
	s_cbranch_scc0 .LBB118_2893
; %bb.2892:
	v_bfe_i32 v2, v4, 0, 16
	global_store_dword v[0:1], v2, off
	s_mov_b64 s[4:5], 0
.LBB118_2893:
	s_andn2_b64 vcc, exec, s[4:5]
	s_cbranch_vccnz .LBB118_2895
; %bb.2894:
	global_store_short v[0:1], v4, off
.LBB118_2895:
	s_mov_b64 s[4:5], 0
.LBB118_2896:
	s_andn2_b64 vcc, exec, s[4:5]
	s_cbranch_vccnz .LBB118_2904
; %bb.2897:
	v_cvt_f32_i32_sdwa v2, sext(v4) dst_sel:DWORD dst_unused:UNUSED_PAD src0_sel:WORD_0
	s_mov_b32 s4, 0x43800000
	v_mov_b32_e32 v5, 0x80
	v_and_b32_e32 v3, 0x7fffffff, v2
	v_cmp_gt_u32_e32 vcc, s4, v3
	s_and_saveexec_b64 s[4:5], vcc
	s_cbranch_execz .LBB118_2903
; %bb.2898:
	s_mov_b32 s8, 0x3bffffff
	v_cmp_lt_u32_e32 vcc, s8, v3
	s_mov_b64 s[8:9], 0
                                        ; implicit-def: $vgpr3
	s_and_saveexec_b64 s[10:11], vcc
	s_xor_b64 s[10:11], exec, s[10:11]
	s_cbranch_execz .LBB118_3009
; %bb.2899:
	v_bfe_u32 v3, v2, 20, 1
	s_mov_b32 s13, 0x487ffff
	v_add3_u32 v3, v2, v3, s13
	s_mov_b64 s[8:9], exec
	v_lshrrev_b32_e32 v3, 20, v3
	s_andn2_saveexec_b64 s[10:11], s[10:11]
	s_cbranch_execnz .LBB118_3010
.LBB118_2900:
	s_or_b64 exec, exec, s[10:11]
	v_mov_b32_e32 v5, 0
	s_and_saveexec_b64 s[10:11], s[8:9]
.LBB118_2901:
	v_lshrrev_b32_e32 v2, 24, v2
	s_movk_i32 s8, 0x80
	v_and_or_b32 v5, v2, s8, v3
.LBB118_2902:
	s_or_b64 exec, exec, s[10:11]
.LBB118_2903:
	s_or_b64 exec, exec, s[4:5]
	global_store_byte v[0:1], v5, off
.LBB118_2904:
	s_mov_b64 s[4:5], 0
.LBB118_2905:
	s_and_b64 vcc, exec, s[4:5]
	s_cbranch_vccz .LBB118_2945
; %bb.2906:
	s_cmp_gt_i32 s12, 22
	s_mov_b64 s[2:3], -1
	s_cbranch_scc0 .LBB118_2938
; %bb.2907:
	s_cmp_lt_i32 s12, 24
	s_cbranch_scc1 .LBB118_2927
; %bb.2908:
	s_cmp_gt_i32 s12, 24
	s_cbranch_scc0 .LBB118_2916
; %bb.2909:
	v_cvt_f32_i32_sdwa v2, sext(v4) dst_sel:DWORD dst_unused:UNUSED_PAD src0_sel:WORD_0
	s_mov_b32 s2, 0x47800000
	v_mov_b32_e32 v5, 0x80
	v_and_b32_e32 v3, 0x7fffffff, v2
	v_cmp_gt_u32_e32 vcc, s2, v3
	s_and_saveexec_b64 s[2:3], vcc
	s_cbranch_execz .LBB118_2915
; %bb.2910:
	s_mov_b32 s4, 0x37ffffff
	v_cmp_lt_u32_e32 vcc, s4, v3
	s_mov_b64 s[4:5], 0
                                        ; implicit-def: $vgpr3
	s_and_saveexec_b64 s[8:9], vcc
	s_xor_b64 s[8:9], exec, s[8:9]
	s_cbranch_execz .LBB118_3012
; %bb.2911:
	v_bfe_u32 v3, v2, 21, 1
	s_mov_b32 s10, 0x88fffff
	v_add3_u32 v3, v2, v3, s10
	s_mov_b64 s[4:5], exec
	v_lshrrev_b32_e32 v3, 21, v3
	s_andn2_saveexec_b64 s[8:9], s[8:9]
	s_cbranch_execnz .LBB118_3013
.LBB118_2912:
	s_or_b64 exec, exec, s[8:9]
	v_mov_b32_e32 v5, 0
	s_and_saveexec_b64 s[8:9], s[4:5]
.LBB118_2913:
	v_lshrrev_b32_e32 v2, 24, v2
	s_movk_i32 s4, 0x80
	v_and_or_b32 v5, v2, s4, v3
.LBB118_2914:
	s_or_b64 exec, exec, s[8:9]
.LBB118_2915:
	s_or_b64 exec, exec, s[2:3]
	s_mov_b64 s[2:3], 0
	global_store_byte v[0:1], v5, off
.LBB118_2916:
	s_and_b64 vcc, exec, s[2:3]
	s_cbranch_vccz .LBB118_2926
; %bb.2917:
	v_cvt_f32_i32_sdwa v2, sext(v4) dst_sel:DWORD dst_unused:UNUSED_PAD src0_sel:WORD_0
	s_mov_b32 s2, 0x43f00000
                                        ; implicit-def: $vgpr3
	v_and_b32_e32 v5, 0x7fffffff, v2
	v_cmp_gt_u32_e32 vcc, s2, v5
	s_and_saveexec_b64 s[2:3], vcc
	s_xor_b64 s[2:3], exec, s[2:3]
	s_cbranch_execz .LBB118_2923
; %bb.2918:
	s_mov_b32 s4, 0x3c7fffff
	v_cmp_lt_u32_e32 vcc, s4, v5
                                        ; implicit-def: $vgpr3
	s_and_saveexec_b64 s[4:5], vcc
	s_xor_b64 s[4:5], exec, s[4:5]
; %bb.2919:
	v_bfe_u32 v3, v2, 20, 1
	s_mov_b32 s8, 0x407ffff
	v_add3_u32 v3, v2, v3, s8
	v_lshrrev_b32_e32 v5, 20, v3
	v_and_b32_e32 v3, 0xff00000, v3
	s_mov_b32 s8, 0x7f00000
	v_mov_b32_e32 v6, 0x7e
	v_cmp_ne_u32_e32 vcc, s8, v3
	v_cndmask_b32_e32 v3, v6, v5, vcc
; %bb.2920:
	s_andn2_saveexec_b64 s[4:5], s[4:5]
; %bb.2921:
	s_mov_b32 s8, 0x46800000
	v_add_f32_e64 v3, |v2|, s8
; %bb.2922:
	s_or_b64 exec, exec, s[4:5]
                                        ; implicit-def: $vgpr5
.LBB118_2923:
	s_andn2_saveexec_b64 s[2:3], s[2:3]
; %bb.2924:
	s_mov_b32 s4, 0x7f800000
	v_mov_b32_e32 v3, 0x7e
	v_mov_b32_e32 v6, 0x7f
	v_cmp_lt_u32_e32 vcc, s4, v5
	v_cndmask_b32_e32 v3, v3, v6, vcc
; %bb.2925:
	s_or_b64 exec, exec, s[2:3]
	v_lshrrev_b32_e32 v2, 24, v2
	s_movk_i32 s2, 0x80
	v_and_or_b32 v2, v2, s2, v3
	global_store_byte v[0:1], v2, off
.LBB118_2926:
	s_mov_b64 s[2:3], 0
.LBB118_2927:
	s_andn2_b64 vcc, exec, s[2:3]
	s_cbranch_vccnz .LBB118_2937
; %bb.2928:
	v_cvt_f32_i32_sdwa v2, sext(v4) dst_sel:DWORD dst_unused:UNUSED_PAD src0_sel:WORD_0
	s_mov_b32 s2, 0x47800000
                                        ; implicit-def: $vgpr3
	v_and_b32_e32 v5, 0x7fffffff, v2
	v_cmp_gt_u32_e32 vcc, s2, v5
	s_and_saveexec_b64 s[2:3], vcc
	s_xor_b64 s[2:3], exec, s[2:3]
	s_cbranch_execz .LBB118_2934
; %bb.2929:
	s_mov_b32 s4, 0x387fffff
	v_cmp_lt_u32_e32 vcc, s4, v5
                                        ; implicit-def: $vgpr3
	s_and_saveexec_b64 s[4:5], vcc
	s_xor_b64 s[4:5], exec, s[4:5]
; %bb.2930:
	v_bfe_u32 v3, v2, 21, 1
	s_mov_b32 s8, 0x80fffff
	v_add3_u32 v3, v2, v3, s8
	v_lshrrev_b32_e32 v3, 21, v3
; %bb.2931:
	s_andn2_saveexec_b64 s[4:5], s[4:5]
; %bb.2932:
	s_mov_b32 s8, 0x43000000
	v_add_f32_e64 v3, |v2|, s8
; %bb.2933:
	s_or_b64 exec, exec, s[4:5]
                                        ; implicit-def: $vgpr5
.LBB118_2934:
	s_andn2_saveexec_b64 s[2:3], s[2:3]
; %bb.2935:
	s_mov_b32 s4, 0x7f800000
	v_mov_b32_e32 v3, 0x7c
	v_mov_b32_e32 v6, 0x7f
	v_cmp_lt_u32_e32 vcc, s4, v5
	v_cndmask_b32_e32 v3, v3, v6, vcc
; %bb.2936:
	s_or_b64 exec, exec, s[2:3]
	v_lshrrev_b32_e32 v2, 24, v2
	s_movk_i32 s2, 0x80
	v_and_or_b32 v2, v2, s2, v3
	global_store_byte v[0:1], v2, off
.LBB118_2937:
	s_mov_b64 s[2:3], 0
.LBB118_2938:
	s_andn2_b64 vcc, exec, s[2:3]
	s_mov_b64 s[2:3], 0
	s_cbranch_vccnz .LBB118_2945
; %bb.2939:
	s_cmp_gt_i32 s12, 14
	s_mov_b64 s[4:5], -1
	s_cbranch_scc0 .LBB118_2943
; %bb.2940:
	s_cmp_eq_u32 s12, 15
	s_mov_b64 s[0:1], -1
	s_cbranch_scc0 .LBB118_2942
; %bb.2941:
	v_cvt_f32_i32_sdwa v2, sext(v4) dst_sel:DWORD dst_unused:UNUSED_PAD src0_sel:WORD_0
	s_movk_i32 s0, 0x7fff
	v_bfe_u32 v3, v2, 16, 1
	v_add3_u32 v2, v2, v3, s0
	global_store_short_d16_hi v[0:1], v2, off
	s_mov_b64 s[0:1], 0
.LBB118_2942:
	s_mov_b64 s[4:5], 0
.LBB118_2943:
	s_and_b64 vcc, exec, s[4:5]
	s_cbranch_vccz .LBB118_2945
; %bb.2944:
	s_cmp_lg_u32 s12, 11
	s_mov_b64 s[2:3], -1
	s_cselect_b64 s[0:1], -1, 0
.LBB118_2945:
	s_and_b64 vcc, exec, s[0:1]
	s_cbranch_vccnz .LBB118_3011
.LBB118_2946:
	s_mov_b64 s[0:1], 0
	s_branch .LBB118_2948
.LBB118_2947:
	s_mov_b64 s[0:1], 0
	s_mov_b64 s[2:3], 0
                                        ; implicit-def: $sgpr22
                                        ; implicit-def: $vgpr0_vgpr1
                                        ; implicit-def: $vgpr4
.LBB118_2948:
	s_and_b64 s[4:5], s[2:3], exec
	s_andn2_b64 s[2:3], s[18:19], exec
	s_and_b64 s[8:9], s[20:21], exec
	s_and_b64 s[0:1], s[0:1], exec
	s_or_b64 s[18:19], s[2:3], s[8:9]
.LBB118_2949:
	s_or_b64 exec, exec, s[6:7]
	s_and_saveexec_b64 s[2:3], s[18:19]
	s_cbranch_execz .LBB118_2952
; %bb.2950:
	; divergent unreachable
	s_or_b64 exec, exec, s[2:3]
	s_and_saveexec_b64 s[2:3], s[4:5]
	s_xor_b64 s[2:3], exec, s[2:3]
	s_cbranch_execnz .LBB118_2953
.LBB118_2951:
	s_or_b64 exec, exec, s[2:3]
	s_and_saveexec_b64 s[2:3], s[0:1]
	s_cbranch_execnz .LBB118_2954
	s_branch .LBB118_2991
.LBB118_2952:
	s_or_b64 exec, exec, s[2:3]
	s_and_saveexec_b64 s[2:3], s[4:5]
	s_xor_b64 s[2:3], exec, s[2:3]
	s_cbranch_execz .LBB118_2951
.LBB118_2953:
	s_waitcnt vmcnt(0)
	v_cmp_ne_u16_e32 vcc, 0, v4
	v_cndmask_b32_e64 v2, 0, 1, vcc
	global_store_byte v[0:1], v2, off
	s_or_b64 exec, exec, s[2:3]
	s_and_saveexec_b64 s[2:3], s[0:1]
	s_cbranch_execz .LBB118_2991
.LBB118_2954:
	s_sext_i32_i16 s2, s22
	s_cmp_lt_i32 s2, 5
	s_mov_b64 s[0:1], -1
	s_cbranch_scc1 .LBB118_2975
; %bb.2955:
	s_cmp_lt_i32 s2, 8
	s_cbranch_scc1 .LBB118_2965
; %bb.2956:
	s_cmp_lt_i32 s2, 9
	s_cbranch_scc1 .LBB118_2962
; %bb.2957:
	s_cmp_gt_i32 s2, 9
	s_cbranch_scc0 .LBB118_2959
; %bb.2958:
	s_waitcnt vmcnt(0)
	v_bfe_i32 v2, v4, 0, 16
	v_cvt_f64_i32_e32 v[5:6], v2
	v_mov_b32_e32 v7, 0
	v_mov_b32_e32 v8, v7
	s_mov_b64 s[0:1], 0
	global_store_dwordx4 v[0:1], v[5:8], off
.LBB118_2959:
	s_andn2_b64 vcc, exec, s[0:1]
	s_cbranch_vccnz .LBB118_2961
; %bb.2960:
	s_waitcnt vmcnt(0)
	v_cvt_f32_i32_sdwa v2, sext(v4) dst_sel:DWORD dst_unused:UNUSED_PAD src0_sel:WORD_0
	v_mov_b32_e32 v3, 0
	global_store_dwordx2 v[0:1], v[2:3], off
.LBB118_2961:
	s_mov_b64 s[0:1], 0
.LBB118_2962:
	s_andn2_b64 vcc, exec, s[0:1]
	s_cbranch_vccnz .LBB118_2964
; %bb.2963:
	s_waitcnt vmcnt(0)
	v_cvt_f16_i16_e32 v2, v4
	global_store_dword v[0:1], v2, off
.LBB118_2964:
	s_mov_b64 s[0:1], 0
.LBB118_2965:
	s_andn2_b64 vcc, exec, s[0:1]
	s_cbranch_vccnz .LBB118_2974
; %bb.2966:
	s_sext_i32_i16 s2, s22
	s_cmp_lt_i32 s2, 6
	s_mov_b64 s[0:1], -1
	s_cbranch_scc1 .LBB118_2972
; %bb.2967:
	s_cmp_gt_i32 s2, 6
	s_cbranch_scc0 .LBB118_2969
; %bb.2968:
	s_waitcnt vmcnt(0)
	v_bfe_i32 v2, v4, 0, 16
	v_cvt_f64_i32_e32 v[2:3], v2
	s_mov_b64 s[0:1], 0
	global_store_dwordx2 v[0:1], v[2:3], off
.LBB118_2969:
	s_andn2_b64 vcc, exec, s[0:1]
	s_cbranch_vccnz .LBB118_2971
; %bb.2970:
	s_waitcnt vmcnt(0)
	v_cvt_f32_i32_sdwa v2, sext(v4) dst_sel:DWORD dst_unused:UNUSED_PAD src0_sel:WORD_0
	global_store_dword v[0:1], v2, off
.LBB118_2971:
	s_mov_b64 s[0:1], 0
.LBB118_2972:
	s_andn2_b64 vcc, exec, s[0:1]
	s_cbranch_vccnz .LBB118_2974
; %bb.2973:
	s_waitcnt vmcnt(0)
	v_cvt_f16_i16_e32 v2, v4
	global_store_short v[0:1], v2, off
.LBB118_2974:
	s_mov_b64 s[0:1], 0
.LBB118_2975:
	s_andn2_b64 vcc, exec, s[0:1]
	s_cbranch_vccnz .LBB118_2991
; %bb.2976:
	s_sext_i32_i16 s2, s22
	s_cmp_lt_i32 s2, 2
	s_mov_b64 s[0:1], -1
	s_cbranch_scc1 .LBB118_2986
; %bb.2977:
	s_cmp_lt_i32 s2, 3
	s_cbranch_scc1 .LBB118_2983
; %bb.2978:
	s_cmp_gt_i32 s2, 3
	s_waitcnt vmcnt(0)
	v_bfe_i32 v2, v4, 0, 16
	s_cbranch_scc0 .LBB118_2980
; %bb.2979:
	v_ashrrev_i32_e32 v3, 31, v2
	global_store_dwordx2 v[0:1], v[2:3], off
	s_mov_b64 s[0:1], 0
.LBB118_2980:
	s_andn2_b64 vcc, exec, s[0:1]
	s_cbranch_vccnz .LBB118_2982
; %bb.2981:
	global_store_dword v[0:1], v2, off
.LBB118_2982:
	s_mov_b64 s[0:1], 0
.LBB118_2983:
	s_andn2_b64 vcc, exec, s[0:1]
	s_cbranch_vccnz .LBB118_2985
; %bb.2984:
	s_waitcnt vmcnt(0)
	global_store_short v[0:1], v4, off
.LBB118_2985:
	s_mov_b64 s[0:1], 0
.LBB118_2986:
	s_andn2_b64 vcc, exec, s[0:1]
	s_cbranch_vccnz .LBB118_2991
; %bb.2987:
	s_sext_i32_i16 s0, s22
	s_cmp_gt_i32 s0, 0
	s_mov_b64 s[0:1], -1
	s_cbranch_scc0 .LBB118_2989
; %bb.2988:
	s_waitcnt vmcnt(0)
	global_store_byte v[0:1], v4, off
	s_mov_b64 s[0:1], 0
.LBB118_2989:
	s_andn2_b64 vcc, exec, s[0:1]
	s_cbranch_vccnz .LBB118_2991
; %bb.2990:
	s_waitcnt vmcnt(0)
	global_store_byte v[0:1], v4, off
	s_endpgm
.LBB118_2991:
	s_endpgm
.LBB118_2992:
	s_mov_b64 s[2:3], 0
	s_mov_b64 s[0:1], -1
	s_branch .LBB118_2948
.LBB118_2993:
	s_trap 2
	s_or_b64 s[20:21], s[20:21], exec
	s_cbranch_execz .LBB118_2462
	s_branch .LBB118_2463
.LBB118_2994:
	s_andn2_saveexec_b64 s[16:17], s[16:17]
	s_cbranch_execz .LBB118_2542
.LBB118_2995:
	s_mov_b32 s13, 0x46000000
	v_add_f32_e64 v11, |v8|, s13
	v_and_b32_e32 v11, 0xff, v11
	v_cmp_ne_u32_e32 vcc, 0, v11
	s_andn2_b64 s[14:15], s[14:15], exec
	s_and_b64 s[24:25], vcc, exec
	s_or_b64 s[14:15], s[14:15], s[24:25]
	s_or_b64 exec, exec, s[16:17]
	v_mov_b32_e32 v12, 0
	s_and_saveexec_b64 s[16:17], s[14:15]
	s_cbranch_execnz .LBB118_2543
	s_branch .LBB118_2544
.LBB118_2996:
	s_trap 2
	s_or_b64 s[20:21], s[20:21], exec
	s_cbranch_execz .LBB118_2590
	s_branch .LBB118_2591
.LBB118_2997:
	s_andn2_saveexec_b64 s[14:15], s[14:15]
	s_cbranch_execz .LBB118_2555
.LBB118_2998:
	s_mov_b32 s13, 0x42800000
	v_add_f32_e64 v11, |v8|, s13
	v_and_b32_e32 v11, 0xff, v11
	v_cmp_ne_u32_e32 vcc, 0, v11
	s_andn2_b64 s[10:11], s[10:11], exec
	s_and_b64 s[16:17], vcc, exec
	s_or_b64 s[10:11], s[10:11], s[16:17]
	s_or_b64 exec, exec, s[14:15]
	v_mov_b32_e32 v12, 0
	s_and_saveexec_b64 s[14:15], s[10:11]
	s_cbranch_execnz .LBB118_2556
	s_branch .LBB118_2557
.LBB118_2999:
	s_andn2_saveexec_b64 s[14:15], s[14:15]
	s_cbranch_execz .LBB118_2661
.LBB118_3000:
	s_mov_b32 s17, 0x46000000
	v_add_f32_e64 v3, |v2|, s17
	v_and_b32_e32 v3, 0xff, v3
	v_cmp_ne_u32_e32 vcc, 0, v3
	s_andn2_b64 s[12:13], s[12:13], exec
	s_and_b64 s[24:25], vcc, exec
	s_or_b64 s[12:13], s[12:13], s[24:25]
	s_or_b64 exec, exec, s[14:15]
	v_mov_b32_e32 v8, 0
	s_and_saveexec_b64 s[14:15], s[12:13]
	s_cbranch_execnz .LBB118_2662
	s_branch .LBB118_2663
.LBB118_3001:
	s_trap 2
	s_or_b64 s[20:21], s[20:21], exec
	s_cbranch_execz .LBB118_2709
	s_branch .LBB118_2710
.LBB118_3002:
	s_andn2_saveexec_b64 s[12:13], s[12:13]
	s_cbranch_execz .LBB118_2674
.LBB118_3003:
	s_mov_b32 s14, 0x42800000
	v_add_f32_e64 v3, |v2|, s14
	v_and_b32_e32 v3, 0xff, v3
	v_cmp_ne_u32_e32 vcc, 0, v3
	s_andn2_b64 s[10:11], s[10:11], exec
	s_and_b64 s[14:15], vcc, exec
	s_or_b64 s[10:11], s[10:11], s[14:15]
	s_or_b64 exec, exec, s[12:13]
	v_mov_b32_e32 v8, 0
	s_and_saveexec_b64 s[12:13], s[10:11]
	s_cbranch_execnz .LBB118_2675
	s_branch .LBB118_2676
.LBB118_3004:
	s_andn2_saveexec_b64 s[14:15], s[14:15]
	s_cbranch_execz .LBB118_2780
.LBB118_3005:
	s_mov_b32 s17, 0x46000000
	v_add_f32_e64 v3, |v2|, s17
	v_and_b32_e32 v3, 0xff, v3
	v_cmp_ne_u32_e32 vcc, 0, v3
	s_andn2_b64 s[12:13], s[12:13], exec
	s_and_b64 s[24:25], vcc, exec
	s_or_b64 s[12:13], s[12:13], s[24:25]
	s_or_b64 exec, exec, s[14:15]
	v_mov_b32_e32 v6, 0
	s_and_saveexec_b64 s[14:15], s[12:13]
	s_cbranch_execnz .LBB118_2781
	s_branch .LBB118_2782
.LBB118_3006:
	s_trap 2
	s_or_b64 s[20:21], s[20:21], exec
	s_cbranch_execz .LBB118_2828
	s_branch .LBB118_2829
.LBB118_3007:
	s_andn2_saveexec_b64 s[12:13], s[12:13]
	s_cbranch_execz .LBB118_2793
.LBB118_3008:
	s_mov_b32 s14, 0x42800000
	v_add_f32_e64 v3, |v2|, s14
	v_and_b32_e32 v3, 0xff, v3
	v_cmp_ne_u32_e32 vcc, 0, v3
	s_andn2_b64 s[10:11], s[10:11], exec
	s_and_b64 s[14:15], vcc, exec
	s_or_b64 s[10:11], s[10:11], s[14:15]
	s_or_b64 exec, exec, s[12:13]
	v_mov_b32_e32 v6, 0
	s_and_saveexec_b64 s[12:13], s[10:11]
	s_cbranch_execnz .LBB118_2794
	s_branch .LBB118_2795
.LBB118_3009:
	s_andn2_saveexec_b64 s[10:11], s[10:11]
	s_cbranch_execz .LBB118_2900
.LBB118_3010:
	s_mov_b32 s13, 0x46000000
	v_add_f32_e64 v3, |v2|, s13
	v_and_b32_e32 v3, 0xff, v3
	v_cmp_ne_u32_e32 vcc, 0, v3
	s_andn2_b64 s[8:9], s[8:9], exec
	s_and_b64 s[14:15], vcc, exec
	s_or_b64 s[8:9], s[8:9], s[14:15]
	s_or_b64 exec, exec, s[10:11]
	v_mov_b32_e32 v5, 0
	s_and_saveexec_b64 s[10:11], s[8:9]
	s_cbranch_execnz .LBB118_2901
	s_branch .LBB118_2902
.LBB118_3011:
	s_mov_b64 s[2:3], 0
	s_or_b64 s[20:21], s[20:21], exec
	s_trap 2
	s_branch .LBB118_2946
.LBB118_3012:
	s_andn2_saveexec_b64 s[8:9], s[8:9]
	s_cbranch_execz .LBB118_2912
.LBB118_3013:
	s_mov_b32 s10, 0x42800000
	v_add_f32_e64 v3, |v2|, s10
	v_and_b32_e32 v3, 0xff, v3
	v_cmp_ne_u32_e32 vcc, 0, v3
	s_andn2_b64 s[4:5], s[4:5], exec
	s_and_b64 s[10:11], vcc, exec
	s_or_b64 s[4:5], s[4:5], s[10:11]
	s_or_b64 exec, exec, s[8:9]
	v_mov_b32_e32 v5, 0
	s_and_saveexec_b64 s[8:9], s[4:5]
	s_cbranch_execnz .LBB118_2913
	s_branch .LBB118_2914
	.section	.rodata,"a",@progbits
	.p2align	6, 0x0
	.amdhsa_kernel _ZN2at6native32elementwise_kernel_manual_unrollILi128ELi4EZNS0_15gpu_kernel_implINS0_13BinaryFunctorIsssZNS0_12_GLOBAL__N_121threshold_kernel_implIsEEvRNS_18TensorIteratorBaseET_S8_EUlssE_EEEEvS7_RKS8_EUlibE_EEviT1_
		.amdhsa_group_segment_fixed_size 0
		.amdhsa_private_segment_fixed_size 0
		.amdhsa_kernarg_size 56
		.amdhsa_user_sgpr_count 6
		.amdhsa_user_sgpr_private_segment_buffer 1
		.amdhsa_user_sgpr_dispatch_ptr 0
		.amdhsa_user_sgpr_queue_ptr 0
		.amdhsa_user_sgpr_kernarg_segment_ptr 1
		.amdhsa_user_sgpr_dispatch_id 0
		.amdhsa_user_sgpr_flat_scratch_init 0
		.amdhsa_user_sgpr_private_segment_size 0
		.amdhsa_uses_dynamic_stack 0
		.amdhsa_system_sgpr_private_segment_wavefront_offset 0
		.amdhsa_system_sgpr_workgroup_id_x 1
		.amdhsa_system_sgpr_workgroup_id_y 0
		.amdhsa_system_sgpr_workgroup_id_z 0
		.amdhsa_system_sgpr_workgroup_info 0
		.amdhsa_system_vgpr_workitem_id 0
		.amdhsa_next_free_vgpr 16
		.amdhsa_next_free_sgpr 58
		.amdhsa_reserve_vcc 1
		.amdhsa_reserve_flat_scratch 0
		.amdhsa_float_round_mode_32 0
		.amdhsa_float_round_mode_16_64 0
		.amdhsa_float_denorm_mode_32 3
		.amdhsa_float_denorm_mode_16_64 3
		.amdhsa_dx10_clamp 1
		.amdhsa_ieee_mode 1
		.amdhsa_fp16_overflow 0
		.amdhsa_exception_fp_ieee_invalid_op 0
		.amdhsa_exception_fp_denorm_src 0
		.amdhsa_exception_fp_ieee_div_zero 0
		.amdhsa_exception_fp_ieee_overflow 0
		.amdhsa_exception_fp_ieee_underflow 0
		.amdhsa_exception_fp_ieee_inexact 0
		.amdhsa_exception_int_div_zero 0
	.end_amdhsa_kernel
	.section	.text._ZN2at6native32elementwise_kernel_manual_unrollILi128ELi4EZNS0_15gpu_kernel_implINS0_13BinaryFunctorIsssZNS0_12_GLOBAL__N_121threshold_kernel_implIsEEvRNS_18TensorIteratorBaseET_S8_EUlssE_EEEEvS7_RKS8_EUlibE_EEviT1_,"axG",@progbits,_ZN2at6native32elementwise_kernel_manual_unrollILi128ELi4EZNS0_15gpu_kernel_implINS0_13BinaryFunctorIsssZNS0_12_GLOBAL__N_121threshold_kernel_implIsEEvRNS_18TensorIteratorBaseET_S8_EUlssE_EEEEvS7_RKS8_EUlibE_EEviT1_,comdat
.Lfunc_end118:
	.size	_ZN2at6native32elementwise_kernel_manual_unrollILi128ELi4EZNS0_15gpu_kernel_implINS0_13BinaryFunctorIsssZNS0_12_GLOBAL__N_121threshold_kernel_implIsEEvRNS_18TensorIteratorBaseET_S8_EUlssE_EEEEvS7_RKS8_EUlibE_EEviT1_, .Lfunc_end118-_ZN2at6native32elementwise_kernel_manual_unrollILi128ELi4EZNS0_15gpu_kernel_implINS0_13BinaryFunctorIsssZNS0_12_GLOBAL__N_121threshold_kernel_implIsEEvRNS_18TensorIteratorBaseET_S8_EUlssE_EEEEvS7_RKS8_EUlibE_EEviT1_
                                        ; -- End function
	.set _ZN2at6native32elementwise_kernel_manual_unrollILi128ELi4EZNS0_15gpu_kernel_implINS0_13BinaryFunctorIsssZNS0_12_GLOBAL__N_121threshold_kernel_implIsEEvRNS_18TensorIteratorBaseET_S8_EUlssE_EEEEvS7_RKS8_EUlibE_EEviT1_.num_vgpr, 16
	.set _ZN2at6native32elementwise_kernel_manual_unrollILi128ELi4EZNS0_15gpu_kernel_implINS0_13BinaryFunctorIsssZNS0_12_GLOBAL__N_121threshold_kernel_implIsEEvRNS_18TensorIteratorBaseET_S8_EUlssE_EEEEvS7_RKS8_EUlibE_EEviT1_.num_agpr, 0
	.set _ZN2at6native32elementwise_kernel_manual_unrollILi128ELi4EZNS0_15gpu_kernel_implINS0_13BinaryFunctorIsssZNS0_12_GLOBAL__N_121threshold_kernel_implIsEEvRNS_18TensorIteratorBaseET_S8_EUlssE_EEEEvS7_RKS8_EUlibE_EEviT1_.numbered_sgpr, 58
	.set _ZN2at6native32elementwise_kernel_manual_unrollILi128ELi4EZNS0_15gpu_kernel_implINS0_13BinaryFunctorIsssZNS0_12_GLOBAL__N_121threshold_kernel_implIsEEvRNS_18TensorIteratorBaseET_S8_EUlssE_EEEEvS7_RKS8_EUlibE_EEviT1_.num_named_barrier, 0
	.set _ZN2at6native32elementwise_kernel_manual_unrollILi128ELi4EZNS0_15gpu_kernel_implINS0_13BinaryFunctorIsssZNS0_12_GLOBAL__N_121threshold_kernel_implIsEEvRNS_18TensorIteratorBaseET_S8_EUlssE_EEEEvS7_RKS8_EUlibE_EEviT1_.private_seg_size, 0
	.set _ZN2at6native32elementwise_kernel_manual_unrollILi128ELi4EZNS0_15gpu_kernel_implINS0_13BinaryFunctorIsssZNS0_12_GLOBAL__N_121threshold_kernel_implIsEEvRNS_18TensorIteratorBaseET_S8_EUlssE_EEEEvS7_RKS8_EUlibE_EEviT1_.uses_vcc, 1
	.set _ZN2at6native32elementwise_kernel_manual_unrollILi128ELi4EZNS0_15gpu_kernel_implINS0_13BinaryFunctorIsssZNS0_12_GLOBAL__N_121threshold_kernel_implIsEEvRNS_18TensorIteratorBaseET_S8_EUlssE_EEEEvS7_RKS8_EUlibE_EEviT1_.uses_flat_scratch, 0
	.set _ZN2at6native32elementwise_kernel_manual_unrollILi128ELi4EZNS0_15gpu_kernel_implINS0_13BinaryFunctorIsssZNS0_12_GLOBAL__N_121threshold_kernel_implIsEEvRNS_18TensorIteratorBaseET_S8_EUlssE_EEEEvS7_RKS8_EUlibE_EEviT1_.has_dyn_sized_stack, 0
	.set _ZN2at6native32elementwise_kernel_manual_unrollILi128ELi4EZNS0_15gpu_kernel_implINS0_13BinaryFunctorIsssZNS0_12_GLOBAL__N_121threshold_kernel_implIsEEvRNS_18TensorIteratorBaseET_S8_EUlssE_EEEEvS7_RKS8_EUlibE_EEviT1_.has_recursion, 0
	.set _ZN2at6native32elementwise_kernel_manual_unrollILi128ELi4EZNS0_15gpu_kernel_implINS0_13BinaryFunctorIsssZNS0_12_GLOBAL__N_121threshold_kernel_implIsEEvRNS_18TensorIteratorBaseET_S8_EUlssE_EEEEvS7_RKS8_EUlibE_EEviT1_.has_indirect_call, 0
	.section	.AMDGPU.csdata,"",@progbits
; Kernel info:
; codeLenInByte = 44268
; TotalNumSgprs: 62
; NumVgprs: 16
; ScratchSize: 0
; MemoryBound: 1
; FloatMode: 240
; IeeeMode: 1
; LDSByteSize: 0 bytes/workgroup (compile time only)
; SGPRBlocks: 7
; VGPRBlocks: 3
; NumSGPRsForWavesPerEU: 62
; NumVGPRsForWavesPerEU: 16
; Occupancy: 10
; WaveLimiterHint : 0
; COMPUTE_PGM_RSRC2:SCRATCH_EN: 0
; COMPUTE_PGM_RSRC2:USER_SGPR: 6
; COMPUTE_PGM_RSRC2:TRAP_HANDLER: 0
; COMPUTE_PGM_RSRC2:TGID_X_EN: 1
; COMPUTE_PGM_RSRC2:TGID_Y_EN: 0
; COMPUTE_PGM_RSRC2:TGID_Z_EN: 0
; COMPUTE_PGM_RSRC2:TIDIG_COMP_CNT: 0
	.section	.text._ZN2at6native32elementwise_kernel_manual_unrollILi128ELi4EZNS0_15gpu_kernel_implINS0_13BinaryFunctorIsssZNS0_12_GLOBAL__N_121threshold_kernel_implIsEEvRNS_18TensorIteratorBaseET_S8_EUlssE_EEEEvS7_RKS8_EUlibE0_EEviT1_,"axG",@progbits,_ZN2at6native32elementwise_kernel_manual_unrollILi128ELi4EZNS0_15gpu_kernel_implINS0_13BinaryFunctorIsssZNS0_12_GLOBAL__N_121threshold_kernel_implIsEEvRNS_18TensorIteratorBaseET_S8_EUlssE_EEEEvS7_RKS8_EUlibE0_EEviT1_,comdat
	.globl	_ZN2at6native32elementwise_kernel_manual_unrollILi128ELi4EZNS0_15gpu_kernel_implINS0_13BinaryFunctorIsssZNS0_12_GLOBAL__N_121threshold_kernel_implIsEEvRNS_18TensorIteratorBaseET_S8_EUlssE_EEEEvS7_RKS8_EUlibE0_EEviT1_ ; -- Begin function _ZN2at6native32elementwise_kernel_manual_unrollILi128ELi4EZNS0_15gpu_kernel_implINS0_13BinaryFunctorIsssZNS0_12_GLOBAL__N_121threshold_kernel_implIsEEvRNS_18TensorIteratorBaseET_S8_EUlssE_EEEEvS7_RKS8_EUlibE0_EEviT1_
	.p2align	8
	.type	_ZN2at6native32elementwise_kernel_manual_unrollILi128ELi4EZNS0_15gpu_kernel_implINS0_13BinaryFunctorIsssZNS0_12_GLOBAL__N_121threshold_kernel_implIsEEvRNS_18TensorIteratorBaseET_S8_EUlssE_EEEEvS7_RKS8_EUlibE0_EEviT1_,@function
_ZN2at6native32elementwise_kernel_manual_unrollILi128ELi4EZNS0_15gpu_kernel_implINS0_13BinaryFunctorIsssZNS0_12_GLOBAL__N_121threshold_kernel_implIsEEvRNS_18TensorIteratorBaseET_S8_EUlssE_EEEEvS7_RKS8_EUlibE0_EEviT1_: ; @_ZN2at6native32elementwise_kernel_manual_unrollILi128ELi4EZNS0_15gpu_kernel_implINS0_13BinaryFunctorIsssZNS0_12_GLOBAL__N_121threshold_kernel_implIsEEvRNS_18TensorIteratorBaseET_S8_EUlssE_EEEEvS7_RKS8_EUlibE0_EEviT1_
; %bb.0:
	s_load_dword s68, s[4:5], 0x0
	s_load_dword s33, s[4:5], 0x8
	s_add_u32 s2, s4, 8
	s_addc_u32 s3, s5, 0
	v_lshl_or_b32 v10, s6, 9, v0
	v_or_b32_e32 v21, 0x180, v10
	s_waitcnt lgkmcnt(0)
	s_add_i32 s70, s33, -1
	s_cmp_gt_u32 s70, 1
	v_cmp_le_i32_e32 vcc, s68, v21
	s_cselect_b64 s[24:25], -1, 0
	s_mov_b64 s[6:7], 0
	s_mov_b64 s[12:13], 0
	s_and_saveexec_b64 s[0:1], vcc
	s_xor_b64 s[26:27], exec, s[0:1]
	s_cbranch_execz .LBB119_1557
; %bb.1:
	s_cmp_lg_u32 s33, 0
	s_load_dwordx4 s[16:19], s[2:3], 0x4
	s_load_dwordx2 s[30:31], s[2:3], 0x14
	s_load_dwordx8 s[8:15], s[2:3], 0x188
	s_load_dwordx4 s[20:23], s[2:3], 0xc4
	s_load_dwordx2 s[28:29], s[2:3], 0xd4
	s_cselect_b64 s[36:37], -1, 0
	s_min_u32 s74, s70, 15
	s_cmp_gt_u32 s33, 1
	s_cselect_b64 s[34:35], -1, 0
	s_waitcnt lgkmcnt(0)
	s_lshr_b32 s71, s14, 16
	s_lshr_b32 s73, s15, 8
	;; [unrolled: 1-line block ×3, first 2 shown]
	v_cmp_gt_i32_e32 vcc, s68, v10
	s_mov_b64 s[0:1], -1
	s_mov_b64 s[48:49], 0
	s_mov_b64 s[42:43], 0
	;; [unrolled: 1-line block ×4, first 2 shown]
	s_and_saveexec_b64 s[44:45], vcc
	s_cbranch_execz .LBB119_386
; %bb.2:
	s_andn2_b64 vcc, exec, s[24:25]
	s_cbranch_vccnz .LBB119_8
; %bb.3:
	s_andn2_b64 vcc, exec, s[36:37]
	s_cbranch_vccnz .LBB119_9
; %bb.4:
	s_add_i32 s0, s74, 1
	s_and_b32 s38, s0, 30
	s_add_u32 s0, s2, 0xffffffe8
	s_addc_u32 s1, s3, -1
	v_mov_b32_e32 v3, 0
	v_mov_b32_e32 v5, 0
	;; [unrolled: 1-line block ×4, first 2 shown]
.LBB119_5:                              ; =>This Inner Loop Header: Depth=1
	s_load_dwordx4 s[40:43], s[0:1], 0x1c
	s_load_dwordx2 s[46:47], s[0:1], 0x2c
	s_load_dwordx2 s[50:51], s[0:1], 0xec
	s_load_dwordx4 s[52:55], s[0:1], 0xdc
	s_add_u32 s0, s0, 24
	s_waitcnt lgkmcnt(0)
	v_mul_hi_u32 v2, s41, v1
	s_addc_u32 s1, s1, 0
	s_add_i32 s38, s38, -2
	s_cmp_lg_u32 s38, 0
	v_add_u32_e32 v2, v1, v2
	v_lshrrev_b32_e32 v2, s42, v2
	v_mul_lo_u32 v4, v2, s40
	v_mul_hi_u32 v6, s46, v2
	v_sub_u32_e32 v4, v1, v4
	v_add_u32_e32 v1, v2, v6
	v_lshrrev_b32_e32 v1, s47, v1
	v_mul_lo_u32 v8, v1, s43
	v_mul_lo_u32 v6, v4, s52
	;; [unrolled: 1-line block ×4, first 2 shown]
	v_sub_u32_e32 v2, v2, v8
	v_mul_lo_u32 v8, v2, s55
	v_mul_lo_u32 v9, v2, s50
	;; [unrolled: 1-line block ×3, first 2 shown]
	v_add3_u32 v0, v6, v0, v8
	v_add3_u32 v5, v7, v5, v9
	;; [unrolled: 1-line block ×3, first 2 shown]
	s_cbranch_scc1 .LBB119_5
; %bb.6:
	s_bitcmp1_b32 s74, 0
	s_cselect_b64 s[38:39], -1, 0
	s_and_b64 vcc, exec, s[38:39]
	s_cbranch_vccnz .LBB119_10
; %bb.7:
	s_load_dwordx2 s[38:39], s[0:1], 0x1c
	s_load_dword s42, s[0:1], 0x24
	s_load_dwordx2 s[40:41], s[0:1], 0xdc
	s_waitcnt lgkmcnt(0)
	v_mul_hi_u32 v2, s39, v1
	v_add_u32_e32 v2, v1, v2
	v_lshrrev_b32_e32 v2, s42, v2
	v_mul_lo_u32 v2, v2, s38
	s_load_dword s38, s[0:1], 0xe4
	v_sub_u32_e32 v2, v1, v2
	v_mad_u64_u32 v[0:1], s[0:1], v2, s40, v[0:1]
	v_mad_u64_u32 v[5:6], s[0:1], v2, s41, v[5:6]
	s_waitcnt lgkmcnt(0)
	v_mad_u64_u32 v[3:4], s[0:1], v2, s38, v[3:4]
	s_cbranch_execz .LBB119_11
	s_branch .LBB119_13
.LBB119_8:
                                        ; implicit-def: $vgpr0
                                        ; implicit-def: $vgpr5
                                        ; implicit-def: $vgpr3
	s_andn2_b64 vcc, exec, s[0:1]
	s_cbranch_vccz .LBB119_11
	s_branch .LBB119_13
.LBB119_9:
	v_mov_b32_e32 v0, 0
	v_mov_b32_e32 v5, 0
	;; [unrolled: 1-line block ×3, first 2 shown]
.LBB119_10:
	s_cbranch_execnz .LBB119_13
.LBB119_11:
	v_mul_hi_u32 v0, s17, v10
	s_andn2_b64 vcc, exec, s[34:35]
	v_add_u32_e32 v0, v10, v0
	v_lshrrev_b32_e32 v1, s18, v0
	v_mul_lo_u32 v0, v1, s16
	v_sub_u32_e32 v2, v10, v0
	v_mul_lo_u32 v0, v2, s20
	v_mul_lo_u32 v5, v2, s21
	;; [unrolled: 1-line block ×3, first 2 shown]
	s_cbranch_vccnz .LBB119_13
; %bb.12:
	v_mul_hi_u32 v2, s30, v1
	v_add_u32_e32 v2, v1, v2
	v_lshrrev_b32_e32 v2, s31, v2
	v_mul_lo_u32 v2, v2, s19
	v_sub_u32_e32 v2, v1, v2
	v_mad_u64_u32 v[0:1], s[0:1], v2, s23, v[0:1]
	v_mad_u64_u32 v[5:6], s[0:1], v2, s28, v[5:6]
	;; [unrolled: 1-line block ×3, first 2 shown]
.LBB119_13:
	v_mov_b32_e32 v1, s11
	s_and_b32 s40, s73, 0xff
	v_add_co_u32_e32 v4, vcc, s10, v5
	s_cmp_lt_i32 s40, 11
	v_addc_co_u32_e32 v5, vcc, 0, v1, vcc
	s_cbranch_scc1 .LBB119_20
; %bb.14:
	s_and_b32 s41, 0xffff, s40
	s_cmp_gt_i32 s41, 25
	s_cbranch_scc0 .LBB119_29
; %bb.15:
	s_cmp_gt_i32 s41, 28
	s_cbranch_scc0 .LBB119_39
; %bb.16:
	;; [unrolled: 3-line block ×4, first 2 shown]
	s_cmp_eq_u32 s41, 46
	s_mov_b64 s[38:39], 0
	s_cbranch_scc0 .LBB119_48
; %bb.19:
	global_load_dword v1, v[4:5], off
	s_mov_b64 s[0:1], -1
	s_mov_b64 s[42:43], 0
	s_waitcnt vmcnt(0)
	v_lshlrev_b32_e32 v1, 16, v1
	v_cvt_i32_f32_e32 v1, v1
	s_branch .LBB119_50
.LBB119_20:
	s_mov_b64 s[42:43], 0
                                        ; implicit-def: $vgpr1
	s_mov_b64 s[0:1], 0
	s_cbranch_execnz .LBB119_112
.LBB119_21:
	s_andn2_b64 vcc, exec, s[0:1]
	s_cbranch_vccnz .LBB119_159
.LBB119_22:
	v_mov_b32_e32 v4, s13
	s_and_b32 s46, s72, 0xff
	s_waitcnt vmcnt(0)
	v_add_co_u32_e32 v2, vcc, s12, v3
	s_cmp_lt_i32 s46, 11
	v_addc_co_u32_e32 v3, vcc, 0, v4, vcc
	s_cbranch_scc1 .LBB119_30
; %bb.23:
	s_and_b32 s47, 0xffff, s46
	s_cmp_gt_i32 s47, 25
	s_cbranch_scc0 .LBB119_40
; %bb.24:
	s_cmp_gt_i32 s47, 28
	s_cbranch_scc0 .LBB119_43
; %bb.25:
	;; [unrolled: 3-line block ×4, first 2 shown]
	s_cmp_eq_u32 s47, 46
	s_mov_b64 s[38:39], 0
	s_cbranch_scc0 .LBB119_160
; %bb.28:
	global_load_dword v4, v[2:3], off
	s_mov_b64 s[0:1], -1
	s_mov_b64 s[40:41], 0
	s_waitcnt vmcnt(0)
	v_lshlrev_b32_e32 v4, 16, v4
	v_cvt_i32_f32_e32 v4, v4
	s_branch .LBB119_162
.LBB119_29:
	s_mov_b64 s[42:43], 0
	s_mov_b64 s[0:1], 0
                                        ; implicit-def: $vgpr1
	s_cbranch_execnz .LBB119_79
	s_branch .LBB119_111
.LBB119_30:
	s_mov_b64 s[40:41], 0
                                        ; implicit-def: $vgpr4
	s_mov_b64 s[0:1], 0
	s_cbranch_execnz .LBB119_335
.LBB119_31:
	s_andn2_b64 vcc, exec, s[0:1]
	s_cbranch_vccnz .LBB119_383
.LBB119_32:
	v_mov_b32_e32 v2, s71
	v_cmp_lt_i16_e32 vcc, s14, v1
	s_waitcnt vmcnt(0)
	v_cndmask_b32_e32 v4, v2, v4, vcc
	v_mov_b32_e32 v1, s9
	s_and_b32 s52, s15, 0xff
	v_add_co_u32_e32 v0, vcc, s8, v0
	s_cmp_lt_i32 s52, 11
	v_addc_co_u32_e32 v1, vcc, 0, v1, vcc
	s_cbranch_scc1 .LBB119_41
; %bb.33:
	s_and_b32 s53, 0xffff, s52
	s_cmp_gt_i32 s53, 25
	s_cbranch_scc0 .LBB119_44
; %bb.34:
	s_cmp_gt_i32 s53, 28
	s_cbranch_scc0 .LBB119_47
; %bb.35:
	s_cmp_gt_i32 s53, 43
	s_cbranch_scc0 .LBB119_54
; %bb.36:
	s_cmp_gt_i32 s53, 45
	s_cbranch_scc0 .LBB119_165
; %bb.37:
	s_mov_b64 s[46:47], 0
	s_mov_b64 s[0:1], -1
	s_cmp_eq_u32 s53, 46
	s_mov_b64 s[38:39], 0
	s_cbranch_scc0 .LBB119_166
; %bb.38:
	v_cvt_f32_i32_sdwa v2, sext(v4) dst_sel:DWORD dst_unused:UNUSED_PAD src0_sel:WORD_0
	s_movk_i32 s0, 0x7fff
	s_mov_b64 s[38:39], -1
	v_bfe_u32 v3, v2, 16, 1
	v_add3_u32 v2, v2, v3, s0
	v_lshrrev_b32_e32 v2, 16, v2
	global_store_dword v[0:1], v2, off
	s_mov_b64 s[0:1], 0
	s_branch .LBB119_166
.LBB119_39:
	s_mov_b64 s[38:39], -1
	s_mov_b64 s[42:43], 0
	s_mov_b64 s[0:1], 0
                                        ; implicit-def: $vgpr1
	s_branch .LBB119_62
.LBB119_40:
	s_mov_b64 s[38:39], -1
	s_mov_b64 s[40:41], 0
	s_mov_b64 s[0:1], 0
                                        ; implicit-def: $vgpr4
	s_branch .LBB119_301
.LBB119_41:
	s_mov_b64 s[46:47], -1
	s_mov_b64 s[0:1], 0
	s_mov_b64 s[38:39], 0
	s_branch .LBB119_235
.LBB119_42:
	s_mov_b64 s[38:39], -1
	s_mov_b64 s[42:43], 0
	s_mov_b64 s[0:1], 0
                                        ; implicit-def: $vgpr1
	s_branch .LBB119_57
.LBB119_43:
	s_mov_b64 s[38:39], -1
	s_mov_b64 s[40:41], 0
	s_mov_b64 s[0:1], 0
                                        ; implicit-def: $vgpr4
	s_branch .LBB119_284
.LBB119_44:
	s_mov_b64 s[46:47], -1
	s_mov_b64 s[0:1], 0
	s_mov_b64 s[38:39], 0
	s_branch .LBB119_193
.LBB119_45:
	s_mov_b64 s[38:39], -1
	s_mov_b64 s[42:43], 0
	s_branch .LBB119_49
.LBB119_46:
	s_mov_b64 s[38:39], -1
	s_mov_b64 s[40:41], 0
	s_mov_b64 s[0:1], 0
                                        ; implicit-def: $vgpr4
	s_branch .LBB119_279
.LBB119_47:
	s_mov_b64 s[46:47], -1
	s_mov_b64 s[0:1], 0
	s_mov_b64 s[38:39], 0
	s_branch .LBB119_176
.LBB119_48:
	s_mov_b64 s[42:43], -1
.LBB119_49:
	s_mov_b64 s[0:1], 0
                                        ; implicit-def: $vgpr1
.LBB119_50:
	s_and_b64 vcc, exec, s[38:39]
	s_cbranch_vccz .LBB119_56
; %bb.51:
	s_cmp_eq_u32 s41, 44
	s_cbranch_scc0 .LBB119_55
; %bb.52:
	global_load_ubyte v1, v[4:5], off
	s_mov_b64 s[0:1], -1
	s_mov_b64 s[42:43], 0
	s_waitcnt vmcnt(0)
	v_lshlrev_b32_e32 v2, 23, v1
	v_cvt_i32_f32_e32 v2, v2
	v_cmp_ne_u32_e32 vcc, 0, v1
	v_cndmask_b32_e32 v1, 0, v2, vcc
	s_branch .LBB119_56
.LBB119_53:
	s_mov_b64 s[38:39], -1
	s_mov_b64 s[40:41], 0
	s_branch .LBB119_161
.LBB119_54:
	s_mov_b64 s[46:47], -1
	s_mov_b64 s[0:1], 0
	s_mov_b64 s[38:39], 0
	s_branch .LBB119_172
.LBB119_55:
	s_mov_b64 s[42:43], -1
                                        ; implicit-def: $vgpr1
.LBB119_56:
	s_mov_b64 s[38:39], 0
.LBB119_57:
	s_and_b64 vcc, exec, s[38:39]
	s_cbranch_vccz .LBB119_61
; %bb.58:
	s_cmp_eq_u32 s41, 29
	s_cbranch_scc0 .LBB119_60
; %bb.59:
	global_load_dwordx2 v[1:2], v[4:5], off
	s_mov_b64 s[0:1], -1
	s_mov_b64 s[42:43], 0
	s_branch .LBB119_61
.LBB119_60:
	s_mov_b64 s[42:43], -1
                                        ; implicit-def: $vgpr1
.LBB119_61:
	s_mov_b64 s[38:39], 0
.LBB119_62:
	s_and_b64 vcc, exec, s[38:39]
	s_cbranch_vccz .LBB119_78
; %bb.63:
	s_cmp_lt_i32 s41, 27
	s_cbranch_scc1 .LBB119_66
; %bb.64:
	s_cmp_gt_i32 s41, 27
	s_cbranch_scc0 .LBB119_67
; %bb.65:
	global_load_dword v1, v[4:5], off
	s_mov_b64 s[0:1], 0
	s_branch .LBB119_68
.LBB119_66:
	s_mov_b64 s[0:1], -1
                                        ; implicit-def: $vgpr1
	s_branch .LBB119_71
.LBB119_67:
	s_mov_b64 s[0:1], -1
                                        ; implicit-def: $vgpr1
.LBB119_68:
	s_andn2_b64 vcc, exec, s[0:1]
	s_cbranch_vccnz .LBB119_70
; %bb.69:
	global_load_ushort v1, v[4:5], off
.LBB119_70:
	s_mov_b64 s[0:1], 0
.LBB119_71:
	s_andn2_b64 vcc, exec, s[0:1]
	s_cbranch_vccnz .LBB119_77
; %bb.72:
	global_load_ubyte v2, v[4:5], off
	s_movk_i32 s0, 0x7f
	s_mov_b64 s[38:39], 0
	s_waitcnt vmcnt(0)
	v_cmp_lt_i16_e32 vcc, s0, v2
	s_and_saveexec_b64 s[0:1], vcc
	s_xor_b64 s[0:1], exec, s[0:1]
	s_cbranch_execz .LBB119_88
; %bb.73:
	s_movk_i32 s38, 0x80
	v_cmp_ne_u16_e32 vcc, s38, v2
	s_and_b64 s[38:39], vcc, exec
	s_andn2_saveexec_b64 s[0:1], s[0:1]
	s_cbranch_execnz .LBB119_89
.LBB119_74:
	s_or_b64 exec, exec, s[0:1]
	v_mov_b32_e32 v1, 0
	s_and_saveexec_b64 s[0:1], s[38:39]
	s_cbranch_execz .LBB119_76
.LBB119_75:
	v_lshlrev_b32_e32 v1, 24, v2
	v_and_b32_e32 v2, 0xffff, v2
	v_and_b32_e32 v6, 7, v2
	v_ffbh_u32_e32 v8, v6
	v_min_u32_e32 v8, 32, v8
	v_subrev_u32_e32 v9, 28, v8
	v_bfe_u32 v7, v2, 3, 4
	v_lshlrev_b32_e32 v2, v9, v2
	v_sub_u32_e32 v8, 29, v8
	v_and_b32_e32 v2, 7, v2
	v_cmp_eq_u32_e32 vcc, 0, v7
	v_cndmask_b32_e32 v7, v7, v8, vcc
	v_cndmask_b32_e32 v2, v6, v2, vcc
	v_mov_b32_e32 v6, 0x3b800000
	v_lshlrev_b32_e32 v2, 20, v2
	v_and_b32_e32 v1, 0x80000000, v1
	v_lshl_add_u32 v6, v7, 23, v6
	v_or3_b32 v1, v1, v6, v2
	v_cvt_i32_f32_e32 v1, v1
.LBB119_76:
	s_or_b64 exec, exec, s[0:1]
.LBB119_77:
	s_mov_b64 s[0:1], -1
.LBB119_78:
	s_branch .LBB119_111
.LBB119_79:
	s_cmp_gt_i32 s41, 22
	s_cbranch_scc0 .LBB119_87
; %bb.80:
	s_cmp_lt_i32 s41, 24
	s_cbranch_scc1 .LBB119_90
; %bb.81:
	s_cmp_gt_i32 s41, 24
	s_cbranch_scc0 .LBB119_91
; %bb.82:
	global_load_ubyte v2, v[4:5], off
	s_movk_i32 s0, 0x7f
	s_mov_b64 s[38:39], 0
	s_waitcnt vmcnt(0)
	v_cmp_lt_i16_e32 vcc, s0, v2
	s_and_saveexec_b64 s[0:1], vcc
	s_xor_b64 s[0:1], exec, s[0:1]
	s_cbranch_execz .LBB119_103
; %bb.83:
	s_movk_i32 s38, 0x80
	v_cmp_ne_u16_e32 vcc, s38, v2
	s_and_b64 s[38:39], vcc, exec
	s_andn2_saveexec_b64 s[0:1], s[0:1]
	s_cbranch_execnz .LBB119_104
.LBB119_84:
	s_or_b64 exec, exec, s[0:1]
	v_mov_b32_e32 v1, 0
	s_and_saveexec_b64 s[0:1], s[38:39]
	s_cbranch_execz .LBB119_86
.LBB119_85:
	v_lshlrev_b32_e32 v1, 24, v2
	v_and_b32_e32 v2, 0xffff, v2
	v_and_b32_e32 v6, 3, v2
	v_ffbh_u32_e32 v8, v6
	v_min_u32_e32 v8, 32, v8
	v_subrev_u32_e32 v9, 29, v8
	v_bfe_u32 v7, v2, 2, 5
	v_lshlrev_b32_e32 v2, v9, v2
	v_sub_u32_e32 v8, 30, v8
	v_and_b32_e32 v2, 3, v2
	v_cmp_eq_u32_e32 vcc, 0, v7
	v_cndmask_b32_e32 v7, v7, v8, vcc
	v_cndmask_b32_e32 v2, v6, v2, vcc
	v_mov_b32_e32 v6, 0x37800000
	v_lshlrev_b32_e32 v2, 21, v2
	v_and_b32_e32 v1, 0x80000000, v1
	v_lshl_add_u32 v6, v7, 23, v6
	v_or3_b32 v1, v1, v6, v2
	v_cvt_i32_f32_e32 v1, v1
.LBB119_86:
	s_or_b64 exec, exec, s[0:1]
	s_mov_b64 s[0:1], 0
	s_branch .LBB119_92
.LBB119_87:
	s_mov_b64 s[38:39], -1
                                        ; implicit-def: $vgpr1
	s_branch .LBB119_98
.LBB119_88:
	s_andn2_saveexec_b64 s[0:1], s[0:1]
	s_cbranch_execz .LBB119_74
.LBB119_89:
	v_cmp_ne_u16_e32 vcc, 0, v2
	s_andn2_b64 s[38:39], s[38:39], exec
	s_and_b64 s[46:47], vcc, exec
	s_or_b64 s[38:39], s[38:39], s[46:47]
	s_or_b64 exec, exec, s[0:1]
	v_mov_b32_e32 v1, 0
	s_and_saveexec_b64 s[0:1], s[38:39]
	s_cbranch_execnz .LBB119_75
	s_branch .LBB119_76
.LBB119_90:
	s_mov_b64 s[0:1], -1
                                        ; implicit-def: $vgpr1
	s_branch .LBB119_95
.LBB119_91:
	s_mov_b64 s[0:1], -1
                                        ; implicit-def: $vgpr1
.LBB119_92:
	s_and_b64 vcc, exec, s[0:1]
	s_cbranch_vccz .LBB119_94
; %bb.93:
	global_load_ubyte v1, v[4:5], off
	s_mov_b32 s0, 0x7f800000
	s_waitcnt vmcnt(0)
	v_lshlrev_b32_e32 v1, 24, v1
	v_and_b32_e32 v2, 0x7f000000, v1
	v_ffbh_u32_e32 v6, v2
	v_min_u32_e32 v6, 32, v6
	v_sub_u32_e64 v6, v6, 4 clamp
	v_lshlrev_b32_e32 v8, v6, v2
	v_lshlrev_b32_e32 v6, 23, v6
	v_lshrrev_b32_e32 v8, 4, v8
	v_add_u32_e32 v7, 0x1000000, v2
	v_sub_u32_e32 v6, v8, v6
	v_ashrrev_i32_e32 v7, 8, v7
	v_add_u32_e32 v6, 0x3c000000, v6
	v_and_or_b32 v6, v7, s0, v6
	v_cmp_ne_u32_e32 vcc, 0, v2
	v_cndmask_b32_e32 v2, 0, v6, vcc
	s_brev_b32 s0, 1
	v_and_or_b32 v1, v1, s0, v2
	v_cvt_i32_f32_e32 v1, v1
.LBB119_94:
	s_mov_b64 s[0:1], 0
.LBB119_95:
	s_andn2_b64 vcc, exec, s[0:1]
	s_cbranch_vccnz .LBB119_97
; %bb.96:
	global_load_ubyte v1, v[4:5], off
	s_movk_i32 s0, 0x7f00
	s_brev_b32 s1, 16
	s_waitcnt vmcnt(0)
	v_lshlrev_b16_e32 v2, 8, v1
	v_lshlrev_b32_e32 v1, 25, v1
	v_lshrrev_b32_e32 v6, 4, v1
	v_and_or_b32 v7, v2, s0, 0.5
	v_or_b32_e32 v6, 0x70000000, v6
	v_add_f32_e32 v7, -0.5, v7
	v_mul_f32_e32 v6, 0x7800000, v6
	v_cmp_gt_u32_e32 vcc, s1, v1
	v_bfe_i32 v2, v2, 0, 16
	v_cndmask_b32_e32 v1, v6, v7, vcc
	s_brev_b32 s0, 1
	v_and_or_b32 v1, v2, s0, v1
	v_cvt_i32_f32_e32 v1, v1
.LBB119_97:
	s_mov_b64 s[38:39], 0
	s_mov_b64 s[0:1], -1
.LBB119_98:
	s_andn2_b64 vcc, exec, s[38:39]
	s_cbranch_vccnz .LBB119_111
; %bb.99:
	s_cmp_gt_i32 s41, 14
	s_cbranch_scc0 .LBB119_102
; %bb.100:
	s_cmp_eq_u32 s41, 15
	s_cbranch_scc0 .LBB119_105
; %bb.101:
	global_load_ushort v1, v[4:5], off
	s_mov_b64 s[0:1], -1
	s_mov_b64 s[42:43], 0
	s_waitcnt vmcnt(0)
	v_lshlrev_b32_e32 v1, 16, v1
	v_cvt_i32_f32_e32 v1, v1
	s_branch .LBB119_106
.LBB119_102:
	s_mov_b64 s[38:39], -1
                                        ; implicit-def: $vgpr1
	s_branch .LBB119_107
.LBB119_103:
	s_andn2_saveexec_b64 s[0:1], s[0:1]
	s_cbranch_execz .LBB119_84
.LBB119_104:
	v_cmp_ne_u16_e32 vcc, 0, v2
	s_andn2_b64 s[38:39], s[38:39], exec
	s_and_b64 s[46:47], vcc, exec
	s_or_b64 s[38:39], s[38:39], s[46:47]
	s_or_b64 exec, exec, s[0:1]
	v_mov_b32_e32 v1, 0
	s_and_saveexec_b64 s[0:1], s[38:39]
	s_cbranch_execnz .LBB119_85
	s_branch .LBB119_86
.LBB119_105:
	s_mov_b64 s[42:43], -1
                                        ; implicit-def: $vgpr1
.LBB119_106:
	s_mov_b64 s[38:39], 0
.LBB119_107:
	s_and_b64 vcc, exec, s[38:39]
	s_cbranch_vccz .LBB119_111
; %bb.108:
	s_cmp_eq_u32 s41, 11
	s_cbranch_scc0 .LBB119_110
; %bb.109:
	global_load_ubyte v1, v[4:5], off
	s_mov_b64 s[0:1], -1
	s_mov_b64 s[42:43], 0
	s_waitcnt vmcnt(0)
	v_cmp_ne_u16_e32 vcc, 0, v1
	v_cndmask_b32_e64 v1, 0, 1, vcc
	s_branch .LBB119_111
.LBB119_110:
	s_mov_b64 s[42:43], -1
                                        ; implicit-def: $vgpr1
.LBB119_111:
	s_branch .LBB119_21
.LBB119_112:
	s_and_b32 s38, 0xffff, s40
	s_cmp_lt_i32 s38, 5
	s_cbranch_scc1 .LBB119_117
; %bb.113:
	s_cmp_lt_i32 s38, 8
	s_cbranch_scc1 .LBB119_118
; %bb.114:
	;; [unrolled: 3-line block ×3, first 2 shown]
	s_cmp_gt_i32 s38, 9
	s_cbranch_scc0 .LBB119_120
; %bb.116:
	global_load_dwordx2 v[1:2], v[4:5], off
	s_mov_b64 s[0:1], 0
	s_waitcnt vmcnt(0)
	v_cvt_i32_f64_e32 v1, v[1:2]
	s_branch .LBB119_121
.LBB119_117:
                                        ; implicit-def: $vgpr1
	s_branch .LBB119_139
.LBB119_118:
	s_mov_b64 s[0:1], -1
                                        ; implicit-def: $vgpr1
	s_branch .LBB119_127
.LBB119_119:
	s_mov_b64 s[0:1], -1
                                        ; implicit-def: $vgpr1
	s_branch .LBB119_124
.LBB119_120:
	s_mov_b64 s[0:1], -1
                                        ; implicit-def: $vgpr1
.LBB119_121:
	s_andn2_b64 vcc, exec, s[0:1]
	s_cbranch_vccnz .LBB119_123
; %bb.122:
	global_load_dword v1, v[4:5], off
	s_waitcnt vmcnt(0)
	v_cvt_i32_f32_e32 v1, v1
.LBB119_123:
	s_mov_b64 s[0:1], 0
.LBB119_124:
	s_andn2_b64 vcc, exec, s[0:1]
	s_cbranch_vccnz .LBB119_126
; %bb.125:
	global_load_dword v1, v[4:5], off
	s_waitcnt vmcnt(0)
	v_cvt_i16_f16_e32 v1, v1
.LBB119_126:
	s_mov_b64 s[0:1], 0
.LBB119_127:
	s_andn2_b64 vcc, exec, s[0:1]
	s_cbranch_vccnz .LBB119_138
; %bb.128:
	s_cmp_lt_i32 s38, 6
	s_cbranch_scc1 .LBB119_131
; %bb.129:
	s_cmp_gt_i32 s38, 6
	s_cbranch_scc0 .LBB119_132
; %bb.130:
	global_load_dwordx2 v[1:2], v[4:5], off
	s_mov_b64 s[0:1], 0
	s_waitcnt vmcnt(0)
	v_cvt_i32_f64_e32 v1, v[1:2]
	s_branch .LBB119_133
.LBB119_131:
	s_mov_b64 s[0:1], -1
                                        ; implicit-def: $vgpr1
	s_branch .LBB119_136
.LBB119_132:
	s_mov_b64 s[0:1], -1
                                        ; implicit-def: $vgpr1
.LBB119_133:
	s_andn2_b64 vcc, exec, s[0:1]
	s_cbranch_vccnz .LBB119_135
; %bb.134:
	global_load_dword v1, v[4:5], off
	s_waitcnt vmcnt(0)
	v_cvt_i32_f32_e32 v1, v1
.LBB119_135:
	s_mov_b64 s[0:1], 0
.LBB119_136:
	s_andn2_b64 vcc, exec, s[0:1]
	s_cbranch_vccnz .LBB119_138
; %bb.137:
	global_load_ushort v1, v[4:5], off
	s_waitcnt vmcnt(0)
	v_cvt_i16_f16_e32 v1, v1
.LBB119_138:
	s_cbranch_execnz .LBB119_158
.LBB119_139:
	s_cmp_lt_i32 s38, 2
	s_cbranch_scc1 .LBB119_143
; %bb.140:
	s_cmp_lt_i32 s38, 3
	s_cbranch_scc1 .LBB119_144
; %bb.141:
	s_cmp_gt_i32 s38, 3
	s_cbranch_scc0 .LBB119_145
; %bb.142:
	global_load_dwordx2 v[1:2], v[4:5], off
	s_mov_b64 s[0:1], 0
	s_branch .LBB119_146
.LBB119_143:
	s_mov_b64 s[0:1], -1
                                        ; implicit-def: $vgpr1
	s_branch .LBB119_152
.LBB119_144:
	s_mov_b64 s[0:1], -1
                                        ; implicit-def: $vgpr1
	s_branch .LBB119_149
.LBB119_145:
	s_mov_b64 s[0:1], -1
                                        ; implicit-def: $vgpr1
.LBB119_146:
	s_andn2_b64 vcc, exec, s[0:1]
	s_cbranch_vccnz .LBB119_148
; %bb.147:
	global_load_dword v1, v[4:5], off
.LBB119_148:
	s_mov_b64 s[0:1], 0
.LBB119_149:
	s_andn2_b64 vcc, exec, s[0:1]
	s_cbranch_vccnz .LBB119_151
; %bb.150:
	global_load_ushort v1, v[4:5], off
.LBB119_151:
	s_mov_b64 s[0:1], 0
.LBB119_152:
	s_andn2_b64 vcc, exec, s[0:1]
	s_cbranch_vccnz .LBB119_158
; %bb.153:
	s_cmp_gt_i32 s38, 0
	s_cbranch_scc0 .LBB119_155
; %bb.154:
	global_load_sbyte v1, v[4:5], off
	s_mov_b64 s[0:1], 0
	s_branch .LBB119_156
.LBB119_155:
	s_mov_b64 s[0:1], -1
                                        ; implicit-def: $vgpr1
.LBB119_156:
	s_andn2_b64 vcc, exec, s[0:1]
	s_cbranch_vccnz .LBB119_158
; %bb.157:
	global_load_ubyte v1, v[4:5], off
.LBB119_158:
	s_branch .LBB119_22
.LBB119_159:
	s_mov_b64 s[0:1], 0
	s_mov_b64 s[40:41], 0
	s_branch .LBB119_384
.LBB119_160:
	s_mov_b64 s[40:41], -1
.LBB119_161:
	s_mov_b64 s[0:1], 0
                                        ; implicit-def: $vgpr4
.LBB119_162:
	s_and_b64 vcc, exec, s[38:39]
	s_cbranch_vccz .LBB119_278
; %bb.163:
	s_cmp_eq_u32 s47, 44
	s_cbranch_scc0 .LBB119_277
; %bb.164:
	global_load_ubyte v4, v[2:3], off
	s_mov_b64 s[0:1], -1
	s_mov_b64 s[40:41], 0
	s_waitcnt vmcnt(0)
	v_lshlrev_b32_e32 v5, 23, v4
	v_cvt_i32_f32_e32 v5, v5
	v_cmp_ne_u32_e32 vcc, 0, v4
	v_cndmask_b32_e32 v4, 0, v5, vcc
	s_branch .LBB119_278
.LBB119_165:
	s_mov_b64 s[46:47], -1
	s_mov_b64 s[0:1], 0
	s_mov_b64 s[38:39], 0
.LBB119_166:
	s_and_b64 vcc, exec, s[46:47]
	s_cbranch_vccz .LBB119_171
; %bb.167:
	s_cmp_eq_u32 s53, 44
	s_mov_b64 s[0:1], -1
	s_cbranch_scc0 .LBB119_171
; %bb.168:
	v_cvt_f32_i32_sdwa v2, sext(v4) dst_sel:DWORD dst_unused:UNUSED_PAD src0_sel:WORD_0
	s_movk_i32 s0, 0xff
	v_mov_b32_e32 v5, 0xff
	v_bfe_u32 v3, v2, 23, 8
	v_cmp_ne_u32_e32 vcc, s0, v3
	s_and_saveexec_b64 s[38:39], vcc
; %bb.169:
	s_mov_b32 s0, 0x3fffff
	v_lshrrev_b32_e32 v5, 23, v2
	v_and_b32_e32 v6, 0x400000, v2
	v_and_or_b32 v2, v2, s0, v3
	v_cmp_ne_u32_e32 vcc, 0, v6
	v_cmp_ne_u32_e64 s[0:1], 0, v2
	s_and_b64 s[0:1], vcc, s[0:1]
	v_cndmask_b32_e64 v2, 0, 1, s[0:1]
	v_add_u32_e32 v5, v5, v2
; %bb.170:
	s_or_b64 exec, exec, s[38:39]
	s_mov_b64 s[38:39], -1
	s_mov_b64 s[0:1], 0
	global_store_byte v[0:1], v5, off
.LBB119_171:
	s_mov_b64 s[46:47], 0
.LBB119_172:
	s_and_b64 vcc, exec, s[46:47]
	s_cbranch_vccz .LBB119_175
; %bb.173:
	s_cmp_eq_u32 s53, 29
	s_mov_b64 s[0:1], -1
	s_cbranch_scc0 .LBB119_175
; %bb.174:
	v_bfe_i32 v2, v4, 0, 16
	v_ashrrev_i32_e32 v3, 31, v2
	global_store_dwordx2 v[0:1], v[2:3], off
	s_mov_b64 s[38:39], -1
	s_mov_b64 s[0:1], 0
.LBB119_175:
	s_mov_b64 s[46:47], 0
.LBB119_176:
	s_and_b64 vcc, exec, s[46:47]
	s_cbranch_vccz .LBB119_192
; %bb.177:
	s_cmp_lt_i32 s53, 27
	s_mov_b64 s[38:39], -1
	s_cbranch_scc1 .LBB119_183
; %bb.178:
	s_cmp_gt_i32 s53, 27
	s_cbranch_scc0 .LBB119_180
; %bb.179:
	v_bfe_i32 v2, v4, 0, 16
	s_mov_b64 s[38:39], 0
	global_store_dword v[0:1], v2, off
.LBB119_180:
	s_andn2_b64 vcc, exec, s[38:39]
	s_cbranch_vccnz .LBB119_182
; %bb.181:
	global_store_short v[0:1], v4, off
.LBB119_182:
	s_mov_b64 s[38:39], 0
.LBB119_183:
	s_andn2_b64 vcc, exec, s[38:39]
	s_cbranch_vccnz .LBB119_191
; %bb.184:
	v_cvt_f32_i32_sdwa v2, sext(v4) dst_sel:DWORD dst_unused:UNUSED_PAD src0_sel:WORD_0
	s_mov_b32 s38, 0x43800000
	v_mov_b32_e32 v5, 0x80
	v_and_b32_e32 v3, 0x7fffffff, v2
	v_cmp_gt_u32_e32 vcc, s38, v3
	s_and_saveexec_b64 s[38:39], vcc
	s_cbranch_execz .LBB119_190
; %bb.185:
	s_mov_b32 s46, 0x3bffffff
	v_cmp_lt_u32_e32 vcc, s46, v3
	s_mov_b64 s[46:47], 0
                                        ; implicit-def: $vgpr3
	s_and_saveexec_b64 s[50:51], vcc
	s_xor_b64 s[50:51], exec, s[50:51]
	s_cbranch_execz .LBB119_426
; %bb.186:
	v_bfe_u32 v3, v2, 20, 1
	s_mov_b32 s54, 0x487ffff
	v_add3_u32 v3, v2, v3, s54
	s_mov_b64 s[46:47], exec
	v_lshrrev_b32_e32 v3, 20, v3
	s_andn2_saveexec_b64 s[50:51], s[50:51]
	s_cbranch_execnz .LBB119_427
.LBB119_187:
	s_or_b64 exec, exec, s[50:51]
	v_mov_b32_e32 v5, 0
	s_and_saveexec_b64 s[50:51], s[46:47]
.LBB119_188:
	v_lshrrev_b32_e32 v2, 24, v2
	s_movk_i32 s46, 0x80
	v_and_or_b32 v5, v2, s46, v3
.LBB119_189:
	s_or_b64 exec, exec, s[50:51]
.LBB119_190:
	s_or_b64 exec, exec, s[38:39]
	global_store_byte v[0:1], v5, off
.LBB119_191:
	s_mov_b64 s[38:39], -1
.LBB119_192:
	s_mov_b64 s[46:47], 0
.LBB119_193:
	s_and_b64 vcc, exec, s[46:47]
	s_cbranch_vccz .LBB119_234
; %bb.194:
	s_cmp_gt_i32 s53, 22
	s_mov_b64 s[46:47], -1
	s_cbranch_scc0 .LBB119_226
; %bb.195:
	s_cmp_lt_i32 s53, 24
	s_mov_b64 s[38:39], -1
	s_cbranch_scc1 .LBB119_215
; %bb.196:
	s_cmp_gt_i32 s53, 24
	s_cbranch_scc0 .LBB119_204
; %bb.197:
	v_cvt_f32_i32_sdwa v2, sext(v4) dst_sel:DWORD dst_unused:UNUSED_PAD src0_sel:WORD_0
	s_mov_b32 s38, 0x47800000
	v_mov_b32_e32 v5, 0x80
	v_and_b32_e32 v3, 0x7fffffff, v2
	v_cmp_gt_u32_e32 vcc, s38, v3
	s_and_saveexec_b64 s[38:39], vcc
	s_cbranch_execz .LBB119_203
; %bb.198:
	s_mov_b32 s46, 0x37ffffff
	v_cmp_lt_u32_e32 vcc, s46, v3
	s_mov_b64 s[46:47], 0
                                        ; implicit-def: $vgpr3
	s_and_saveexec_b64 s[50:51], vcc
	s_xor_b64 s[50:51], exec, s[50:51]
	s_cbranch_execz .LBB119_541
; %bb.199:
	v_bfe_u32 v3, v2, 21, 1
	s_mov_b32 s54, 0x88fffff
	v_add3_u32 v3, v2, v3, s54
	s_mov_b64 s[46:47], exec
	v_lshrrev_b32_e32 v3, 21, v3
	s_andn2_saveexec_b64 s[50:51], s[50:51]
	s_cbranch_execnz .LBB119_542
.LBB119_200:
	s_or_b64 exec, exec, s[50:51]
	v_mov_b32_e32 v5, 0
	s_and_saveexec_b64 s[50:51], s[46:47]
.LBB119_201:
	v_lshrrev_b32_e32 v2, 24, v2
	s_movk_i32 s46, 0x80
	v_and_or_b32 v5, v2, s46, v3
.LBB119_202:
	s_or_b64 exec, exec, s[50:51]
.LBB119_203:
	s_or_b64 exec, exec, s[38:39]
	s_mov_b64 s[38:39], 0
	global_store_byte v[0:1], v5, off
.LBB119_204:
	s_and_b64 vcc, exec, s[38:39]
	s_cbranch_vccz .LBB119_214
; %bb.205:
	v_cvt_f32_i32_sdwa v2, sext(v4) dst_sel:DWORD dst_unused:UNUSED_PAD src0_sel:WORD_0
	s_mov_b32 s38, 0x43f00000
                                        ; implicit-def: $vgpr3
	v_and_b32_e32 v5, 0x7fffffff, v2
	v_cmp_gt_u32_e32 vcc, s38, v5
	s_and_saveexec_b64 s[38:39], vcc
	s_xor_b64 s[38:39], exec, s[38:39]
	s_cbranch_execz .LBB119_211
; %bb.206:
	s_mov_b32 s46, 0x3c7fffff
	v_cmp_lt_u32_e32 vcc, s46, v5
                                        ; implicit-def: $vgpr3
	s_and_saveexec_b64 s[46:47], vcc
	s_xor_b64 s[46:47], exec, s[46:47]
; %bb.207:
	v_bfe_u32 v3, v2, 20, 1
	s_mov_b32 s50, 0x407ffff
	v_add3_u32 v3, v2, v3, s50
	v_lshrrev_b32_e32 v5, 20, v3
	v_and_b32_e32 v3, 0xff00000, v3
	s_mov_b32 s50, 0x7f00000
	v_mov_b32_e32 v6, 0x7e
	v_cmp_ne_u32_e32 vcc, s50, v3
	v_cndmask_b32_e32 v3, v6, v5, vcc
; %bb.208:
	s_andn2_saveexec_b64 s[46:47], s[46:47]
; %bb.209:
	s_mov_b32 s50, 0x46800000
	v_add_f32_e64 v3, |v2|, s50
; %bb.210:
	s_or_b64 exec, exec, s[46:47]
                                        ; implicit-def: $vgpr5
.LBB119_211:
	s_andn2_saveexec_b64 s[38:39], s[38:39]
; %bb.212:
	s_mov_b32 s46, 0x7f800000
	v_mov_b32_e32 v3, 0x7e
	v_mov_b32_e32 v6, 0x7f
	v_cmp_lt_u32_e32 vcc, s46, v5
	v_cndmask_b32_e32 v3, v3, v6, vcc
; %bb.213:
	s_or_b64 exec, exec, s[38:39]
	v_lshrrev_b32_e32 v2, 24, v2
	s_movk_i32 s38, 0x80
	v_and_or_b32 v2, v2, s38, v3
	global_store_byte v[0:1], v2, off
.LBB119_214:
	s_mov_b64 s[38:39], 0
.LBB119_215:
	s_andn2_b64 vcc, exec, s[38:39]
	s_cbranch_vccnz .LBB119_225
; %bb.216:
	v_cvt_f32_i32_sdwa v2, sext(v4) dst_sel:DWORD dst_unused:UNUSED_PAD src0_sel:WORD_0
	s_mov_b32 s38, 0x47800000
                                        ; implicit-def: $vgpr3
	v_and_b32_e32 v5, 0x7fffffff, v2
	v_cmp_gt_u32_e32 vcc, s38, v5
	s_and_saveexec_b64 s[38:39], vcc
	s_xor_b64 s[38:39], exec, s[38:39]
	s_cbranch_execz .LBB119_222
; %bb.217:
	s_mov_b32 s46, 0x387fffff
	v_cmp_lt_u32_e32 vcc, s46, v5
                                        ; implicit-def: $vgpr3
	s_and_saveexec_b64 s[46:47], vcc
	s_xor_b64 s[46:47], exec, s[46:47]
; %bb.218:
	v_bfe_u32 v3, v2, 21, 1
	s_mov_b32 s50, 0x80fffff
	v_add3_u32 v3, v2, v3, s50
	v_lshrrev_b32_e32 v3, 21, v3
; %bb.219:
	s_andn2_saveexec_b64 s[46:47], s[46:47]
; %bb.220:
	s_mov_b32 s50, 0x43000000
	v_add_f32_e64 v3, |v2|, s50
; %bb.221:
	s_or_b64 exec, exec, s[46:47]
                                        ; implicit-def: $vgpr5
.LBB119_222:
	s_andn2_saveexec_b64 s[38:39], s[38:39]
; %bb.223:
	s_mov_b32 s46, 0x7f800000
	v_mov_b32_e32 v3, 0x7c
	v_mov_b32_e32 v6, 0x7f
	v_cmp_lt_u32_e32 vcc, s46, v5
	v_cndmask_b32_e32 v3, v3, v6, vcc
; %bb.224:
	s_or_b64 exec, exec, s[38:39]
	v_lshrrev_b32_e32 v2, 24, v2
	s_movk_i32 s38, 0x80
	v_and_or_b32 v2, v2, s38, v3
	global_store_byte v[0:1], v2, off
.LBB119_225:
	s_mov_b64 s[46:47], 0
	s_mov_b64 s[38:39], -1
.LBB119_226:
	s_andn2_b64 vcc, exec, s[46:47]
	s_cbranch_vccnz .LBB119_234
; %bb.227:
	s_cmp_gt_i32 s53, 14
	s_mov_b64 s[46:47], -1
	s_cbranch_scc0 .LBB119_231
; %bb.228:
	s_cmp_eq_u32 s53, 15
	s_mov_b64 s[0:1], -1
	s_cbranch_scc0 .LBB119_230
; %bb.229:
	v_cvt_f32_i32_sdwa v2, sext(v4) dst_sel:DWORD dst_unused:UNUSED_PAD src0_sel:WORD_0
	s_movk_i32 s0, 0x7fff
	s_mov_b64 s[38:39], -1
	v_bfe_u32 v3, v2, 16, 1
	v_add3_u32 v2, v2, v3, s0
	global_store_short_d16_hi v[0:1], v2, off
	s_mov_b64 s[0:1], 0
.LBB119_230:
	s_mov_b64 s[46:47], 0
.LBB119_231:
	s_and_b64 vcc, exec, s[46:47]
	s_cbranch_vccz .LBB119_234
; %bb.232:
	s_cmp_eq_u32 s53, 11
	s_mov_b64 s[0:1], -1
	s_cbranch_scc0 .LBB119_234
; %bb.233:
	v_cmp_ne_u16_e32 vcc, 0, v4
	v_cndmask_b32_e64 v2, 0, 1, vcc
	s_mov_b64 s[38:39], -1
	s_mov_b64 s[0:1], 0
	global_store_byte v[0:1], v2, off
.LBB119_234:
	s_mov_b64 s[46:47], 0
.LBB119_235:
	s_and_b64 vcc, exec, s[46:47]
	s_cbranch_vccz .LBB119_274
; %bb.236:
	s_and_b32 s46, 0xffff, s52
	s_cmp_lt_i32 s46, 5
	s_mov_b64 s[38:39], -1
	s_cbranch_scc1 .LBB119_257
; %bb.237:
	s_cmp_lt_i32 s46, 8
	s_cbranch_scc1 .LBB119_247
; %bb.238:
	s_cmp_lt_i32 s46, 9
	s_cbranch_scc1 .LBB119_244
; %bb.239:
	s_cmp_gt_i32 s46, 9
	s_cbranch_scc0 .LBB119_241
; %bb.240:
	v_bfe_i32 v2, v4, 0, 16
	v_cvt_f64_i32_e32 v[5:6], v2
	v_mov_b32_e32 v7, 0
	v_mov_b32_e32 v8, v7
	s_mov_b64 s[38:39], 0
	global_store_dwordx4 v[0:1], v[5:8], off
.LBB119_241:
	s_andn2_b64 vcc, exec, s[38:39]
	s_cbranch_vccnz .LBB119_243
; %bb.242:
	v_cvt_f32_i32_sdwa v2, sext(v4) dst_sel:DWORD dst_unused:UNUSED_PAD src0_sel:WORD_0
	v_mov_b32_e32 v3, 0
	global_store_dwordx2 v[0:1], v[2:3], off
.LBB119_243:
	s_mov_b64 s[38:39], 0
.LBB119_244:
	s_andn2_b64 vcc, exec, s[38:39]
	s_cbranch_vccnz .LBB119_246
; %bb.245:
	v_cvt_f16_i16_e32 v2, v4
	global_store_dword v[0:1], v2, off
.LBB119_246:
	s_mov_b64 s[38:39], 0
.LBB119_247:
	s_andn2_b64 vcc, exec, s[38:39]
	s_cbranch_vccnz .LBB119_256
; %bb.248:
	s_cmp_lt_i32 s46, 6
	s_mov_b64 s[38:39], -1
	s_cbranch_scc1 .LBB119_254
; %bb.249:
	s_cmp_gt_i32 s46, 6
	s_cbranch_scc0 .LBB119_251
; %bb.250:
	v_bfe_i32 v2, v4, 0, 16
	v_cvt_f64_i32_e32 v[2:3], v2
	s_mov_b64 s[38:39], 0
	global_store_dwordx2 v[0:1], v[2:3], off
.LBB119_251:
	s_andn2_b64 vcc, exec, s[38:39]
	s_cbranch_vccnz .LBB119_253
; %bb.252:
	v_cvt_f32_i32_sdwa v2, sext(v4) dst_sel:DWORD dst_unused:UNUSED_PAD src0_sel:WORD_0
	global_store_dword v[0:1], v2, off
.LBB119_253:
	s_mov_b64 s[38:39], 0
.LBB119_254:
	s_andn2_b64 vcc, exec, s[38:39]
	s_cbranch_vccnz .LBB119_256
; %bb.255:
	v_cvt_f16_i16_e32 v2, v4
	global_store_short v[0:1], v2, off
.LBB119_256:
	s_mov_b64 s[38:39], 0
.LBB119_257:
	s_andn2_b64 vcc, exec, s[38:39]
	s_cbranch_vccnz .LBB119_273
; %bb.258:
	s_cmp_lt_i32 s46, 2
	s_mov_b64 s[38:39], -1
	s_cbranch_scc1 .LBB119_268
; %bb.259:
	s_cmp_lt_i32 s46, 3
	s_cbranch_scc1 .LBB119_265
; %bb.260:
	s_cmp_gt_i32 s46, 3
	v_bfe_i32 v2, v4, 0, 16
	s_cbranch_scc0 .LBB119_262
; %bb.261:
	v_ashrrev_i32_e32 v3, 31, v2
	global_store_dwordx2 v[0:1], v[2:3], off
	s_mov_b64 s[38:39], 0
.LBB119_262:
	s_andn2_b64 vcc, exec, s[38:39]
	s_cbranch_vccnz .LBB119_264
; %bb.263:
	global_store_dword v[0:1], v2, off
.LBB119_264:
	s_mov_b64 s[38:39], 0
.LBB119_265:
	s_andn2_b64 vcc, exec, s[38:39]
	s_cbranch_vccnz .LBB119_267
; %bb.266:
	global_store_short v[0:1], v4, off
.LBB119_267:
	s_mov_b64 s[38:39], 0
.LBB119_268:
	s_andn2_b64 vcc, exec, s[38:39]
	s_cbranch_vccnz .LBB119_273
; %bb.269:
	s_cmp_gt_i32 s46, 0
	s_mov_b64 s[38:39], -1
	s_cbranch_scc0 .LBB119_271
; %bb.270:
	global_store_byte v[0:1], v4, off
	s_mov_b64 s[38:39], 0
.LBB119_271:
	s_andn2_b64 vcc, exec, s[38:39]
	s_cbranch_vccnz .LBB119_273
; %bb.272:
	global_store_byte v[0:1], v4, off
.LBB119_273:
	s_mov_b64 s[38:39], -1
.LBB119_274:
	s_andn2_b64 vcc, exec, s[38:39]
	s_cbranch_vccnz .LBB119_276
; %bb.275:
	v_add_u32_e32 v10, 0x80, v10
	s_mov_b64 s[46:47], -1
	s_branch .LBB119_385
.LBB119_276:
	s_mov_b64 s[46:47], 0
                                        ; implicit-def: $vgpr10
	s_branch .LBB119_385
.LBB119_277:
	s_mov_b64 s[40:41], -1
                                        ; implicit-def: $vgpr4
.LBB119_278:
	s_mov_b64 s[38:39], 0
.LBB119_279:
	s_and_b64 vcc, exec, s[38:39]
	s_cbranch_vccz .LBB119_283
; %bb.280:
	s_cmp_eq_u32 s47, 29
	s_cbranch_scc0 .LBB119_282
; %bb.281:
	global_load_dwordx2 v[4:5], v[2:3], off
	s_mov_b64 s[0:1], -1
	s_mov_b64 s[40:41], 0
	s_branch .LBB119_283
.LBB119_282:
	s_mov_b64 s[40:41], -1
                                        ; implicit-def: $vgpr4
.LBB119_283:
	s_mov_b64 s[38:39], 0
.LBB119_284:
	s_and_b64 vcc, exec, s[38:39]
	s_cbranch_vccz .LBB119_300
; %bb.285:
	s_cmp_lt_i32 s47, 27
	s_cbranch_scc1 .LBB119_288
; %bb.286:
	s_cmp_gt_i32 s47, 27
	s_cbranch_scc0 .LBB119_289
; %bb.287:
	global_load_dword v4, v[2:3], off
	s_mov_b64 s[0:1], 0
	s_branch .LBB119_290
.LBB119_288:
	s_mov_b64 s[0:1], -1
                                        ; implicit-def: $vgpr4
	s_branch .LBB119_293
.LBB119_289:
	s_mov_b64 s[0:1], -1
                                        ; implicit-def: $vgpr4
.LBB119_290:
	s_andn2_b64 vcc, exec, s[0:1]
	s_cbranch_vccnz .LBB119_292
; %bb.291:
	global_load_ushort v4, v[2:3], off
.LBB119_292:
	s_mov_b64 s[0:1], 0
.LBB119_293:
	s_andn2_b64 vcc, exec, s[0:1]
	s_cbranch_vccnz .LBB119_299
; %bb.294:
	global_load_ubyte v5, v[2:3], off
	s_movk_i32 s0, 0x7f
	s_mov_b64 s[38:39], 0
	s_waitcnt vmcnt(0)
	v_cmp_lt_i16_e32 vcc, s0, v5
	s_and_saveexec_b64 s[0:1], vcc
	s_xor_b64 s[0:1], exec, s[0:1]
	s_cbranch_execz .LBB119_311
; %bb.295:
	s_movk_i32 s38, 0x80
	v_cmp_ne_u16_e32 vcc, s38, v5
	s_and_b64 s[38:39], vcc, exec
	s_andn2_saveexec_b64 s[0:1], s[0:1]
	s_cbranch_execnz .LBB119_312
.LBB119_296:
	s_or_b64 exec, exec, s[0:1]
	v_mov_b32_e32 v4, 0
	s_and_saveexec_b64 s[0:1], s[38:39]
	s_cbranch_execz .LBB119_298
.LBB119_297:
	v_lshlrev_b32_e32 v4, 24, v5
	v_and_b32_e32 v5, 0xffff, v5
	v_and_b32_e32 v6, 7, v5
	v_ffbh_u32_e32 v8, v6
	v_min_u32_e32 v8, 32, v8
	v_subrev_u32_e32 v9, 28, v8
	v_bfe_u32 v7, v5, 3, 4
	v_lshlrev_b32_e32 v5, v9, v5
	v_sub_u32_e32 v8, 29, v8
	v_and_b32_e32 v5, 7, v5
	v_cmp_eq_u32_e32 vcc, 0, v7
	v_cndmask_b32_e32 v7, v7, v8, vcc
	v_cndmask_b32_e32 v5, v6, v5, vcc
	v_mov_b32_e32 v6, 0x3b800000
	v_lshlrev_b32_e32 v5, 20, v5
	v_and_b32_e32 v4, 0x80000000, v4
	v_lshl_add_u32 v6, v7, 23, v6
	v_or3_b32 v4, v4, v6, v5
	v_cvt_i32_f32_e32 v4, v4
.LBB119_298:
	s_or_b64 exec, exec, s[0:1]
.LBB119_299:
	s_mov_b64 s[0:1], -1
.LBB119_300:
	s_mov_b64 s[38:39], 0
.LBB119_301:
	s_and_b64 vcc, exec, s[38:39]
	s_cbranch_vccz .LBB119_334
; %bb.302:
	s_cmp_gt_i32 s47, 22
	s_cbranch_scc0 .LBB119_310
; %bb.303:
	s_cmp_lt_i32 s47, 24
	s_cbranch_scc1 .LBB119_313
; %bb.304:
	s_cmp_gt_i32 s47, 24
	s_cbranch_scc0 .LBB119_314
; %bb.305:
	global_load_ubyte v5, v[2:3], off
	s_movk_i32 s0, 0x7f
	s_mov_b64 s[38:39], 0
	s_waitcnt vmcnt(0)
	v_cmp_lt_i16_e32 vcc, s0, v5
	s_and_saveexec_b64 s[0:1], vcc
	s_xor_b64 s[0:1], exec, s[0:1]
	s_cbranch_execz .LBB119_326
; %bb.306:
	s_movk_i32 s38, 0x80
	v_cmp_ne_u16_e32 vcc, s38, v5
	s_and_b64 s[38:39], vcc, exec
	s_andn2_saveexec_b64 s[0:1], s[0:1]
	s_cbranch_execnz .LBB119_327
.LBB119_307:
	s_or_b64 exec, exec, s[0:1]
	v_mov_b32_e32 v4, 0
	s_and_saveexec_b64 s[0:1], s[38:39]
	s_cbranch_execz .LBB119_309
.LBB119_308:
	v_lshlrev_b32_e32 v4, 24, v5
	v_and_b32_e32 v5, 0xffff, v5
	v_and_b32_e32 v6, 3, v5
	v_ffbh_u32_e32 v8, v6
	v_min_u32_e32 v8, 32, v8
	v_subrev_u32_e32 v9, 29, v8
	v_bfe_u32 v7, v5, 2, 5
	v_lshlrev_b32_e32 v5, v9, v5
	v_sub_u32_e32 v8, 30, v8
	v_and_b32_e32 v5, 3, v5
	v_cmp_eq_u32_e32 vcc, 0, v7
	v_cndmask_b32_e32 v7, v7, v8, vcc
	v_cndmask_b32_e32 v5, v6, v5, vcc
	v_mov_b32_e32 v6, 0x37800000
	v_lshlrev_b32_e32 v5, 21, v5
	v_and_b32_e32 v4, 0x80000000, v4
	v_lshl_add_u32 v6, v7, 23, v6
	v_or3_b32 v4, v4, v6, v5
	v_cvt_i32_f32_e32 v4, v4
.LBB119_309:
	s_or_b64 exec, exec, s[0:1]
	s_mov_b64 s[0:1], 0
	s_branch .LBB119_315
.LBB119_310:
	s_mov_b64 s[38:39], -1
                                        ; implicit-def: $vgpr4
	s_branch .LBB119_321
.LBB119_311:
	s_andn2_saveexec_b64 s[0:1], s[0:1]
	s_cbranch_execz .LBB119_296
.LBB119_312:
	v_cmp_ne_u16_e32 vcc, 0, v5
	s_andn2_b64 s[38:39], s[38:39], exec
	s_and_b64 s[50:51], vcc, exec
	s_or_b64 s[38:39], s[38:39], s[50:51]
	s_or_b64 exec, exec, s[0:1]
	v_mov_b32_e32 v4, 0
	s_and_saveexec_b64 s[0:1], s[38:39]
	s_cbranch_execnz .LBB119_297
	s_branch .LBB119_298
.LBB119_313:
	s_mov_b64 s[0:1], -1
                                        ; implicit-def: $vgpr4
	s_branch .LBB119_318
.LBB119_314:
	s_mov_b64 s[0:1], -1
                                        ; implicit-def: $vgpr4
.LBB119_315:
	s_and_b64 vcc, exec, s[0:1]
	s_cbranch_vccz .LBB119_317
; %bb.316:
	global_load_ubyte v4, v[2:3], off
	s_mov_b32 s0, 0x7f800000
	s_waitcnt vmcnt(0)
	v_lshlrev_b32_e32 v4, 24, v4
	v_and_b32_e32 v5, 0x7f000000, v4
	v_ffbh_u32_e32 v6, v5
	v_min_u32_e32 v6, 32, v6
	v_sub_u32_e64 v6, v6, 4 clamp
	v_lshlrev_b32_e32 v8, v6, v5
	v_lshlrev_b32_e32 v6, 23, v6
	v_lshrrev_b32_e32 v8, 4, v8
	v_add_u32_e32 v7, 0x1000000, v5
	v_sub_u32_e32 v6, v8, v6
	v_ashrrev_i32_e32 v7, 8, v7
	v_add_u32_e32 v6, 0x3c000000, v6
	v_and_or_b32 v6, v7, s0, v6
	v_cmp_ne_u32_e32 vcc, 0, v5
	v_cndmask_b32_e32 v5, 0, v6, vcc
	s_brev_b32 s0, 1
	v_and_or_b32 v4, v4, s0, v5
	v_cvt_i32_f32_e32 v4, v4
.LBB119_317:
	s_mov_b64 s[0:1], 0
.LBB119_318:
	s_andn2_b64 vcc, exec, s[0:1]
	s_cbranch_vccnz .LBB119_320
; %bb.319:
	global_load_ubyte v4, v[2:3], off
	s_movk_i32 s0, 0x7f00
	s_brev_b32 s1, 16
	s_waitcnt vmcnt(0)
	v_lshlrev_b16_e32 v5, 8, v4
	v_lshlrev_b32_e32 v4, 25, v4
	v_lshrrev_b32_e32 v6, 4, v4
	v_and_or_b32 v7, v5, s0, 0.5
	v_or_b32_e32 v6, 0x70000000, v6
	v_add_f32_e32 v7, -0.5, v7
	v_mul_f32_e32 v6, 0x7800000, v6
	v_cmp_gt_u32_e32 vcc, s1, v4
	v_bfe_i32 v5, v5, 0, 16
	v_cndmask_b32_e32 v4, v6, v7, vcc
	s_brev_b32 s0, 1
	v_and_or_b32 v4, v5, s0, v4
	v_cvt_i32_f32_e32 v4, v4
.LBB119_320:
	s_mov_b64 s[38:39], 0
	s_mov_b64 s[0:1], -1
.LBB119_321:
	s_andn2_b64 vcc, exec, s[38:39]
	s_cbranch_vccnz .LBB119_334
; %bb.322:
	s_cmp_gt_i32 s47, 14
	s_cbranch_scc0 .LBB119_325
; %bb.323:
	s_cmp_eq_u32 s47, 15
	s_cbranch_scc0 .LBB119_328
; %bb.324:
	global_load_ushort v4, v[2:3], off
	s_mov_b64 s[0:1], -1
	s_mov_b64 s[40:41], 0
	s_waitcnt vmcnt(0)
	v_lshlrev_b32_e32 v4, 16, v4
	v_cvt_i32_f32_e32 v4, v4
	s_branch .LBB119_329
.LBB119_325:
	s_mov_b64 s[38:39], -1
                                        ; implicit-def: $vgpr4
	s_branch .LBB119_330
.LBB119_326:
	s_andn2_saveexec_b64 s[0:1], s[0:1]
	s_cbranch_execz .LBB119_307
.LBB119_327:
	v_cmp_ne_u16_e32 vcc, 0, v5
	s_andn2_b64 s[38:39], s[38:39], exec
	s_and_b64 s[50:51], vcc, exec
	s_or_b64 s[38:39], s[38:39], s[50:51]
	s_or_b64 exec, exec, s[0:1]
	v_mov_b32_e32 v4, 0
	s_and_saveexec_b64 s[0:1], s[38:39]
	s_cbranch_execnz .LBB119_308
	s_branch .LBB119_309
.LBB119_328:
	s_mov_b64 s[40:41], -1
                                        ; implicit-def: $vgpr4
.LBB119_329:
	s_mov_b64 s[38:39], 0
.LBB119_330:
	s_and_b64 vcc, exec, s[38:39]
	s_cbranch_vccz .LBB119_334
; %bb.331:
	s_cmp_eq_u32 s47, 11
	s_cbranch_scc0 .LBB119_333
; %bb.332:
	global_load_ubyte v4, v[2:3], off
	s_mov_b64 s[0:1], -1
	s_mov_b64 s[40:41], 0
	s_waitcnt vmcnt(0)
	v_cmp_ne_u16_e32 vcc, 0, v4
	v_cndmask_b32_e64 v4, 0, 1, vcc
	s_branch .LBB119_334
.LBB119_333:
	s_mov_b64 s[40:41], -1
                                        ; implicit-def: $vgpr4
.LBB119_334:
	s_branch .LBB119_31
.LBB119_335:
	s_and_b32 s38, 0xffff, s46
	s_cmp_lt_i32 s38, 5
	s_cbranch_scc1 .LBB119_340
; %bb.336:
	s_cmp_lt_i32 s38, 8
	s_cbranch_scc1 .LBB119_341
; %bb.337:
	;; [unrolled: 3-line block ×3, first 2 shown]
	s_cmp_gt_i32 s38, 9
	s_cbranch_scc0 .LBB119_343
; %bb.339:
	global_load_dwordx2 v[4:5], v[2:3], off
	s_mov_b64 s[0:1], 0
	s_waitcnt vmcnt(0)
	v_cvt_i32_f64_e32 v4, v[4:5]
	s_branch .LBB119_344
.LBB119_340:
	s_mov_b64 s[0:1], -1
                                        ; implicit-def: $vgpr4
	s_branch .LBB119_362
.LBB119_341:
	s_mov_b64 s[0:1], -1
                                        ; implicit-def: $vgpr4
	s_branch .LBB119_350
.LBB119_342:
	s_mov_b64 s[0:1], -1
                                        ; implicit-def: $vgpr4
	s_branch .LBB119_347
.LBB119_343:
	s_mov_b64 s[0:1], -1
                                        ; implicit-def: $vgpr4
.LBB119_344:
	s_andn2_b64 vcc, exec, s[0:1]
	s_cbranch_vccnz .LBB119_346
; %bb.345:
	global_load_dword v4, v[2:3], off
	s_waitcnt vmcnt(0)
	v_cvt_i32_f32_e32 v4, v4
.LBB119_346:
	s_mov_b64 s[0:1], 0
.LBB119_347:
	s_andn2_b64 vcc, exec, s[0:1]
	s_cbranch_vccnz .LBB119_349
; %bb.348:
	global_load_dword v4, v[2:3], off
	s_waitcnt vmcnt(0)
	v_cvt_i16_f16_e32 v4, v4
.LBB119_349:
	s_mov_b64 s[0:1], 0
.LBB119_350:
	s_andn2_b64 vcc, exec, s[0:1]
	s_cbranch_vccnz .LBB119_361
; %bb.351:
	s_cmp_lt_i32 s38, 6
	s_cbranch_scc1 .LBB119_354
; %bb.352:
	s_cmp_gt_i32 s38, 6
	s_cbranch_scc0 .LBB119_355
; %bb.353:
	global_load_dwordx2 v[4:5], v[2:3], off
	s_mov_b64 s[0:1], 0
	s_waitcnt vmcnt(0)
	v_cvt_i32_f64_e32 v4, v[4:5]
	s_branch .LBB119_356
.LBB119_354:
	s_mov_b64 s[0:1], -1
                                        ; implicit-def: $vgpr4
	s_branch .LBB119_359
.LBB119_355:
	s_mov_b64 s[0:1], -1
                                        ; implicit-def: $vgpr4
.LBB119_356:
	s_andn2_b64 vcc, exec, s[0:1]
	s_cbranch_vccnz .LBB119_358
; %bb.357:
	global_load_dword v4, v[2:3], off
	s_waitcnt vmcnt(0)
	v_cvt_i32_f32_e32 v4, v4
.LBB119_358:
	s_mov_b64 s[0:1], 0
.LBB119_359:
	s_andn2_b64 vcc, exec, s[0:1]
	s_cbranch_vccnz .LBB119_361
; %bb.360:
	global_load_ushort v4, v[2:3], off
	s_waitcnt vmcnt(0)
	v_cvt_i16_f16_e32 v4, v4
.LBB119_361:
	s_mov_b64 s[0:1], 0
.LBB119_362:
	s_andn2_b64 vcc, exec, s[0:1]
	s_cbranch_vccnz .LBB119_382
; %bb.363:
	s_cmp_lt_i32 s38, 2
	s_cbranch_scc1 .LBB119_367
; %bb.364:
	s_cmp_lt_i32 s38, 3
	s_cbranch_scc1 .LBB119_368
; %bb.365:
	s_cmp_gt_i32 s38, 3
	s_cbranch_scc0 .LBB119_369
; %bb.366:
	global_load_dwordx2 v[4:5], v[2:3], off
	s_mov_b64 s[0:1], 0
	s_branch .LBB119_370
.LBB119_367:
	s_mov_b64 s[0:1], -1
                                        ; implicit-def: $vgpr4
	s_branch .LBB119_376
.LBB119_368:
	s_mov_b64 s[0:1], -1
                                        ; implicit-def: $vgpr4
	s_branch .LBB119_373
.LBB119_369:
	s_mov_b64 s[0:1], -1
                                        ; implicit-def: $vgpr4
.LBB119_370:
	s_andn2_b64 vcc, exec, s[0:1]
	s_cbranch_vccnz .LBB119_372
; %bb.371:
	global_load_dword v4, v[2:3], off
.LBB119_372:
	s_mov_b64 s[0:1], 0
.LBB119_373:
	s_andn2_b64 vcc, exec, s[0:1]
	s_cbranch_vccnz .LBB119_375
; %bb.374:
	global_load_ushort v4, v[2:3], off
.LBB119_375:
	s_mov_b64 s[0:1], 0
.LBB119_376:
	s_andn2_b64 vcc, exec, s[0:1]
	s_cbranch_vccnz .LBB119_382
; %bb.377:
	s_cmp_gt_i32 s38, 0
	s_cbranch_scc0 .LBB119_379
; %bb.378:
	global_load_sbyte v4, v[2:3], off
	s_mov_b64 s[0:1], 0
	s_branch .LBB119_380
.LBB119_379:
	s_mov_b64 s[0:1], -1
                                        ; implicit-def: $vgpr4
.LBB119_380:
	s_andn2_b64 vcc, exec, s[0:1]
	s_cbranch_vccnz .LBB119_382
; %bb.381:
	global_load_ubyte v4, v[2:3], off
.LBB119_382:
	s_branch .LBB119_32
.LBB119_383:
	s_mov_b64 s[0:1], 0
.LBB119_384:
                                        ; implicit-def: $vgpr10
	s_mov_b64 s[46:47], 0
.LBB119_385:
	s_and_b64 s[38:39], s[0:1], exec
	s_and_b64 s[40:41], s[40:41], exec
	;; [unrolled: 1-line block ×3, first 2 shown]
	s_orn2_b64 s[0:1], s[46:47], exec
.LBB119_386:
	s_or_b64 exec, exec, s[44:45]
	s_mov_b64 s[52:53], 0
	s_mov_b64 s[50:51], 0
                                        ; implicit-def: $sgpr75
                                        ; implicit-def: $vgpr4_vgpr5
                                        ; implicit-def: $vgpr0
                                        ; implicit-def: $vgpr3
                                        ; implicit-def: $vgpr1
	s_and_saveexec_b64 s[44:45], s[0:1]
	s_cbranch_execz .LBB119_394
; %bb.387:
	v_cmp_gt_i32_e32 vcc, s68, v10
	s_mov_b64 s[0:1], -1
	s_mov_b64 s[46:47], s[42:43]
	s_mov_b64 s[48:49], s[40:41]
	;; [unrolled: 1-line block ×3, first 2 shown]
	s_and_saveexec_b64 s[52:53], vcc
	s_cbranch_execz .LBB119_779
; %bb.388:
	s_andn2_b64 vcc, exec, s[24:25]
	s_cbranch_vccnz .LBB119_397
; %bb.389:
	s_andn2_b64 vcc, exec, s[36:37]
	s_cbranch_vccnz .LBB119_398
; %bb.390:
	s_add_i32 s0, s74, 1
	s_and_b32 s46, s0, 30
	s_add_u32 s0, s2, 0xffffffe8
	s_addc_u32 s1, s3, -1
	v_mov_b32_e32 v3, 0
	s_waitcnt vmcnt(0)
	v_mov_b32_e32 v5, 0
	v_mov_b32_e32 v0, 0
	;; [unrolled: 1-line block ×3, first 2 shown]
.LBB119_391:                            ; =>This Inner Loop Header: Depth=1
	s_load_dwordx4 s[48:51], s[0:1], 0x1c
	s_load_dwordx2 s[54:55], s[0:1], 0x2c
	s_load_dwordx2 s[60:61], s[0:1], 0xec
	s_load_dwordx4 s[56:59], s[0:1], 0xdc
	s_add_u32 s0, s0, 24
	s_waitcnt lgkmcnt(0)
	v_mul_hi_u32 v2, s49, v1
	s_addc_u32 s1, s1, 0
	s_add_i32 s46, s46, -2
	s_cmp_eq_u32 s46, 0
	v_add_u32_e32 v2, v1, v2
	v_lshrrev_b32_e32 v2, s50, v2
	v_mul_lo_u32 v4, v2, s48
	v_mul_hi_u32 v6, s54, v2
	v_sub_u32_e32 v4, v1, v4
	v_add_u32_e32 v1, v2, v6
	v_lshrrev_b32_e32 v1, s55, v1
	v_mul_lo_u32 v8, v1, s51
	v_mul_lo_u32 v6, v4, s56
	;; [unrolled: 1-line block ×4, first 2 shown]
	v_sub_u32_e32 v2, v2, v8
	v_mul_lo_u32 v8, v2, s59
	v_mul_lo_u32 v9, v2, s60
	;; [unrolled: 1-line block ×3, first 2 shown]
	v_add3_u32 v0, v6, v0, v8
	v_add3_u32 v5, v7, v5, v9
	;; [unrolled: 1-line block ×3, first 2 shown]
	s_cbranch_scc0 .LBB119_391
; %bb.392:
	s_bitcmp1_b32 s74, 0
	s_cselect_b64 s[46:47], -1, 0
	s_and_b64 vcc, exec, s[46:47]
	s_cbranch_vccnz .LBB119_399
; %bb.393:
	s_load_dwordx2 s[46:47], s[0:1], 0x1c
	s_load_dword s50, s[0:1], 0x24
	s_load_dwordx2 s[48:49], s[0:1], 0xdc
	s_waitcnt lgkmcnt(0)
	v_mul_hi_u32 v2, s47, v1
	v_add_u32_e32 v2, v1, v2
	v_lshrrev_b32_e32 v2, s50, v2
	v_mul_lo_u32 v2, v2, s46
	s_load_dword s46, s[0:1], 0xe4
	v_sub_u32_e32 v2, v1, v2
	v_mad_u64_u32 v[0:1], s[0:1], v2, s48, v[0:1]
	v_mad_u64_u32 v[5:6], s[0:1], v2, s49, v[5:6]
	s_waitcnt lgkmcnt(0)
	v_mad_u64_u32 v[3:4], s[0:1], v2, s46, v[3:4]
	s_branch .LBB119_399
.LBB119_394:
	s_or_b64 exec, exec, s[44:45]
	s_mov_b64 s[10:11], 0
	s_and_saveexec_b64 s[0:1], s[42:43]
	s_cbranch_execnz .LBB119_1265
.LBB119_395:
	s_or_b64 exec, exec, s[0:1]
	s_and_saveexec_b64 s[0:1], s[48:49]
	s_xor_b64 s[0:1], exec, s[0:1]
	s_cbranch_execz .LBB119_1266
.LBB119_396:
	s_waitcnt vmcnt(0)
	global_load_ubyte v1, v[4:5], off
	s_or_b64 s[50:51], s[50:51], exec
	s_waitcnt vmcnt(0)
	v_cmp_ne_u16_e32 vcc, 0, v1
	v_cndmask_b32_e64 v1, 0, 1, vcc
	s_or_b64 exec, exec, s[0:1]
	s_and_saveexec_b64 s[0:1], s[52:53]
	s_cbranch_execz .LBB119_1312
	s_branch .LBB119_1267
.LBB119_397:
                                        ; implicit-def: $vgpr0
                                        ; implicit-def: $vgpr5
                                        ; implicit-def: $vgpr3
	s_andn2_b64 vcc, exec, s[0:1]
	s_cbranch_vccz .LBB119_400
	s_branch .LBB119_402
.LBB119_398:
	v_mov_b32_e32 v0, 0
	s_waitcnt vmcnt(0)
	v_mov_b32_e32 v5, 0
	v_mov_b32_e32 v3, 0
.LBB119_399:
	s_cbranch_execnz .LBB119_402
.LBB119_400:
	v_mul_hi_u32 v0, s17, v10
	s_andn2_b64 vcc, exec, s[34:35]
	v_add_u32_e32 v0, v10, v0
	s_waitcnt vmcnt(0)
	v_lshrrev_b32_e32 v1, s18, v0
	v_mul_lo_u32 v0, v1, s16
	v_sub_u32_e32 v2, v10, v0
	v_mul_lo_u32 v0, v2, s20
	v_mul_lo_u32 v5, v2, s21
	v_mul_lo_u32 v3, v2, s22
	s_cbranch_vccnz .LBB119_402
; %bb.401:
	v_mul_hi_u32 v2, s30, v1
	v_add_u32_e32 v2, v1, v2
	v_lshrrev_b32_e32 v2, s31, v2
	v_mul_lo_u32 v2, v2, s19
	v_sub_u32_e32 v2, v1, v2
	v_mad_u64_u32 v[0:1], s[0:1], v2, s23, v[0:1]
	v_mad_u64_u32 v[5:6], s[0:1], v2, s28, v[5:6]
	;; [unrolled: 1-line block ×3, first 2 shown]
.LBB119_402:
	s_waitcnt vmcnt(0)
	v_mov_b32_e32 v1, s11
	s_and_b32 s50, s73, 0xff
	v_add_co_u32_e32 v4, vcc, s10, v5
	s_cmp_lt_i32 s50, 11
	v_addc_co_u32_e32 v5, vcc, 0, v1, vcc
	s_cbranch_scc1 .LBB119_409
; %bb.403:
	s_and_b32 s51, 0xffff, s50
	s_cmp_gt_i32 s51, 25
	s_cbranch_scc0 .LBB119_418
; %bb.404:
	s_cmp_gt_i32 s51, 28
	s_cbranch_scc0 .LBB119_420
; %bb.405:
	;; [unrolled: 3-line block ×4, first 2 shown]
	s_cmp_eq_u32 s51, 46
	s_mov_b64 s[48:49], 0
	s_cbranch_scc0 .LBB119_428
; %bb.408:
	global_load_dword v1, v[4:5], off
	s_mov_b64 s[0:1], -1
	s_mov_b64 s[46:47], 0
	s_waitcnt vmcnt(0)
	v_lshlrev_b32_e32 v1, 16, v1
	v_cvt_i32_f32_e32 v1, v1
	s_branch .LBB119_429
.LBB119_409:
	s_mov_b64 s[0:1], 0
                                        ; implicit-def: $vgpr1
	s_mov_b64 s[46:47], s[42:43]
	s_cbranch_execnz .LBB119_491
.LBB119_410:
	s_andn2_b64 vcc, exec, s[0:1]
	s_cbranch_vccnz .LBB119_539
.LBB119_411:
	v_mov_b32_e32 v4, s13
	s_and_b32 s54, s72, 0xff
	s_waitcnt vmcnt(0)
	v_add_co_u32_e32 v2, vcc, s12, v3
	s_cmp_lt_i32 s54, 11
	v_addc_co_u32_e32 v3, vcc, 0, v4, vcc
	s_cbranch_scc1 .LBB119_419
; %bb.412:
	s_and_b32 s55, 0xffff, s54
	s_cmp_gt_i32 s55, 25
	s_cbranch_scc0 .LBB119_421
; %bb.413:
	s_cmp_gt_i32 s55, 28
	s_cbranch_scc0 .LBB119_423
; %bb.414:
	;; [unrolled: 3-line block ×4, first 2 shown]
	s_cmp_eq_u32 s55, 46
	s_mov_b64 s[50:51], 0
	s_cbranch_scc0 .LBB119_543
; %bb.417:
	global_load_dword v4, v[2:3], off
	s_mov_b64 s[0:1], -1
	s_mov_b64 s[48:49], 0
	s_waitcnt vmcnt(0)
	v_lshlrev_b32_e32 v4, 16, v4
	v_cvt_i32_f32_e32 v4, v4
	s_branch .LBB119_544
.LBB119_418:
	s_mov_b64 s[48:49], -1
	s_mov_b64 s[0:1], 0
	s_mov_b64 s[46:47], s[42:43]
                                        ; implicit-def: $vgpr1
	s_branch .LBB119_457
.LBB119_419:
	s_mov_b64 s[50:51], -1
	s_mov_b64 s[0:1], 0
                                        ; implicit-def: $vgpr4
	s_mov_b64 s[48:49], s[40:41]
	s_branch .LBB119_605
.LBB119_420:
	s_mov_b64 s[48:49], -1
	s_mov_b64 s[0:1], 0
	s_mov_b64 s[46:47], s[42:43]
                                        ; implicit-def: $vgpr1
	s_branch .LBB119_440
.LBB119_421:
	s_mov_b64 s[50:51], -1
	s_mov_b64 s[0:1], 0
	s_mov_b64 s[48:49], s[40:41]
                                        ; implicit-def: $vgpr4
	s_branch .LBB119_571
.LBB119_422:
	s_mov_b64 s[48:49], -1
	s_mov_b64 s[0:1], 0
	s_mov_b64 s[46:47], s[42:43]
                                        ; implicit-def: $vgpr1
	s_branch .LBB119_435
.LBB119_423:
	s_mov_b64 s[50:51], -1
	s_mov_b64 s[0:1], 0
	s_mov_b64 s[48:49], s[40:41]
                                        ; implicit-def: $vgpr4
	s_branch .LBB119_554
.LBB119_424:
	s_mov_b64 s[48:49], -1
	s_mov_b64 s[0:1], 0
	s_mov_b64 s[46:47], s[42:43]
                                        ; implicit-def: $vgpr1
	s_branch .LBB119_429
.LBB119_425:
	s_mov_b64 s[50:51], -1
	s_mov_b64 s[0:1], 0
	s_mov_b64 s[48:49], s[40:41]
                                        ; implicit-def: $vgpr4
	s_branch .LBB119_549
.LBB119_426:
	s_andn2_saveexec_b64 s[50:51], s[50:51]
	s_cbranch_execz .LBB119_187
.LBB119_427:
	s_mov_b32 s54, 0x46000000
	v_add_f32_e64 v3, |v2|, s54
	v_and_b32_e32 v3, 0xff, v3
	v_cmp_ne_u32_e32 vcc, 0, v3
	s_andn2_b64 s[46:47], s[46:47], exec
	s_and_b64 s[54:55], vcc, exec
	s_or_b64 s[46:47], s[46:47], s[54:55]
	s_or_b64 exec, exec, s[50:51]
	v_mov_b32_e32 v5, 0
	s_and_saveexec_b64 s[50:51], s[46:47]
	s_cbranch_execnz .LBB119_188
	s_branch .LBB119_189
.LBB119_428:
	s_mov_b64 s[46:47], -1
                                        ; implicit-def: $vgpr1
	s_mov_b64 s[0:1], 0
.LBB119_429:
	s_and_b64 vcc, exec, s[48:49]
	s_cbranch_vccz .LBB119_434
; %bb.430:
	s_cmp_eq_u32 s51, 44
	s_cbranch_scc0 .LBB119_433
; %bb.431:
	global_load_ubyte v1, v[4:5], off
	s_mov_b64 s[0:1], -1
	s_mov_b64 s[46:47], 0
	s_waitcnt vmcnt(0)
	v_lshlrev_b32_e32 v2, 23, v1
	v_cvt_i32_f32_e32 v2, v2
	v_cmp_ne_u32_e32 vcc, 0, v1
	v_cndmask_b32_e32 v1, 0, v2, vcc
	s_branch .LBB119_434
.LBB119_432:
	s_mov_b64 s[50:51], -1
	s_mov_b64 s[0:1], 0
	s_mov_b64 s[48:49], s[40:41]
                                        ; implicit-def: $vgpr4
	s_branch .LBB119_544
.LBB119_433:
	s_mov_b64 s[46:47], -1
                                        ; implicit-def: $vgpr1
.LBB119_434:
	s_mov_b64 s[48:49], 0
.LBB119_435:
	s_and_b64 vcc, exec, s[48:49]
	s_cbranch_vccz .LBB119_439
; %bb.436:
	s_cmp_eq_u32 s51, 29
	s_cbranch_scc0 .LBB119_438
; %bb.437:
	global_load_dwordx2 v[1:2], v[4:5], off
	s_mov_b64 s[0:1], -1
	s_mov_b64 s[46:47], 0
	s_branch .LBB119_439
.LBB119_438:
	s_mov_b64 s[46:47], -1
                                        ; implicit-def: $vgpr1
.LBB119_439:
	s_mov_b64 s[48:49], 0
.LBB119_440:
	s_and_b64 vcc, exec, s[48:49]
	s_cbranch_vccz .LBB119_456
; %bb.441:
	s_cmp_lt_i32 s51, 27
	s_cbranch_scc1 .LBB119_444
; %bb.442:
	s_cmp_gt_i32 s51, 27
	s_cbranch_scc0 .LBB119_445
; %bb.443:
	global_load_dword v1, v[4:5], off
	s_mov_b64 s[0:1], 0
	s_branch .LBB119_446
.LBB119_444:
	s_mov_b64 s[0:1], -1
                                        ; implicit-def: $vgpr1
	s_branch .LBB119_449
.LBB119_445:
	s_mov_b64 s[0:1], -1
                                        ; implicit-def: $vgpr1
.LBB119_446:
	s_andn2_b64 vcc, exec, s[0:1]
	s_cbranch_vccnz .LBB119_448
; %bb.447:
	global_load_ushort v1, v[4:5], off
.LBB119_448:
	s_mov_b64 s[0:1], 0
.LBB119_449:
	s_andn2_b64 vcc, exec, s[0:1]
	s_cbranch_vccnz .LBB119_455
; %bb.450:
	global_load_ubyte v2, v[4:5], off
	s_movk_i32 s0, 0x7f
	s_mov_b64 s[48:49], 0
	s_waitcnt vmcnt(0)
	v_cmp_lt_i16_e32 vcc, s0, v2
	s_and_saveexec_b64 s[0:1], vcc
	s_xor_b64 s[0:1], exec, s[0:1]
	s_cbranch_execz .LBB119_467
; %bb.451:
	s_movk_i32 s48, 0x80
	v_cmp_ne_u16_e32 vcc, s48, v2
	s_and_b64 s[48:49], vcc, exec
	s_andn2_saveexec_b64 s[0:1], s[0:1]
	s_cbranch_execnz .LBB119_468
.LBB119_452:
	s_or_b64 exec, exec, s[0:1]
	v_mov_b32_e32 v1, 0
	s_and_saveexec_b64 s[0:1], s[48:49]
	s_cbranch_execz .LBB119_454
.LBB119_453:
	v_lshlrev_b32_e32 v1, 24, v2
	v_and_b32_e32 v2, 0xffff, v2
	v_and_b32_e32 v6, 7, v2
	v_ffbh_u32_e32 v8, v6
	v_min_u32_e32 v8, 32, v8
	v_subrev_u32_e32 v9, 28, v8
	v_bfe_u32 v7, v2, 3, 4
	v_lshlrev_b32_e32 v2, v9, v2
	v_sub_u32_e32 v8, 29, v8
	v_and_b32_e32 v2, 7, v2
	v_cmp_eq_u32_e32 vcc, 0, v7
	v_cndmask_b32_e32 v7, v7, v8, vcc
	v_cndmask_b32_e32 v2, v6, v2, vcc
	v_mov_b32_e32 v6, 0x3b800000
	v_lshlrev_b32_e32 v2, 20, v2
	v_and_b32_e32 v1, 0x80000000, v1
	v_lshl_add_u32 v6, v7, 23, v6
	v_or3_b32 v1, v1, v6, v2
	v_cvt_i32_f32_e32 v1, v1
.LBB119_454:
	s_or_b64 exec, exec, s[0:1]
.LBB119_455:
	s_mov_b64 s[0:1], -1
.LBB119_456:
	s_mov_b64 s[48:49], 0
.LBB119_457:
	s_and_b64 vcc, exec, s[48:49]
	s_cbranch_vccz .LBB119_490
; %bb.458:
	s_cmp_gt_i32 s51, 22
	s_cbranch_scc0 .LBB119_466
; %bb.459:
	s_cmp_lt_i32 s51, 24
	s_cbranch_scc1 .LBB119_469
; %bb.460:
	s_cmp_gt_i32 s51, 24
	s_cbranch_scc0 .LBB119_470
; %bb.461:
	global_load_ubyte v2, v[4:5], off
	s_movk_i32 s0, 0x7f
	s_mov_b64 s[48:49], 0
	s_waitcnt vmcnt(0)
	v_cmp_lt_i16_e32 vcc, s0, v2
	s_and_saveexec_b64 s[0:1], vcc
	s_xor_b64 s[0:1], exec, s[0:1]
	s_cbranch_execz .LBB119_482
; %bb.462:
	s_movk_i32 s48, 0x80
	v_cmp_ne_u16_e32 vcc, s48, v2
	s_and_b64 s[48:49], vcc, exec
	s_andn2_saveexec_b64 s[0:1], s[0:1]
	s_cbranch_execnz .LBB119_483
.LBB119_463:
	s_or_b64 exec, exec, s[0:1]
	v_mov_b32_e32 v1, 0
	s_and_saveexec_b64 s[0:1], s[48:49]
	s_cbranch_execz .LBB119_465
.LBB119_464:
	v_lshlrev_b32_e32 v1, 24, v2
	v_and_b32_e32 v2, 0xffff, v2
	v_and_b32_e32 v6, 3, v2
	v_ffbh_u32_e32 v8, v6
	v_min_u32_e32 v8, 32, v8
	v_subrev_u32_e32 v9, 29, v8
	v_bfe_u32 v7, v2, 2, 5
	v_lshlrev_b32_e32 v2, v9, v2
	v_sub_u32_e32 v8, 30, v8
	v_and_b32_e32 v2, 3, v2
	v_cmp_eq_u32_e32 vcc, 0, v7
	v_cndmask_b32_e32 v7, v7, v8, vcc
	v_cndmask_b32_e32 v2, v6, v2, vcc
	v_mov_b32_e32 v6, 0x37800000
	v_lshlrev_b32_e32 v2, 21, v2
	v_and_b32_e32 v1, 0x80000000, v1
	v_lshl_add_u32 v6, v7, 23, v6
	v_or3_b32 v1, v1, v6, v2
	v_cvt_i32_f32_e32 v1, v1
.LBB119_465:
	s_or_b64 exec, exec, s[0:1]
	s_mov_b64 s[0:1], 0
	s_branch .LBB119_471
.LBB119_466:
	s_mov_b64 s[48:49], -1
                                        ; implicit-def: $vgpr1
	s_branch .LBB119_477
.LBB119_467:
	s_andn2_saveexec_b64 s[0:1], s[0:1]
	s_cbranch_execz .LBB119_452
.LBB119_468:
	v_cmp_ne_u16_e32 vcc, 0, v2
	s_andn2_b64 s[48:49], s[48:49], exec
	s_and_b64 s[54:55], vcc, exec
	s_or_b64 s[48:49], s[48:49], s[54:55]
	s_or_b64 exec, exec, s[0:1]
	v_mov_b32_e32 v1, 0
	s_and_saveexec_b64 s[0:1], s[48:49]
	s_cbranch_execnz .LBB119_453
	s_branch .LBB119_454
.LBB119_469:
	s_mov_b64 s[0:1], -1
                                        ; implicit-def: $vgpr1
	s_branch .LBB119_474
.LBB119_470:
	s_mov_b64 s[0:1], -1
                                        ; implicit-def: $vgpr1
.LBB119_471:
	s_and_b64 vcc, exec, s[0:1]
	s_cbranch_vccz .LBB119_473
; %bb.472:
	global_load_ubyte v1, v[4:5], off
	s_mov_b32 s0, 0x7f800000
	s_waitcnt vmcnt(0)
	v_lshlrev_b32_e32 v1, 24, v1
	v_and_b32_e32 v2, 0x7f000000, v1
	v_ffbh_u32_e32 v6, v2
	v_min_u32_e32 v6, 32, v6
	v_sub_u32_e64 v6, v6, 4 clamp
	v_lshlrev_b32_e32 v8, v6, v2
	v_lshlrev_b32_e32 v6, 23, v6
	v_lshrrev_b32_e32 v8, 4, v8
	v_add_u32_e32 v7, 0x1000000, v2
	v_sub_u32_e32 v6, v8, v6
	v_ashrrev_i32_e32 v7, 8, v7
	v_add_u32_e32 v6, 0x3c000000, v6
	v_and_or_b32 v6, v7, s0, v6
	v_cmp_ne_u32_e32 vcc, 0, v2
	v_cndmask_b32_e32 v2, 0, v6, vcc
	s_brev_b32 s0, 1
	v_and_or_b32 v1, v1, s0, v2
	v_cvt_i32_f32_e32 v1, v1
.LBB119_473:
	s_mov_b64 s[0:1], 0
.LBB119_474:
	s_andn2_b64 vcc, exec, s[0:1]
	s_cbranch_vccnz .LBB119_476
; %bb.475:
	global_load_ubyte v1, v[4:5], off
	s_movk_i32 s0, 0x7f00
	s_brev_b32 s1, 16
	s_waitcnt vmcnt(0)
	v_lshlrev_b16_e32 v2, 8, v1
	v_lshlrev_b32_e32 v1, 25, v1
	v_lshrrev_b32_e32 v6, 4, v1
	v_and_or_b32 v7, v2, s0, 0.5
	v_or_b32_e32 v6, 0x70000000, v6
	v_add_f32_e32 v7, -0.5, v7
	v_mul_f32_e32 v6, 0x7800000, v6
	v_cmp_gt_u32_e32 vcc, s1, v1
	v_bfe_i32 v2, v2, 0, 16
	v_cndmask_b32_e32 v1, v6, v7, vcc
	s_brev_b32 s0, 1
	v_and_or_b32 v1, v2, s0, v1
	v_cvt_i32_f32_e32 v1, v1
.LBB119_476:
	s_mov_b64 s[48:49], 0
	s_mov_b64 s[0:1], -1
.LBB119_477:
	s_andn2_b64 vcc, exec, s[48:49]
	s_cbranch_vccnz .LBB119_490
; %bb.478:
	s_cmp_gt_i32 s51, 14
	s_cbranch_scc0 .LBB119_481
; %bb.479:
	s_cmp_eq_u32 s51, 15
	s_cbranch_scc0 .LBB119_484
; %bb.480:
	global_load_ushort v1, v[4:5], off
	s_mov_b64 s[0:1], -1
	s_mov_b64 s[46:47], 0
	s_waitcnt vmcnt(0)
	v_lshlrev_b32_e32 v1, 16, v1
	v_cvt_i32_f32_e32 v1, v1
	s_branch .LBB119_485
.LBB119_481:
	s_mov_b64 s[48:49], -1
                                        ; implicit-def: $vgpr1
	s_branch .LBB119_486
.LBB119_482:
	s_andn2_saveexec_b64 s[0:1], s[0:1]
	s_cbranch_execz .LBB119_463
.LBB119_483:
	v_cmp_ne_u16_e32 vcc, 0, v2
	s_andn2_b64 s[48:49], s[48:49], exec
	s_and_b64 s[54:55], vcc, exec
	s_or_b64 s[48:49], s[48:49], s[54:55]
	s_or_b64 exec, exec, s[0:1]
	v_mov_b32_e32 v1, 0
	s_and_saveexec_b64 s[0:1], s[48:49]
	s_cbranch_execnz .LBB119_464
	s_branch .LBB119_465
.LBB119_484:
	s_mov_b64 s[46:47], -1
                                        ; implicit-def: $vgpr1
.LBB119_485:
	s_mov_b64 s[48:49], 0
.LBB119_486:
	s_and_b64 vcc, exec, s[48:49]
	s_cbranch_vccz .LBB119_490
; %bb.487:
	s_cmp_eq_u32 s51, 11
	s_cbranch_scc0 .LBB119_489
; %bb.488:
	global_load_ubyte v1, v[4:5], off
	s_mov_b64 s[0:1], -1
	s_mov_b64 s[46:47], 0
	s_waitcnt vmcnt(0)
	v_cmp_ne_u16_e32 vcc, 0, v1
	v_cndmask_b32_e64 v1, 0, 1, vcc
	s_branch .LBB119_490
.LBB119_489:
	s_mov_b64 s[46:47], -1
                                        ; implicit-def: $vgpr1
.LBB119_490:
	s_branch .LBB119_410
.LBB119_491:
	s_and_b32 s48, 0xffff, s50
	s_cmp_lt_i32 s48, 5
	s_cbranch_scc1 .LBB119_496
; %bb.492:
	s_cmp_lt_i32 s48, 8
	s_cbranch_scc1 .LBB119_497
; %bb.493:
	;; [unrolled: 3-line block ×3, first 2 shown]
	s_cmp_gt_i32 s48, 9
	s_cbranch_scc0 .LBB119_499
; %bb.495:
	global_load_dwordx2 v[1:2], v[4:5], off
	s_mov_b64 s[0:1], 0
	s_waitcnt vmcnt(0)
	v_cvt_i32_f64_e32 v1, v[1:2]
	s_branch .LBB119_500
.LBB119_496:
	s_mov_b64 s[0:1], -1
                                        ; implicit-def: $vgpr1
	s_branch .LBB119_518
.LBB119_497:
	s_mov_b64 s[0:1], -1
                                        ; implicit-def: $vgpr1
	s_branch .LBB119_506
.LBB119_498:
	s_mov_b64 s[0:1], -1
                                        ; implicit-def: $vgpr1
	s_branch .LBB119_503
.LBB119_499:
	s_mov_b64 s[0:1], -1
                                        ; implicit-def: $vgpr1
.LBB119_500:
	s_andn2_b64 vcc, exec, s[0:1]
	s_cbranch_vccnz .LBB119_502
; %bb.501:
	global_load_dword v1, v[4:5], off
	s_waitcnt vmcnt(0)
	v_cvt_i32_f32_e32 v1, v1
.LBB119_502:
	s_mov_b64 s[0:1], 0
.LBB119_503:
	s_andn2_b64 vcc, exec, s[0:1]
	s_cbranch_vccnz .LBB119_505
; %bb.504:
	global_load_dword v1, v[4:5], off
	s_waitcnt vmcnt(0)
	v_cvt_i16_f16_e32 v1, v1
.LBB119_505:
	s_mov_b64 s[0:1], 0
.LBB119_506:
	s_andn2_b64 vcc, exec, s[0:1]
	s_cbranch_vccnz .LBB119_517
; %bb.507:
	s_cmp_lt_i32 s48, 6
	s_cbranch_scc1 .LBB119_510
; %bb.508:
	s_cmp_gt_i32 s48, 6
	s_cbranch_scc0 .LBB119_511
; %bb.509:
	global_load_dwordx2 v[1:2], v[4:5], off
	s_mov_b64 s[0:1], 0
	s_waitcnt vmcnt(0)
	v_cvt_i32_f64_e32 v1, v[1:2]
	s_branch .LBB119_512
.LBB119_510:
	s_mov_b64 s[0:1], -1
                                        ; implicit-def: $vgpr1
	s_branch .LBB119_515
.LBB119_511:
	s_mov_b64 s[0:1], -1
                                        ; implicit-def: $vgpr1
.LBB119_512:
	s_andn2_b64 vcc, exec, s[0:1]
	s_cbranch_vccnz .LBB119_514
; %bb.513:
	global_load_dword v1, v[4:5], off
	s_waitcnt vmcnt(0)
	v_cvt_i32_f32_e32 v1, v1
.LBB119_514:
	s_mov_b64 s[0:1], 0
.LBB119_515:
	s_andn2_b64 vcc, exec, s[0:1]
	s_cbranch_vccnz .LBB119_517
; %bb.516:
	global_load_ushort v1, v[4:5], off
	s_waitcnt vmcnt(0)
	v_cvt_i16_f16_e32 v1, v1
.LBB119_517:
	s_mov_b64 s[0:1], 0
.LBB119_518:
	s_andn2_b64 vcc, exec, s[0:1]
	s_cbranch_vccnz .LBB119_538
; %bb.519:
	s_cmp_lt_i32 s48, 2
	s_cbranch_scc1 .LBB119_523
; %bb.520:
	s_cmp_lt_i32 s48, 3
	s_cbranch_scc1 .LBB119_524
; %bb.521:
	s_cmp_gt_i32 s48, 3
	s_cbranch_scc0 .LBB119_525
; %bb.522:
	global_load_dwordx2 v[1:2], v[4:5], off
	s_mov_b64 s[0:1], 0
	s_branch .LBB119_526
.LBB119_523:
	s_mov_b64 s[0:1], -1
                                        ; implicit-def: $vgpr1
	s_branch .LBB119_532
.LBB119_524:
	s_mov_b64 s[0:1], -1
                                        ; implicit-def: $vgpr1
	s_branch .LBB119_529
.LBB119_525:
	s_mov_b64 s[0:1], -1
                                        ; implicit-def: $vgpr1
.LBB119_526:
	s_andn2_b64 vcc, exec, s[0:1]
	s_cbranch_vccnz .LBB119_528
; %bb.527:
	global_load_dword v1, v[4:5], off
.LBB119_528:
	s_mov_b64 s[0:1], 0
.LBB119_529:
	s_andn2_b64 vcc, exec, s[0:1]
	s_cbranch_vccnz .LBB119_531
; %bb.530:
	global_load_ushort v1, v[4:5], off
.LBB119_531:
	s_mov_b64 s[0:1], 0
.LBB119_532:
	s_andn2_b64 vcc, exec, s[0:1]
	s_cbranch_vccnz .LBB119_538
; %bb.533:
	s_cmp_gt_i32 s48, 0
	s_cbranch_scc0 .LBB119_535
; %bb.534:
	global_load_sbyte v1, v[4:5], off
	s_mov_b64 s[0:1], 0
	s_branch .LBB119_536
.LBB119_535:
	s_mov_b64 s[0:1], -1
                                        ; implicit-def: $vgpr1
.LBB119_536:
	s_andn2_b64 vcc, exec, s[0:1]
	s_cbranch_vccnz .LBB119_538
; %bb.537:
	global_load_ubyte v1, v[4:5], off
.LBB119_538:
	s_branch .LBB119_411
.LBB119_539:
	s_mov_b64 s[54:55], 0
	s_mov_b64 s[0:1], s[38:39]
	;; [unrolled: 1-line block ×3, first 2 shown]
.LBB119_540:
                                        ; implicit-def: $vgpr10
	s_branch .LBB119_778
.LBB119_541:
	s_andn2_saveexec_b64 s[50:51], s[50:51]
	s_cbranch_execz .LBB119_200
.LBB119_542:
	s_mov_b32 s54, 0x42800000
	v_add_f32_e64 v3, |v2|, s54
	v_and_b32_e32 v3, 0xff, v3
	v_cmp_ne_u32_e32 vcc, 0, v3
	s_andn2_b64 s[46:47], s[46:47], exec
	s_and_b64 s[54:55], vcc, exec
	s_or_b64 s[46:47], s[46:47], s[54:55]
	s_or_b64 exec, exec, s[50:51]
	v_mov_b32_e32 v5, 0
	s_and_saveexec_b64 s[50:51], s[46:47]
	s_cbranch_execnz .LBB119_201
	s_branch .LBB119_202
.LBB119_543:
	s_mov_b64 s[48:49], -1
                                        ; implicit-def: $vgpr4
	s_mov_b64 s[0:1], 0
.LBB119_544:
	s_and_b64 vcc, exec, s[50:51]
	s_cbranch_vccz .LBB119_548
; %bb.545:
	s_cmp_eq_u32 s55, 44
	s_cbranch_scc0 .LBB119_547
; %bb.546:
	global_load_ubyte v4, v[2:3], off
	s_mov_b64 s[0:1], -1
	s_mov_b64 s[48:49], 0
	s_waitcnt vmcnt(0)
	v_lshlrev_b32_e32 v5, 23, v4
	v_cvt_i32_f32_e32 v5, v5
	v_cmp_ne_u32_e32 vcc, 0, v4
	v_cndmask_b32_e32 v4, 0, v5, vcc
	s_branch .LBB119_548
.LBB119_547:
	s_mov_b64 s[48:49], -1
                                        ; implicit-def: $vgpr4
.LBB119_548:
	s_mov_b64 s[50:51], 0
.LBB119_549:
	s_and_b64 vcc, exec, s[50:51]
	s_cbranch_vccz .LBB119_553
; %bb.550:
	s_cmp_eq_u32 s55, 29
	s_cbranch_scc0 .LBB119_552
; %bb.551:
	global_load_dwordx2 v[4:5], v[2:3], off
	s_mov_b64 s[0:1], -1
	s_mov_b64 s[48:49], 0
	s_branch .LBB119_553
.LBB119_552:
	s_mov_b64 s[48:49], -1
                                        ; implicit-def: $vgpr4
.LBB119_553:
	s_mov_b64 s[50:51], 0
.LBB119_554:
	s_and_b64 vcc, exec, s[50:51]
	s_cbranch_vccz .LBB119_570
; %bb.555:
	s_cmp_lt_i32 s55, 27
	s_cbranch_scc1 .LBB119_558
; %bb.556:
	s_cmp_gt_i32 s55, 27
	s_cbranch_scc0 .LBB119_559
; %bb.557:
	global_load_dword v4, v[2:3], off
	s_mov_b64 s[0:1], 0
	s_branch .LBB119_560
.LBB119_558:
	s_mov_b64 s[0:1], -1
                                        ; implicit-def: $vgpr4
	s_branch .LBB119_563
.LBB119_559:
	s_mov_b64 s[0:1], -1
                                        ; implicit-def: $vgpr4
.LBB119_560:
	s_andn2_b64 vcc, exec, s[0:1]
	s_cbranch_vccnz .LBB119_562
; %bb.561:
	global_load_ushort v4, v[2:3], off
.LBB119_562:
	s_mov_b64 s[0:1], 0
.LBB119_563:
	s_andn2_b64 vcc, exec, s[0:1]
	s_cbranch_vccnz .LBB119_569
; %bb.564:
	global_load_ubyte v5, v[2:3], off
	s_movk_i32 s0, 0x7f
	s_mov_b64 s[50:51], 0
	s_waitcnt vmcnt(0)
	v_cmp_lt_i16_e32 vcc, s0, v5
	s_and_saveexec_b64 s[0:1], vcc
	s_xor_b64 s[0:1], exec, s[0:1]
	s_cbranch_execz .LBB119_581
; %bb.565:
	s_movk_i32 s50, 0x80
	v_cmp_ne_u16_e32 vcc, s50, v5
	s_and_b64 s[50:51], vcc, exec
	s_andn2_saveexec_b64 s[0:1], s[0:1]
	s_cbranch_execnz .LBB119_582
.LBB119_566:
	s_or_b64 exec, exec, s[0:1]
	v_mov_b32_e32 v4, 0
	s_and_saveexec_b64 s[0:1], s[50:51]
	s_cbranch_execz .LBB119_568
.LBB119_567:
	v_lshlrev_b32_e32 v4, 24, v5
	v_and_b32_e32 v5, 0xffff, v5
	v_and_b32_e32 v6, 7, v5
	v_ffbh_u32_e32 v8, v6
	v_min_u32_e32 v8, 32, v8
	v_subrev_u32_e32 v9, 28, v8
	v_bfe_u32 v7, v5, 3, 4
	v_lshlrev_b32_e32 v5, v9, v5
	v_sub_u32_e32 v8, 29, v8
	v_and_b32_e32 v5, 7, v5
	v_cmp_eq_u32_e32 vcc, 0, v7
	v_cndmask_b32_e32 v7, v7, v8, vcc
	v_cndmask_b32_e32 v5, v6, v5, vcc
	v_mov_b32_e32 v6, 0x3b800000
	v_lshlrev_b32_e32 v5, 20, v5
	v_and_b32_e32 v4, 0x80000000, v4
	v_lshl_add_u32 v6, v7, 23, v6
	v_or3_b32 v4, v4, v6, v5
	v_cvt_i32_f32_e32 v4, v4
.LBB119_568:
	s_or_b64 exec, exec, s[0:1]
.LBB119_569:
	s_mov_b64 s[0:1], -1
.LBB119_570:
	s_mov_b64 s[50:51], 0
.LBB119_571:
	s_and_b64 vcc, exec, s[50:51]
	s_cbranch_vccz .LBB119_604
; %bb.572:
	s_cmp_gt_i32 s55, 22
	s_cbranch_scc0 .LBB119_580
; %bb.573:
	s_cmp_lt_i32 s55, 24
	s_cbranch_scc1 .LBB119_583
; %bb.574:
	s_cmp_gt_i32 s55, 24
	s_cbranch_scc0 .LBB119_584
; %bb.575:
	global_load_ubyte v5, v[2:3], off
	s_movk_i32 s0, 0x7f
	s_mov_b64 s[50:51], 0
	s_waitcnt vmcnt(0)
	v_cmp_lt_i16_e32 vcc, s0, v5
	s_and_saveexec_b64 s[0:1], vcc
	s_xor_b64 s[0:1], exec, s[0:1]
	s_cbranch_execz .LBB119_596
; %bb.576:
	s_movk_i32 s50, 0x80
	v_cmp_ne_u16_e32 vcc, s50, v5
	s_and_b64 s[50:51], vcc, exec
	s_andn2_saveexec_b64 s[0:1], s[0:1]
	s_cbranch_execnz .LBB119_597
.LBB119_577:
	s_or_b64 exec, exec, s[0:1]
	v_mov_b32_e32 v4, 0
	s_and_saveexec_b64 s[0:1], s[50:51]
	s_cbranch_execz .LBB119_579
.LBB119_578:
	v_lshlrev_b32_e32 v4, 24, v5
	v_and_b32_e32 v5, 0xffff, v5
	v_and_b32_e32 v6, 3, v5
	v_ffbh_u32_e32 v8, v6
	v_min_u32_e32 v8, 32, v8
	v_subrev_u32_e32 v9, 29, v8
	v_bfe_u32 v7, v5, 2, 5
	v_lshlrev_b32_e32 v5, v9, v5
	v_sub_u32_e32 v8, 30, v8
	v_and_b32_e32 v5, 3, v5
	v_cmp_eq_u32_e32 vcc, 0, v7
	v_cndmask_b32_e32 v7, v7, v8, vcc
	v_cndmask_b32_e32 v5, v6, v5, vcc
	v_mov_b32_e32 v6, 0x37800000
	v_lshlrev_b32_e32 v5, 21, v5
	v_and_b32_e32 v4, 0x80000000, v4
	v_lshl_add_u32 v6, v7, 23, v6
	v_or3_b32 v4, v4, v6, v5
	v_cvt_i32_f32_e32 v4, v4
.LBB119_579:
	s_or_b64 exec, exec, s[0:1]
	s_mov_b64 s[0:1], 0
	s_branch .LBB119_585
.LBB119_580:
	s_mov_b64 s[50:51], -1
                                        ; implicit-def: $vgpr4
	s_branch .LBB119_591
.LBB119_581:
	s_andn2_saveexec_b64 s[0:1], s[0:1]
	s_cbranch_execz .LBB119_566
.LBB119_582:
	v_cmp_ne_u16_e32 vcc, 0, v5
	s_andn2_b64 s[50:51], s[50:51], exec
	s_and_b64 s[56:57], vcc, exec
	s_or_b64 s[50:51], s[50:51], s[56:57]
	s_or_b64 exec, exec, s[0:1]
	v_mov_b32_e32 v4, 0
	s_and_saveexec_b64 s[0:1], s[50:51]
	s_cbranch_execnz .LBB119_567
	s_branch .LBB119_568
.LBB119_583:
	s_mov_b64 s[0:1], -1
                                        ; implicit-def: $vgpr4
	s_branch .LBB119_588
.LBB119_584:
	s_mov_b64 s[0:1], -1
                                        ; implicit-def: $vgpr4
.LBB119_585:
	s_and_b64 vcc, exec, s[0:1]
	s_cbranch_vccz .LBB119_587
; %bb.586:
	global_load_ubyte v4, v[2:3], off
	s_mov_b32 s0, 0x7f800000
	s_waitcnt vmcnt(0)
	v_lshlrev_b32_e32 v4, 24, v4
	v_and_b32_e32 v5, 0x7f000000, v4
	v_ffbh_u32_e32 v6, v5
	v_min_u32_e32 v6, 32, v6
	v_sub_u32_e64 v6, v6, 4 clamp
	v_lshlrev_b32_e32 v8, v6, v5
	v_lshlrev_b32_e32 v6, 23, v6
	v_lshrrev_b32_e32 v8, 4, v8
	v_add_u32_e32 v7, 0x1000000, v5
	v_sub_u32_e32 v6, v8, v6
	v_ashrrev_i32_e32 v7, 8, v7
	v_add_u32_e32 v6, 0x3c000000, v6
	v_and_or_b32 v6, v7, s0, v6
	v_cmp_ne_u32_e32 vcc, 0, v5
	v_cndmask_b32_e32 v5, 0, v6, vcc
	s_brev_b32 s0, 1
	v_and_or_b32 v4, v4, s0, v5
	v_cvt_i32_f32_e32 v4, v4
.LBB119_587:
	s_mov_b64 s[0:1], 0
.LBB119_588:
	s_andn2_b64 vcc, exec, s[0:1]
	s_cbranch_vccnz .LBB119_590
; %bb.589:
	global_load_ubyte v4, v[2:3], off
	s_movk_i32 s0, 0x7f00
	s_brev_b32 s1, 16
	s_waitcnt vmcnt(0)
	v_lshlrev_b16_e32 v5, 8, v4
	v_lshlrev_b32_e32 v4, 25, v4
	v_lshrrev_b32_e32 v6, 4, v4
	v_and_or_b32 v7, v5, s0, 0.5
	v_or_b32_e32 v6, 0x70000000, v6
	v_add_f32_e32 v7, -0.5, v7
	v_mul_f32_e32 v6, 0x7800000, v6
	v_cmp_gt_u32_e32 vcc, s1, v4
	v_bfe_i32 v5, v5, 0, 16
	v_cndmask_b32_e32 v4, v6, v7, vcc
	s_brev_b32 s0, 1
	v_and_or_b32 v4, v5, s0, v4
	v_cvt_i32_f32_e32 v4, v4
.LBB119_590:
	s_mov_b64 s[50:51], 0
	s_mov_b64 s[0:1], -1
.LBB119_591:
	s_andn2_b64 vcc, exec, s[50:51]
	s_cbranch_vccnz .LBB119_604
; %bb.592:
	s_cmp_gt_i32 s55, 14
	s_cbranch_scc0 .LBB119_595
; %bb.593:
	s_cmp_eq_u32 s55, 15
	s_cbranch_scc0 .LBB119_598
; %bb.594:
	global_load_ushort v4, v[2:3], off
	s_mov_b64 s[0:1], -1
	s_mov_b64 s[48:49], 0
	s_waitcnt vmcnt(0)
	v_lshlrev_b32_e32 v4, 16, v4
	v_cvt_i32_f32_e32 v4, v4
	s_branch .LBB119_599
.LBB119_595:
	s_mov_b64 s[50:51], -1
                                        ; implicit-def: $vgpr4
	s_branch .LBB119_600
.LBB119_596:
	s_andn2_saveexec_b64 s[0:1], s[0:1]
	s_cbranch_execz .LBB119_577
.LBB119_597:
	v_cmp_ne_u16_e32 vcc, 0, v5
	s_andn2_b64 s[50:51], s[50:51], exec
	s_and_b64 s[56:57], vcc, exec
	s_or_b64 s[50:51], s[50:51], s[56:57]
	s_or_b64 exec, exec, s[0:1]
	v_mov_b32_e32 v4, 0
	s_and_saveexec_b64 s[0:1], s[50:51]
	s_cbranch_execnz .LBB119_578
	s_branch .LBB119_579
.LBB119_598:
	s_mov_b64 s[48:49], -1
                                        ; implicit-def: $vgpr4
.LBB119_599:
	s_mov_b64 s[50:51], 0
.LBB119_600:
	s_and_b64 vcc, exec, s[50:51]
	s_cbranch_vccz .LBB119_604
; %bb.601:
	s_cmp_eq_u32 s55, 11
	s_cbranch_scc0 .LBB119_603
; %bb.602:
	global_load_ubyte v4, v[2:3], off
	s_mov_b64 s[0:1], -1
	s_mov_b64 s[48:49], 0
	s_waitcnt vmcnt(0)
	v_cmp_ne_u16_e32 vcc, 0, v4
	v_cndmask_b32_e64 v4, 0, 1, vcc
	s_branch .LBB119_604
.LBB119_603:
	s_mov_b64 s[48:49], -1
                                        ; implicit-def: $vgpr4
.LBB119_604:
	s_mov_b64 s[50:51], 0
.LBB119_605:
	s_and_b64 vcc, exec, s[50:51]
	s_cbranch_vccz .LBB119_654
; %bb.606:
	s_and_b32 s50, 0xffff, s54
	s_cmp_lt_i32 s50, 5
	s_cbranch_scc1 .LBB119_611
; %bb.607:
	s_cmp_lt_i32 s50, 8
	s_cbranch_scc1 .LBB119_612
; %bb.608:
	;; [unrolled: 3-line block ×3, first 2 shown]
	s_cmp_gt_i32 s50, 9
	s_cbranch_scc0 .LBB119_614
; %bb.610:
	global_load_dwordx2 v[4:5], v[2:3], off
	s_mov_b64 s[0:1], 0
	s_waitcnt vmcnt(0)
	v_cvt_i32_f64_e32 v4, v[4:5]
	s_branch .LBB119_615
.LBB119_611:
	s_mov_b64 s[0:1], -1
                                        ; implicit-def: $vgpr4
	s_branch .LBB119_633
.LBB119_612:
	s_mov_b64 s[0:1], -1
                                        ; implicit-def: $vgpr4
	s_branch .LBB119_621
.LBB119_613:
	s_mov_b64 s[0:1], -1
                                        ; implicit-def: $vgpr4
	s_branch .LBB119_618
.LBB119_614:
	s_mov_b64 s[0:1], -1
                                        ; implicit-def: $vgpr4
.LBB119_615:
	s_andn2_b64 vcc, exec, s[0:1]
	s_cbranch_vccnz .LBB119_617
; %bb.616:
	global_load_dword v4, v[2:3], off
	s_waitcnt vmcnt(0)
	v_cvt_i32_f32_e32 v4, v4
.LBB119_617:
	s_mov_b64 s[0:1], 0
.LBB119_618:
	s_andn2_b64 vcc, exec, s[0:1]
	s_cbranch_vccnz .LBB119_620
; %bb.619:
	global_load_dword v4, v[2:3], off
	s_waitcnt vmcnt(0)
	v_cvt_i16_f16_e32 v4, v4
.LBB119_620:
	s_mov_b64 s[0:1], 0
.LBB119_621:
	s_andn2_b64 vcc, exec, s[0:1]
	s_cbranch_vccnz .LBB119_632
; %bb.622:
	s_cmp_lt_i32 s50, 6
	s_cbranch_scc1 .LBB119_625
; %bb.623:
	s_cmp_gt_i32 s50, 6
	s_cbranch_scc0 .LBB119_626
; %bb.624:
	global_load_dwordx2 v[4:5], v[2:3], off
	s_mov_b64 s[0:1], 0
	s_waitcnt vmcnt(0)
	v_cvt_i32_f64_e32 v4, v[4:5]
	s_branch .LBB119_627
.LBB119_625:
	s_mov_b64 s[0:1], -1
                                        ; implicit-def: $vgpr4
	s_branch .LBB119_630
.LBB119_626:
	s_mov_b64 s[0:1], -1
                                        ; implicit-def: $vgpr4
.LBB119_627:
	s_andn2_b64 vcc, exec, s[0:1]
	s_cbranch_vccnz .LBB119_629
; %bb.628:
	global_load_dword v4, v[2:3], off
	s_waitcnt vmcnt(0)
	v_cvt_i32_f32_e32 v4, v4
.LBB119_629:
	s_mov_b64 s[0:1], 0
.LBB119_630:
	s_andn2_b64 vcc, exec, s[0:1]
	s_cbranch_vccnz .LBB119_632
; %bb.631:
	global_load_ushort v4, v[2:3], off
	s_waitcnt vmcnt(0)
	v_cvt_i16_f16_e32 v4, v4
.LBB119_632:
	s_mov_b64 s[0:1], 0
.LBB119_633:
	s_andn2_b64 vcc, exec, s[0:1]
	s_cbranch_vccnz .LBB119_653
; %bb.634:
	s_cmp_lt_i32 s50, 2
	s_cbranch_scc1 .LBB119_638
; %bb.635:
	s_cmp_lt_i32 s50, 3
	s_cbranch_scc1 .LBB119_639
; %bb.636:
	s_cmp_gt_i32 s50, 3
	s_cbranch_scc0 .LBB119_640
; %bb.637:
	global_load_dwordx2 v[4:5], v[2:3], off
	s_mov_b64 s[0:1], 0
	s_branch .LBB119_641
.LBB119_638:
	s_mov_b64 s[0:1], -1
                                        ; implicit-def: $vgpr4
	s_branch .LBB119_647
.LBB119_639:
	s_mov_b64 s[0:1], -1
                                        ; implicit-def: $vgpr4
	s_branch .LBB119_644
.LBB119_640:
	s_mov_b64 s[0:1], -1
                                        ; implicit-def: $vgpr4
.LBB119_641:
	s_andn2_b64 vcc, exec, s[0:1]
	s_cbranch_vccnz .LBB119_643
; %bb.642:
	global_load_dword v4, v[2:3], off
.LBB119_643:
	s_mov_b64 s[0:1], 0
.LBB119_644:
	s_andn2_b64 vcc, exec, s[0:1]
	s_cbranch_vccnz .LBB119_646
; %bb.645:
	global_load_ushort v4, v[2:3], off
.LBB119_646:
	s_mov_b64 s[0:1], 0
.LBB119_647:
	s_andn2_b64 vcc, exec, s[0:1]
	s_cbranch_vccnz .LBB119_653
; %bb.648:
	s_cmp_gt_i32 s50, 0
	s_cbranch_scc0 .LBB119_650
; %bb.649:
	global_load_sbyte v4, v[2:3], off
	s_mov_b64 s[0:1], 0
	s_branch .LBB119_651
.LBB119_650:
	s_mov_b64 s[0:1], -1
                                        ; implicit-def: $vgpr4
.LBB119_651:
	s_andn2_b64 vcc, exec, s[0:1]
	s_cbranch_vccnz .LBB119_653
; %bb.652:
	global_load_ubyte v4, v[2:3], off
.LBB119_653:
	s_mov_b64 s[0:1], -1
.LBB119_654:
	s_andn2_b64 vcc, exec, s[0:1]
	s_cbranch_vccnz .LBB119_662
; %bb.655:
	v_mov_b32_e32 v2, s71
	v_cmp_lt_i16_e32 vcc, s14, v1
	s_waitcnt vmcnt(0)
	v_cndmask_b32_e32 v4, v2, v4, vcc
	v_mov_b32_e32 v1, s9
	s_and_b32 s58, s15, 0xff
	v_add_co_u32_e32 v0, vcc, s8, v0
	s_cmp_lt_i32 s58, 11
	v_addc_co_u32_e32 v1, vcc, 0, v1, vcc
	s_cbranch_scc1 .LBB119_663
; %bb.656:
	s_and_b32 s59, 0xffff, s58
	s_cmp_gt_i32 s59, 25
	s_cbranch_scc0 .LBB119_664
; %bb.657:
	s_cmp_gt_i32 s59, 28
	s_cbranch_scc0 .LBB119_665
; %bb.658:
	;; [unrolled: 3-line block ×4, first 2 shown]
	s_mov_b64 s[54:55], 0
	s_mov_b64 s[0:1], -1
	s_cmp_eq_u32 s59, 46
	s_mov_b64 s[50:51], 0
	s_cbranch_scc0 .LBB119_668
; %bb.661:
	v_cvt_f32_i32_sdwa v2, sext(v4) dst_sel:DWORD dst_unused:UNUSED_PAD src0_sel:WORD_0
	s_movk_i32 s0, 0x7fff
	s_mov_b64 s[50:51], -1
	v_bfe_u32 v3, v2, 16, 1
	v_add3_u32 v2, v2, v3, s0
	v_lshrrev_b32_e32 v2, 16, v2
	global_store_dword v[0:1], v2, off
	s_mov_b64 s[0:1], 0
	s_branch .LBB119_668
.LBB119_662:
	s_mov_b64 s[54:55], 0
                                        ; implicit-def: $vgpr10
	s_mov_b64 s[0:1], s[38:39]
	s_branch .LBB119_778
.LBB119_663:
	s_mov_b64 s[54:55], -1
	s_mov_b64 s[50:51], 0
	s_mov_b64 s[0:1], s[38:39]
	s_branch .LBB119_737
.LBB119_664:
	s_mov_b64 s[54:55], -1
	s_mov_b64 s[50:51], 0
	s_mov_b64 s[0:1], s[38:39]
	s_branch .LBB119_695
.LBB119_665:
	s_mov_b64 s[54:55], -1
	s_mov_b64 s[50:51], 0
	s_mov_b64 s[0:1], s[38:39]
	s_branch .LBB119_678
.LBB119_666:
	s_mov_b64 s[54:55], -1
	s_mov_b64 s[50:51], 0
	s_mov_b64 s[0:1], s[38:39]
	s_branch .LBB119_674
.LBB119_667:
	s_mov_b64 s[54:55], -1
	s_mov_b64 s[50:51], 0
	s_mov_b64 s[0:1], s[38:39]
.LBB119_668:
	s_and_b64 vcc, exec, s[54:55]
	s_cbranch_vccz .LBB119_673
; %bb.669:
	s_cmp_eq_u32 s59, 44
	s_mov_b64 s[0:1], -1
	s_cbranch_scc0 .LBB119_673
; %bb.670:
	v_cvt_f32_i32_sdwa v2, sext(v4) dst_sel:DWORD dst_unused:UNUSED_PAD src0_sel:WORD_0
	s_movk_i32 s0, 0xff
	v_mov_b32_e32 v5, 0xff
	v_bfe_u32 v3, v2, 23, 8
	v_cmp_ne_u32_e32 vcc, s0, v3
	s_and_saveexec_b64 s[50:51], vcc
; %bb.671:
	s_mov_b32 s0, 0x3fffff
	v_lshrrev_b32_e32 v5, 23, v2
	v_and_b32_e32 v6, 0x400000, v2
	v_and_or_b32 v2, v2, s0, v3
	v_cmp_ne_u32_e32 vcc, 0, v6
	v_cmp_ne_u32_e64 s[0:1], 0, v2
	s_and_b64 s[0:1], vcc, s[0:1]
	v_cndmask_b32_e64 v2, 0, 1, s[0:1]
	v_add_u32_e32 v5, v5, v2
; %bb.672:
	s_or_b64 exec, exec, s[50:51]
	s_mov_b64 s[50:51], -1
	s_mov_b64 s[0:1], 0
	global_store_byte v[0:1], v5, off
.LBB119_673:
	s_mov_b64 s[54:55], 0
.LBB119_674:
	s_and_b64 vcc, exec, s[54:55]
	s_cbranch_vccz .LBB119_677
; %bb.675:
	s_cmp_eq_u32 s59, 29
	s_mov_b64 s[0:1], -1
	s_cbranch_scc0 .LBB119_677
; %bb.676:
	v_bfe_i32 v2, v4, 0, 16
	v_ashrrev_i32_e32 v3, 31, v2
	global_store_dwordx2 v[0:1], v[2:3], off
	s_mov_b64 s[50:51], -1
	s_mov_b64 s[0:1], 0
.LBB119_677:
	s_mov_b64 s[54:55], 0
.LBB119_678:
	s_and_b64 vcc, exec, s[54:55]
	s_cbranch_vccz .LBB119_694
; %bb.679:
	s_cmp_lt_i32 s59, 27
	s_mov_b64 s[50:51], -1
	s_cbranch_scc1 .LBB119_685
; %bb.680:
	s_cmp_gt_i32 s59, 27
	s_cbranch_scc0 .LBB119_682
; %bb.681:
	v_bfe_i32 v2, v4, 0, 16
	s_mov_b64 s[50:51], 0
	global_store_dword v[0:1], v2, off
.LBB119_682:
	s_andn2_b64 vcc, exec, s[50:51]
	s_cbranch_vccnz .LBB119_684
; %bb.683:
	global_store_short v[0:1], v4, off
.LBB119_684:
	s_mov_b64 s[50:51], 0
.LBB119_685:
	s_andn2_b64 vcc, exec, s[50:51]
	s_cbranch_vccnz .LBB119_693
; %bb.686:
	v_cvt_f32_i32_sdwa v2, sext(v4) dst_sel:DWORD dst_unused:UNUSED_PAD src0_sel:WORD_0
	s_mov_b32 s50, 0x43800000
	v_mov_b32_e32 v5, 0x80
	v_and_b32_e32 v3, 0x7fffffff, v2
	v_cmp_gt_u32_e32 vcc, s50, v3
	s_and_saveexec_b64 s[50:51], vcc
	s_cbranch_execz .LBB119_692
; %bb.687:
	s_mov_b32 s54, 0x3bffffff
	v_cmp_lt_u32_e32 vcc, s54, v3
	s_mov_b64 s[54:55], 0
                                        ; implicit-def: $vgpr3
	s_and_saveexec_b64 s[56:57], vcc
	s_xor_b64 s[56:57], exec, s[56:57]
	s_cbranch_execz .LBB119_806
; %bb.688:
	v_bfe_u32 v3, v2, 20, 1
	s_mov_b32 s60, 0x487ffff
	v_add3_u32 v3, v2, v3, s60
	s_mov_b64 s[54:55], exec
	v_lshrrev_b32_e32 v3, 20, v3
	s_andn2_saveexec_b64 s[56:57], s[56:57]
	s_cbranch_execnz .LBB119_807
.LBB119_689:
	s_or_b64 exec, exec, s[56:57]
	v_mov_b32_e32 v5, 0
	s_and_saveexec_b64 s[56:57], s[54:55]
.LBB119_690:
	v_lshrrev_b32_e32 v2, 24, v2
	s_movk_i32 s54, 0x80
	v_and_or_b32 v5, v2, s54, v3
.LBB119_691:
	s_or_b64 exec, exec, s[56:57]
.LBB119_692:
	s_or_b64 exec, exec, s[50:51]
	global_store_byte v[0:1], v5, off
.LBB119_693:
	s_mov_b64 s[50:51], -1
.LBB119_694:
	s_mov_b64 s[54:55], 0
.LBB119_695:
	s_and_b64 vcc, exec, s[54:55]
	s_cbranch_vccz .LBB119_736
; %bb.696:
	s_cmp_gt_i32 s59, 22
	s_mov_b64 s[54:55], -1
	s_cbranch_scc0 .LBB119_728
; %bb.697:
	s_cmp_lt_i32 s59, 24
	s_mov_b64 s[50:51], -1
	s_cbranch_scc1 .LBB119_717
; %bb.698:
	s_cmp_gt_i32 s59, 24
	s_cbranch_scc0 .LBB119_706
; %bb.699:
	v_cvt_f32_i32_sdwa v2, sext(v4) dst_sel:DWORD dst_unused:UNUSED_PAD src0_sel:WORD_0
	s_mov_b32 s50, 0x47800000
	v_mov_b32_e32 v5, 0x80
	v_and_b32_e32 v3, 0x7fffffff, v2
	v_cmp_gt_u32_e32 vcc, s50, v3
	s_and_saveexec_b64 s[50:51], vcc
	s_cbranch_execz .LBB119_705
; %bb.700:
	s_mov_b32 s54, 0x37ffffff
	v_cmp_lt_u32_e32 vcc, s54, v3
	s_mov_b64 s[54:55], 0
                                        ; implicit-def: $vgpr3
	s_and_saveexec_b64 s[56:57], vcc
	s_xor_b64 s[56:57], exec, s[56:57]
	s_cbranch_execz .LBB119_934
; %bb.701:
	v_bfe_u32 v3, v2, 21, 1
	s_mov_b32 s60, 0x88fffff
	v_add3_u32 v3, v2, v3, s60
	s_mov_b64 s[54:55], exec
	v_lshrrev_b32_e32 v3, 21, v3
	s_andn2_saveexec_b64 s[56:57], s[56:57]
	s_cbranch_execnz .LBB119_935
.LBB119_702:
	s_or_b64 exec, exec, s[56:57]
	v_mov_b32_e32 v5, 0
	s_and_saveexec_b64 s[56:57], s[54:55]
.LBB119_703:
	v_lshrrev_b32_e32 v2, 24, v2
	s_movk_i32 s54, 0x80
	v_and_or_b32 v5, v2, s54, v3
.LBB119_704:
	s_or_b64 exec, exec, s[56:57]
.LBB119_705:
	s_or_b64 exec, exec, s[50:51]
	s_mov_b64 s[50:51], 0
	global_store_byte v[0:1], v5, off
.LBB119_706:
	s_and_b64 vcc, exec, s[50:51]
	s_cbranch_vccz .LBB119_716
; %bb.707:
	v_cvt_f32_i32_sdwa v2, sext(v4) dst_sel:DWORD dst_unused:UNUSED_PAD src0_sel:WORD_0
	s_mov_b32 s50, 0x43f00000
                                        ; implicit-def: $vgpr3
	v_and_b32_e32 v5, 0x7fffffff, v2
	v_cmp_gt_u32_e32 vcc, s50, v5
	s_and_saveexec_b64 s[50:51], vcc
	s_xor_b64 s[50:51], exec, s[50:51]
	s_cbranch_execz .LBB119_713
; %bb.708:
	s_mov_b32 s54, 0x3c7fffff
	v_cmp_lt_u32_e32 vcc, s54, v5
                                        ; implicit-def: $vgpr3
	s_and_saveexec_b64 s[54:55], vcc
	s_xor_b64 s[54:55], exec, s[54:55]
; %bb.709:
	v_bfe_u32 v3, v2, 20, 1
	s_mov_b32 s56, 0x407ffff
	v_add3_u32 v3, v2, v3, s56
	v_lshrrev_b32_e32 v5, 20, v3
	v_and_b32_e32 v3, 0xff00000, v3
	s_mov_b32 s56, 0x7f00000
	v_mov_b32_e32 v6, 0x7e
	v_cmp_ne_u32_e32 vcc, s56, v3
	v_cndmask_b32_e32 v3, v6, v5, vcc
; %bb.710:
	s_andn2_saveexec_b64 s[54:55], s[54:55]
; %bb.711:
	s_mov_b32 s56, 0x46800000
	v_add_f32_e64 v3, |v2|, s56
; %bb.712:
	s_or_b64 exec, exec, s[54:55]
                                        ; implicit-def: $vgpr5
.LBB119_713:
	s_andn2_saveexec_b64 s[50:51], s[50:51]
; %bb.714:
	s_mov_b32 s54, 0x7f800000
	v_mov_b32_e32 v3, 0x7e
	v_mov_b32_e32 v6, 0x7f
	v_cmp_lt_u32_e32 vcc, s54, v5
	v_cndmask_b32_e32 v3, v3, v6, vcc
; %bb.715:
	s_or_b64 exec, exec, s[50:51]
	v_lshrrev_b32_e32 v2, 24, v2
	s_movk_i32 s50, 0x80
	v_and_or_b32 v2, v2, s50, v3
	global_store_byte v[0:1], v2, off
.LBB119_716:
	s_mov_b64 s[50:51], 0
.LBB119_717:
	s_andn2_b64 vcc, exec, s[50:51]
	s_cbranch_vccnz .LBB119_727
; %bb.718:
	v_cvt_f32_i32_sdwa v2, sext(v4) dst_sel:DWORD dst_unused:UNUSED_PAD src0_sel:WORD_0
	s_mov_b32 s50, 0x47800000
                                        ; implicit-def: $vgpr3
	v_and_b32_e32 v5, 0x7fffffff, v2
	v_cmp_gt_u32_e32 vcc, s50, v5
	s_and_saveexec_b64 s[50:51], vcc
	s_xor_b64 s[50:51], exec, s[50:51]
	s_cbranch_execz .LBB119_724
; %bb.719:
	s_mov_b32 s54, 0x387fffff
	v_cmp_lt_u32_e32 vcc, s54, v5
                                        ; implicit-def: $vgpr3
	s_and_saveexec_b64 s[54:55], vcc
	s_xor_b64 s[54:55], exec, s[54:55]
; %bb.720:
	v_bfe_u32 v3, v2, 21, 1
	s_mov_b32 s56, 0x80fffff
	v_add3_u32 v3, v2, v3, s56
	v_lshrrev_b32_e32 v3, 21, v3
; %bb.721:
	s_andn2_saveexec_b64 s[54:55], s[54:55]
; %bb.722:
	s_mov_b32 s56, 0x43000000
	v_add_f32_e64 v3, |v2|, s56
; %bb.723:
	s_or_b64 exec, exec, s[54:55]
                                        ; implicit-def: $vgpr5
.LBB119_724:
	s_andn2_saveexec_b64 s[50:51], s[50:51]
; %bb.725:
	s_mov_b32 s54, 0x7f800000
	v_mov_b32_e32 v3, 0x7c
	v_mov_b32_e32 v6, 0x7f
	v_cmp_lt_u32_e32 vcc, s54, v5
	v_cndmask_b32_e32 v3, v3, v6, vcc
; %bb.726:
	s_or_b64 exec, exec, s[50:51]
	v_lshrrev_b32_e32 v2, 24, v2
	s_movk_i32 s50, 0x80
	v_and_or_b32 v2, v2, s50, v3
	global_store_byte v[0:1], v2, off
.LBB119_727:
	s_mov_b64 s[54:55], 0
	s_mov_b64 s[50:51], -1
.LBB119_728:
	s_andn2_b64 vcc, exec, s[54:55]
	s_cbranch_vccnz .LBB119_736
; %bb.729:
	s_cmp_gt_i32 s59, 14
	s_mov_b64 s[54:55], -1
	s_cbranch_scc0 .LBB119_733
; %bb.730:
	s_cmp_eq_u32 s59, 15
	s_mov_b64 s[0:1], -1
	s_cbranch_scc0 .LBB119_732
; %bb.731:
	v_cvt_f32_i32_sdwa v2, sext(v4) dst_sel:DWORD dst_unused:UNUSED_PAD src0_sel:WORD_0
	s_movk_i32 s0, 0x7fff
	s_mov_b64 s[50:51], -1
	v_bfe_u32 v3, v2, 16, 1
	v_add3_u32 v2, v2, v3, s0
	global_store_short_d16_hi v[0:1], v2, off
	s_mov_b64 s[0:1], 0
.LBB119_732:
	s_mov_b64 s[54:55], 0
.LBB119_733:
	s_and_b64 vcc, exec, s[54:55]
	s_cbranch_vccz .LBB119_736
; %bb.734:
	s_cmp_eq_u32 s59, 11
	s_mov_b64 s[0:1], -1
	s_cbranch_scc0 .LBB119_736
; %bb.735:
	v_cmp_ne_u16_e32 vcc, 0, v4
	v_cndmask_b32_e64 v2, 0, 1, vcc
	s_mov_b64 s[50:51], -1
	s_mov_b64 s[0:1], 0
	global_store_byte v[0:1], v2, off
.LBB119_736:
	s_mov_b64 s[54:55], 0
.LBB119_737:
	s_and_b64 vcc, exec, s[54:55]
	s_cbranch_vccz .LBB119_776
; %bb.738:
	s_and_b32 s54, 0xffff, s58
	s_cmp_lt_i32 s54, 5
	s_mov_b64 s[50:51], -1
	s_cbranch_scc1 .LBB119_759
; %bb.739:
	s_cmp_lt_i32 s54, 8
	s_cbranch_scc1 .LBB119_749
; %bb.740:
	s_cmp_lt_i32 s54, 9
	s_cbranch_scc1 .LBB119_746
; %bb.741:
	s_cmp_gt_i32 s54, 9
	s_cbranch_scc0 .LBB119_743
; %bb.742:
	v_bfe_i32 v2, v4, 0, 16
	v_cvt_f64_i32_e32 v[5:6], v2
	v_mov_b32_e32 v7, 0
	v_mov_b32_e32 v8, v7
	s_mov_b64 s[50:51], 0
	global_store_dwordx4 v[0:1], v[5:8], off
.LBB119_743:
	s_andn2_b64 vcc, exec, s[50:51]
	s_cbranch_vccnz .LBB119_745
; %bb.744:
	v_cvt_f32_i32_sdwa v2, sext(v4) dst_sel:DWORD dst_unused:UNUSED_PAD src0_sel:WORD_0
	v_mov_b32_e32 v3, 0
	global_store_dwordx2 v[0:1], v[2:3], off
.LBB119_745:
	s_mov_b64 s[50:51], 0
.LBB119_746:
	s_andn2_b64 vcc, exec, s[50:51]
	s_cbranch_vccnz .LBB119_748
; %bb.747:
	v_cvt_f16_i16_e32 v2, v4
	global_store_dword v[0:1], v2, off
.LBB119_748:
	s_mov_b64 s[50:51], 0
.LBB119_749:
	s_andn2_b64 vcc, exec, s[50:51]
	s_cbranch_vccnz .LBB119_758
; %bb.750:
	s_cmp_lt_i32 s54, 6
	s_mov_b64 s[50:51], -1
	s_cbranch_scc1 .LBB119_756
; %bb.751:
	s_cmp_gt_i32 s54, 6
	s_cbranch_scc0 .LBB119_753
; %bb.752:
	v_bfe_i32 v2, v4, 0, 16
	v_cvt_f64_i32_e32 v[2:3], v2
	s_mov_b64 s[50:51], 0
	global_store_dwordx2 v[0:1], v[2:3], off
.LBB119_753:
	s_andn2_b64 vcc, exec, s[50:51]
	s_cbranch_vccnz .LBB119_755
; %bb.754:
	v_cvt_f32_i32_sdwa v2, sext(v4) dst_sel:DWORD dst_unused:UNUSED_PAD src0_sel:WORD_0
	global_store_dword v[0:1], v2, off
.LBB119_755:
	s_mov_b64 s[50:51], 0
.LBB119_756:
	s_andn2_b64 vcc, exec, s[50:51]
	s_cbranch_vccnz .LBB119_758
; %bb.757:
	v_cvt_f16_i16_e32 v2, v4
	global_store_short v[0:1], v2, off
.LBB119_758:
	s_mov_b64 s[50:51], 0
.LBB119_759:
	s_andn2_b64 vcc, exec, s[50:51]
	s_cbranch_vccnz .LBB119_775
; %bb.760:
	s_cmp_lt_i32 s54, 2
	s_mov_b64 s[50:51], -1
	s_cbranch_scc1 .LBB119_770
; %bb.761:
	s_cmp_lt_i32 s54, 3
	s_cbranch_scc1 .LBB119_767
; %bb.762:
	s_cmp_gt_i32 s54, 3
	v_bfe_i32 v2, v4, 0, 16
	s_cbranch_scc0 .LBB119_764
; %bb.763:
	v_ashrrev_i32_e32 v3, 31, v2
	s_mov_b64 s[50:51], 0
	global_store_dwordx2 v[0:1], v[2:3], off
.LBB119_764:
	s_andn2_b64 vcc, exec, s[50:51]
	s_cbranch_vccnz .LBB119_766
; %bb.765:
	global_store_dword v[0:1], v2, off
.LBB119_766:
	s_mov_b64 s[50:51], 0
.LBB119_767:
	s_andn2_b64 vcc, exec, s[50:51]
	s_cbranch_vccnz .LBB119_769
; %bb.768:
	global_store_short v[0:1], v4, off
.LBB119_769:
	s_mov_b64 s[50:51], 0
.LBB119_770:
	s_andn2_b64 vcc, exec, s[50:51]
	s_cbranch_vccnz .LBB119_775
; %bb.771:
	s_cmp_gt_i32 s54, 0
	s_mov_b64 s[50:51], -1
	s_cbranch_scc0 .LBB119_773
; %bb.772:
	s_mov_b64 s[50:51], 0
	global_store_byte v[0:1], v4, off
.LBB119_773:
	s_andn2_b64 vcc, exec, s[50:51]
	s_cbranch_vccnz .LBB119_775
; %bb.774:
	global_store_byte v[0:1], v4, off
.LBB119_775:
	s_mov_b64 s[50:51], -1
.LBB119_776:
	s_andn2_b64 vcc, exec, s[50:51]
	s_cbranch_vccnz .LBB119_788
; %bb.777:
	v_add_u32_e32 v10, 0x80, v10
	s_mov_b64 s[54:55], -1
.LBB119_778:
	s_andn2_b64 s[50:51], s[38:39], exec
	s_and_b64 s[0:1], s[0:1], exec
	s_or_b64 s[50:51], s[50:51], s[0:1]
	s_andn2_b64 s[0:1], s[40:41], exec
	s_and_b64 s[48:49], s[48:49], exec
	s_or_b64 s[48:49], s[0:1], s[48:49]
	;; [unrolled: 3-line block ×3, first 2 shown]
	s_orn2_b64 s[0:1], s[54:55], exec
.LBB119_779:
	s_or_b64 exec, exec, s[52:53]
	s_mov_b64 s[54:55], 0
	s_mov_b64 s[56:57], 0
	;; [unrolled: 1-line block ×3, first 2 shown]
                                        ; implicit-def: $sgpr75
                                        ; implicit-def: $vgpr4_vgpr5
                                        ; implicit-def: $vgpr0
                                        ; implicit-def: $vgpr3
                                        ; implicit-def: $vgpr1
	s_and_saveexec_b64 s[52:53], s[0:1]
	s_cbranch_execz .LBB119_1264
; %bb.780:
	v_cmp_gt_i32_e32 vcc, s68, v10
	s_mov_b64 s[66:67], -1
	s_mov_b64 s[0:1], s[46:47]
	s_mov_b64 s[58:59], s[48:49]
	s_mov_b64 s[60:61], s[50:51]
	s_and_saveexec_b64 s[54:55], vcc
	s_cbranch_execz .LBB119_1172
; %bb.781:
	s_andn2_b64 vcc, exec, s[24:25]
	s_cbranch_vccnz .LBB119_787
; %bb.782:
	s_andn2_b64 vcc, exec, s[36:37]
	s_cbranch_vccnz .LBB119_789
; %bb.783:
	s_add_i32 s0, s74, 1
	s_and_b32 s56, s0, 30
	s_add_u32 s0, s2, 0xffffffe8
	s_addc_u32 s1, s3, -1
	v_mov_b32_e32 v3, 0
	s_waitcnt vmcnt(0)
	v_mov_b32_e32 v5, 0
	v_mov_b32_e32 v0, 0
	;; [unrolled: 1-line block ×3, first 2 shown]
.LBB119_784:                            ; =>This Inner Loop Header: Depth=1
	s_load_dwordx4 s[60:63], s[0:1], 0x1c
	s_load_dwordx2 s[58:59], s[0:1], 0x2c
	s_load_dwordx2 s[76:77], s[0:1], 0xec
	s_load_dwordx4 s[64:67], s[0:1], 0xdc
	s_add_u32 s0, s0, 24
	s_waitcnt lgkmcnt(0)
	v_mul_hi_u32 v2, s61, v1
	s_addc_u32 s1, s1, 0
	s_add_i32 s56, s56, -2
	s_cmp_eq_u32 s56, 0
	v_add_u32_e32 v2, v1, v2
	v_lshrrev_b32_e32 v2, s62, v2
	v_mul_lo_u32 v4, v2, s60
	v_mul_hi_u32 v6, s58, v2
	v_sub_u32_e32 v4, v1, v4
	v_add_u32_e32 v1, v2, v6
	v_lshrrev_b32_e32 v1, s59, v1
	v_mul_lo_u32 v8, v1, s63
	v_mul_lo_u32 v6, v4, s64
	;; [unrolled: 1-line block ×4, first 2 shown]
	v_sub_u32_e32 v2, v2, v8
	v_mul_lo_u32 v8, v2, s67
	v_mul_lo_u32 v9, v2, s76
	;; [unrolled: 1-line block ×3, first 2 shown]
	v_add3_u32 v0, v6, v0, v8
	v_add3_u32 v5, v7, v5, v9
	v_add3_u32 v3, v4, v3, v2
	s_cbranch_scc0 .LBB119_784
; %bb.785:
	s_bitcmp1_b32 s74, 0
	s_cselect_b64 s[56:57], -1, 0
	s_and_b64 vcc, exec, s[56:57]
	s_cbranch_vccnz .LBB119_790
; %bb.786:
	s_load_dwordx2 s[56:57], s[0:1], 0x1c
	s_load_dword s60, s[0:1], 0x24
	s_load_dwordx2 s[58:59], s[0:1], 0xdc
	s_waitcnt lgkmcnt(0)
	v_mul_hi_u32 v2, s57, v1
	v_add_u32_e32 v2, v1, v2
	v_lshrrev_b32_e32 v2, s60, v2
	v_mul_lo_u32 v2, v2, s56
	s_load_dword s56, s[0:1], 0xe4
	v_sub_u32_e32 v2, v1, v2
	v_mad_u64_u32 v[0:1], s[0:1], v2, s58, v[0:1]
	v_mad_u64_u32 v[5:6], s[0:1], v2, s59, v[5:6]
	s_waitcnt lgkmcnt(0)
	v_mad_u64_u32 v[3:4], s[0:1], v2, s56, v[3:4]
	s_branch .LBB119_790
.LBB119_787:
	s_mov_b64 s[0:1], -1
                                        ; implicit-def: $vgpr0
                                        ; implicit-def: $vgpr5
                                        ; implicit-def: $vgpr3
	s_branch .LBB119_791
.LBB119_788:
	s_mov_b64 s[54:55], 0
	s_branch .LBB119_540
.LBB119_789:
	v_mov_b32_e32 v0, 0
	s_waitcnt vmcnt(0)
	v_mov_b32_e32 v5, 0
	v_mov_b32_e32 v3, 0
.LBB119_790:
	s_mov_b64 s[0:1], 0
.LBB119_791:
	s_andn2_b64 vcc, exec, s[0:1]
	s_cbranch_vccnz .LBB119_794
; %bb.792:
	v_mul_hi_u32 v0, s17, v10
	s_andn2_b64 vcc, exec, s[34:35]
	v_add_u32_e32 v0, v10, v0
	s_waitcnt vmcnt(0)
	v_lshrrev_b32_e32 v1, s18, v0
	v_mul_lo_u32 v0, v1, s16
	v_sub_u32_e32 v2, v10, v0
	v_mul_lo_u32 v0, v2, s20
	v_mul_lo_u32 v5, v2, s21
	;; [unrolled: 1-line block ×3, first 2 shown]
	s_cbranch_vccnz .LBB119_794
; %bb.793:
	v_mul_hi_u32 v2, s30, v1
	v_add_u32_e32 v2, v1, v2
	v_lshrrev_b32_e32 v2, s31, v2
	v_mul_lo_u32 v2, v2, s19
	v_sub_u32_e32 v2, v1, v2
	v_mad_u64_u32 v[0:1], s[0:1], v2, s23, v[0:1]
	v_mad_u64_u32 v[5:6], s[0:1], v2, s28, v[5:6]
	;; [unrolled: 1-line block ×3, first 2 shown]
.LBB119_794:
	s_waitcnt vmcnt(0)
	v_mov_b32_e32 v1, s11
	s_and_b32 s60, s73, 0xff
	v_add_co_u32_e32 v4, vcc, s10, v5
	s_cmp_lt_i32 s60, 11
	v_addc_co_u32_e32 v5, vcc, 0, v1, vcc
	s_cbranch_scc1 .LBB119_801
; %bb.795:
	s_and_b32 s61, 0xffff, s60
	s_cmp_gt_i32 s61, 25
	s_cbranch_scc0 .LBB119_802
; %bb.796:
	s_cmp_gt_i32 s61, 28
	s_cbranch_scc0 .LBB119_803
; %bb.797:
	;; [unrolled: 3-line block ×4, first 2 shown]
	s_cmp_eq_u32 s61, 46
	s_mov_b64 s[58:59], 0
	s_cbranch_scc0 .LBB119_808
; %bb.800:
	global_load_dword v1, v[4:5], off
	s_mov_b64 s[0:1], -1
	s_mov_b64 s[56:57], 0
	s_waitcnt vmcnt(0)
	v_lshlrev_b32_e32 v1, 16, v1
	v_cvt_i32_f32_e32 v1, v1
	s_branch .LBB119_809
.LBB119_801:
	s_mov_b64 s[58:59], -1
	s_mov_b64 s[0:1], 0
                                        ; implicit-def: $vgpr1
	s_mov_b64 s[56:57], s[46:47]
	s_branch .LBB119_870
.LBB119_802:
	s_mov_b64 s[58:59], -1
	s_mov_b64 s[0:1], 0
	s_mov_b64 s[56:57], s[46:47]
                                        ; implicit-def: $vgpr1
	s_branch .LBB119_836
.LBB119_803:
	s_mov_b64 s[58:59], -1
	s_mov_b64 s[0:1], 0
	s_mov_b64 s[56:57], s[46:47]
                                        ; implicit-def: $vgpr1
	s_branch .LBB119_819
.LBB119_804:
	s_mov_b64 s[58:59], -1
	s_mov_b64 s[0:1], 0
	s_mov_b64 s[56:57], s[46:47]
                                        ; implicit-def: $vgpr1
	s_branch .LBB119_814
.LBB119_805:
	s_mov_b64 s[58:59], -1
	s_mov_b64 s[0:1], 0
	s_mov_b64 s[56:57], s[46:47]
                                        ; implicit-def: $vgpr1
	s_branch .LBB119_809
.LBB119_806:
	s_andn2_saveexec_b64 s[56:57], s[56:57]
	s_cbranch_execz .LBB119_689
.LBB119_807:
	s_mov_b32 s60, 0x46000000
	v_add_f32_e64 v3, |v2|, s60
	v_and_b32_e32 v3, 0xff, v3
	v_cmp_ne_u32_e32 vcc, 0, v3
	s_andn2_b64 s[54:55], s[54:55], exec
	s_and_b64 s[60:61], vcc, exec
	s_or_b64 s[54:55], s[54:55], s[60:61]
	s_or_b64 exec, exec, s[56:57]
	v_mov_b32_e32 v5, 0
	s_and_saveexec_b64 s[56:57], s[54:55]
	s_cbranch_execnz .LBB119_690
	s_branch .LBB119_691
.LBB119_808:
	s_mov_b64 s[56:57], -1
                                        ; implicit-def: $vgpr1
	s_mov_b64 s[0:1], 0
.LBB119_809:
	s_and_b64 vcc, exec, s[58:59]
	s_cbranch_vccz .LBB119_813
; %bb.810:
	s_cmp_eq_u32 s61, 44
	s_cbranch_scc0 .LBB119_812
; %bb.811:
	global_load_ubyte v1, v[4:5], off
	s_mov_b64 s[0:1], -1
	s_mov_b64 s[56:57], 0
	s_waitcnt vmcnt(0)
	v_lshlrev_b32_e32 v2, 23, v1
	v_cvt_i32_f32_e32 v2, v2
	v_cmp_ne_u32_e32 vcc, 0, v1
	v_cndmask_b32_e32 v1, 0, v2, vcc
	s_branch .LBB119_813
.LBB119_812:
	s_mov_b64 s[56:57], -1
                                        ; implicit-def: $vgpr1
.LBB119_813:
	s_mov_b64 s[58:59], 0
.LBB119_814:
	s_and_b64 vcc, exec, s[58:59]
	s_cbranch_vccz .LBB119_818
; %bb.815:
	s_cmp_eq_u32 s61, 29
	s_cbranch_scc0 .LBB119_817
; %bb.816:
	global_load_dwordx2 v[1:2], v[4:5], off
	s_mov_b64 s[0:1], -1
	s_mov_b64 s[56:57], 0
	s_branch .LBB119_818
.LBB119_817:
	s_mov_b64 s[56:57], -1
                                        ; implicit-def: $vgpr1
.LBB119_818:
	s_mov_b64 s[58:59], 0
.LBB119_819:
	s_and_b64 vcc, exec, s[58:59]
	s_cbranch_vccz .LBB119_835
; %bb.820:
	s_cmp_lt_i32 s61, 27
	s_cbranch_scc1 .LBB119_823
; %bb.821:
	s_cmp_gt_i32 s61, 27
	s_cbranch_scc0 .LBB119_824
; %bb.822:
	global_load_dword v1, v[4:5], off
	s_mov_b64 s[0:1], 0
	s_branch .LBB119_825
.LBB119_823:
	s_mov_b64 s[0:1], -1
                                        ; implicit-def: $vgpr1
	s_branch .LBB119_828
.LBB119_824:
	s_mov_b64 s[0:1], -1
                                        ; implicit-def: $vgpr1
.LBB119_825:
	s_andn2_b64 vcc, exec, s[0:1]
	s_cbranch_vccnz .LBB119_827
; %bb.826:
	global_load_ushort v1, v[4:5], off
.LBB119_827:
	s_mov_b64 s[0:1], 0
.LBB119_828:
	s_andn2_b64 vcc, exec, s[0:1]
	s_cbranch_vccnz .LBB119_834
; %bb.829:
	global_load_ubyte v2, v[4:5], off
	s_movk_i32 s0, 0x7f
	s_mov_b64 s[58:59], 0
	s_waitcnt vmcnt(0)
	v_cmp_lt_i16_e32 vcc, s0, v2
	s_and_saveexec_b64 s[0:1], vcc
	s_xor_b64 s[0:1], exec, s[0:1]
	s_cbranch_execz .LBB119_846
; %bb.830:
	s_movk_i32 s58, 0x80
	v_cmp_ne_u16_e32 vcc, s58, v2
	s_and_b64 s[58:59], vcc, exec
	s_andn2_saveexec_b64 s[0:1], s[0:1]
	s_cbranch_execnz .LBB119_847
.LBB119_831:
	s_or_b64 exec, exec, s[0:1]
	v_mov_b32_e32 v1, 0
	s_and_saveexec_b64 s[0:1], s[58:59]
	s_cbranch_execz .LBB119_833
.LBB119_832:
	v_lshlrev_b32_e32 v1, 24, v2
	v_and_b32_e32 v2, 0xffff, v2
	v_and_b32_e32 v6, 7, v2
	v_ffbh_u32_e32 v8, v6
	v_min_u32_e32 v8, 32, v8
	v_subrev_u32_e32 v9, 28, v8
	v_bfe_u32 v7, v2, 3, 4
	v_lshlrev_b32_e32 v2, v9, v2
	v_sub_u32_e32 v8, 29, v8
	v_and_b32_e32 v2, 7, v2
	v_cmp_eq_u32_e32 vcc, 0, v7
	v_cndmask_b32_e32 v7, v7, v8, vcc
	v_cndmask_b32_e32 v2, v6, v2, vcc
	v_mov_b32_e32 v6, 0x3b800000
	v_lshlrev_b32_e32 v2, 20, v2
	v_and_b32_e32 v1, 0x80000000, v1
	v_lshl_add_u32 v6, v7, 23, v6
	v_or3_b32 v1, v1, v6, v2
	v_cvt_i32_f32_e32 v1, v1
.LBB119_833:
	s_or_b64 exec, exec, s[0:1]
.LBB119_834:
	s_mov_b64 s[0:1], -1
.LBB119_835:
	s_mov_b64 s[58:59], 0
.LBB119_836:
	s_and_b64 vcc, exec, s[58:59]
	s_cbranch_vccz .LBB119_869
; %bb.837:
	s_cmp_gt_i32 s61, 22
	s_cbranch_scc0 .LBB119_845
; %bb.838:
	s_cmp_lt_i32 s61, 24
	s_cbranch_scc1 .LBB119_848
; %bb.839:
	s_cmp_gt_i32 s61, 24
	s_cbranch_scc0 .LBB119_849
; %bb.840:
	global_load_ubyte v2, v[4:5], off
	s_movk_i32 s0, 0x7f
	s_mov_b64 s[58:59], 0
	s_waitcnt vmcnt(0)
	v_cmp_lt_i16_e32 vcc, s0, v2
	s_and_saveexec_b64 s[0:1], vcc
	s_xor_b64 s[0:1], exec, s[0:1]
	s_cbranch_execz .LBB119_861
; %bb.841:
	s_movk_i32 s58, 0x80
	v_cmp_ne_u16_e32 vcc, s58, v2
	s_and_b64 s[58:59], vcc, exec
	s_andn2_saveexec_b64 s[0:1], s[0:1]
	s_cbranch_execnz .LBB119_862
.LBB119_842:
	s_or_b64 exec, exec, s[0:1]
	v_mov_b32_e32 v1, 0
	s_and_saveexec_b64 s[0:1], s[58:59]
	s_cbranch_execz .LBB119_844
.LBB119_843:
	v_lshlrev_b32_e32 v1, 24, v2
	v_and_b32_e32 v2, 0xffff, v2
	v_and_b32_e32 v6, 3, v2
	v_ffbh_u32_e32 v8, v6
	v_min_u32_e32 v8, 32, v8
	v_subrev_u32_e32 v9, 29, v8
	v_bfe_u32 v7, v2, 2, 5
	v_lshlrev_b32_e32 v2, v9, v2
	v_sub_u32_e32 v8, 30, v8
	v_and_b32_e32 v2, 3, v2
	v_cmp_eq_u32_e32 vcc, 0, v7
	v_cndmask_b32_e32 v7, v7, v8, vcc
	v_cndmask_b32_e32 v2, v6, v2, vcc
	v_mov_b32_e32 v6, 0x37800000
	v_lshlrev_b32_e32 v2, 21, v2
	v_and_b32_e32 v1, 0x80000000, v1
	v_lshl_add_u32 v6, v7, 23, v6
	v_or3_b32 v1, v1, v6, v2
	v_cvt_i32_f32_e32 v1, v1
.LBB119_844:
	s_or_b64 exec, exec, s[0:1]
	s_mov_b64 s[0:1], 0
	s_branch .LBB119_850
.LBB119_845:
	s_mov_b64 s[58:59], -1
                                        ; implicit-def: $vgpr1
	s_branch .LBB119_856
.LBB119_846:
	s_andn2_saveexec_b64 s[0:1], s[0:1]
	s_cbranch_execz .LBB119_831
.LBB119_847:
	v_cmp_ne_u16_e32 vcc, 0, v2
	s_andn2_b64 s[58:59], s[58:59], exec
	s_and_b64 s[62:63], vcc, exec
	s_or_b64 s[58:59], s[58:59], s[62:63]
	s_or_b64 exec, exec, s[0:1]
	v_mov_b32_e32 v1, 0
	s_and_saveexec_b64 s[0:1], s[58:59]
	s_cbranch_execnz .LBB119_832
	s_branch .LBB119_833
.LBB119_848:
	s_mov_b64 s[0:1], -1
                                        ; implicit-def: $vgpr1
	s_branch .LBB119_853
.LBB119_849:
	s_mov_b64 s[0:1], -1
                                        ; implicit-def: $vgpr1
.LBB119_850:
	s_and_b64 vcc, exec, s[0:1]
	s_cbranch_vccz .LBB119_852
; %bb.851:
	global_load_ubyte v1, v[4:5], off
	s_mov_b32 s0, 0x7f800000
	s_waitcnt vmcnt(0)
	v_lshlrev_b32_e32 v1, 24, v1
	v_and_b32_e32 v2, 0x7f000000, v1
	v_ffbh_u32_e32 v6, v2
	v_min_u32_e32 v6, 32, v6
	v_sub_u32_e64 v6, v6, 4 clamp
	v_lshlrev_b32_e32 v8, v6, v2
	v_lshlrev_b32_e32 v6, 23, v6
	v_lshrrev_b32_e32 v8, 4, v8
	v_add_u32_e32 v7, 0x1000000, v2
	v_sub_u32_e32 v6, v8, v6
	v_ashrrev_i32_e32 v7, 8, v7
	v_add_u32_e32 v6, 0x3c000000, v6
	v_and_or_b32 v6, v7, s0, v6
	v_cmp_ne_u32_e32 vcc, 0, v2
	v_cndmask_b32_e32 v2, 0, v6, vcc
	s_brev_b32 s0, 1
	v_and_or_b32 v1, v1, s0, v2
	v_cvt_i32_f32_e32 v1, v1
.LBB119_852:
	s_mov_b64 s[0:1], 0
.LBB119_853:
	s_andn2_b64 vcc, exec, s[0:1]
	s_cbranch_vccnz .LBB119_855
; %bb.854:
	global_load_ubyte v1, v[4:5], off
	s_movk_i32 s0, 0x7f00
	s_brev_b32 s1, 16
	s_waitcnt vmcnt(0)
	v_lshlrev_b16_e32 v2, 8, v1
	v_lshlrev_b32_e32 v1, 25, v1
	v_lshrrev_b32_e32 v6, 4, v1
	v_and_or_b32 v7, v2, s0, 0.5
	v_or_b32_e32 v6, 0x70000000, v6
	v_add_f32_e32 v7, -0.5, v7
	v_mul_f32_e32 v6, 0x7800000, v6
	v_cmp_gt_u32_e32 vcc, s1, v1
	v_bfe_i32 v2, v2, 0, 16
	v_cndmask_b32_e32 v1, v6, v7, vcc
	s_brev_b32 s0, 1
	v_and_or_b32 v1, v2, s0, v1
	v_cvt_i32_f32_e32 v1, v1
.LBB119_855:
	s_mov_b64 s[58:59], 0
	s_mov_b64 s[0:1], -1
.LBB119_856:
	s_andn2_b64 vcc, exec, s[58:59]
	s_cbranch_vccnz .LBB119_869
; %bb.857:
	s_cmp_gt_i32 s61, 14
	s_cbranch_scc0 .LBB119_860
; %bb.858:
	s_cmp_eq_u32 s61, 15
	s_cbranch_scc0 .LBB119_863
; %bb.859:
	global_load_ushort v1, v[4:5], off
	s_mov_b64 s[0:1], -1
	s_mov_b64 s[56:57], 0
	s_waitcnt vmcnt(0)
	v_lshlrev_b32_e32 v1, 16, v1
	v_cvt_i32_f32_e32 v1, v1
	s_branch .LBB119_864
.LBB119_860:
	s_mov_b64 s[58:59], -1
                                        ; implicit-def: $vgpr1
	s_branch .LBB119_865
.LBB119_861:
	s_andn2_saveexec_b64 s[0:1], s[0:1]
	s_cbranch_execz .LBB119_842
.LBB119_862:
	v_cmp_ne_u16_e32 vcc, 0, v2
	s_andn2_b64 s[58:59], s[58:59], exec
	s_and_b64 s[62:63], vcc, exec
	s_or_b64 s[58:59], s[58:59], s[62:63]
	s_or_b64 exec, exec, s[0:1]
	v_mov_b32_e32 v1, 0
	s_and_saveexec_b64 s[0:1], s[58:59]
	s_cbranch_execnz .LBB119_843
	s_branch .LBB119_844
.LBB119_863:
	s_mov_b64 s[56:57], -1
                                        ; implicit-def: $vgpr1
.LBB119_864:
	s_mov_b64 s[58:59], 0
.LBB119_865:
	s_and_b64 vcc, exec, s[58:59]
	s_cbranch_vccz .LBB119_869
; %bb.866:
	s_cmp_eq_u32 s61, 11
	s_cbranch_scc0 .LBB119_868
; %bb.867:
	global_load_ubyte v1, v[4:5], off
	s_mov_b64 s[0:1], -1
	s_mov_b64 s[56:57], 0
	s_waitcnt vmcnt(0)
	v_cmp_ne_u16_e32 vcc, 0, v1
	v_cndmask_b32_e64 v1, 0, 1, vcc
	s_branch .LBB119_869
.LBB119_868:
	s_mov_b64 s[56:57], -1
                                        ; implicit-def: $vgpr1
.LBB119_869:
	s_mov_b64 s[58:59], 0
.LBB119_870:
	s_and_b64 vcc, exec, s[58:59]
	s_cbranch_vccz .LBB119_919
; %bb.871:
	s_and_b32 s58, 0xffff, s60
	s_cmp_lt_i32 s58, 5
	s_cbranch_scc1 .LBB119_876
; %bb.872:
	s_cmp_lt_i32 s58, 8
	s_cbranch_scc1 .LBB119_877
; %bb.873:
	;; [unrolled: 3-line block ×3, first 2 shown]
	s_cmp_gt_i32 s58, 9
	s_cbranch_scc0 .LBB119_879
; %bb.875:
	global_load_dwordx2 v[1:2], v[4:5], off
	s_mov_b64 s[0:1], 0
	s_waitcnt vmcnt(0)
	v_cvt_i32_f64_e32 v1, v[1:2]
	s_branch .LBB119_880
.LBB119_876:
	s_mov_b64 s[0:1], -1
                                        ; implicit-def: $vgpr1
	s_branch .LBB119_898
.LBB119_877:
	s_mov_b64 s[0:1], -1
                                        ; implicit-def: $vgpr1
	s_branch .LBB119_886
.LBB119_878:
	s_mov_b64 s[0:1], -1
                                        ; implicit-def: $vgpr1
	s_branch .LBB119_883
.LBB119_879:
	s_mov_b64 s[0:1], -1
                                        ; implicit-def: $vgpr1
.LBB119_880:
	s_andn2_b64 vcc, exec, s[0:1]
	s_cbranch_vccnz .LBB119_882
; %bb.881:
	global_load_dword v1, v[4:5], off
	s_waitcnt vmcnt(0)
	v_cvt_i32_f32_e32 v1, v1
.LBB119_882:
	s_mov_b64 s[0:1], 0
.LBB119_883:
	s_andn2_b64 vcc, exec, s[0:1]
	s_cbranch_vccnz .LBB119_885
; %bb.884:
	global_load_dword v1, v[4:5], off
	s_waitcnt vmcnt(0)
	v_cvt_i16_f16_e32 v1, v1
.LBB119_885:
	s_mov_b64 s[0:1], 0
.LBB119_886:
	s_andn2_b64 vcc, exec, s[0:1]
	s_cbranch_vccnz .LBB119_897
; %bb.887:
	s_cmp_lt_i32 s58, 6
	s_cbranch_scc1 .LBB119_890
; %bb.888:
	s_cmp_gt_i32 s58, 6
	s_cbranch_scc0 .LBB119_891
; %bb.889:
	global_load_dwordx2 v[1:2], v[4:5], off
	s_mov_b64 s[0:1], 0
	s_waitcnt vmcnt(0)
	v_cvt_i32_f64_e32 v1, v[1:2]
	s_branch .LBB119_892
.LBB119_890:
	s_mov_b64 s[0:1], -1
                                        ; implicit-def: $vgpr1
	s_branch .LBB119_895
.LBB119_891:
	s_mov_b64 s[0:1], -1
                                        ; implicit-def: $vgpr1
.LBB119_892:
	s_andn2_b64 vcc, exec, s[0:1]
	s_cbranch_vccnz .LBB119_894
; %bb.893:
	global_load_dword v1, v[4:5], off
	s_waitcnt vmcnt(0)
	v_cvt_i32_f32_e32 v1, v1
.LBB119_894:
	s_mov_b64 s[0:1], 0
.LBB119_895:
	s_andn2_b64 vcc, exec, s[0:1]
	s_cbranch_vccnz .LBB119_897
; %bb.896:
	global_load_ushort v1, v[4:5], off
	s_waitcnt vmcnt(0)
	v_cvt_i16_f16_e32 v1, v1
.LBB119_897:
	s_mov_b64 s[0:1], 0
.LBB119_898:
	s_andn2_b64 vcc, exec, s[0:1]
	s_cbranch_vccnz .LBB119_918
; %bb.899:
	s_cmp_lt_i32 s58, 2
	s_cbranch_scc1 .LBB119_903
; %bb.900:
	s_cmp_lt_i32 s58, 3
	s_cbranch_scc1 .LBB119_904
; %bb.901:
	s_cmp_gt_i32 s58, 3
	s_cbranch_scc0 .LBB119_905
; %bb.902:
	global_load_dwordx2 v[1:2], v[4:5], off
	s_mov_b64 s[0:1], 0
	s_branch .LBB119_906
.LBB119_903:
	s_mov_b64 s[0:1], -1
                                        ; implicit-def: $vgpr1
	s_branch .LBB119_912
.LBB119_904:
	s_mov_b64 s[0:1], -1
                                        ; implicit-def: $vgpr1
	s_branch .LBB119_909
.LBB119_905:
	s_mov_b64 s[0:1], -1
                                        ; implicit-def: $vgpr1
.LBB119_906:
	s_andn2_b64 vcc, exec, s[0:1]
	s_cbranch_vccnz .LBB119_908
; %bb.907:
	global_load_dword v1, v[4:5], off
.LBB119_908:
	s_mov_b64 s[0:1], 0
.LBB119_909:
	s_andn2_b64 vcc, exec, s[0:1]
	s_cbranch_vccnz .LBB119_911
; %bb.910:
	global_load_ushort v1, v[4:5], off
.LBB119_911:
	s_mov_b64 s[0:1], 0
.LBB119_912:
	s_andn2_b64 vcc, exec, s[0:1]
	s_cbranch_vccnz .LBB119_918
; %bb.913:
	s_cmp_gt_i32 s58, 0
	s_cbranch_scc0 .LBB119_915
; %bb.914:
	global_load_sbyte v1, v[4:5], off
	s_mov_b64 s[0:1], 0
	s_branch .LBB119_916
.LBB119_915:
	s_mov_b64 s[0:1], -1
                                        ; implicit-def: $vgpr1
.LBB119_916:
	s_andn2_b64 vcc, exec, s[0:1]
	s_cbranch_vccnz .LBB119_918
; %bb.917:
	global_load_ubyte v1, v[4:5], off
.LBB119_918:
	s_mov_b64 s[0:1], -1
.LBB119_919:
	s_andn2_b64 vcc, exec, s[0:1]
	s_cbranch_vccnz .LBB119_927
; %bb.920:
	v_mov_b32_e32 v4, s13
	s_and_b32 s62, s72, 0xff
	s_waitcnt vmcnt(0)
	v_add_co_u32_e32 v2, vcc, s12, v3
	s_cmp_lt_i32 s62, 11
	v_addc_co_u32_e32 v3, vcc, 0, v4, vcc
	s_cbranch_scc1 .LBB119_929
; %bb.921:
	s_and_b32 s63, 0xffff, s62
	s_cmp_gt_i32 s63, 25
	s_cbranch_scc0 .LBB119_930
; %bb.922:
	s_cmp_gt_i32 s63, 28
	s_cbranch_scc0 .LBB119_931
; %bb.923:
	;; [unrolled: 3-line block ×4, first 2 shown]
	s_cmp_eq_u32 s63, 46
	s_mov_b64 s[60:61], 0
	s_cbranch_scc0 .LBB119_936
; %bb.926:
	global_load_dword v4, v[2:3], off
	s_mov_b64 s[0:1], -1
	s_mov_b64 s[58:59], 0
	s_waitcnt vmcnt(0)
	v_lshlrev_b32_e32 v4, 16, v4
	v_cvt_i32_f32_e32 v4, v4
	s_branch .LBB119_937
.LBB119_927:
	s_mov_b64 s[62:63], 0
	s_mov_b64 s[0:1], s[50:51]
	;; [unrolled: 1-line block ×3, first 2 shown]
.LBB119_928:
                                        ; implicit-def: $vgpr10
	s_branch .LBB119_1171
.LBB119_929:
	s_mov_b64 s[60:61], -1
	s_mov_b64 s[0:1], 0
                                        ; implicit-def: $vgpr4
	s_mov_b64 s[58:59], s[48:49]
	s_branch .LBB119_998
.LBB119_930:
	s_mov_b64 s[60:61], -1
	s_mov_b64 s[0:1], 0
	s_mov_b64 s[58:59], s[48:49]
                                        ; implicit-def: $vgpr4
	s_branch .LBB119_964
.LBB119_931:
	s_mov_b64 s[60:61], -1
	s_mov_b64 s[0:1], 0
	s_mov_b64 s[58:59], s[48:49]
                                        ; implicit-def: $vgpr4
	s_branch .LBB119_947
.LBB119_932:
	s_mov_b64 s[60:61], -1
	s_mov_b64 s[0:1], 0
	s_mov_b64 s[58:59], s[48:49]
                                        ; implicit-def: $vgpr4
	s_branch .LBB119_942
.LBB119_933:
	s_mov_b64 s[60:61], -1
	s_mov_b64 s[0:1], 0
	s_mov_b64 s[58:59], s[48:49]
                                        ; implicit-def: $vgpr4
	s_branch .LBB119_937
.LBB119_934:
	s_andn2_saveexec_b64 s[56:57], s[56:57]
	s_cbranch_execz .LBB119_702
.LBB119_935:
	s_mov_b32 s60, 0x42800000
	v_add_f32_e64 v3, |v2|, s60
	v_and_b32_e32 v3, 0xff, v3
	v_cmp_ne_u32_e32 vcc, 0, v3
	s_andn2_b64 s[54:55], s[54:55], exec
	s_and_b64 s[60:61], vcc, exec
	s_or_b64 s[54:55], s[54:55], s[60:61]
	s_or_b64 exec, exec, s[56:57]
	v_mov_b32_e32 v5, 0
	s_and_saveexec_b64 s[56:57], s[54:55]
	s_cbranch_execnz .LBB119_703
	s_branch .LBB119_704
.LBB119_936:
	s_mov_b64 s[58:59], -1
                                        ; implicit-def: $vgpr4
	s_mov_b64 s[0:1], 0
.LBB119_937:
	s_and_b64 vcc, exec, s[60:61]
	s_cbranch_vccz .LBB119_941
; %bb.938:
	s_cmp_eq_u32 s63, 44
	s_cbranch_scc0 .LBB119_940
; %bb.939:
	global_load_ubyte v4, v[2:3], off
	s_mov_b64 s[0:1], -1
	s_mov_b64 s[58:59], 0
	s_waitcnt vmcnt(0)
	v_lshlrev_b32_e32 v5, 23, v4
	v_cvt_i32_f32_e32 v5, v5
	v_cmp_ne_u32_e32 vcc, 0, v4
	v_cndmask_b32_e32 v4, 0, v5, vcc
	s_branch .LBB119_941
.LBB119_940:
	s_mov_b64 s[58:59], -1
                                        ; implicit-def: $vgpr4
.LBB119_941:
	s_mov_b64 s[60:61], 0
.LBB119_942:
	s_and_b64 vcc, exec, s[60:61]
	s_cbranch_vccz .LBB119_946
; %bb.943:
	s_cmp_eq_u32 s63, 29
	s_cbranch_scc0 .LBB119_945
; %bb.944:
	global_load_dwordx2 v[4:5], v[2:3], off
	s_mov_b64 s[0:1], -1
	s_mov_b64 s[58:59], 0
	s_branch .LBB119_946
.LBB119_945:
	s_mov_b64 s[58:59], -1
                                        ; implicit-def: $vgpr4
.LBB119_946:
	s_mov_b64 s[60:61], 0
.LBB119_947:
	s_and_b64 vcc, exec, s[60:61]
	s_cbranch_vccz .LBB119_963
; %bb.948:
	s_cmp_lt_i32 s63, 27
	s_cbranch_scc1 .LBB119_951
; %bb.949:
	s_cmp_gt_i32 s63, 27
	s_cbranch_scc0 .LBB119_952
; %bb.950:
	global_load_dword v4, v[2:3], off
	s_mov_b64 s[0:1], 0
	s_branch .LBB119_953
.LBB119_951:
	s_mov_b64 s[0:1], -1
                                        ; implicit-def: $vgpr4
	s_branch .LBB119_956
.LBB119_952:
	s_mov_b64 s[0:1], -1
                                        ; implicit-def: $vgpr4
.LBB119_953:
	s_andn2_b64 vcc, exec, s[0:1]
	s_cbranch_vccnz .LBB119_955
; %bb.954:
	global_load_ushort v4, v[2:3], off
.LBB119_955:
	s_mov_b64 s[0:1], 0
.LBB119_956:
	s_andn2_b64 vcc, exec, s[0:1]
	s_cbranch_vccnz .LBB119_962
; %bb.957:
	global_load_ubyte v5, v[2:3], off
	s_movk_i32 s0, 0x7f
	s_mov_b64 s[60:61], 0
	s_waitcnt vmcnt(0)
	v_cmp_lt_i16_e32 vcc, s0, v5
	s_and_saveexec_b64 s[0:1], vcc
	s_xor_b64 s[0:1], exec, s[0:1]
	s_cbranch_execz .LBB119_974
; %bb.958:
	s_movk_i32 s60, 0x80
	v_cmp_ne_u16_e32 vcc, s60, v5
	s_and_b64 s[60:61], vcc, exec
	s_andn2_saveexec_b64 s[0:1], s[0:1]
	s_cbranch_execnz .LBB119_975
.LBB119_959:
	s_or_b64 exec, exec, s[0:1]
	v_mov_b32_e32 v4, 0
	s_and_saveexec_b64 s[0:1], s[60:61]
	s_cbranch_execz .LBB119_961
.LBB119_960:
	v_lshlrev_b32_e32 v4, 24, v5
	v_and_b32_e32 v5, 0xffff, v5
	v_and_b32_e32 v6, 7, v5
	v_ffbh_u32_e32 v8, v6
	v_min_u32_e32 v8, 32, v8
	v_subrev_u32_e32 v9, 28, v8
	v_bfe_u32 v7, v5, 3, 4
	v_lshlrev_b32_e32 v5, v9, v5
	v_sub_u32_e32 v8, 29, v8
	v_and_b32_e32 v5, 7, v5
	v_cmp_eq_u32_e32 vcc, 0, v7
	v_cndmask_b32_e32 v7, v7, v8, vcc
	v_cndmask_b32_e32 v5, v6, v5, vcc
	v_mov_b32_e32 v6, 0x3b800000
	v_lshlrev_b32_e32 v5, 20, v5
	v_and_b32_e32 v4, 0x80000000, v4
	v_lshl_add_u32 v6, v7, 23, v6
	v_or3_b32 v4, v4, v6, v5
	v_cvt_i32_f32_e32 v4, v4
.LBB119_961:
	s_or_b64 exec, exec, s[0:1]
.LBB119_962:
	s_mov_b64 s[0:1], -1
.LBB119_963:
	s_mov_b64 s[60:61], 0
.LBB119_964:
	s_and_b64 vcc, exec, s[60:61]
	s_cbranch_vccz .LBB119_997
; %bb.965:
	s_cmp_gt_i32 s63, 22
	s_cbranch_scc0 .LBB119_973
; %bb.966:
	s_cmp_lt_i32 s63, 24
	s_cbranch_scc1 .LBB119_976
; %bb.967:
	s_cmp_gt_i32 s63, 24
	s_cbranch_scc0 .LBB119_977
; %bb.968:
	global_load_ubyte v5, v[2:3], off
	s_movk_i32 s0, 0x7f
	s_mov_b64 s[60:61], 0
	s_waitcnt vmcnt(0)
	v_cmp_lt_i16_e32 vcc, s0, v5
	s_and_saveexec_b64 s[0:1], vcc
	s_xor_b64 s[0:1], exec, s[0:1]
	s_cbranch_execz .LBB119_989
; %bb.969:
	s_movk_i32 s60, 0x80
	v_cmp_ne_u16_e32 vcc, s60, v5
	s_and_b64 s[60:61], vcc, exec
	s_andn2_saveexec_b64 s[0:1], s[0:1]
	s_cbranch_execnz .LBB119_990
.LBB119_970:
	s_or_b64 exec, exec, s[0:1]
	v_mov_b32_e32 v4, 0
	s_and_saveexec_b64 s[0:1], s[60:61]
	s_cbranch_execz .LBB119_972
.LBB119_971:
	v_lshlrev_b32_e32 v4, 24, v5
	v_and_b32_e32 v5, 0xffff, v5
	v_and_b32_e32 v6, 3, v5
	v_ffbh_u32_e32 v8, v6
	v_min_u32_e32 v8, 32, v8
	v_subrev_u32_e32 v9, 29, v8
	v_bfe_u32 v7, v5, 2, 5
	v_lshlrev_b32_e32 v5, v9, v5
	v_sub_u32_e32 v8, 30, v8
	v_and_b32_e32 v5, 3, v5
	v_cmp_eq_u32_e32 vcc, 0, v7
	v_cndmask_b32_e32 v7, v7, v8, vcc
	v_cndmask_b32_e32 v5, v6, v5, vcc
	v_mov_b32_e32 v6, 0x37800000
	v_lshlrev_b32_e32 v5, 21, v5
	v_and_b32_e32 v4, 0x80000000, v4
	v_lshl_add_u32 v6, v7, 23, v6
	v_or3_b32 v4, v4, v6, v5
	v_cvt_i32_f32_e32 v4, v4
.LBB119_972:
	s_or_b64 exec, exec, s[0:1]
	s_mov_b64 s[0:1], 0
	s_branch .LBB119_978
.LBB119_973:
	s_mov_b64 s[60:61], -1
                                        ; implicit-def: $vgpr4
	s_branch .LBB119_984
.LBB119_974:
	s_andn2_saveexec_b64 s[0:1], s[0:1]
	s_cbranch_execz .LBB119_959
.LBB119_975:
	v_cmp_ne_u16_e32 vcc, 0, v5
	s_andn2_b64 s[60:61], s[60:61], exec
	s_and_b64 s[64:65], vcc, exec
	s_or_b64 s[60:61], s[60:61], s[64:65]
	s_or_b64 exec, exec, s[0:1]
	v_mov_b32_e32 v4, 0
	s_and_saveexec_b64 s[0:1], s[60:61]
	s_cbranch_execnz .LBB119_960
	s_branch .LBB119_961
.LBB119_976:
	s_mov_b64 s[0:1], -1
                                        ; implicit-def: $vgpr4
	s_branch .LBB119_981
.LBB119_977:
	s_mov_b64 s[0:1], -1
                                        ; implicit-def: $vgpr4
.LBB119_978:
	s_and_b64 vcc, exec, s[0:1]
	s_cbranch_vccz .LBB119_980
; %bb.979:
	global_load_ubyte v4, v[2:3], off
	s_mov_b32 s0, 0x7f800000
	s_waitcnt vmcnt(0)
	v_lshlrev_b32_e32 v4, 24, v4
	v_and_b32_e32 v5, 0x7f000000, v4
	v_ffbh_u32_e32 v6, v5
	v_min_u32_e32 v6, 32, v6
	v_sub_u32_e64 v6, v6, 4 clamp
	v_lshlrev_b32_e32 v8, v6, v5
	v_lshlrev_b32_e32 v6, 23, v6
	v_lshrrev_b32_e32 v8, 4, v8
	v_add_u32_e32 v7, 0x1000000, v5
	v_sub_u32_e32 v6, v8, v6
	v_ashrrev_i32_e32 v7, 8, v7
	v_add_u32_e32 v6, 0x3c000000, v6
	v_and_or_b32 v6, v7, s0, v6
	v_cmp_ne_u32_e32 vcc, 0, v5
	v_cndmask_b32_e32 v5, 0, v6, vcc
	s_brev_b32 s0, 1
	v_and_or_b32 v4, v4, s0, v5
	v_cvt_i32_f32_e32 v4, v4
.LBB119_980:
	s_mov_b64 s[0:1], 0
.LBB119_981:
	s_andn2_b64 vcc, exec, s[0:1]
	s_cbranch_vccnz .LBB119_983
; %bb.982:
	global_load_ubyte v4, v[2:3], off
	s_movk_i32 s0, 0x7f00
	s_brev_b32 s1, 16
	s_waitcnt vmcnt(0)
	v_lshlrev_b16_e32 v5, 8, v4
	v_lshlrev_b32_e32 v4, 25, v4
	v_lshrrev_b32_e32 v6, 4, v4
	v_and_or_b32 v7, v5, s0, 0.5
	v_or_b32_e32 v6, 0x70000000, v6
	v_add_f32_e32 v7, -0.5, v7
	v_mul_f32_e32 v6, 0x7800000, v6
	v_cmp_gt_u32_e32 vcc, s1, v4
	v_bfe_i32 v5, v5, 0, 16
	v_cndmask_b32_e32 v4, v6, v7, vcc
	s_brev_b32 s0, 1
	v_and_or_b32 v4, v5, s0, v4
	v_cvt_i32_f32_e32 v4, v4
.LBB119_983:
	s_mov_b64 s[60:61], 0
	s_mov_b64 s[0:1], -1
.LBB119_984:
	s_andn2_b64 vcc, exec, s[60:61]
	s_cbranch_vccnz .LBB119_997
; %bb.985:
	s_cmp_gt_i32 s63, 14
	s_cbranch_scc0 .LBB119_988
; %bb.986:
	s_cmp_eq_u32 s63, 15
	s_cbranch_scc0 .LBB119_991
; %bb.987:
	global_load_ushort v4, v[2:3], off
	s_mov_b64 s[0:1], -1
	s_mov_b64 s[58:59], 0
	s_waitcnt vmcnt(0)
	v_lshlrev_b32_e32 v4, 16, v4
	v_cvt_i32_f32_e32 v4, v4
	s_branch .LBB119_992
.LBB119_988:
	s_mov_b64 s[60:61], -1
                                        ; implicit-def: $vgpr4
	s_branch .LBB119_993
.LBB119_989:
	s_andn2_saveexec_b64 s[0:1], s[0:1]
	s_cbranch_execz .LBB119_970
.LBB119_990:
	v_cmp_ne_u16_e32 vcc, 0, v5
	s_andn2_b64 s[60:61], s[60:61], exec
	s_and_b64 s[64:65], vcc, exec
	s_or_b64 s[60:61], s[60:61], s[64:65]
	s_or_b64 exec, exec, s[0:1]
	v_mov_b32_e32 v4, 0
	s_and_saveexec_b64 s[0:1], s[60:61]
	s_cbranch_execnz .LBB119_971
	s_branch .LBB119_972
.LBB119_991:
	s_mov_b64 s[58:59], -1
                                        ; implicit-def: $vgpr4
.LBB119_992:
	s_mov_b64 s[60:61], 0
.LBB119_993:
	s_and_b64 vcc, exec, s[60:61]
	s_cbranch_vccz .LBB119_997
; %bb.994:
	s_cmp_eq_u32 s63, 11
	s_cbranch_scc0 .LBB119_996
; %bb.995:
	global_load_ubyte v4, v[2:3], off
	s_mov_b64 s[0:1], -1
	s_mov_b64 s[58:59], 0
	s_waitcnt vmcnt(0)
	v_cmp_ne_u16_e32 vcc, 0, v4
	v_cndmask_b32_e64 v4, 0, 1, vcc
	s_branch .LBB119_997
.LBB119_996:
	s_mov_b64 s[58:59], -1
                                        ; implicit-def: $vgpr4
.LBB119_997:
	s_mov_b64 s[60:61], 0
.LBB119_998:
	s_and_b64 vcc, exec, s[60:61]
	s_cbranch_vccz .LBB119_1047
; %bb.999:
	s_and_b32 s60, 0xffff, s62
	s_cmp_lt_i32 s60, 5
	s_cbranch_scc1 .LBB119_1004
; %bb.1000:
	s_cmp_lt_i32 s60, 8
	s_cbranch_scc1 .LBB119_1005
; %bb.1001:
	;; [unrolled: 3-line block ×3, first 2 shown]
	s_cmp_gt_i32 s60, 9
	s_cbranch_scc0 .LBB119_1007
; %bb.1003:
	global_load_dwordx2 v[4:5], v[2:3], off
	s_mov_b64 s[0:1], 0
	s_waitcnt vmcnt(0)
	v_cvt_i32_f64_e32 v4, v[4:5]
	s_branch .LBB119_1008
.LBB119_1004:
	s_mov_b64 s[0:1], -1
                                        ; implicit-def: $vgpr4
	s_branch .LBB119_1026
.LBB119_1005:
	s_mov_b64 s[0:1], -1
                                        ; implicit-def: $vgpr4
	s_branch .LBB119_1014
.LBB119_1006:
	s_mov_b64 s[0:1], -1
                                        ; implicit-def: $vgpr4
	s_branch .LBB119_1011
.LBB119_1007:
	s_mov_b64 s[0:1], -1
                                        ; implicit-def: $vgpr4
.LBB119_1008:
	s_andn2_b64 vcc, exec, s[0:1]
	s_cbranch_vccnz .LBB119_1010
; %bb.1009:
	global_load_dword v4, v[2:3], off
	s_waitcnt vmcnt(0)
	v_cvt_i32_f32_e32 v4, v4
.LBB119_1010:
	s_mov_b64 s[0:1], 0
.LBB119_1011:
	s_andn2_b64 vcc, exec, s[0:1]
	s_cbranch_vccnz .LBB119_1013
; %bb.1012:
	global_load_dword v4, v[2:3], off
	s_waitcnt vmcnt(0)
	v_cvt_i16_f16_e32 v4, v4
.LBB119_1013:
	s_mov_b64 s[0:1], 0
.LBB119_1014:
	s_andn2_b64 vcc, exec, s[0:1]
	s_cbranch_vccnz .LBB119_1025
; %bb.1015:
	s_cmp_lt_i32 s60, 6
	s_cbranch_scc1 .LBB119_1018
; %bb.1016:
	s_cmp_gt_i32 s60, 6
	s_cbranch_scc0 .LBB119_1019
; %bb.1017:
	global_load_dwordx2 v[4:5], v[2:3], off
	s_mov_b64 s[0:1], 0
	s_waitcnt vmcnt(0)
	v_cvt_i32_f64_e32 v4, v[4:5]
	s_branch .LBB119_1020
.LBB119_1018:
	s_mov_b64 s[0:1], -1
                                        ; implicit-def: $vgpr4
	s_branch .LBB119_1023
.LBB119_1019:
	s_mov_b64 s[0:1], -1
                                        ; implicit-def: $vgpr4
.LBB119_1020:
	s_andn2_b64 vcc, exec, s[0:1]
	s_cbranch_vccnz .LBB119_1022
; %bb.1021:
	global_load_dword v4, v[2:3], off
	s_waitcnt vmcnt(0)
	v_cvt_i32_f32_e32 v4, v4
.LBB119_1022:
	s_mov_b64 s[0:1], 0
.LBB119_1023:
	s_andn2_b64 vcc, exec, s[0:1]
	s_cbranch_vccnz .LBB119_1025
; %bb.1024:
	global_load_ushort v4, v[2:3], off
	s_waitcnt vmcnt(0)
	v_cvt_i16_f16_e32 v4, v4
.LBB119_1025:
	s_mov_b64 s[0:1], 0
.LBB119_1026:
	s_andn2_b64 vcc, exec, s[0:1]
	s_cbranch_vccnz .LBB119_1046
; %bb.1027:
	s_cmp_lt_i32 s60, 2
	s_cbranch_scc1 .LBB119_1031
; %bb.1028:
	s_cmp_lt_i32 s60, 3
	s_cbranch_scc1 .LBB119_1032
; %bb.1029:
	s_cmp_gt_i32 s60, 3
	s_cbranch_scc0 .LBB119_1033
; %bb.1030:
	global_load_dwordx2 v[4:5], v[2:3], off
	s_mov_b64 s[0:1], 0
	s_branch .LBB119_1034
.LBB119_1031:
	s_mov_b64 s[0:1], -1
                                        ; implicit-def: $vgpr4
	s_branch .LBB119_1040
.LBB119_1032:
	s_mov_b64 s[0:1], -1
                                        ; implicit-def: $vgpr4
	s_branch .LBB119_1037
.LBB119_1033:
	s_mov_b64 s[0:1], -1
                                        ; implicit-def: $vgpr4
.LBB119_1034:
	s_andn2_b64 vcc, exec, s[0:1]
	s_cbranch_vccnz .LBB119_1036
; %bb.1035:
	global_load_dword v4, v[2:3], off
.LBB119_1036:
	s_mov_b64 s[0:1], 0
.LBB119_1037:
	s_andn2_b64 vcc, exec, s[0:1]
	s_cbranch_vccnz .LBB119_1039
; %bb.1038:
	global_load_ushort v4, v[2:3], off
.LBB119_1039:
	s_mov_b64 s[0:1], 0
.LBB119_1040:
	s_andn2_b64 vcc, exec, s[0:1]
	s_cbranch_vccnz .LBB119_1046
; %bb.1041:
	s_cmp_gt_i32 s60, 0
	s_cbranch_scc0 .LBB119_1043
; %bb.1042:
	global_load_sbyte v4, v[2:3], off
	s_mov_b64 s[0:1], 0
	s_branch .LBB119_1044
.LBB119_1043:
	s_mov_b64 s[0:1], -1
                                        ; implicit-def: $vgpr4
.LBB119_1044:
	s_andn2_b64 vcc, exec, s[0:1]
	s_cbranch_vccnz .LBB119_1046
; %bb.1045:
	global_load_ubyte v4, v[2:3], off
.LBB119_1046:
	s_mov_b64 s[0:1], -1
.LBB119_1047:
	s_andn2_b64 vcc, exec, s[0:1]
	s_cbranch_vccnz .LBB119_1055
; %bb.1048:
	v_mov_b32_e32 v2, s71
	v_cmp_lt_i16_e32 vcc, s14, v1
	s_waitcnt vmcnt(0)
	v_cndmask_b32_e32 v2, v2, v4, vcc
	v_mov_b32_e32 v1, s9
	s_and_b32 s66, s15, 0xff
	v_add_co_u32_e32 v0, vcc, s8, v0
	s_cmp_lt_i32 s66, 11
	v_addc_co_u32_e32 v1, vcc, 0, v1, vcc
	s_cbranch_scc1 .LBB119_1056
; %bb.1049:
	s_and_b32 s67, 0xffff, s66
	s_cmp_gt_i32 s67, 25
	s_cbranch_scc0 .LBB119_1057
; %bb.1050:
	s_cmp_gt_i32 s67, 28
	s_cbranch_scc0 .LBB119_1058
; %bb.1051:
	;; [unrolled: 3-line block ×4, first 2 shown]
	s_mov_b64 s[62:63], 0
	s_mov_b64 s[0:1], -1
	s_cmp_eq_u32 s67, 46
	s_mov_b64 s[60:61], 0
	s_cbranch_scc0 .LBB119_1061
; %bb.1054:
	v_cvt_f32_i32_sdwa v3, sext(v2) dst_sel:DWORD dst_unused:UNUSED_PAD src0_sel:WORD_0
	s_movk_i32 s0, 0x7fff
	s_mov_b64 s[60:61], -1
	v_bfe_u32 v4, v3, 16, 1
	v_add3_u32 v3, v3, v4, s0
	v_lshrrev_b32_e32 v3, 16, v3
	global_store_dword v[0:1], v3, off
	s_mov_b64 s[0:1], 0
	s_branch .LBB119_1061
.LBB119_1055:
	s_mov_b64 s[62:63], 0
                                        ; implicit-def: $vgpr10
	s_mov_b64 s[0:1], s[50:51]
	s_branch .LBB119_1171
.LBB119_1056:
	s_mov_b64 s[62:63], -1
	s_mov_b64 s[60:61], 0
	s_mov_b64 s[0:1], s[50:51]
	s_branch .LBB119_1130
.LBB119_1057:
	s_mov_b64 s[62:63], -1
	s_mov_b64 s[60:61], 0
	s_mov_b64 s[0:1], s[50:51]
	s_branch .LBB119_1088
.LBB119_1058:
	s_mov_b64 s[62:63], -1
	s_mov_b64 s[60:61], 0
	s_mov_b64 s[0:1], s[50:51]
	s_branch .LBB119_1071
.LBB119_1059:
	s_mov_b64 s[62:63], -1
	s_mov_b64 s[60:61], 0
	s_mov_b64 s[0:1], s[50:51]
	s_branch .LBB119_1067
.LBB119_1060:
	s_mov_b64 s[62:63], -1
	s_mov_b64 s[60:61], 0
	s_mov_b64 s[0:1], s[50:51]
.LBB119_1061:
	s_and_b64 vcc, exec, s[62:63]
	s_cbranch_vccz .LBB119_1066
; %bb.1062:
	s_cmp_eq_u32 s67, 44
	s_mov_b64 s[0:1], -1
	s_cbranch_scc0 .LBB119_1066
; %bb.1063:
	v_cvt_f32_i32_sdwa v3, sext(v2) dst_sel:DWORD dst_unused:UNUSED_PAD src0_sel:WORD_0
	s_movk_i32 s0, 0xff
	v_mov_b32_e32 v5, 0xff
	v_bfe_u32 v4, v3, 23, 8
	v_cmp_ne_u32_e32 vcc, s0, v4
	s_and_saveexec_b64 s[60:61], vcc
; %bb.1064:
	s_mov_b32 s0, 0x3fffff
	v_lshrrev_b32_e32 v5, 23, v3
	v_and_b32_e32 v6, 0x400000, v3
	v_and_or_b32 v3, v3, s0, v4
	v_cmp_ne_u32_e32 vcc, 0, v6
	v_cmp_ne_u32_e64 s[0:1], 0, v3
	s_and_b64 s[0:1], vcc, s[0:1]
	v_cndmask_b32_e64 v3, 0, 1, s[0:1]
	v_add_u32_e32 v5, v5, v3
; %bb.1065:
	s_or_b64 exec, exec, s[60:61]
	s_mov_b64 s[60:61], -1
	s_mov_b64 s[0:1], 0
	global_store_byte v[0:1], v5, off
.LBB119_1066:
	s_mov_b64 s[62:63], 0
.LBB119_1067:
	s_and_b64 vcc, exec, s[62:63]
	s_cbranch_vccz .LBB119_1070
; %bb.1068:
	s_cmp_eq_u32 s67, 29
	s_mov_b64 s[0:1], -1
	s_cbranch_scc0 .LBB119_1070
; %bb.1069:
	v_bfe_i32 v3, v2, 0, 16
	v_ashrrev_i32_e32 v4, 31, v3
	global_store_dwordx2 v[0:1], v[3:4], off
	s_mov_b64 s[60:61], -1
	s_mov_b64 s[0:1], 0
.LBB119_1070:
	s_mov_b64 s[62:63], 0
.LBB119_1071:
	s_and_b64 vcc, exec, s[62:63]
	s_cbranch_vccz .LBB119_1087
; %bb.1072:
	s_cmp_lt_i32 s67, 27
	s_mov_b64 s[60:61], -1
	s_cbranch_scc1 .LBB119_1078
; %bb.1073:
	s_cmp_gt_i32 s67, 27
	s_cbranch_scc0 .LBB119_1075
; %bb.1074:
	v_bfe_i32 v3, v2, 0, 16
	s_mov_b64 s[60:61], 0
	global_store_dword v[0:1], v3, off
.LBB119_1075:
	s_andn2_b64 vcc, exec, s[60:61]
	s_cbranch_vccnz .LBB119_1077
; %bb.1076:
	global_store_short v[0:1], v2, off
.LBB119_1077:
	s_mov_b64 s[60:61], 0
.LBB119_1078:
	s_andn2_b64 vcc, exec, s[60:61]
	s_cbranch_vccnz .LBB119_1086
; %bb.1079:
	v_cvt_f32_i32_sdwa v3, sext(v2) dst_sel:DWORD dst_unused:UNUSED_PAD src0_sel:WORD_0
	s_mov_b32 s60, 0x43800000
	v_mov_b32_e32 v5, 0x80
	v_and_b32_e32 v4, 0x7fffffff, v3
	v_cmp_gt_u32_e32 vcc, s60, v4
	s_and_saveexec_b64 s[60:61], vcc
	s_cbranch_execz .LBB119_1085
; %bb.1080:
	s_mov_b32 s62, 0x3bffffff
	v_cmp_lt_u32_e32 vcc, s62, v4
	s_mov_b64 s[62:63], 0
                                        ; implicit-def: $vgpr4
	s_and_saveexec_b64 s[64:65], vcc
	s_xor_b64 s[64:65], exec, s[64:65]
	s_cbranch_execz .LBB119_1199
; %bb.1081:
	v_bfe_u32 v4, v3, 20, 1
	s_mov_b32 s69, 0x487ffff
	v_add3_u32 v4, v3, v4, s69
	s_mov_b64 s[62:63], exec
	v_lshrrev_b32_e32 v4, 20, v4
	s_andn2_saveexec_b64 s[64:65], s[64:65]
	s_cbranch_execnz .LBB119_1200
.LBB119_1082:
	s_or_b64 exec, exec, s[64:65]
	v_mov_b32_e32 v5, 0
	s_and_saveexec_b64 s[64:65], s[62:63]
.LBB119_1083:
	v_lshrrev_b32_e32 v3, 24, v3
	s_movk_i32 s62, 0x80
	v_and_or_b32 v5, v3, s62, v4
.LBB119_1084:
	s_or_b64 exec, exec, s[64:65]
.LBB119_1085:
	s_or_b64 exec, exec, s[60:61]
	global_store_byte v[0:1], v5, off
.LBB119_1086:
	s_mov_b64 s[60:61], -1
.LBB119_1087:
	s_mov_b64 s[62:63], 0
.LBB119_1088:
	s_and_b64 vcc, exec, s[62:63]
	s_cbranch_vccz .LBB119_1129
; %bb.1089:
	s_cmp_gt_i32 s67, 22
	s_mov_b64 s[62:63], -1
	s_cbranch_scc0 .LBB119_1121
; %bb.1090:
	s_cmp_lt_i32 s67, 24
	s_mov_b64 s[60:61], -1
	s_cbranch_scc1 .LBB119_1110
; %bb.1091:
	s_cmp_gt_i32 s67, 24
	s_cbranch_scc0 .LBB119_1099
; %bb.1092:
	v_cvt_f32_i32_sdwa v3, sext(v2) dst_sel:DWORD dst_unused:UNUSED_PAD src0_sel:WORD_0
	s_mov_b32 s60, 0x47800000
	v_mov_b32_e32 v5, 0x80
	v_and_b32_e32 v4, 0x7fffffff, v3
	v_cmp_gt_u32_e32 vcc, s60, v4
	s_and_saveexec_b64 s[60:61], vcc
	s_cbranch_execz .LBB119_1098
; %bb.1093:
	s_mov_b32 s62, 0x37ffffff
	v_cmp_lt_u32_e32 vcc, s62, v4
	s_mov_b64 s[62:63], 0
                                        ; implicit-def: $vgpr4
	s_and_saveexec_b64 s[64:65], vcc
	s_xor_b64 s[64:65], exec, s[64:65]
	s_cbranch_execz .LBB119_2236
; %bb.1094:
	v_bfe_u32 v4, v3, 21, 1
	s_mov_b32 s69, 0x88fffff
	v_add3_u32 v4, v3, v4, s69
	s_mov_b64 s[62:63], exec
	v_lshrrev_b32_e32 v4, 21, v4
	s_andn2_saveexec_b64 s[64:65], s[64:65]
	s_cbranch_execnz .LBB119_2237
.LBB119_1095:
	s_or_b64 exec, exec, s[64:65]
	v_mov_b32_e32 v5, 0
	s_and_saveexec_b64 s[64:65], s[62:63]
.LBB119_1096:
	v_lshrrev_b32_e32 v3, 24, v3
	s_movk_i32 s62, 0x80
	v_and_or_b32 v5, v3, s62, v4
.LBB119_1097:
	s_or_b64 exec, exec, s[64:65]
.LBB119_1098:
	s_or_b64 exec, exec, s[60:61]
	s_mov_b64 s[60:61], 0
	global_store_byte v[0:1], v5, off
.LBB119_1099:
	s_and_b64 vcc, exec, s[60:61]
	s_cbranch_vccz .LBB119_1109
; %bb.1100:
	v_cvt_f32_i32_sdwa v3, sext(v2) dst_sel:DWORD dst_unused:UNUSED_PAD src0_sel:WORD_0
	s_mov_b32 s60, 0x43f00000
                                        ; implicit-def: $vgpr4
	v_and_b32_e32 v5, 0x7fffffff, v3
	v_cmp_gt_u32_e32 vcc, s60, v5
	s_and_saveexec_b64 s[60:61], vcc
	s_xor_b64 s[60:61], exec, s[60:61]
	s_cbranch_execz .LBB119_1106
; %bb.1101:
	s_mov_b32 s62, 0x3c7fffff
	v_cmp_lt_u32_e32 vcc, s62, v5
                                        ; implicit-def: $vgpr4
	s_and_saveexec_b64 s[62:63], vcc
	s_xor_b64 s[62:63], exec, s[62:63]
; %bb.1102:
	v_bfe_u32 v4, v3, 20, 1
	s_mov_b32 s64, 0x407ffff
	v_add3_u32 v4, v3, v4, s64
	v_lshrrev_b32_e32 v5, 20, v4
	v_and_b32_e32 v4, 0xff00000, v4
	s_mov_b32 s64, 0x7f00000
	v_mov_b32_e32 v6, 0x7e
	v_cmp_ne_u32_e32 vcc, s64, v4
	v_cndmask_b32_e32 v4, v6, v5, vcc
; %bb.1103:
	s_andn2_saveexec_b64 s[62:63], s[62:63]
; %bb.1104:
	s_mov_b32 s64, 0x46800000
	v_add_f32_e64 v4, |v3|, s64
; %bb.1105:
	s_or_b64 exec, exec, s[62:63]
                                        ; implicit-def: $vgpr5
.LBB119_1106:
	s_andn2_saveexec_b64 s[60:61], s[60:61]
; %bb.1107:
	s_mov_b32 s62, 0x7f800000
	v_mov_b32_e32 v4, 0x7e
	v_mov_b32_e32 v6, 0x7f
	v_cmp_lt_u32_e32 vcc, s62, v5
	v_cndmask_b32_e32 v4, v4, v6, vcc
; %bb.1108:
	s_or_b64 exec, exec, s[60:61]
	v_lshrrev_b32_e32 v3, 24, v3
	s_movk_i32 s60, 0x80
	v_and_or_b32 v3, v3, s60, v4
	global_store_byte v[0:1], v3, off
.LBB119_1109:
	s_mov_b64 s[60:61], 0
.LBB119_1110:
	s_andn2_b64 vcc, exec, s[60:61]
	s_cbranch_vccnz .LBB119_1120
; %bb.1111:
	v_cvt_f32_i32_sdwa v3, sext(v2) dst_sel:DWORD dst_unused:UNUSED_PAD src0_sel:WORD_0
	s_mov_b32 s60, 0x47800000
                                        ; implicit-def: $vgpr4
	v_and_b32_e32 v5, 0x7fffffff, v3
	v_cmp_gt_u32_e32 vcc, s60, v5
	s_and_saveexec_b64 s[60:61], vcc
	s_xor_b64 s[60:61], exec, s[60:61]
	s_cbranch_execz .LBB119_1117
; %bb.1112:
	s_mov_b32 s62, 0x387fffff
	v_cmp_lt_u32_e32 vcc, s62, v5
                                        ; implicit-def: $vgpr4
	s_and_saveexec_b64 s[62:63], vcc
	s_xor_b64 s[62:63], exec, s[62:63]
; %bb.1113:
	v_bfe_u32 v4, v3, 21, 1
	s_mov_b32 s64, 0x80fffff
	v_add3_u32 v4, v3, v4, s64
	v_lshrrev_b32_e32 v4, 21, v4
; %bb.1114:
	s_andn2_saveexec_b64 s[62:63], s[62:63]
; %bb.1115:
	s_mov_b32 s64, 0x43000000
	v_add_f32_e64 v4, |v3|, s64
; %bb.1116:
	s_or_b64 exec, exec, s[62:63]
                                        ; implicit-def: $vgpr5
.LBB119_1117:
	s_andn2_saveexec_b64 s[60:61], s[60:61]
; %bb.1118:
	s_mov_b32 s62, 0x7f800000
	v_mov_b32_e32 v4, 0x7c
	v_mov_b32_e32 v6, 0x7f
	v_cmp_lt_u32_e32 vcc, s62, v5
	v_cndmask_b32_e32 v4, v4, v6, vcc
; %bb.1119:
	s_or_b64 exec, exec, s[60:61]
	v_lshrrev_b32_e32 v3, 24, v3
	s_movk_i32 s60, 0x80
	v_and_or_b32 v3, v3, s60, v4
	global_store_byte v[0:1], v3, off
.LBB119_1120:
	s_mov_b64 s[62:63], 0
	s_mov_b64 s[60:61], -1
.LBB119_1121:
	s_andn2_b64 vcc, exec, s[62:63]
	s_cbranch_vccnz .LBB119_1129
; %bb.1122:
	s_cmp_gt_i32 s67, 14
	s_mov_b64 s[62:63], -1
	s_cbranch_scc0 .LBB119_1126
; %bb.1123:
	s_cmp_eq_u32 s67, 15
	s_mov_b64 s[0:1], -1
	s_cbranch_scc0 .LBB119_1125
; %bb.1124:
	v_cvt_f32_i32_sdwa v3, sext(v2) dst_sel:DWORD dst_unused:UNUSED_PAD src0_sel:WORD_0
	s_movk_i32 s0, 0x7fff
	s_mov_b64 s[60:61], -1
	v_bfe_u32 v4, v3, 16, 1
	v_add3_u32 v3, v3, v4, s0
	global_store_short_d16_hi v[0:1], v3, off
	s_mov_b64 s[0:1], 0
.LBB119_1125:
	s_mov_b64 s[62:63], 0
.LBB119_1126:
	s_and_b64 vcc, exec, s[62:63]
	s_cbranch_vccz .LBB119_1129
; %bb.1127:
	s_cmp_eq_u32 s67, 11
	s_mov_b64 s[0:1], -1
	s_cbranch_scc0 .LBB119_1129
; %bb.1128:
	v_cmp_ne_u16_e32 vcc, 0, v2
	v_cndmask_b32_e64 v3, 0, 1, vcc
	s_mov_b64 s[60:61], -1
	s_mov_b64 s[0:1], 0
	global_store_byte v[0:1], v3, off
.LBB119_1129:
	s_mov_b64 s[62:63], 0
.LBB119_1130:
	s_and_b64 vcc, exec, s[62:63]
	s_cbranch_vccz .LBB119_1169
; %bb.1131:
	s_and_b32 s62, 0xffff, s66
	s_cmp_lt_i32 s62, 5
	s_mov_b64 s[60:61], -1
	s_cbranch_scc1 .LBB119_1152
; %bb.1132:
	s_cmp_lt_i32 s62, 8
	s_cbranch_scc1 .LBB119_1142
; %bb.1133:
	s_cmp_lt_i32 s62, 9
	s_cbranch_scc1 .LBB119_1139
; %bb.1134:
	s_cmp_gt_i32 s62, 9
	s_cbranch_scc0 .LBB119_1136
; %bb.1135:
	v_bfe_i32 v3, v2, 0, 16
	v_cvt_f64_i32_e32 v[3:4], v3
	v_mov_b32_e32 v5, 0
	v_mov_b32_e32 v6, v5
	s_mov_b64 s[60:61], 0
	global_store_dwordx4 v[0:1], v[3:6], off
.LBB119_1136:
	s_andn2_b64 vcc, exec, s[60:61]
	s_cbranch_vccnz .LBB119_1138
; %bb.1137:
	v_cvt_f32_i32_sdwa v3, sext(v2) dst_sel:DWORD dst_unused:UNUSED_PAD src0_sel:WORD_0
	v_mov_b32_e32 v4, 0
	global_store_dwordx2 v[0:1], v[3:4], off
.LBB119_1138:
	s_mov_b64 s[60:61], 0
.LBB119_1139:
	s_andn2_b64 vcc, exec, s[60:61]
	s_cbranch_vccnz .LBB119_1141
; %bb.1140:
	v_cvt_f16_i16_e32 v3, v2
	global_store_dword v[0:1], v3, off
.LBB119_1141:
	s_mov_b64 s[60:61], 0
.LBB119_1142:
	s_andn2_b64 vcc, exec, s[60:61]
	s_cbranch_vccnz .LBB119_1151
; %bb.1143:
	s_cmp_lt_i32 s62, 6
	s_mov_b64 s[60:61], -1
	s_cbranch_scc1 .LBB119_1149
; %bb.1144:
	s_cmp_gt_i32 s62, 6
	s_cbranch_scc0 .LBB119_1146
; %bb.1145:
	v_bfe_i32 v3, v2, 0, 16
	v_cvt_f64_i32_e32 v[3:4], v3
	s_mov_b64 s[60:61], 0
	global_store_dwordx2 v[0:1], v[3:4], off
.LBB119_1146:
	s_andn2_b64 vcc, exec, s[60:61]
	s_cbranch_vccnz .LBB119_1148
; %bb.1147:
	v_cvt_f32_i32_sdwa v3, sext(v2) dst_sel:DWORD dst_unused:UNUSED_PAD src0_sel:WORD_0
	global_store_dword v[0:1], v3, off
.LBB119_1148:
	s_mov_b64 s[60:61], 0
.LBB119_1149:
	s_andn2_b64 vcc, exec, s[60:61]
	s_cbranch_vccnz .LBB119_1151
; %bb.1150:
	v_cvt_f16_i16_e32 v3, v2
	global_store_short v[0:1], v3, off
.LBB119_1151:
	s_mov_b64 s[60:61], 0
.LBB119_1152:
	s_andn2_b64 vcc, exec, s[60:61]
	s_cbranch_vccnz .LBB119_1168
; %bb.1153:
	s_cmp_lt_i32 s62, 2
	s_mov_b64 s[60:61], -1
	s_cbranch_scc1 .LBB119_1163
; %bb.1154:
	s_cmp_lt_i32 s62, 3
	s_cbranch_scc1 .LBB119_1160
; %bb.1155:
	s_cmp_gt_i32 s62, 3
	s_cbranch_scc0 .LBB119_1157
; %bb.1156:
	v_bfe_i32 v3, v2, 0, 16
	v_ashrrev_i32_e32 v4, 31, v3
	s_mov_b64 s[60:61], 0
	global_store_dwordx2 v[0:1], v[3:4], off
.LBB119_1157:
	s_andn2_b64 vcc, exec, s[60:61]
	s_cbranch_vccnz .LBB119_1159
; %bb.1158:
	v_bfe_i32 v3, v2, 0, 16
	global_store_dword v[0:1], v3, off
.LBB119_1159:
	s_mov_b64 s[60:61], 0
.LBB119_1160:
	s_andn2_b64 vcc, exec, s[60:61]
	s_cbranch_vccnz .LBB119_1162
; %bb.1161:
	global_store_short v[0:1], v2, off
.LBB119_1162:
	s_mov_b64 s[60:61], 0
.LBB119_1163:
	s_andn2_b64 vcc, exec, s[60:61]
	s_cbranch_vccnz .LBB119_1168
; %bb.1164:
	s_cmp_gt_i32 s62, 0
	s_mov_b64 s[60:61], -1
	s_cbranch_scc0 .LBB119_1166
; %bb.1165:
	s_mov_b64 s[60:61], 0
	global_store_byte v[0:1], v2, off
.LBB119_1166:
	s_andn2_b64 vcc, exec, s[60:61]
	s_cbranch_vccnz .LBB119_1168
; %bb.1167:
	global_store_byte v[0:1], v2, off
.LBB119_1168:
	s_mov_b64 s[60:61], -1
.LBB119_1169:
	s_andn2_b64 vcc, exec, s[60:61]
	s_cbranch_vccnz .LBB119_1181
; %bb.1170:
	v_add_u32_e32 v10, 0x80, v10
	s_mov_b64 s[62:63], -1
.LBB119_1171:
	s_andn2_b64 s[60:61], s[50:51], exec
	s_and_b64 s[0:1], s[0:1], exec
	s_or_b64 s[60:61], s[60:61], s[0:1]
	s_andn2_b64 s[0:1], s[48:49], exec
	s_and_b64 s[58:59], s[58:59], exec
	s_or_b64 s[58:59], s[0:1], s[58:59]
	;; [unrolled: 3-line block ×3, first 2 shown]
	s_orn2_b64 s[66:67], s[62:63], exec
.LBB119_1172:
	s_or_b64 exec, exec, s[54:55]
	s_mov_b64 s[62:63], 0
	s_mov_b64 s[56:57], 0
	;; [unrolled: 1-line block ×3, first 2 shown]
                                        ; implicit-def: $sgpr75
                                        ; implicit-def: $vgpr4_vgpr5
                                        ; implicit-def: $vgpr0
                                        ; implicit-def: $vgpr3
                                        ; implicit-def: $vgpr1
	s_and_saveexec_b64 s[54:55], s[66:67]
	s_cbranch_execz .LBB119_1263
; %bb.1173:
	v_cmp_gt_i32_e32 vcc, s68, v10
	s_mov_b64 s[66:67], s[0:1]
	s_mov_b64 s[68:69], 0
                                        ; implicit-def: $sgpr75
                                        ; implicit-def: $vgpr4_vgpr5
                                        ; implicit-def: $vgpr0
                                        ; implicit-def: $vgpr3
                                        ; implicit-def: $vgpr1
	s_and_saveexec_b64 s[56:57], vcc
	s_cbranch_execz .LBB119_1262
; %bb.1174:
	s_andn2_b64 vcc, exec, s[24:25]
	s_cbranch_vccnz .LBB119_1180
; %bb.1175:
	s_andn2_b64 vcc, exec, s[36:37]
	s_cbranch_vccnz .LBB119_1182
; %bb.1176:
	s_add_i32 s36, s74, 1
	s_and_b32 s62, s36, 30
	s_add_u32 s36, s2, 0xffffffe8
	s_addc_u32 s37, s3, -1
	v_mov_b32_e32 v3, 0
	s_waitcnt vmcnt(0)
	v_mov_b32_e32 v5, 0
	v_mov_b32_e32 v0, 0
	;; [unrolled: 1-line block ×3, first 2 shown]
.LBB119_1177:                           ; =>This Inner Loop Header: Depth=1
	s_load_dwordx4 s[64:67], s[36:37], 0x1c
	s_load_dwordx2 s[68:69], s[36:37], 0x2c
	s_load_dwordx2 s[80:81], s[36:37], 0xec
	s_load_dwordx4 s[76:79], s[36:37], 0xdc
	s_add_u32 s36, s36, 24
	s_waitcnt lgkmcnt(0)
	v_mul_hi_u32 v2, s65, v1
	s_addc_u32 s37, s37, 0
	s_add_i32 s62, s62, -2
	s_cmp_eq_u32 s62, 0
	v_add_u32_e32 v2, v1, v2
	v_lshrrev_b32_e32 v2, s66, v2
	v_mul_lo_u32 v4, v2, s64
	v_mul_hi_u32 v6, s68, v2
	v_sub_u32_e32 v4, v1, v4
	v_add_u32_e32 v1, v2, v6
	v_lshrrev_b32_e32 v1, s69, v1
	v_mul_lo_u32 v8, v1, s67
	v_mul_lo_u32 v6, v4, s76
	;; [unrolled: 1-line block ×4, first 2 shown]
	v_sub_u32_e32 v2, v2, v8
	v_mul_lo_u32 v8, v2, s79
	v_mul_lo_u32 v9, v2, s80
	v_mul_lo_u32 v2, v2, s81
	v_add3_u32 v0, v6, v0, v8
	v_add3_u32 v5, v7, v5, v9
	;; [unrolled: 1-line block ×3, first 2 shown]
	s_cbranch_scc0 .LBB119_1177
; %bb.1178:
	s_bitcmp1_b32 s74, 0
	s_cselect_b64 s[62:63], -1, 0
	s_and_b64 vcc, exec, s[62:63]
	s_cbranch_vccnz .LBB119_1183
; %bb.1179:
	s_load_dwordx2 s[62:63], s[36:37], 0x1c
	s_load_dword s66, s[36:37], 0x24
	s_load_dwordx2 s[64:65], s[36:37], 0xdc
	s_waitcnt lgkmcnt(0)
	v_mul_hi_u32 v2, s63, v1
	v_add_u32_e32 v2, v1, v2
	v_lshrrev_b32_e32 v2, s66, v2
	v_mul_lo_u32 v2, v2, s62
	s_load_dword s62, s[36:37], 0xe4
	v_sub_u32_e32 v2, v1, v2
	v_mad_u64_u32 v[0:1], s[36:37], v2, s64, v[0:1]
	v_mad_u64_u32 v[5:6], s[36:37], v2, s65, v[5:6]
	s_waitcnt lgkmcnt(0)
	v_mad_u64_u32 v[3:4], s[36:37], v2, s62, v[3:4]
	s_branch .LBB119_1183
.LBB119_1180:
	s_mov_b64 s[36:37], -1
                                        ; implicit-def: $vgpr0
                                        ; implicit-def: $vgpr5
                                        ; implicit-def: $vgpr3
	s_branch .LBB119_1184
.LBB119_1181:
	s_mov_b64 s[62:63], 0
	s_branch .LBB119_928
.LBB119_1182:
	v_mov_b32_e32 v0, 0
	s_waitcnt vmcnt(0)
	v_mov_b32_e32 v5, 0
	v_mov_b32_e32 v3, 0
.LBB119_1183:
	s_mov_b64 s[36:37], 0
.LBB119_1184:
	s_andn2_b64 vcc, exec, s[36:37]
	s_cbranch_vccnz .LBB119_1187
; %bb.1185:
	v_mul_hi_u32 v0, s17, v10
	s_andn2_b64 vcc, exec, s[34:35]
	v_add_u32_e32 v0, v10, v0
	s_waitcnt vmcnt(0)
	v_lshrrev_b32_e32 v1, s18, v0
	v_mul_lo_u32 v0, v1, s16
	v_sub_u32_e32 v2, v10, v0
	v_mul_lo_u32 v0, v2, s20
	v_mul_lo_u32 v5, v2, s21
	;; [unrolled: 1-line block ×3, first 2 shown]
	s_cbranch_vccnz .LBB119_1187
; %bb.1186:
	v_mul_hi_u32 v2, s30, v1
	v_add_u32_e32 v2, v1, v2
	v_lshrrev_b32_e32 v2, s31, v2
	v_mul_lo_u32 v2, v2, s19
	v_sub_u32_e32 v2, v1, v2
	v_mad_u64_u32 v[0:1], s[16:17], v2, s23, v[0:1]
	v_mad_u64_u32 v[5:6], s[16:17], v2, s28, v[5:6]
	;; [unrolled: 1-line block ×3, first 2 shown]
.LBB119_1187:
	s_waitcnt vmcnt(0)
	v_mov_b32_e32 v1, s11
	s_and_b32 s75, s73, 0xff
	v_add_co_u32_e32 v4, vcc, s10, v5
	s_cmp_lt_i32 s75, 11
	v_addc_co_u32_e32 v5, vcc, 0, v1, vcc
	s_cbranch_scc1 .LBB119_1194
; %bb.1188:
	s_and_b32 s22, 0xffff, s75
	s_cmp_gt_i32 s22, 25
	s_mov_b64 s[16:17], 0
	s_cbranch_scc0 .LBB119_1195
; %bb.1189:
	s_cmp_gt_i32 s22, 28
	s_cbranch_scc0 .LBB119_1196
; %bb.1190:
	s_cmp_gt_i32 s22, 43
	;; [unrolled: 3-line block ×3, first 2 shown]
	s_cbranch_scc0 .LBB119_1198
; %bb.1192:
	s_cmp_eq_u32 s22, 46
	s_mov_b64 s[20:21], 0
	s_cbranch_scc0 .LBB119_1201
; %bb.1193:
	global_load_dword v1, v[4:5], off
	s_mov_b64 s[10:11], 0
	s_mov_b64 s[18:19], -1
	s_waitcnt vmcnt(0)
	v_lshlrev_b32_e32 v1, 16, v1
	v_cvt_i32_f32_e32 v1, v1
	s_branch .LBB119_1202
.LBB119_1194:
	s_mov_b64 s[20:21], -1
	s_mov_b64 s[18:19], 0
	s_mov_b64 s[16:17], 0
	;; [unrolled: 1-line block ×3, first 2 shown]
                                        ; implicit-def: $vgpr1
	s_branch .LBB119_1261
.LBB119_1195:
	s_mov_b64 s[20:21], -1
	s_mov_b64 s[18:19], 0
	s_mov_b64 s[10:11], s[0:1]
                                        ; implicit-def: $vgpr1
	s_branch .LBB119_1229
.LBB119_1196:
	s_mov_b64 s[20:21], -1
	s_mov_b64 s[18:19], 0
	s_mov_b64 s[10:11], s[0:1]
                                        ; implicit-def: $vgpr1
	s_branch .LBB119_1212
.LBB119_1197:
	s_mov_b64 s[20:21], -1
	s_mov_b64 s[18:19], 0
	s_mov_b64 s[10:11], s[0:1]
                                        ; implicit-def: $vgpr1
	s_branch .LBB119_1207
.LBB119_1198:
	s_mov_b64 s[20:21], -1
	s_mov_b64 s[18:19], 0
	s_mov_b64 s[10:11], s[0:1]
                                        ; implicit-def: $vgpr1
	s_branch .LBB119_1202
.LBB119_1199:
	s_andn2_saveexec_b64 s[64:65], s[64:65]
	s_cbranch_execz .LBB119_1082
.LBB119_1200:
	s_mov_b32 s69, 0x46000000
	v_add_f32_e64 v4, |v3|, s69
	v_and_b32_e32 v4, 0xff, v4
	v_cmp_ne_u32_e32 vcc, 0, v4
	s_andn2_b64 s[62:63], s[62:63], exec
	s_and_b64 s[76:77], vcc, exec
	s_or_b64 s[62:63], s[62:63], s[76:77]
	s_or_b64 exec, exec, s[64:65]
	v_mov_b32_e32 v5, 0
	s_and_saveexec_b64 s[64:65], s[62:63]
	s_cbranch_execnz .LBB119_1083
	s_branch .LBB119_1084
.LBB119_1201:
	s_mov_b64 s[10:11], -1
                                        ; implicit-def: $vgpr1
	s_mov_b64 s[18:19], 0
.LBB119_1202:
	s_and_b64 vcc, exec, s[20:21]
	s_cbranch_vccz .LBB119_1206
; %bb.1203:
	s_cmp_eq_u32 s22, 44
	s_cbranch_scc0 .LBB119_1205
; %bb.1204:
	global_load_ubyte v1, v[4:5], off
	s_mov_b64 s[10:11], 0
	s_mov_b64 s[18:19], -1
	s_waitcnt vmcnt(0)
	v_lshlrev_b32_e32 v2, 23, v1
	v_cvt_i32_f32_e32 v2, v2
	v_cmp_ne_u32_e32 vcc, 0, v1
	v_cndmask_b32_e32 v1, 0, v2, vcc
	s_branch .LBB119_1206
.LBB119_1205:
	s_mov_b64 s[10:11], -1
                                        ; implicit-def: $vgpr1
.LBB119_1206:
	s_mov_b64 s[20:21], 0
.LBB119_1207:
	s_and_b64 vcc, exec, s[20:21]
	s_cbranch_vccz .LBB119_1211
; %bb.1208:
	s_cmp_eq_u32 s22, 29
	s_cbranch_scc0 .LBB119_1210
; %bb.1209:
	global_load_dwordx2 v[1:2], v[4:5], off
	s_mov_b64 s[10:11], 0
	s_mov_b64 s[18:19], -1
	s_branch .LBB119_1211
.LBB119_1210:
	s_mov_b64 s[10:11], -1
                                        ; implicit-def: $vgpr1
.LBB119_1211:
	s_mov_b64 s[20:21], 0
.LBB119_1212:
	s_and_b64 vcc, exec, s[20:21]
	s_cbranch_vccz .LBB119_1228
; %bb.1213:
	s_cmp_lt_i32 s22, 27
	s_cbranch_scc1 .LBB119_1216
; %bb.1214:
	s_cmp_gt_i32 s22, 27
	s_cbranch_scc0 .LBB119_1217
; %bb.1215:
	global_load_dword v1, v[4:5], off
	s_mov_b64 s[18:19], 0
	s_branch .LBB119_1218
.LBB119_1216:
	s_mov_b64 s[18:19], -1
                                        ; implicit-def: $vgpr1
	s_branch .LBB119_1221
.LBB119_1217:
	s_mov_b64 s[18:19], -1
                                        ; implicit-def: $vgpr1
.LBB119_1218:
	s_andn2_b64 vcc, exec, s[18:19]
	s_cbranch_vccnz .LBB119_1220
; %bb.1219:
	global_load_ushort v1, v[4:5], off
.LBB119_1220:
	s_mov_b64 s[18:19], 0
.LBB119_1221:
	s_andn2_b64 vcc, exec, s[18:19]
	s_cbranch_vccnz .LBB119_1227
; %bb.1222:
	global_load_ubyte v2, v[4:5], off
	s_movk_i32 s18, 0x7f
	s_mov_b64 s[20:21], 0
	s_waitcnt vmcnt(0)
	v_cmp_lt_i16_e32 vcc, s18, v2
	s_and_saveexec_b64 s[18:19], vcc
	s_xor_b64 s[18:19], exec, s[18:19]
	s_cbranch_execz .LBB119_1239
; %bb.1223:
	s_movk_i32 s20, 0x80
	v_cmp_ne_u16_e32 vcc, s20, v2
	s_and_b64 s[20:21], vcc, exec
	s_andn2_saveexec_b64 s[18:19], s[18:19]
	s_cbranch_execnz .LBB119_1240
.LBB119_1224:
	s_or_b64 exec, exec, s[18:19]
	v_mov_b32_e32 v1, 0
	s_and_saveexec_b64 s[18:19], s[20:21]
	s_cbranch_execz .LBB119_1226
.LBB119_1225:
	v_lshlrev_b32_e32 v1, 24, v2
	v_and_b32_e32 v2, 0xffff, v2
	v_and_b32_e32 v6, 7, v2
	v_ffbh_u32_e32 v8, v6
	v_min_u32_e32 v8, 32, v8
	v_subrev_u32_e32 v9, 28, v8
	v_bfe_u32 v7, v2, 3, 4
	v_lshlrev_b32_e32 v2, v9, v2
	v_sub_u32_e32 v8, 29, v8
	v_and_b32_e32 v2, 7, v2
	v_cmp_eq_u32_e32 vcc, 0, v7
	v_cndmask_b32_e32 v7, v7, v8, vcc
	v_cndmask_b32_e32 v2, v6, v2, vcc
	v_mov_b32_e32 v6, 0x3b800000
	v_lshlrev_b32_e32 v2, 20, v2
	v_and_b32_e32 v1, 0x80000000, v1
	v_lshl_add_u32 v6, v7, 23, v6
	v_or3_b32 v1, v1, v6, v2
	v_cvt_i32_f32_e32 v1, v1
.LBB119_1226:
	s_or_b64 exec, exec, s[18:19]
.LBB119_1227:
	s_mov_b64 s[18:19], -1
.LBB119_1228:
	s_mov_b64 s[20:21], 0
.LBB119_1229:
	s_and_b64 vcc, exec, s[20:21]
	s_cbranch_vccz .LBB119_1260
; %bb.1230:
	s_cmp_gt_i32 s22, 22
	s_cbranch_scc0 .LBB119_1238
; %bb.1231:
	s_cmp_lt_i32 s22, 24
	s_cbranch_scc1 .LBB119_1241
; %bb.1232:
	s_cmp_gt_i32 s22, 24
	s_cbranch_scc0 .LBB119_1242
; %bb.1233:
	global_load_ubyte v2, v[4:5], off
	s_movk_i32 s16, 0x7f
	s_mov_b64 s[18:19], 0
	s_waitcnt vmcnt(0)
	v_cmp_lt_i16_e32 vcc, s16, v2
	s_and_saveexec_b64 s[16:17], vcc
	s_xor_b64 s[16:17], exec, s[16:17]
	s_cbranch_execz .LBB119_1254
; %bb.1234:
	s_movk_i32 s18, 0x80
	v_cmp_ne_u16_e32 vcc, s18, v2
	s_and_b64 s[18:19], vcc, exec
	s_andn2_saveexec_b64 s[16:17], s[16:17]
	s_cbranch_execnz .LBB119_1255
.LBB119_1235:
	s_or_b64 exec, exec, s[16:17]
	v_mov_b32_e32 v1, 0
	s_and_saveexec_b64 s[16:17], s[18:19]
	s_cbranch_execz .LBB119_1237
.LBB119_1236:
	v_lshlrev_b32_e32 v1, 24, v2
	v_and_b32_e32 v2, 0xffff, v2
	v_and_b32_e32 v6, 3, v2
	v_ffbh_u32_e32 v8, v6
	v_min_u32_e32 v8, 32, v8
	v_subrev_u32_e32 v9, 29, v8
	v_bfe_u32 v7, v2, 2, 5
	v_lshlrev_b32_e32 v2, v9, v2
	v_sub_u32_e32 v8, 30, v8
	v_and_b32_e32 v2, 3, v2
	v_cmp_eq_u32_e32 vcc, 0, v7
	v_cndmask_b32_e32 v7, v7, v8, vcc
	v_cndmask_b32_e32 v2, v6, v2, vcc
	v_mov_b32_e32 v6, 0x37800000
	v_lshlrev_b32_e32 v2, 21, v2
	v_and_b32_e32 v1, 0x80000000, v1
	v_lshl_add_u32 v6, v7, 23, v6
	v_or3_b32 v1, v1, v6, v2
	v_cvt_i32_f32_e32 v1, v1
.LBB119_1237:
	s_or_b64 exec, exec, s[16:17]
	s_mov_b64 s[16:17], 0
	s_branch .LBB119_1243
.LBB119_1238:
	s_mov_b64 s[16:17], -1
                                        ; implicit-def: $vgpr1
	s_branch .LBB119_1249
.LBB119_1239:
	s_andn2_saveexec_b64 s[18:19], s[18:19]
	s_cbranch_execz .LBB119_1224
.LBB119_1240:
	v_cmp_ne_u16_e32 vcc, 0, v2
	s_andn2_b64 s[20:21], s[20:21], exec
	s_and_b64 s[28:29], vcc, exec
	s_or_b64 s[20:21], s[20:21], s[28:29]
	s_or_b64 exec, exec, s[18:19]
	v_mov_b32_e32 v1, 0
	s_and_saveexec_b64 s[18:19], s[20:21]
	s_cbranch_execnz .LBB119_1225
	s_branch .LBB119_1226
.LBB119_1241:
	s_mov_b64 s[16:17], -1
                                        ; implicit-def: $vgpr1
	s_branch .LBB119_1246
.LBB119_1242:
	s_mov_b64 s[16:17], -1
                                        ; implicit-def: $vgpr1
.LBB119_1243:
	s_and_b64 vcc, exec, s[16:17]
	s_cbranch_vccz .LBB119_1245
; %bb.1244:
	global_load_ubyte v1, v[4:5], off
	s_mov_b32 s16, 0x7f800000
	s_waitcnt vmcnt(0)
	v_lshlrev_b32_e32 v1, 24, v1
	v_and_b32_e32 v2, 0x7f000000, v1
	v_ffbh_u32_e32 v6, v2
	v_min_u32_e32 v6, 32, v6
	v_sub_u32_e64 v6, v6, 4 clamp
	v_lshlrev_b32_e32 v8, v6, v2
	v_lshlrev_b32_e32 v6, 23, v6
	v_lshrrev_b32_e32 v8, 4, v8
	v_add_u32_e32 v7, 0x1000000, v2
	v_sub_u32_e32 v6, v8, v6
	v_ashrrev_i32_e32 v7, 8, v7
	v_add_u32_e32 v6, 0x3c000000, v6
	v_and_or_b32 v6, v7, s16, v6
	v_cmp_ne_u32_e32 vcc, 0, v2
	v_cndmask_b32_e32 v2, 0, v6, vcc
	s_brev_b32 s16, 1
	v_and_or_b32 v1, v1, s16, v2
	v_cvt_i32_f32_e32 v1, v1
.LBB119_1245:
	s_mov_b64 s[16:17], 0
.LBB119_1246:
	s_andn2_b64 vcc, exec, s[16:17]
	s_cbranch_vccnz .LBB119_1248
; %bb.1247:
	global_load_ubyte v1, v[4:5], off
	s_movk_i32 s16, 0x7f00
	s_brev_b32 s17, 16
	s_waitcnt vmcnt(0)
	v_lshlrev_b16_e32 v2, 8, v1
	v_lshlrev_b32_e32 v1, 25, v1
	v_lshrrev_b32_e32 v6, 4, v1
	v_and_or_b32 v7, v2, s16, 0.5
	v_or_b32_e32 v6, 0x70000000, v6
	v_add_f32_e32 v7, -0.5, v7
	v_mul_f32_e32 v6, 0x7800000, v6
	v_cmp_gt_u32_e32 vcc, s17, v1
	v_bfe_i32 v2, v2, 0, 16
	v_cndmask_b32_e32 v1, v6, v7, vcc
	s_brev_b32 s16, 1
	v_and_or_b32 v1, v2, s16, v1
	v_cvt_i32_f32_e32 v1, v1
.LBB119_1248:
	s_mov_b64 s[16:17], 0
	s_mov_b64 s[18:19], -1
.LBB119_1249:
	s_andn2_b64 vcc, exec, s[16:17]
	s_mov_b64 s[16:17], 0
	s_cbranch_vccnz .LBB119_1260
; %bb.1250:
	s_cmp_gt_i32 s22, 14
	s_cbranch_scc0 .LBB119_1253
; %bb.1251:
	s_cmp_eq_u32 s22, 15
	s_cbranch_scc0 .LBB119_1256
; %bb.1252:
	global_load_ushort v1, v[4:5], off
	s_mov_b64 s[10:11], 0
	s_mov_b64 s[18:19], -1
	s_waitcnt vmcnt(0)
	v_lshlrev_b32_e32 v1, 16, v1
	v_cvt_i32_f32_e32 v1, v1
	s_branch .LBB119_1257
.LBB119_1253:
	s_mov_b64 s[20:21], -1
                                        ; implicit-def: $vgpr1
	s_branch .LBB119_1258
.LBB119_1254:
	s_andn2_saveexec_b64 s[16:17], s[16:17]
	s_cbranch_execz .LBB119_1235
.LBB119_1255:
	v_cmp_ne_u16_e32 vcc, 0, v2
	s_andn2_b64 s[18:19], s[18:19], exec
	s_and_b64 s[20:21], vcc, exec
	s_or_b64 s[18:19], s[18:19], s[20:21]
	s_or_b64 exec, exec, s[16:17]
	v_mov_b32_e32 v1, 0
	s_and_saveexec_b64 s[16:17], s[18:19]
	s_cbranch_execnz .LBB119_1236
	s_branch .LBB119_1237
.LBB119_1256:
	s_mov_b64 s[10:11], -1
                                        ; implicit-def: $vgpr1
.LBB119_1257:
	s_mov_b64 s[20:21], 0
.LBB119_1258:
	s_and_b64 vcc, exec, s[20:21]
	s_cbranch_vccz .LBB119_1260
; %bb.1259:
	s_cmp_lg_u32 s22, 11
	s_cselect_b64 s[20:21], -1, 0
	s_andn2_b64 s[10:11], s[10:11], exec
	s_and_b64 s[20:21], s[20:21], exec
	s_mov_b64 s[16:17], -1
	s_or_b64 s[10:11], s[10:11], s[20:21]
.LBB119_1260:
	s_mov_b64 s[20:21], 0
.LBB119_1261:
	s_and_b64 s[62:63], s[16:17], exec
	s_andn2_b64 s[16:17], s[0:1], exec
	s_and_b64 s[10:11], s[10:11], exec
	s_and_b64 s[64:65], s[18:19], exec
	;; [unrolled: 1-line block ×3, first 2 shown]
	s_or_b64 s[66:67], s[16:17], s[10:11]
.LBB119_1262:
	s_or_b64 exec, exec, s[56:57]
	s_andn2_b64 s[0:1], s[0:1], exec
	s_and_b64 s[10:11], s[66:67], exec
	s_and_b64 s[64:65], s[64:65], exec
	;; [unrolled: 1-line block ×4, first 2 shown]
	s_or_b64 s[0:1], s[0:1], s[10:11]
.LBB119_1263:
	s_or_b64 exec, exec, s[54:55]
	s_andn2_b64 s[10:11], s[50:51], exec
	s_and_b64 s[16:17], s[60:61], exec
	s_or_b64 s[50:51], s[10:11], s[16:17]
	s_andn2_b64 s[10:11], s[48:49], exec
	s_and_b64 s[16:17], s[58:59], exec
	s_or_b64 s[48:49], s[10:11], s[16:17]
	s_andn2_b64 s[10:11], s[46:47], exec
	s_and_b64 s[0:1], s[0:1], exec
	s_and_b64 s[58:59], s[64:65], exec
	;; [unrolled: 1-line block ×4, first 2 shown]
	s_or_b64 s[46:47], s[10:11], s[0:1]
.LBB119_1264:
	s_or_b64 exec, exec, s[52:53]
	s_andn2_b64 s[0:1], s[38:39], exec
	s_and_b64 s[10:11], s[50:51], exec
	s_or_b64 s[38:39], s[0:1], s[10:11]
	s_andn2_b64 s[0:1], s[40:41], exec
	s_and_b64 s[10:11], s[48:49], exec
	s_or_b64 s[40:41], s[0:1], s[10:11]
	s_andn2_b64 s[0:1], s[42:43], exec
	s_and_b64 s[10:11], s[46:47], exec
	s_and_b64 s[50:51], s[58:59], exec
	;; [unrolled: 1-line block ×4, first 2 shown]
	s_or_b64 s[42:43], s[0:1], s[10:11]
	s_or_b64 exec, exec, s[44:45]
	s_mov_b64 s[10:11], 0
	s_and_saveexec_b64 s[0:1], s[42:43]
	s_cbranch_execz .LBB119_395
.LBB119_1265:
	s_mov_b64 s[10:11], exec
	s_andn2_b64 s[48:49], s[48:49], exec
	s_trap 2
	s_or_b64 exec, exec, s[0:1]
	s_and_saveexec_b64 s[0:1], s[48:49]
	s_xor_b64 s[0:1], exec, s[0:1]
	s_cbranch_execnz .LBB119_396
.LBB119_1266:
	s_or_b64 exec, exec, s[0:1]
	s_and_saveexec_b64 s[0:1], s[52:53]
	s_cbranch_execz .LBB119_1312
.LBB119_1267:
	s_sext_i32_i16 s16, s75
	s_cmp_lt_i32 s16, 5
	s_cbranch_scc1 .LBB119_1272
; %bb.1268:
	s_cmp_lt_i32 s16, 8
	s_cbranch_scc1 .LBB119_1273
; %bb.1269:
	;; [unrolled: 3-line block ×3, first 2 shown]
	s_cmp_gt_i32 s16, 9
	s_cbranch_scc0 .LBB119_1275
; %bb.1271:
	s_waitcnt vmcnt(0)
	global_load_dwordx2 v[1:2], v[4:5], off
	s_mov_b64 s[16:17], 0
	s_waitcnt vmcnt(0)
	v_cvt_i32_f64_e32 v1, v[1:2]
	s_branch .LBB119_1276
.LBB119_1272:
                                        ; implicit-def: $vgpr1
	s_branch .LBB119_1293
.LBB119_1273:
                                        ; implicit-def: $vgpr1
	s_branch .LBB119_1282
.LBB119_1274:
	s_mov_b64 s[16:17], -1
                                        ; implicit-def: $vgpr1
	s_branch .LBB119_1279
.LBB119_1275:
	s_mov_b64 s[16:17], -1
                                        ; implicit-def: $vgpr1
.LBB119_1276:
	s_andn2_b64 vcc, exec, s[16:17]
	s_cbranch_vccnz .LBB119_1278
; %bb.1277:
	s_waitcnt vmcnt(0)
	global_load_dword v1, v[4:5], off
	s_waitcnt vmcnt(0)
	v_cvt_i32_f32_e32 v1, v1
.LBB119_1278:
	s_mov_b64 s[16:17], 0
.LBB119_1279:
	s_andn2_b64 vcc, exec, s[16:17]
	s_cbranch_vccnz .LBB119_1281
; %bb.1280:
	s_waitcnt vmcnt(0)
	global_load_dword v1, v[4:5], off
	s_waitcnt vmcnt(0)
	v_cvt_i16_f16_e32 v1, v1
.LBB119_1281:
	s_cbranch_execnz .LBB119_1292
.LBB119_1282:
	s_sext_i32_i16 s16, s75
	s_cmp_lt_i32 s16, 6
	s_cbranch_scc1 .LBB119_1285
; %bb.1283:
	s_cmp_gt_i32 s16, 6
	s_cbranch_scc0 .LBB119_1286
; %bb.1284:
	s_waitcnt vmcnt(0)
	global_load_dwordx2 v[1:2], v[4:5], off
	s_mov_b64 s[16:17], 0
	s_waitcnt vmcnt(0)
	v_cvt_i32_f64_e32 v1, v[1:2]
	s_branch .LBB119_1287
.LBB119_1285:
	s_mov_b64 s[16:17], -1
                                        ; implicit-def: $vgpr1
	s_branch .LBB119_1290
.LBB119_1286:
	s_mov_b64 s[16:17], -1
                                        ; implicit-def: $vgpr1
.LBB119_1287:
	s_andn2_b64 vcc, exec, s[16:17]
	s_cbranch_vccnz .LBB119_1289
; %bb.1288:
	s_waitcnt vmcnt(0)
	global_load_dword v1, v[4:5], off
	s_waitcnt vmcnt(0)
	v_cvt_i32_f32_e32 v1, v1
.LBB119_1289:
	s_mov_b64 s[16:17], 0
.LBB119_1290:
	s_andn2_b64 vcc, exec, s[16:17]
	s_cbranch_vccnz .LBB119_1292
; %bb.1291:
	s_waitcnt vmcnt(0)
	global_load_ushort v1, v[4:5], off
	s_waitcnt vmcnt(0)
	v_cvt_i16_f16_e32 v1, v1
.LBB119_1292:
	s_cbranch_execnz .LBB119_1311
.LBB119_1293:
	s_sext_i32_i16 s16, s75
	s_cmp_lt_i32 s16, 2
	s_cbranch_scc1 .LBB119_1297
; %bb.1294:
	s_cmp_lt_i32 s16, 3
	s_cbranch_scc1 .LBB119_1298
; %bb.1295:
	s_cmp_gt_i32 s16, 3
	s_cbranch_scc0 .LBB119_1299
; %bb.1296:
	s_waitcnt vmcnt(0)
	global_load_dwordx2 v[1:2], v[4:5], off
	s_mov_b64 s[16:17], 0
	s_branch .LBB119_1300
.LBB119_1297:
                                        ; implicit-def: $vgpr1
	s_branch .LBB119_1306
.LBB119_1298:
	s_mov_b64 s[16:17], -1
                                        ; implicit-def: $vgpr1
	s_branch .LBB119_1303
.LBB119_1299:
	s_mov_b64 s[16:17], -1
                                        ; implicit-def: $vgpr1
.LBB119_1300:
	s_andn2_b64 vcc, exec, s[16:17]
	s_cbranch_vccnz .LBB119_1302
; %bb.1301:
	s_waitcnt vmcnt(0)
	global_load_dword v1, v[4:5], off
.LBB119_1302:
	s_mov_b64 s[16:17], 0
.LBB119_1303:
	s_andn2_b64 vcc, exec, s[16:17]
	s_cbranch_vccnz .LBB119_1305
; %bb.1304:
	s_waitcnt vmcnt(0)
	global_load_ushort v1, v[4:5], off
.LBB119_1305:
	s_cbranch_execnz .LBB119_1311
.LBB119_1306:
	s_sext_i32_i16 s16, s75
	s_cmp_gt_i32 s16, 0
	s_cbranch_scc0 .LBB119_1308
; %bb.1307:
	s_waitcnt vmcnt(0)
	global_load_sbyte v1, v[4:5], off
	s_mov_b64 s[16:17], 0
	s_branch .LBB119_1309
.LBB119_1308:
	s_mov_b64 s[16:17], -1
                                        ; implicit-def: $vgpr1
.LBB119_1309:
	s_andn2_b64 vcc, exec, s[16:17]
	s_cbranch_vccnz .LBB119_1311
; %bb.1310:
	s_waitcnt vmcnt(0)
	global_load_ubyte v1, v[4:5], off
.LBB119_1311:
	s_or_b64 s[50:51], s[50:51], exec
.LBB119_1312:
	s_or_b64 exec, exec, s[0:1]
	s_mov_b64 s[18:19], 0
	s_mov_b64 s[20:21], 0
	;; [unrolled: 1-line block ×3, first 2 shown]
                                        ; implicit-def: $sgpr22
                                        ; implicit-def: $vgpr4_vgpr5
                                        ; implicit-def: $vgpr6
	s_and_saveexec_b64 s[0:1], s[50:51]
	s_cbranch_execz .LBB119_1320
; %bb.1313:
	s_waitcnt vmcnt(0)
	v_mov_b32_e32 v2, s13
	s_and_b32 s22, s72, 0xff
	v_add_co_u32_e32 v4, vcc, s12, v3
	s_cmp_lt_i32 s22, 11
	v_addc_co_u32_e32 v5, vcc, 0, v2, vcc
	s_cbranch_scc1 .LBB119_1323
; %bb.1314:
	s_and_b32 s23, 0xffff, s22
	s_cmp_gt_i32 s23, 25
	s_cbranch_scc0 .LBB119_1324
; %bb.1315:
	s_cmp_gt_i32 s23, 28
	s_cbranch_scc0 .LBB119_1325
; %bb.1316:
	;; [unrolled: 3-line block ×4, first 2 shown]
	s_cmp_eq_u32 s23, 46
	s_cbranch_scc0 .LBB119_1328
; %bb.1319:
	global_load_dword v2, v[4:5], off
	s_mov_b64 s[12:13], 0
	s_mov_b64 s[16:17], -1
	s_waitcnt vmcnt(0)
	v_lshlrev_b32_e32 v2, 16, v2
	v_cvt_i32_f32_e32 v6, v2
	s_branch .LBB119_1330
.LBB119_1320:
	s_or_b64 exec, exec, s[0:1]
	s_and_saveexec_b64 s[0:1], s[40:41]
	s_cbranch_execnz .LBB119_1389
.LBB119_1321:
	s_or_b64 exec, exec, s[0:1]
	s_and_saveexec_b64 s[0:1], s[18:19]
	s_xor_b64 s[0:1], exec, s[0:1]
	s_cbranch_execz .LBB119_1390
.LBB119_1322:
	s_waitcnt vmcnt(0)
	global_load_ubyte v2, v[4:5], off
	s_or_b64 s[16:17], s[16:17], exec
	s_waitcnt vmcnt(0)
	v_cmp_ne_u16_e32 vcc, 0, v2
	v_cndmask_b32_e64 v6, 0, 1, vcc
	s_or_b64 exec, exec, s[0:1]
	s_and_saveexec_b64 s[0:1], s[20:21]
	s_cbranch_execz .LBB119_1436
	s_branch .LBB119_1391
.LBB119_1323:
	s_mov_b64 s[20:21], -1
                                        ; implicit-def: $vgpr6
	s_mov_b64 s[12:13], s[40:41]
	s_branch .LBB119_1388
.LBB119_1324:
	s_mov_b64 s[12:13], s[40:41]
                                        ; implicit-def: $vgpr6
	s_cbranch_execnz .LBB119_1357
	s_branch .LBB119_1387
.LBB119_1325:
	s_mov_b64 s[20:21], -1
	s_mov_b64 s[12:13], s[40:41]
                                        ; implicit-def: $vgpr6
	s_branch .LBB119_1340
.LBB119_1326:
	s_mov_b64 s[20:21], -1
	s_mov_b64 s[12:13], s[40:41]
                                        ; implicit-def: $vgpr6
	s_branch .LBB119_1335
.LBB119_1327:
	s_mov_b64 s[20:21], -1
	s_mov_b64 s[12:13], s[40:41]
	s_branch .LBB119_1329
.LBB119_1328:
	s_mov_b64 s[12:13], -1
.LBB119_1329:
                                        ; implicit-def: $vgpr6
.LBB119_1330:
	s_and_b64 vcc, exec, s[20:21]
	s_cbranch_vccz .LBB119_1334
; %bb.1331:
	s_cmp_eq_u32 s23, 44
	s_cbranch_scc0 .LBB119_1333
; %bb.1332:
	global_load_ubyte v2, v[4:5], off
	s_mov_b64 s[12:13], 0
	s_mov_b64 s[16:17], -1
	s_waitcnt vmcnt(0)
	v_lshlrev_b32_e32 v3, 23, v2
	v_cvt_i32_f32_e32 v3, v3
	v_cmp_ne_u32_e32 vcc, 0, v2
	v_cndmask_b32_e32 v6, 0, v3, vcc
	s_branch .LBB119_1334
.LBB119_1333:
	s_mov_b64 s[12:13], -1
                                        ; implicit-def: $vgpr6
.LBB119_1334:
	s_mov_b64 s[20:21], 0
.LBB119_1335:
	s_and_b64 vcc, exec, s[20:21]
	s_cbranch_vccz .LBB119_1339
; %bb.1336:
	s_cmp_eq_u32 s23, 29
	s_cbranch_scc0 .LBB119_1338
; %bb.1337:
	global_load_dwordx2 v[6:7], v[4:5], off
	s_mov_b64 s[12:13], 0
	s_mov_b64 s[16:17], -1
	s_branch .LBB119_1339
.LBB119_1338:
	s_mov_b64 s[12:13], -1
                                        ; implicit-def: $vgpr6
.LBB119_1339:
	s_mov_b64 s[20:21], 0
.LBB119_1340:
	s_and_b64 vcc, exec, s[20:21]
	s_cbranch_vccz .LBB119_1356
; %bb.1341:
	s_cmp_lt_i32 s23, 27
	s_cbranch_scc1 .LBB119_1344
; %bb.1342:
	s_cmp_gt_i32 s23, 27
	s_cbranch_scc0 .LBB119_1345
; %bb.1343:
	global_load_dword v6, v[4:5], off
	s_mov_b64 s[16:17], 0
	s_branch .LBB119_1346
.LBB119_1344:
	s_mov_b64 s[16:17], -1
                                        ; implicit-def: $vgpr6
	s_branch .LBB119_1349
.LBB119_1345:
	s_mov_b64 s[16:17], -1
                                        ; implicit-def: $vgpr6
.LBB119_1346:
	s_andn2_b64 vcc, exec, s[16:17]
	s_cbranch_vccnz .LBB119_1348
; %bb.1347:
	global_load_ushort v6, v[4:5], off
.LBB119_1348:
	s_mov_b64 s[16:17], 0
.LBB119_1349:
	s_andn2_b64 vcc, exec, s[16:17]
	s_cbranch_vccnz .LBB119_1355
; %bb.1350:
	global_load_ubyte v2, v[4:5], off
	s_movk_i32 s16, 0x7f
	s_mov_b64 s[20:21], 0
	s_waitcnt vmcnt(0)
	v_cmp_lt_i16_e32 vcc, s16, v2
	s_and_saveexec_b64 s[16:17], vcc
	s_xor_b64 s[16:17], exec, s[16:17]
	s_cbranch_execz .LBB119_1366
; %bb.1351:
	s_movk_i32 s20, 0x80
	v_cmp_ne_u16_e32 vcc, s20, v2
	s_and_b64 s[20:21], vcc, exec
	s_andn2_saveexec_b64 s[16:17], s[16:17]
	s_cbranch_execnz .LBB119_1367
.LBB119_1352:
	s_or_b64 exec, exec, s[16:17]
	v_mov_b32_e32 v6, 0
	s_and_saveexec_b64 s[16:17], s[20:21]
	s_cbranch_execz .LBB119_1354
.LBB119_1353:
	v_lshlrev_b32_e32 v3, 24, v2
	v_and_b32_e32 v2, 0xffff, v2
	v_and_b32_e32 v6, 7, v2
	v_ffbh_u32_e32 v8, v6
	v_min_u32_e32 v8, 32, v8
	v_subrev_u32_e32 v9, 28, v8
	v_bfe_u32 v7, v2, 3, 4
	v_lshlrev_b32_e32 v2, v9, v2
	v_sub_u32_e32 v8, 29, v8
	v_and_b32_e32 v2, 7, v2
	v_cmp_eq_u32_e32 vcc, 0, v7
	v_cndmask_b32_e32 v7, v7, v8, vcc
	v_cndmask_b32_e32 v2, v6, v2, vcc
	v_mov_b32_e32 v6, 0x3b800000
	v_lshlrev_b32_e32 v2, 20, v2
	v_and_b32_e32 v3, 0x80000000, v3
	v_lshl_add_u32 v6, v7, 23, v6
	v_or3_b32 v2, v3, v6, v2
	v_cvt_i32_f32_e32 v6, v2
.LBB119_1354:
	s_or_b64 exec, exec, s[16:17]
.LBB119_1355:
	s_mov_b64 s[16:17], -1
.LBB119_1356:
	s_branch .LBB119_1387
.LBB119_1357:
	s_cmp_gt_i32 s23, 22
	s_cbranch_scc0 .LBB119_1365
; %bb.1358:
	s_cmp_lt_i32 s23, 24
	s_cbranch_scc1 .LBB119_1368
; %bb.1359:
	s_cmp_gt_i32 s23, 24
	s_cbranch_scc0 .LBB119_1369
; %bb.1360:
	global_load_ubyte v2, v[4:5], off
	s_movk_i32 s16, 0x7f
	s_waitcnt vmcnt(0)
	v_cmp_lt_i16_e32 vcc, s16, v2
	s_and_saveexec_b64 s[16:17], vcc
	s_xor_b64 s[16:17], exec, s[16:17]
	s_cbranch_execz .LBB119_1381
; %bb.1361:
	s_movk_i32 s18, 0x80
	v_cmp_ne_u16_e32 vcc, s18, v2
	s_and_b64 s[18:19], vcc, exec
	s_andn2_saveexec_b64 s[16:17], s[16:17]
	s_cbranch_execnz .LBB119_1382
.LBB119_1362:
	s_or_b64 exec, exec, s[16:17]
	v_mov_b32_e32 v6, 0
	s_and_saveexec_b64 s[16:17], s[18:19]
	s_cbranch_execz .LBB119_1364
.LBB119_1363:
	v_lshlrev_b32_e32 v3, 24, v2
	v_and_b32_e32 v2, 0xffff, v2
	v_and_b32_e32 v6, 3, v2
	v_ffbh_u32_e32 v8, v6
	v_min_u32_e32 v8, 32, v8
	v_subrev_u32_e32 v9, 29, v8
	v_bfe_u32 v7, v2, 2, 5
	v_lshlrev_b32_e32 v2, v9, v2
	v_sub_u32_e32 v8, 30, v8
	v_and_b32_e32 v2, 3, v2
	v_cmp_eq_u32_e32 vcc, 0, v7
	v_cndmask_b32_e32 v7, v7, v8, vcc
	v_cndmask_b32_e32 v2, v6, v2, vcc
	v_mov_b32_e32 v6, 0x37800000
	v_lshlrev_b32_e32 v2, 21, v2
	v_and_b32_e32 v3, 0x80000000, v3
	v_lshl_add_u32 v6, v7, 23, v6
	v_or3_b32 v2, v3, v6, v2
	v_cvt_i32_f32_e32 v6, v2
.LBB119_1364:
	s_or_b64 exec, exec, s[16:17]
	s_mov_b64 s[16:17], 0
	s_branch .LBB119_1370
.LBB119_1365:
	s_mov_b64 s[18:19], -1
                                        ; implicit-def: $vgpr6
	s_branch .LBB119_1376
.LBB119_1366:
	s_andn2_saveexec_b64 s[16:17], s[16:17]
	s_cbranch_execz .LBB119_1352
.LBB119_1367:
	v_cmp_ne_u16_e32 vcc, 0, v2
	s_andn2_b64 s[20:21], s[20:21], exec
	s_and_b64 s[28:29], vcc, exec
	s_or_b64 s[20:21], s[20:21], s[28:29]
	s_or_b64 exec, exec, s[16:17]
	v_mov_b32_e32 v6, 0
	s_and_saveexec_b64 s[16:17], s[20:21]
	s_cbranch_execnz .LBB119_1353
	s_branch .LBB119_1354
.LBB119_1368:
	s_mov_b64 s[16:17], -1
                                        ; implicit-def: $vgpr6
	s_branch .LBB119_1373
.LBB119_1369:
	s_mov_b64 s[16:17], -1
                                        ; implicit-def: $vgpr6
.LBB119_1370:
	s_and_b64 vcc, exec, s[16:17]
	s_cbranch_vccz .LBB119_1372
; %bb.1371:
	global_load_ubyte v2, v[4:5], off
	s_mov_b32 s16, 0x7f800000
	s_waitcnt vmcnt(0)
	v_lshlrev_b32_e32 v2, 24, v2
	v_and_b32_e32 v3, 0x7f000000, v2
	v_ffbh_u32_e32 v6, v3
	v_min_u32_e32 v6, 32, v6
	v_sub_u32_e64 v6, v6, 4 clamp
	v_lshlrev_b32_e32 v8, v6, v3
	v_lshlrev_b32_e32 v6, 23, v6
	v_lshrrev_b32_e32 v8, 4, v8
	v_add_u32_e32 v7, 0x1000000, v3
	v_sub_u32_e32 v6, v8, v6
	v_ashrrev_i32_e32 v7, 8, v7
	v_add_u32_e32 v6, 0x3c000000, v6
	v_and_or_b32 v6, v7, s16, v6
	v_cmp_ne_u32_e32 vcc, 0, v3
	v_cndmask_b32_e32 v3, 0, v6, vcc
	s_brev_b32 s16, 1
	v_and_or_b32 v2, v2, s16, v3
	v_cvt_i32_f32_e32 v6, v2
.LBB119_1372:
	s_mov_b64 s[16:17], 0
.LBB119_1373:
	s_andn2_b64 vcc, exec, s[16:17]
	s_cbranch_vccnz .LBB119_1375
; %bb.1374:
	global_load_ubyte v2, v[4:5], off
	s_movk_i32 s16, 0x7f00
	s_brev_b32 s17, 16
	s_waitcnt vmcnt(0)
	v_lshlrev_b16_e32 v3, 8, v2
	v_lshlrev_b32_e32 v2, 25, v2
	v_lshrrev_b32_e32 v6, 4, v2
	v_and_or_b32 v7, v3, s16, 0.5
	v_or_b32_e32 v6, 0x70000000, v6
	v_add_f32_e32 v7, -0.5, v7
	v_mul_f32_e32 v6, 0x7800000, v6
	v_cmp_gt_u32_e32 vcc, s17, v2
	v_bfe_i32 v3, v3, 0, 16
	v_cndmask_b32_e32 v2, v6, v7, vcc
	s_brev_b32 s16, 1
	v_and_or_b32 v2, v3, s16, v2
	v_cvt_i32_f32_e32 v6, v2
.LBB119_1375:
	s_mov_b64 s[18:19], 0
	s_mov_b64 s[16:17], -1
.LBB119_1376:
	s_andn2_b64 vcc, exec, s[18:19]
	s_mov_b64 s[18:19], 0
	s_cbranch_vccnz .LBB119_1387
; %bb.1377:
	s_cmp_gt_i32 s23, 14
	s_cbranch_scc0 .LBB119_1380
; %bb.1378:
	s_cmp_eq_u32 s23, 15
	s_cbranch_scc0 .LBB119_1383
; %bb.1379:
	global_load_ushort v2, v[4:5], off
	s_mov_b64 s[12:13], 0
	s_mov_b64 s[16:17], -1
	s_waitcnt vmcnt(0)
	v_lshlrev_b32_e32 v2, 16, v2
	v_cvt_i32_f32_e32 v6, v2
	s_branch .LBB119_1384
.LBB119_1380:
	s_mov_b64 s[20:21], -1
                                        ; implicit-def: $vgpr6
	s_branch .LBB119_1385
.LBB119_1381:
	s_andn2_saveexec_b64 s[16:17], s[16:17]
	s_cbranch_execz .LBB119_1362
.LBB119_1382:
	v_cmp_ne_u16_e32 vcc, 0, v2
	s_andn2_b64 s[18:19], s[18:19], exec
	s_and_b64 s[20:21], vcc, exec
	s_or_b64 s[18:19], s[18:19], s[20:21]
	s_or_b64 exec, exec, s[16:17]
	v_mov_b32_e32 v6, 0
	s_and_saveexec_b64 s[16:17], s[18:19]
	s_cbranch_execnz .LBB119_1363
	s_branch .LBB119_1364
.LBB119_1383:
	s_mov_b64 s[12:13], -1
                                        ; implicit-def: $vgpr6
.LBB119_1384:
	s_mov_b64 s[20:21], 0
.LBB119_1385:
	s_and_b64 vcc, exec, s[20:21]
	s_cbranch_vccz .LBB119_1387
; %bb.1386:
	s_cmp_lg_u32 s23, 11
	s_cselect_b64 s[20:21], -1, 0
	s_andn2_b64 s[12:13], s[12:13], exec
	s_and_b64 s[20:21], s[20:21], exec
	s_mov_b64 s[18:19], -1
	s_or_b64 s[12:13], s[12:13], s[20:21]
.LBB119_1387:
	s_mov_b64 s[20:21], 0
.LBB119_1388:
	s_andn2_b64 s[28:29], s[40:41], exec
	s_and_b64 s[12:13], s[12:13], exec
	s_and_b64 s[16:17], s[16:17], exec
	;; [unrolled: 1-line block ×4, first 2 shown]
	s_or_b64 s[40:41], s[28:29], s[12:13]
	s_or_b64 exec, exec, s[0:1]
	s_and_saveexec_b64 s[0:1], s[40:41]
	s_cbranch_execz .LBB119_1321
.LBB119_1389:
	s_or_b64 s[10:11], s[10:11], exec
	s_andn2_b64 s[18:19], s[18:19], exec
	s_trap 2
	s_or_b64 exec, exec, s[0:1]
	s_and_saveexec_b64 s[0:1], s[18:19]
	s_xor_b64 s[0:1], exec, s[0:1]
	s_cbranch_execnz .LBB119_1322
.LBB119_1390:
	s_or_b64 exec, exec, s[0:1]
	s_and_saveexec_b64 s[0:1], s[20:21]
	s_cbranch_execz .LBB119_1436
.LBB119_1391:
	s_sext_i32_i16 s12, s22
	s_cmp_lt_i32 s12, 5
	s_cbranch_scc1 .LBB119_1396
; %bb.1392:
	s_cmp_lt_i32 s12, 8
	s_cbranch_scc1 .LBB119_1397
; %bb.1393:
	;; [unrolled: 3-line block ×3, first 2 shown]
	s_cmp_gt_i32 s12, 9
	s_cbranch_scc0 .LBB119_1399
; %bb.1395:
	s_waitcnt vmcnt(0)
	global_load_dwordx2 v[2:3], v[4:5], off
	s_mov_b64 s[12:13], 0
	s_waitcnt vmcnt(0)
	v_cvt_i32_f64_e32 v6, v[2:3]
	s_branch .LBB119_1400
.LBB119_1396:
                                        ; implicit-def: $vgpr6
	s_branch .LBB119_1417
.LBB119_1397:
                                        ; implicit-def: $vgpr6
	s_branch .LBB119_1406
.LBB119_1398:
	s_mov_b64 s[12:13], -1
                                        ; implicit-def: $vgpr6
	s_branch .LBB119_1403
.LBB119_1399:
	s_mov_b64 s[12:13], -1
                                        ; implicit-def: $vgpr6
.LBB119_1400:
	s_andn2_b64 vcc, exec, s[12:13]
	s_cbranch_vccnz .LBB119_1402
; %bb.1401:
	s_waitcnt vmcnt(0)
	global_load_dword v2, v[4:5], off
	s_waitcnt vmcnt(0)
	v_cvt_i32_f32_e32 v6, v2
.LBB119_1402:
	s_mov_b64 s[12:13], 0
.LBB119_1403:
	s_andn2_b64 vcc, exec, s[12:13]
	s_cbranch_vccnz .LBB119_1405
; %bb.1404:
	s_waitcnt vmcnt(0)
	global_load_dword v2, v[4:5], off
	s_waitcnt vmcnt(0)
	v_cvt_i16_f16_e32 v6, v2
.LBB119_1405:
	s_cbranch_execnz .LBB119_1416
.LBB119_1406:
	s_sext_i32_i16 s12, s22
	s_cmp_lt_i32 s12, 6
	s_cbranch_scc1 .LBB119_1409
; %bb.1407:
	s_cmp_gt_i32 s12, 6
	s_cbranch_scc0 .LBB119_1410
; %bb.1408:
	s_waitcnt vmcnt(0)
	global_load_dwordx2 v[2:3], v[4:5], off
	s_mov_b64 s[12:13], 0
	s_waitcnt vmcnt(0)
	v_cvt_i32_f64_e32 v6, v[2:3]
	s_branch .LBB119_1411
.LBB119_1409:
	s_mov_b64 s[12:13], -1
                                        ; implicit-def: $vgpr6
	s_branch .LBB119_1414
.LBB119_1410:
	s_mov_b64 s[12:13], -1
                                        ; implicit-def: $vgpr6
.LBB119_1411:
	s_andn2_b64 vcc, exec, s[12:13]
	s_cbranch_vccnz .LBB119_1413
; %bb.1412:
	s_waitcnt vmcnt(0)
	global_load_dword v2, v[4:5], off
	s_waitcnt vmcnt(0)
	v_cvt_i32_f32_e32 v6, v2
.LBB119_1413:
	s_mov_b64 s[12:13], 0
.LBB119_1414:
	s_andn2_b64 vcc, exec, s[12:13]
	s_cbranch_vccnz .LBB119_1416
; %bb.1415:
	s_waitcnt vmcnt(0)
	global_load_ushort v2, v[4:5], off
	s_waitcnt vmcnt(0)
	v_cvt_i16_f16_e32 v6, v2
.LBB119_1416:
	s_cbranch_execnz .LBB119_1435
.LBB119_1417:
	s_sext_i32_i16 s12, s22
	s_cmp_lt_i32 s12, 2
	s_cbranch_scc1 .LBB119_1421
; %bb.1418:
	s_cmp_lt_i32 s12, 3
	s_cbranch_scc1 .LBB119_1422
; %bb.1419:
	s_cmp_gt_i32 s12, 3
	s_cbranch_scc0 .LBB119_1423
; %bb.1420:
	s_waitcnt vmcnt(0)
	global_load_dwordx2 v[6:7], v[4:5], off
	s_mov_b64 s[12:13], 0
	s_branch .LBB119_1424
.LBB119_1421:
                                        ; implicit-def: $vgpr6
	s_branch .LBB119_1430
.LBB119_1422:
	s_mov_b64 s[12:13], -1
                                        ; implicit-def: $vgpr6
	s_branch .LBB119_1427
.LBB119_1423:
	s_mov_b64 s[12:13], -1
                                        ; implicit-def: $vgpr6
.LBB119_1424:
	s_andn2_b64 vcc, exec, s[12:13]
	s_cbranch_vccnz .LBB119_1426
; %bb.1425:
	s_waitcnt vmcnt(0)
	global_load_dword v6, v[4:5], off
.LBB119_1426:
	s_mov_b64 s[12:13], 0
.LBB119_1427:
	s_andn2_b64 vcc, exec, s[12:13]
	s_cbranch_vccnz .LBB119_1429
; %bb.1428:
	s_waitcnt vmcnt(0)
	global_load_ushort v6, v[4:5], off
.LBB119_1429:
	s_cbranch_execnz .LBB119_1435
.LBB119_1430:
	s_sext_i32_i16 s12, s22
	s_cmp_gt_i32 s12, 0
	s_cbranch_scc0 .LBB119_1432
; %bb.1431:
	s_waitcnt vmcnt(0)
	global_load_sbyte v6, v[4:5], off
	s_mov_b64 s[12:13], 0
	s_branch .LBB119_1433
.LBB119_1432:
	s_mov_b64 s[12:13], -1
                                        ; implicit-def: $vgpr6
.LBB119_1433:
	s_andn2_b64 vcc, exec, s[12:13]
	s_cbranch_vccnz .LBB119_1435
; %bb.1434:
	s_waitcnt vmcnt(0)
	global_load_ubyte v6, v[4:5], off
.LBB119_1435:
	s_or_b64 s[16:17], s[16:17], exec
.LBB119_1436:
	s_or_b64 exec, exec, s[0:1]
	s_mov_b64 s[20:21], 0
	s_mov_b64 s[18:19], 0
                                        ; implicit-def: $sgpr22
                                        ; implicit-def: $vgpr2_vgpr3
                                        ; implicit-def: $vgpr4
	s_and_saveexec_b64 s[12:13], s[16:17]
	s_cbranch_execz .LBB119_1444
; %bb.1437:
	s_waitcnt vmcnt(0)
	v_mov_b32_e32 v2, s71
	v_cmp_lt_i16_e32 vcc, s14, v1
	v_cndmask_b32_e32 v4, v2, v6, vcc
	v_mov_b32_e32 v1, s9
	s_and_b32 s22, s15, 0xff
	v_add_co_u32_e32 v2, vcc, s8, v0
	s_cmp_lt_i32 s22, 11
	v_addc_co_u32_e32 v3, vcc, 0, v1, vcc
	s_cbranch_scc1 .LBB119_1447
; %bb.1438:
	s_and_b32 s20, 0xffff, s22
	s_mov_b64 s[14:15], -1
	s_cmp_gt_i32 s20, 25
	s_mov_b64 s[0:1], s[38:39]
	s_cbranch_scc0 .LBB119_1475
; %bb.1439:
	s_mov_b64 s[8:9], -1
	s_cmp_gt_i32 s20, 28
	s_mov_b64 s[0:1], s[38:39]
	s_cbranch_scc0 .LBB119_1459
; %bb.1440:
	s_cmp_gt_i32 s20, 43
	s_mov_b64 s[0:1], s[38:39]
	s_cbranch_scc0 .LBB119_1455
; %bb.1441:
	;; [unrolled: 4-line block ×3, first 2 shown]
	s_cmp_eq_u32 s20, 46
	s_mov_b64 s[0:1], -1
	s_cbranch_scc0 .LBB119_1448
; %bb.1443:
	v_cvt_f32_i32_sdwa v0, sext(v4) dst_sel:DWORD dst_unused:UNUSED_PAD src0_sel:WORD_0
	s_movk_i32 s0, 0x7fff
	s_mov_b64 s[8:9], 0
	v_bfe_u32 v1, v0, 16, 1
	v_add3_u32 v0, v0, v1, s0
	v_lshrrev_b32_e32 v0, 16, v0
	global_store_dword v[2:3], v0, off
	s_mov_b64 s[0:1], 0
	s_branch .LBB119_1449
.LBB119_1444:
	s_or_b64 exec, exec, s[12:13]
	s_and_saveexec_b64 s[0:1], s[38:39]
	s_cbranch_execnz .LBB119_1517
.LBB119_1445:
	s_or_b64 exec, exec, s[0:1]
	s_and_saveexec_b64 s[0:1], s[20:21]
	s_xor_b64 s[0:1], exec, s[0:1]
	s_cbranch_execz .LBB119_1518
.LBB119_1446:
	s_waitcnt vmcnt(0)
	v_cmp_ne_u16_e32 vcc, 0, v4
	v_cndmask_b32_e64 v0, 0, 1, vcc
	global_store_byte v[2:3], v0, off
	s_or_b64 exec, exec, s[0:1]
	s_and_saveexec_b64 s[0:1], s[18:19]
	s_xor_b64 s[0:1], exec, s[0:1]
	s_cbranch_execz .LBB119_1556
	s_branch .LBB119_1519
.LBB119_1447:
	s_mov_b64 s[14:15], 0
	s_mov_b64 s[8:9], -1
	s_mov_b64 s[0:1], s[38:39]
	s_branch .LBB119_1516
.LBB119_1448:
	s_mov_b64 s[8:9], 0
.LBB119_1449:
	s_and_b64 vcc, exec, s[8:9]
	s_cbranch_vccz .LBB119_1454
; %bb.1450:
	s_cmp_eq_u32 s20, 44
	s_mov_b64 s[0:1], -1
	s_cbranch_scc0 .LBB119_1454
; %bb.1451:
	v_cvt_f32_i32_sdwa v0, sext(v4) dst_sel:DWORD dst_unused:UNUSED_PAD src0_sel:WORD_0
	s_movk_i32 s0, 0xff
	v_mov_b32_e32 v5, 0xff
	v_bfe_u32 v1, v0, 23, 8
	v_cmp_ne_u32_e32 vcc, s0, v1
	s_and_saveexec_b64 s[8:9], vcc
; %bb.1452:
	s_mov_b32 s0, 0x3fffff
	v_lshrrev_b32_e32 v5, 23, v0
	v_and_b32_e32 v6, 0x400000, v0
	v_and_or_b32 v0, v0, s0, v1
	v_cmp_ne_u32_e32 vcc, 0, v6
	v_cmp_ne_u32_e64 s[0:1], 0, v0
	s_and_b64 s[0:1], vcc, s[0:1]
	v_cndmask_b32_e64 v0, 0, 1, s[0:1]
	v_add_u32_e32 v5, v5, v0
; %bb.1453:
	s_or_b64 exec, exec, s[8:9]
	s_mov_b64 s[0:1], 0
	global_store_byte v[2:3], v5, off
.LBB119_1454:
	s_mov_b64 s[8:9], 0
.LBB119_1455:
	s_and_b64 vcc, exec, s[8:9]
	s_cbranch_vccz .LBB119_1458
; %bb.1456:
	s_cmp_eq_u32 s20, 29
	s_mov_b64 s[0:1], -1
	s_cbranch_scc0 .LBB119_1458
; %bb.1457:
	v_bfe_i32 v0, v4, 0, 16
	v_ashrrev_i32_e32 v1, 31, v0
	global_store_dwordx2 v[2:3], v[0:1], off
	s_mov_b64 s[0:1], 0
.LBB119_1458:
	s_mov_b64 s[8:9], 0
.LBB119_1459:
	s_and_b64 vcc, exec, s[8:9]
	s_cbranch_vccz .LBB119_1474
; %bb.1460:
	s_cmp_lt_i32 s20, 27
	s_mov_b64 s[8:9], -1
	s_cbranch_scc1 .LBB119_1466
; %bb.1461:
	s_cmp_gt_i32 s20, 27
	s_cbranch_scc0 .LBB119_1463
; %bb.1462:
	v_bfe_i32 v0, v4, 0, 16
	s_mov_b64 s[8:9], 0
	global_store_dword v[2:3], v0, off
.LBB119_1463:
	s_andn2_b64 vcc, exec, s[8:9]
	s_cbranch_vccnz .LBB119_1465
; %bb.1464:
	global_store_short v[2:3], v4, off
.LBB119_1465:
	s_mov_b64 s[8:9], 0
.LBB119_1466:
	s_andn2_b64 vcc, exec, s[8:9]
	s_cbranch_vccnz .LBB119_1474
; %bb.1467:
	v_cvt_f32_i32_sdwa v0, sext(v4) dst_sel:DWORD dst_unused:UNUSED_PAD src0_sel:WORD_0
	s_mov_b32 s8, 0x43800000
	v_mov_b32_e32 v5, 0x80
	v_and_b32_e32 v1, 0x7fffffff, v0
	v_cmp_gt_u32_e32 vcc, s8, v1
	s_and_saveexec_b64 s[8:9], vcc
	s_cbranch_execz .LBB119_1473
; %bb.1468:
	s_mov_b32 s14, 0x3bffffff
	v_cmp_lt_u32_e32 vcc, s14, v1
	s_mov_b64 s[14:15], 0
                                        ; implicit-def: $vgpr1
	s_and_saveexec_b64 s[16:17], vcc
	s_xor_b64 s[16:17], exec, s[16:17]
	s_cbranch_execz .LBB119_1615
; %bb.1469:
	v_bfe_u32 v1, v0, 20, 1
	s_mov_b32 s18, 0x487ffff
	v_add3_u32 v1, v0, v1, s18
	s_mov_b64 s[14:15], exec
	v_lshrrev_b32_e32 v1, 20, v1
	s_andn2_saveexec_b64 s[16:17], s[16:17]
	s_cbranch_execnz .LBB119_1616
.LBB119_1470:
	s_or_b64 exec, exec, s[16:17]
	v_mov_b32_e32 v5, 0
	s_and_saveexec_b64 s[16:17], s[14:15]
.LBB119_1471:
	v_lshrrev_b32_e32 v0, 24, v0
	s_movk_i32 s14, 0x80
	v_and_or_b32 v5, v0, s14, v1
.LBB119_1472:
	s_or_b64 exec, exec, s[16:17]
.LBB119_1473:
	s_or_b64 exec, exec, s[8:9]
	global_store_byte v[2:3], v5, off
.LBB119_1474:
	s_mov_b64 s[14:15], 0
.LBB119_1475:
	s_mov_b64 s[8:9], 0
	s_and_b64 vcc, exec, s[14:15]
	s_cbranch_vccz .LBB119_1515
; %bb.1476:
	s_cmp_gt_i32 s20, 22
	s_mov_b64 s[14:15], -1
	s_cbranch_scc0 .LBB119_1508
; %bb.1477:
	s_cmp_lt_i32 s20, 24
	s_cbranch_scc1 .LBB119_1497
; %bb.1478:
	s_cmp_gt_i32 s20, 24
	s_cbranch_scc0 .LBB119_1486
; %bb.1479:
	v_cvt_f32_i32_sdwa v0, sext(v4) dst_sel:DWORD dst_unused:UNUSED_PAD src0_sel:WORD_0
	s_mov_b32 s14, 0x47800000
	v_mov_b32_e32 v5, 0x80
	v_and_b32_e32 v1, 0x7fffffff, v0
	v_cmp_gt_u32_e32 vcc, s14, v1
	s_and_saveexec_b64 s[14:15], vcc
	s_cbranch_execz .LBB119_1485
; %bb.1480:
	s_mov_b32 s16, 0x37ffffff
	v_cmp_lt_u32_e32 vcc, s16, v1
	s_mov_b64 s[16:17], 0
                                        ; implicit-def: $vgpr1
	s_and_saveexec_b64 s[18:19], vcc
	s_xor_b64 s[18:19], exec, s[18:19]
	s_cbranch_execz .LBB119_1735
; %bb.1481:
	v_bfe_u32 v1, v0, 21, 1
	s_mov_b32 s21, 0x88fffff
	v_add3_u32 v1, v0, v1, s21
	s_mov_b64 s[16:17], exec
	v_lshrrev_b32_e32 v1, 21, v1
	s_andn2_saveexec_b64 s[18:19], s[18:19]
	s_cbranch_execnz .LBB119_1736
.LBB119_1482:
	s_or_b64 exec, exec, s[18:19]
	v_mov_b32_e32 v5, 0
	s_and_saveexec_b64 s[18:19], s[16:17]
.LBB119_1483:
	v_lshrrev_b32_e32 v0, 24, v0
	s_movk_i32 s16, 0x80
	v_and_or_b32 v5, v0, s16, v1
.LBB119_1484:
	s_or_b64 exec, exec, s[18:19]
.LBB119_1485:
	s_or_b64 exec, exec, s[14:15]
	s_mov_b64 s[14:15], 0
	global_store_byte v[2:3], v5, off
.LBB119_1486:
	s_and_b64 vcc, exec, s[14:15]
	s_cbranch_vccz .LBB119_1496
; %bb.1487:
	v_cvt_f32_i32_sdwa v0, sext(v4) dst_sel:DWORD dst_unused:UNUSED_PAD src0_sel:WORD_0
	s_mov_b32 s14, 0x43f00000
                                        ; implicit-def: $vgpr1
	v_and_b32_e32 v5, 0x7fffffff, v0
	v_cmp_gt_u32_e32 vcc, s14, v5
	s_and_saveexec_b64 s[14:15], vcc
	s_xor_b64 s[14:15], exec, s[14:15]
	s_cbranch_execz .LBB119_1493
; %bb.1488:
	s_mov_b32 s16, 0x3c7fffff
	v_cmp_lt_u32_e32 vcc, s16, v5
                                        ; implicit-def: $vgpr1
	s_and_saveexec_b64 s[16:17], vcc
	s_xor_b64 s[16:17], exec, s[16:17]
; %bb.1489:
	v_bfe_u32 v1, v0, 20, 1
	s_mov_b32 s18, 0x407ffff
	v_add3_u32 v1, v0, v1, s18
	v_lshrrev_b32_e32 v5, 20, v1
	v_and_b32_e32 v1, 0xff00000, v1
	s_mov_b32 s18, 0x7f00000
	v_mov_b32_e32 v6, 0x7e
	v_cmp_ne_u32_e32 vcc, s18, v1
	v_cndmask_b32_e32 v1, v6, v5, vcc
; %bb.1490:
	s_andn2_saveexec_b64 s[16:17], s[16:17]
; %bb.1491:
	s_mov_b32 s18, 0x46800000
	v_add_f32_e64 v1, |v0|, s18
; %bb.1492:
	s_or_b64 exec, exec, s[16:17]
                                        ; implicit-def: $vgpr5
.LBB119_1493:
	s_andn2_saveexec_b64 s[14:15], s[14:15]
; %bb.1494:
	s_mov_b32 s16, 0x7f800000
	v_mov_b32_e32 v1, 0x7e
	v_mov_b32_e32 v6, 0x7f
	v_cmp_lt_u32_e32 vcc, s16, v5
	v_cndmask_b32_e32 v1, v1, v6, vcc
; %bb.1495:
	s_or_b64 exec, exec, s[14:15]
	v_lshrrev_b32_e32 v0, 24, v0
	s_movk_i32 s14, 0x80
	v_and_or_b32 v0, v0, s14, v1
	global_store_byte v[2:3], v0, off
.LBB119_1496:
	s_mov_b64 s[14:15], 0
.LBB119_1497:
	s_andn2_b64 vcc, exec, s[14:15]
	s_cbranch_vccnz .LBB119_1507
; %bb.1498:
	v_cvt_f32_i32_sdwa v0, sext(v4) dst_sel:DWORD dst_unused:UNUSED_PAD src0_sel:WORD_0
	s_mov_b32 s14, 0x47800000
                                        ; implicit-def: $vgpr1
	v_and_b32_e32 v5, 0x7fffffff, v0
	v_cmp_gt_u32_e32 vcc, s14, v5
	s_and_saveexec_b64 s[14:15], vcc
	s_xor_b64 s[14:15], exec, s[14:15]
	s_cbranch_execz .LBB119_1504
; %bb.1499:
	s_mov_b32 s16, 0x387fffff
	v_cmp_lt_u32_e32 vcc, s16, v5
                                        ; implicit-def: $vgpr1
	s_and_saveexec_b64 s[16:17], vcc
	s_xor_b64 s[16:17], exec, s[16:17]
; %bb.1500:
	v_bfe_u32 v1, v0, 21, 1
	s_mov_b32 s18, 0x80fffff
	v_add3_u32 v1, v0, v1, s18
	v_lshrrev_b32_e32 v1, 21, v1
; %bb.1501:
	s_andn2_saveexec_b64 s[16:17], s[16:17]
; %bb.1502:
	s_mov_b32 s18, 0x43000000
	v_add_f32_e64 v1, |v0|, s18
; %bb.1503:
	s_or_b64 exec, exec, s[16:17]
                                        ; implicit-def: $vgpr5
.LBB119_1504:
	s_andn2_saveexec_b64 s[14:15], s[14:15]
; %bb.1505:
	s_mov_b32 s16, 0x7f800000
	v_mov_b32_e32 v1, 0x7c
	v_mov_b32_e32 v6, 0x7f
	v_cmp_lt_u32_e32 vcc, s16, v5
	v_cndmask_b32_e32 v1, v1, v6, vcc
; %bb.1506:
	s_or_b64 exec, exec, s[14:15]
	v_lshrrev_b32_e32 v0, 24, v0
	s_movk_i32 s14, 0x80
	v_and_or_b32 v0, v0, s14, v1
	global_store_byte v[2:3], v0, off
.LBB119_1507:
	s_mov_b64 s[14:15], 0
.LBB119_1508:
	s_andn2_b64 vcc, exec, s[14:15]
	s_mov_b64 s[14:15], 0
	s_cbranch_vccnz .LBB119_1516
; %bb.1509:
	s_cmp_gt_i32 s20, 14
	s_mov_b64 s[16:17], -1
	s_cbranch_scc0 .LBB119_1513
; %bb.1510:
	s_cmp_eq_u32 s20, 15
	s_mov_b64 s[0:1], -1
	s_cbranch_scc0 .LBB119_1512
; %bb.1511:
	v_cvt_f32_i32_sdwa v0, sext(v4) dst_sel:DWORD dst_unused:UNUSED_PAD src0_sel:WORD_0
	s_movk_i32 s0, 0x7fff
	v_bfe_u32 v1, v0, 16, 1
	v_add3_u32 v0, v0, v1, s0
	global_store_short_d16_hi v[2:3], v0, off
	s_mov_b64 s[0:1], 0
.LBB119_1512:
	s_mov_b64 s[16:17], 0
.LBB119_1513:
	s_and_b64 vcc, exec, s[16:17]
	s_cbranch_vccz .LBB119_1516
; %bb.1514:
	s_cmp_lg_u32 s20, 11
	s_cselect_b64 s[16:17], -1, 0
	s_andn2_b64 s[0:1], s[0:1], exec
	s_and_b64 s[16:17], s[16:17], exec
	s_mov_b64 s[14:15], -1
	s_or_b64 s[0:1], s[0:1], s[16:17]
	s_branch .LBB119_1516
.LBB119_1515:
	s_mov_b64 s[14:15], 0
.LBB119_1516:
	s_and_b64 s[18:19], s[8:9], exec
	s_andn2_b64 s[8:9], s[38:39], exec
	s_and_b64 s[0:1], s[0:1], exec
	s_and_b64 s[20:21], s[14:15], exec
	s_or_b64 s[38:39], s[8:9], s[0:1]
	s_or_b64 exec, exec, s[12:13]
	s_and_saveexec_b64 s[0:1], s[38:39]
	s_cbranch_execz .LBB119_1445
.LBB119_1517:
	s_or_b64 s[10:11], s[10:11], exec
	s_andn2_b64 s[20:21], s[20:21], exec
	s_trap 2
	s_or_b64 exec, exec, s[0:1]
	s_and_saveexec_b64 s[0:1], s[20:21]
	s_xor_b64 s[0:1], exec, s[0:1]
	s_cbranch_execnz .LBB119_1446
.LBB119_1518:
	s_or_b64 exec, exec, s[0:1]
	s_and_saveexec_b64 s[0:1], s[18:19]
	s_xor_b64 s[0:1], exec, s[0:1]
	s_cbranch_execz .LBB119_1556
.LBB119_1519:
	s_sext_i32_i16 s12, s22
	s_cmp_lt_i32 s12, 5
	s_mov_b64 s[8:9], -1
	s_cbranch_scc1 .LBB119_1540
; %bb.1520:
	s_cmp_lt_i32 s12, 8
	s_cbranch_scc1 .LBB119_1530
; %bb.1521:
	s_cmp_lt_i32 s12, 9
	s_cbranch_scc1 .LBB119_1527
; %bb.1522:
	s_cmp_gt_i32 s12, 9
	s_cbranch_scc0 .LBB119_1524
; %bb.1523:
	s_waitcnt vmcnt(0)
	v_bfe_i32 v0, v4, 0, 16
	v_cvt_f64_i32_e32 v[5:6], v0
	v_mov_b32_e32 v7, 0
	v_mov_b32_e32 v8, v7
	s_mov_b64 s[8:9], 0
	global_store_dwordx4 v[2:3], v[5:8], off
.LBB119_1524:
	s_andn2_b64 vcc, exec, s[8:9]
	s_cbranch_vccnz .LBB119_1526
; %bb.1525:
	s_waitcnt vmcnt(0)
	v_cvt_f32_i32_sdwa v0, sext(v4) dst_sel:DWORD dst_unused:UNUSED_PAD src0_sel:WORD_0
	v_mov_b32_e32 v1, 0
	global_store_dwordx2 v[2:3], v[0:1], off
.LBB119_1526:
	s_mov_b64 s[8:9], 0
.LBB119_1527:
	s_andn2_b64 vcc, exec, s[8:9]
	s_cbranch_vccnz .LBB119_1529
; %bb.1528:
	s_waitcnt vmcnt(0)
	v_cvt_f16_i16_e32 v0, v4
	global_store_dword v[2:3], v0, off
.LBB119_1529:
	s_mov_b64 s[8:9], 0
.LBB119_1530:
	s_andn2_b64 vcc, exec, s[8:9]
	s_cbranch_vccnz .LBB119_1539
; %bb.1531:
	s_sext_i32_i16 s12, s22
	s_cmp_lt_i32 s12, 6
	s_mov_b64 s[8:9], -1
	s_cbranch_scc1 .LBB119_1537
; %bb.1532:
	s_cmp_gt_i32 s12, 6
	s_cbranch_scc0 .LBB119_1534
; %bb.1533:
	s_waitcnt vmcnt(0)
	v_bfe_i32 v0, v4, 0, 16
	v_cvt_f64_i32_e32 v[0:1], v0
	s_mov_b64 s[8:9], 0
	global_store_dwordx2 v[2:3], v[0:1], off
.LBB119_1534:
	s_andn2_b64 vcc, exec, s[8:9]
	s_cbranch_vccnz .LBB119_1536
; %bb.1535:
	s_waitcnt vmcnt(0)
	v_cvt_f32_i32_sdwa v0, sext(v4) dst_sel:DWORD dst_unused:UNUSED_PAD src0_sel:WORD_0
	global_store_dword v[2:3], v0, off
.LBB119_1536:
	s_mov_b64 s[8:9], 0
.LBB119_1537:
	s_andn2_b64 vcc, exec, s[8:9]
	s_cbranch_vccnz .LBB119_1539
; %bb.1538:
	s_waitcnt vmcnt(0)
	v_cvt_f16_i16_e32 v0, v4
	global_store_short v[2:3], v0, off
.LBB119_1539:
	s_mov_b64 s[8:9], 0
.LBB119_1540:
	s_andn2_b64 vcc, exec, s[8:9]
	s_cbranch_vccnz .LBB119_1556
; %bb.1541:
	s_sext_i32_i16 s12, s22
	s_cmp_lt_i32 s12, 2
	s_mov_b64 s[8:9], -1
	s_cbranch_scc1 .LBB119_1551
; %bb.1542:
	s_cmp_lt_i32 s12, 3
	s_cbranch_scc1 .LBB119_1548
; %bb.1543:
	s_cmp_gt_i32 s12, 3
	s_waitcnt vmcnt(0)
	v_bfe_i32 v0, v4, 0, 16
	s_cbranch_scc0 .LBB119_1545
; %bb.1544:
	v_ashrrev_i32_e32 v1, 31, v0
	s_mov_b64 s[8:9], 0
	global_store_dwordx2 v[2:3], v[0:1], off
.LBB119_1545:
	s_andn2_b64 vcc, exec, s[8:9]
	s_cbranch_vccnz .LBB119_1547
; %bb.1546:
	global_store_dword v[2:3], v0, off
.LBB119_1547:
	s_mov_b64 s[8:9], 0
.LBB119_1548:
	s_andn2_b64 vcc, exec, s[8:9]
	s_cbranch_vccnz .LBB119_1550
; %bb.1549:
	s_waitcnt vmcnt(0)
	global_store_short v[2:3], v4, off
.LBB119_1550:
	s_mov_b64 s[8:9], 0
.LBB119_1551:
	s_andn2_b64 vcc, exec, s[8:9]
	s_cbranch_vccnz .LBB119_1556
; %bb.1552:
	s_sext_i32_i16 s8, s22
	s_cmp_gt_i32 s8, 0
	s_mov_b64 s[8:9], -1
	s_cbranch_scc0 .LBB119_1554
; %bb.1553:
	s_mov_b64 s[8:9], 0
	s_waitcnt vmcnt(0)
	global_store_byte v[2:3], v4, off
.LBB119_1554:
	s_andn2_b64 vcc, exec, s[8:9]
	s_cbranch_vccnz .LBB119_1556
; %bb.1555:
	s_waitcnt vmcnt(0)
	global_store_byte v[2:3], v4, off
.LBB119_1556:
	s_or_b64 exec, exec, s[0:1]
	s_and_b64 s[12:13], s[10:11], exec
                                        ; implicit-def: $vgpr21
                                        ; implicit-def: $vgpr10
.LBB119_1557:
	s_or_saveexec_b64 s[14:15], s[26:27]
	s_mov_b64 s[0:1], 0
                                        ; implicit-def: $vgpr0_vgpr1
                                        ; implicit-def: $sgpr20
                                        ; implicit-def: $vgpr4
	s_xor_b64 exec, exec, s[14:15]
	s_cbranch_execz .LBB119_3038
; %bb.1558:
	v_cndmask_b32_e64 v0, 0, 1, s[24:25]
	v_cmp_ne_u32_e64 s[0:1], 1, v0
	s_andn2_b64 vcc, exec, s[24:25]
	s_cbranch_vccnz .LBB119_1564
; %bb.1559:
	s_cmp_lg_u32 s33, 0
	s_cbranch_scc0 .LBB119_1565
; %bb.1560:
	s_min_u32 s8, s70, 15
	s_add_i32 s6, s8, 1
	s_and_b32 s9, s6, 30
	s_add_u32 s6, s2, 0xffffffe8
	s_addc_u32 s7, s3, -1
	v_mov_b32_e32 v13, 0
	v_mov_b32_e32 v8, 0
	s_waitcnt vmcnt(0)
	v_mov_b32_e32 v6, 0
	v_mov_b32_e32 v0, v10
.LBB119_1561:                           ; =>This Inner Loop Header: Depth=1
	s_load_dwordx4 s[16:19], s[6:7], 0x1c
	s_load_dwordx2 s[10:11], s[6:7], 0x2c
	s_load_dwordx2 s[24:25], s[6:7], 0xec
	s_load_dwordx4 s[20:23], s[6:7], 0xdc
	s_add_u32 s6, s6, 24
	s_waitcnt lgkmcnt(0)
	v_mul_hi_u32 v1, s17, v0
	s_addc_u32 s7, s7, 0
	s_add_i32 s9, s9, -2
	s_cmp_lg_u32 s9, 0
	v_add_u32_e32 v1, v0, v1
	v_lshrrev_b32_e32 v1, s18, v1
	v_mul_lo_u32 v2, v1, s16
	v_mul_hi_u32 v3, s10, v1
	v_sub_u32_e32 v2, v0, v2
	v_add_u32_e32 v0, v1, v3
	v_lshrrev_b32_e32 v0, s11, v0
	v_mul_lo_u32 v5, v0, s19
	v_mul_lo_u32 v3, v2, s20
	;; [unrolled: 1-line block ×4, first 2 shown]
	v_sub_u32_e32 v1, v1, v5
	v_mul_lo_u32 v5, v1, s23
	v_mul_lo_u32 v7, v1, s24
	;; [unrolled: 1-line block ×3, first 2 shown]
	v_add3_u32 v6, v3, v6, v5
	v_add3_u32 v8, v4, v8, v7
	;; [unrolled: 1-line block ×3, first 2 shown]
	s_cbranch_scc1 .LBB119_1561
; %bb.1562:
	s_bitcmp1_b32 s8, 0
	s_cselect_b64 s[8:9], -1, 0
	s_and_b64 vcc, exec, s[8:9]
	s_cbranch_vccnz .LBB119_1566
; %bb.1563:
	s_load_dwordx2 s[8:9], s[6:7], 0x1c
	s_load_dword s16, s[6:7], 0x24
	s_load_dwordx2 s[10:11], s[6:7], 0xdc
	s_waitcnt lgkmcnt(0)
	v_mul_hi_u32 v1, s9, v0
	v_add_u32_e32 v1, v0, v1
	v_lshrrev_b32_e32 v1, s16, v1
	v_mul_lo_u32 v1, v1, s8
	s_load_dword s8, s[6:7], 0xe4
	v_sub_u32_e32 v0, v0, v1
	v_mad_u64_u32 v[6:7], s[6:7], v0, s10, v[6:7]
	v_mad_u64_u32 v[8:9], s[6:7], v0, s11, v[8:9]
	s_waitcnt lgkmcnt(0)
	v_mad_u64_u32 v[13:14], s[6:7], v0, s8, v[13:14]
	s_cbranch_execz .LBB119_1567
	s_branch .LBB119_1569
.LBB119_1564:
                                        ; implicit-def: $vgpr6
                                        ; implicit-def: $vgpr8
                                        ; implicit-def: $vgpr13
	s_branch .LBB119_1567
.LBB119_1565:
	s_waitcnt vmcnt(0)
	v_mov_b32_e32 v6, 0
	v_mov_b32_e32 v8, 0
	;; [unrolled: 1-line block ×3, first 2 shown]
.LBB119_1566:
	s_cbranch_execnz .LBB119_1569
.LBB119_1567:
	s_load_dwordx4 s[8:11], s[2:3], 0x4
	s_load_dwordx4 s[16:19], s[2:3], 0xc4
	s_cmp_lt_u32 s33, 2
	s_waitcnt lgkmcnt(0)
	v_mul_hi_u32 v0, s9, v10
	v_add_u32_e32 v0, v10, v0
	v_lshrrev_b32_e32 v0, s10, v0
	s_waitcnt vmcnt(0)
	v_mul_lo_u32 v1, v0, s8
	v_sub_u32_e32 v1, v10, v1
	v_mul_lo_u32 v6, v1, s16
	v_mul_lo_u32 v8, v1, s17
	;; [unrolled: 1-line block ×3, first 2 shown]
	s_cbranch_scc1 .LBB119_1569
; %bb.1568:
	s_load_dwordx4 s[8:11], s[2:3], 0x10
	s_load_dwordx4 s[16:19], s[2:3], 0xd0
	s_waitcnt lgkmcnt(0)
	v_mul_hi_u32 v1, s9, v0
	v_add_u32_e32 v1, v0, v1
	v_lshrrev_b32_e32 v1, s10, v1
	v_mul_lo_u32 v1, v1, s8
	v_sub_u32_e32 v0, v0, v1
	v_mad_u64_u32 v[6:7], s[6:7], v0, s16, v[6:7]
	v_mad_u64_u32 v[8:9], s[6:7], v0, s17, v[8:9]
	;; [unrolled: 1-line block ×3, first 2 shown]
.LBB119_1569:
	s_and_b64 vcc, exec, s[0:1]
	v_add_u32_e32 v0, 0x80, v10
	s_cbranch_vccnz .LBB119_1575
; %bb.1570:
	s_cmp_lg_u32 s33, 0
	s_cbranch_scc0 .LBB119_1576
; %bb.1571:
	s_min_u32 s8, s70, 15
	s_add_i32 s6, s8, 1
	s_and_b32 s9, s6, 30
	s_add_u32 s6, s2, 0xffffffe8
	s_addc_u32 s7, s3, -1
	v_mov_b32_e32 v18, 0
	v_mov_b32_e32 v11, 0
	s_waitcnt vmcnt(0)
	v_mov_b32_e32 v4, 0
	v_mov_b32_e32 v1, v0
.LBB119_1572:                           ; =>This Inner Loop Header: Depth=1
	s_load_dwordx4 s[16:19], s[6:7], 0x1c
	s_load_dwordx2 s[10:11], s[6:7], 0x2c
	s_load_dwordx2 s[24:25], s[6:7], 0xec
	s_load_dwordx4 s[20:23], s[6:7], 0xdc
	s_add_u32 s6, s6, 24
	s_waitcnt lgkmcnt(0)
	v_mul_hi_u32 v2, s17, v1
	s_addc_u32 s7, s7, 0
	s_add_i32 s9, s9, -2
	s_cmp_lg_u32 s9, 0
	v_add_u32_e32 v2, v1, v2
	v_lshrrev_b32_e32 v2, s18, v2
	v_mul_lo_u32 v3, v2, s16
	v_mul_hi_u32 v5, s10, v2
	v_sub_u32_e32 v3, v1, v3
	v_add_u32_e32 v1, v2, v5
	v_lshrrev_b32_e32 v1, s11, v1
	v_mul_lo_u32 v9, v1, s19
	v_mul_lo_u32 v5, v3, s20
	;; [unrolled: 1-line block ×4, first 2 shown]
	v_sub_u32_e32 v2, v2, v9
	v_mul_lo_u32 v9, v2, s23
	v_mul_lo_u32 v12, v2, s24
	;; [unrolled: 1-line block ×3, first 2 shown]
	v_add3_u32 v4, v5, v4, v9
	v_add3_u32 v11, v7, v11, v12
	;; [unrolled: 1-line block ×3, first 2 shown]
	s_cbranch_scc1 .LBB119_1572
; %bb.1573:
	s_bitcmp1_b32 s8, 0
	s_cselect_b64 s[8:9], -1, 0
	s_and_b64 vcc, exec, s[8:9]
	s_cbranch_vccnz .LBB119_1577
; %bb.1574:
	s_load_dwordx2 s[8:9], s[6:7], 0x1c
	s_load_dword s16, s[6:7], 0x24
	s_load_dwordx2 s[10:11], s[6:7], 0xdc
	s_waitcnt lgkmcnt(0)
	v_mul_hi_u32 v2, s9, v1
	v_add_u32_e32 v2, v1, v2
	v_lshrrev_b32_e32 v2, s16, v2
	v_mul_lo_u32 v2, v2, s8
	s_load_dword s8, s[6:7], 0xe4
	v_sub_u32_e32 v1, v1, v2
	v_mad_u64_u32 v[4:5], s[6:7], v1, s10, v[4:5]
	v_mad_u64_u32 v[11:12], s[6:7], v1, s11, v[11:12]
	s_waitcnt lgkmcnt(0)
	v_mad_u64_u32 v[18:19], s[6:7], v1, s8, v[18:19]
	s_cbranch_execz .LBB119_1578
	s_branch .LBB119_1580
.LBB119_1575:
                                        ; implicit-def: $vgpr4
                                        ; implicit-def: $vgpr11
                                        ; implicit-def: $vgpr18
	s_branch .LBB119_1578
.LBB119_1576:
	s_waitcnt vmcnt(0)
	v_mov_b32_e32 v4, 0
	v_mov_b32_e32 v11, 0
	;; [unrolled: 1-line block ×3, first 2 shown]
.LBB119_1577:
	s_cbranch_execnz .LBB119_1580
.LBB119_1578:
	s_load_dwordx4 s[8:11], s[2:3], 0x4
	s_load_dwordx4 s[16:19], s[2:3], 0xc4
	s_cmp_lt_u32 s33, 2
	s_waitcnt vmcnt(0) lgkmcnt(0)
	v_mul_hi_u32 v1, s9, v0
	v_add_u32_e32 v1, v0, v1
	v_lshrrev_b32_e32 v1, s10, v1
	v_mul_lo_u32 v2, v1, s8
	v_sub_u32_e32 v0, v0, v2
	v_mul_lo_u32 v4, v0, s16
	v_mul_lo_u32 v11, v0, s17
	;; [unrolled: 1-line block ×3, first 2 shown]
	s_cbranch_scc1 .LBB119_1580
; %bb.1579:
	s_load_dwordx4 s[8:11], s[2:3], 0x10
	s_load_dwordx4 s[16:19], s[2:3], 0xd0
	s_waitcnt lgkmcnt(0)
	v_mul_hi_u32 v0, s9, v1
	v_add_u32_e32 v0, v1, v0
	v_lshrrev_b32_e32 v0, s10, v0
	v_mul_lo_u32 v0, v0, s8
	v_sub_u32_e32 v0, v1, v0
	v_mad_u64_u32 v[4:5], s[6:7], v0, s16, v[4:5]
	v_mad_u64_u32 v[11:12], s[6:7], v0, s17, v[11:12]
	;; [unrolled: 1-line block ×3, first 2 shown]
.LBB119_1580:
	s_and_b64 vcc, exec, s[0:1]
	v_add_u32_e32 v0, 0x100, v10
	s_cbranch_vccnz .LBB119_1586
; %bb.1581:
	s_cmp_lg_u32 s33, 0
	s_cbranch_scc0 .LBB119_1587
; %bb.1582:
	s_min_u32 s8, s70, 15
	s_add_i32 s6, s8, 1
	s_and_b32 s9, s6, 30
	s_add_u32 s6, s2, 0xffffffe8
	s_addc_u32 s7, s3, -1
	v_mov_b32_e32 v19, 0
	v_mov_b32_e32 v16, 0
	s_waitcnt vmcnt(0)
	v_mov_b32_e32 v2, 0
	v_mov_b32_e32 v1, v0
.LBB119_1583:                           ; =>This Inner Loop Header: Depth=1
	s_load_dwordx4 s[16:19], s[6:7], 0x1c
	s_load_dwordx2 s[10:11], s[6:7], 0x2c
	s_load_dwordx2 s[24:25], s[6:7], 0xec
	s_load_dwordx4 s[20:23], s[6:7], 0xdc
	s_add_u32 s6, s6, 24
	s_waitcnt lgkmcnt(0)
	v_mul_hi_u32 v3, s17, v1
	s_addc_u32 s7, s7, 0
	s_add_i32 s9, s9, -2
	s_cmp_lg_u32 s9, 0
	v_add_u32_e32 v3, v1, v3
	v_lshrrev_b32_e32 v3, s18, v3
	v_mul_lo_u32 v5, v3, s16
	v_mul_hi_u32 v7, s10, v3
	v_sub_u32_e32 v5, v1, v5
	v_add_u32_e32 v1, v3, v7
	v_lshrrev_b32_e32 v1, s11, v1
	v_mul_lo_u32 v10, v1, s19
	v_mul_lo_u32 v7, v5, s20
	;; [unrolled: 1-line block ×4, first 2 shown]
	v_sub_u32_e32 v3, v3, v10
	v_mul_lo_u32 v10, v3, s23
	v_mul_lo_u32 v12, v3, s24
	;; [unrolled: 1-line block ×3, first 2 shown]
	v_add3_u32 v2, v7, v2, v10
	v_add3_u32 v16, v9, v16, v12
	;; [unrolled: 1-line block ×3, first 2 shown]
	s_cbranch_scc1 .LBB119_1583
; %bb.1584:
	s_bitcmp1_b32 s8, 0
	s_cselect_b64 s[8:9], -1, 0
	s_and_b64 vcc, exec, s[8:9]
	s_cbranch_vccnz .LBB119_1588
; %bb.1585:
	s_load_dwordx2 s[8:9], s[6:7], 0x1c
	s_load_dword s16, s[6:7], 0x24
	s_load_dwordx2 s[10:11], s[6:7], 0xdc
	s_waitcnt lgkmcnt(0)
	v_mul_hi_u32 v3, s9, v1
	v_add_u32_e32 v3, v1, v3
	v_lshrrev_b32_e32 v3, s16, v3
	v_mul_lo_u32 v3, v3, s8
	s_load_dword s8, s[6:7], 0xe4
	v_sub_u32_e32 v1, v1, v3
	v_mad_u64_u32 v[2:3], s[6:7], v1, s10, v[2:3]
	v_mad_u64_u32 v[16:17], s[6:7], v1, s11, v[16:17]
	s_waitcnt lgkmcnt(0)
	v_mad_u64_u32 v[19:20], s[6:7], v1, s8, v[19:20]
	s_cbranch_execz .LBB119_1589
	s_branch .LBB119_1591
.LBB119_1586:
                                        ; implicit-def: $vgpr2
                                        ; implicit-def: $vgpr16
                                        ; implicit-def: $vgpr19
	s_branch .LBB119_1589
.LBB119_1587:
	s_waitcnt vmcnt(0)
	v_mov_b32_e32 v2, 0
	v_mov_b32_e32 v16, 0
	v_mov_b32_e32 v19, 0
.LBB119_1588:
	s_cbranch_execnz .LBB119_1591
.LBB119_1589:
	s_load_dwordx4 s[8:11], s[2:3], 0x4
	s_load_dwordx4 s[16:19], s[2:3], 0xc4
	s_cmp_lt_u32 s33, 2
	s_waitcnt vmcnt(0) lgkmcnt(0)
	v_mul_hi_u32 v1, s9, v0
	v_add_u32_e32 v1, v0, v1
	v_lshrrev_b32_e32 v1, s10, v1
	v_mul_lo_u32 v2, v1, s8
	v_sub_u32_e32 v0, v0, v2
	v_mul_lo_u32 v2, v0, s16
	v_mul_lo_u32 v16, v0, s17
	;; [unrolled: 1-line block ×3, first 2 shown]
	s_cbranch_scc1 .LBB119_1591
; %bb.1590:
	s_load_dwordx4 s[8:11], s[2:3], 0x10
	s_load_dwordx4 s[16:19], s[2:3], 0xd0
	s_waitcnt lgkmcnt(0)
	v_mul_hi_u32 v0, s9, v1
	v_add_u32_e32 v0, v1, v0
	v_lshrrev_b32_e32 v0, s10, v0
	v_mul_lo_u32 v0, v0, s8
	v_sub_u32_e32 v0, v1, v0
	v_mad_u64_u32 v[2:3], s[6:7], v0, s16, v[2:3]
	v_mad_u64_u32 v[16:17], s[6:7], v0, s17, v[16:17]
	;; [unrolled: 1-line block ×3, first 2 shown]
.LBB119_1591:
	s_and_b64 vcc, exec, s[0:1]
	s_cbranch_vccnz .LBB119_1597
; %bb.1592:
	s_cmp_lg_u32 s33, 0
	s_cbranch_scc0 .LBB119_1598
; %bb.1593:
	s_min_u32 s6, s70, 15
	s_add_i32 s0, s6, 1
	s_and_b32 s7, s0, 30
	s_add_u32 s0, s2, 0xffffffe8
	s_addc_u32 s1, s3, -1
	v_mov_b32_e32 v9, 0
	v_mov_b32_e32 v14, 0
	;; [unrolled: 1-line block ×3, first 2 shown]
	s_waitcnt vmcnt(0)
	v_mov_b32_e32 v1, v21
.LBB119_1594:                           ; =>This Inner Loop Header: Depth=1
	s_load_dwordx4 s[8:11], s[0:1], 0x1c
	s_load_dwordx2 s[20:21], s[0:1], 0x2c
	s_load_dwordx2 s[22:23], s[0:1], 0xec
	s_load_dwordx4 s[16:19], s[0:1], 0xdc
	s_add_u32 s0, s0, 24
	s_waitcnt lgkmcnt(0)
	v_mul_hi_u32 v3, s9, v1
	s_addc_u32 s1, s1, 0
	s_add_i32 s7, s7, -2
	s_cmp_lg_u32 s7, 0
	v_add_u32_e32 v3, v1, v3
	v_lshrrev_b32_e32 v3, s10, v3
	v_mul_lo_u32 v5, v3, s8
	v_mul_hi_u32 v7, s20, v3
	v_sub_u32_e32 v5, v1, v5
	v_add_u32_e32 v1, v3, v7
	v_lshrrev_b32_e32 v1, s21, v1
	v_mul_lo_u32 v12, v1, s11
	v_mul_lo_u32 v7, v5, s16
	v_mul_lo_u32 v10, v5, s17
	v_mul_lo_u32 v5, v5, s18
	v_sub_u32_e32 v3, v3, v12
	v_mul_lo_u32 v12, v3, s19
	v_mul_lo_u32 v15, v3, s22
	;; [unrolled: 1-line block ×3, first 2 shown]
	v_add3_u32 v0, v7, v0, v12
	v_add3_u32 v14, v10, v14, v15
	;; [unrolled: 1-line block ×3, first 2 shown]
	s_cbranch_scc1 .LBB119_1594
; %bb.1595:
	s_bitcmp1_b32 s6, 0
	s_cselect_b64 s[6:7], -1, 0
	s_and_b64 vcc, exec, s[6:7]
	s_cbranch_vccnz .LBB119_1599
; %bb.1596:
	s_load_dwordx2 s[6:7], s[0:1], 0x1c
	s_load_dword s10, s[0:1], 0x24
	s_load_dwordx2 s[8:9], s[0:1], 0xdc
	s_waitcnt lgkmcnt(0)
	v_mul_hi_u32 v3, s7, v1
	v_add_u32_e32 v3, v1, v3
	v_lshrrev_b32_e32 v3, s10, v3
	v_mul_lo_u32 v3, v3, s6
	s_load_dword s6, s[0:1], 0xe4
	v_sub_u32_e32 v3, v1, v3
	v_mad_u64_u32 v[0:1], s[0:1], v3, s8, v[0:1]
	v_mad_u64_u32 v[14:15], s[0:1], v3, s9, v[14:15]
	s_waitcnt lgkmcnt(0)
	v_mad_u64_u32 v[9:10], s[0:1], v3, s6, v[9:10]
	s_cbranch_execz .LBB119_1600
	s_branch .LBB119_1602
.LBB119_1597:
                                        ; implicit-def: $vgpr0
                                        ; implicit-def: $vgpr14
                                        ; implicit-def: $vgpr9
	s_branch .LBB119_1600
.LBB119_1598:
	v_mov_b32_e32 v0, 0
	v_mov_b32_e32 v14, 0
	;; [unrolled: 1-line block ×3, first 2 shown]
.LBB119_1599:
	s_cbranch_execnz .LBB119_1602
.LBB119_1600:
	s_load_dwordx4 s[8:11], s[2:3], 0x4
	s_load_dwordx4 s[16:19], s[2:3], 0xc4
	s_cmp_lt_u32 s33, 2
	s_waitcnt lgkmcnt(0)
	v_mul_hi_u32 v0, s9, v21
	v_add_u32_e32 v0, v21, v0
	s_waitcnt vmcnt(0)
	v_lshrrev_b32_e32 v1, s10, v0
	v_mul_lo_u32 v0, v1, s8
	v_sub_u32_e32 v3, v21, v0
	v_mul_lo_u32 v0, v3, s16
	v_mul_lo_u32 v14, v3, s17
	;; [unrolled: 1-line block ×3, first 2 shown]
	s_cbranch_scc1 .LBB119_1602
; %bb.1601:
	s_load_dwordx4 s[8:11], s[2:3], 0x10
	s_load_dwordx4 s[16:19], s[2:3], 0xd0
	s_waitcnt lgkmcnt(0)
	v_mul_hi_u32 v3, s9, v1
	v_add_u32_e32 v3, v1, v3
	v_lshrrev_b32_e32 v3, s10, v3
	v_mul_lo_u32 v3, v3, s8
	v_sub_u32_e32 v3, v1, v3
	v_mad_u64_u32 v[0:1], s[0:1], v3, s16, v[0:1]
	v_mad_u64_u32 v[14:15], s[0:1], v3, s17, v[14:15]
	v_mad_u64_u32 v[9:10], s[0:1], v3, s18, v[9:10]
.LBB119_1602:
	s_load_dwordx4 s[8:11], s[2:3], 0x188
	s_load_dword s23, s[4:5], 0x1ac
	s_waitcnt vmcnt(0) lgkmcnt(0)
	v_mov_b32_e32 v1, s11
	s_bfe_u32 s18, s23, 0x80008
	v_add_co_u32_e32 v20, vcc, s10, v8
	s_cmp_lt_i32 s18, 11
	v_addc_co_u32_e32 v21, vcc, 0, v1, vcc
	s_cbranch_scc1 .LBB119_1609
; %bb.1603:
	s_and_b32 s19, 0xffff, s18
	s_cmp_gt_i32 s19, 25
	s_mov_b64 s[6:7], 0
	s_cbranch_scc0 .LBB119_1611
; %bb.1604:
	s_cmp_gt_i32 s19, 28
	s_cbranch_scc0 .LBB119_1612
; %bb.1605:
	s_cmp_gt_i32 s19, 43
	;; [unrolled: 3-line block ×3, first 2 shown]
	s_cbranch_scc0 .LBB119_1614
; %bb.1607:
	s_cmp_eq_u32 s19, 46
	s_mov_b64 s[4:5], 0
	s_cbranch_scc0 .LBB119_1617
; %bb.1608:
	global_load_dword v1, v[20:21], off
	s_mov_b64 s[0:1], 0
	s_mov_b64 s[16:17], -1
	s_waitcnt vmcnt(0)
	v_lshlrev_b32_e32 v1, 16, v1
	v_cvt_i32_f32_e32 v7, v1
	s_branch .LBB119_1618
.LBB119_1609:
	s_mov_b64 s[16:17], 0
                                        ; implicit-def: $vgpr7
	s_mov_b64 s[4:5], s[12:13]
	s_cbranch_execnz .LBB119_1676
.LBB119_1610:
	s_andn2_b64 vcc, exec, s[16:17]
	s_cbranch_vccz .LBB119_1721
	s_branch .LBB119_3036
.LBB119_1611:
	s_mov_b64 s[16:17], 0
	s_mov_b64 s[0:1], 0
                                        ; implicit-def: $vgpr7
	s_cbranch_execnz .LBB119_1643
	s_branch .LBB119_1672
.LBB119_1612:
	s_mov_b64 s[16:17], 0
	s_mov_b64 s[0:1], 0
                                        ; implicit-def: $vgpr7
	s_cbranch_execz .LBB119_1642
	s_branch .LBB119_1627
.LBB119_1613:
	s_mov_b64 s[16:17], 0
	s_mov_b64 s[0:1], 0
                                        ; implicit-def: $vgpr7
	s_cbranch_execnz .LBB119_1623
	s_branch .LBB119_1626
.LBB119_1614:
	s_mov_b64 s[4:5], -1
	s_mov_b64 s[16:17], 0
	s_mov_b64 s[0:1], 0
                                        ; implicit-def: $vgpr7
	s_branch .LBB119_1618
.LBB119_1615:
	s_andn2_saveexec_b64 s[16:17], s[16:17]
	s_cbranch_execz .LBB119_1470
.LBB119_1616:
	s_mov_b32 s18, 0x46000000
	v_add_f32_e64 v1, |v0|, s18
	v_and_b32_e32 v1, 0xff, v1
	v_cmp_ne_u32_e32 vcc, 0, v1
	s_andn2_b64 s[14:15], s[14:15], exec
	s_and_b64 s[18:19], vcc, exec
	s_or_b64 s[14:15], s[14:15], s[18:19]
	s_or_b64 exec, exec, s[16:17]
	v_mov_b32_e32 v5, 0
	s_and_saveexec_b64 s[16:17], s[14:15]
	s_cbranch_execnz .LBB119_1471
	s_branch .LBB119_1472
.LBB119_1617:
	s_mov_b64 s[0:1], -1
                                        ; implicit-def: $vgpr7
	s_mov_b64 s[16:17], 0
.LBB119_1618:
	s_and_b64 vcc, exec, s[4:5]
	s_cbranch_vccz .LBB119_1621
; %bb.1619:
	s_cmp_eq_u32 s19, 44
	s_cbranch_scc0 .LBB119_1622
; %bb.1620:
	global_load_ubyte v1, v[20:21], off
	s_mov_b64 s[0:1], 0
	s_mov_b64 s[16:17], -1
	s_waitcnt vmcnt(0)
	v_lshlrev_b32_e32 v3, 23, v1
	v_cvt_i32_f32_e32 v3, v3
	v_cmp_ne_u32_e32 vcc, 0, v1
	v_cndmask_b32_e32 v7, 0, v3, vcc
.LBB119_1621:
	s_branch .LBB119_1626
.LBB119_1622:
	s_mov_b64 s[0:1], -1
                                        ; implicit-def: $vgpr7
	s_branch .LBB119_1626
.LBB119_1623:
	s_cmp_eq_u32 s19, 29
	s_cbranch_scc0 .LBB119_1625
; %bb.1624:
	global_load_dwordx2 v[7:8], v[20:21], off
	s_mov_b64 s[0:1], 0
	s_mov_b64 s[16:17], -1
	s_branch .LBB119_1626
.LBB119_1625:
	s_mov_b64 s[0:1], -1
                                        ; implicit-def: $vgpr7
.LBB119_1626:
	s_branch .LBB119_1642
.LBB119_1627:
	s_cmp_lt_i32 s19, 27
	s_cbranch_scc1 .LBB119_1630
; %bb.1628:
	s_cmp_gt_i32 s19, 27
	s_cbranch_scc0 .LBB119_1631
; %bb.1629:
	global_load_dword v7, v[20:21], off
	s_mov_b64 s[4:5], 0
	s_branch .LBB119_1632
.LBB119_1630:
	s_mov_b64 s[4:5], -1
                                        ; implicit-def: $vgpr7
	s_branch .LBB119_1635
.LBB119_1631:
	s_mov_b64 s[4:5], -1
                                        ; implicit-def: $vgpr7
.LBB119_1632:
	s_andn2_b64 vcc, exec, s[4:5]
	s_cbranch_vccnz .LBB119_1634
; %bb.1633:
	global_load_ushort v7, v[20:21], off
.LBB119_1634:
	s_mov_b64 s[4:5], 0
.LBB119_1635:
	s_andn2_b64 vcc, exec, s[4:5]
	s_cbranch_vccnz .LBB119_1641
; %bb.1636:
	global_load_ubyte v1, v[20:21], off
	s_movk_i32 s4, 0x7f
	s_mov_b64 s[16:17], 0
	s_waitcnt vmcnt(0)
	v_cmp_lt_i16_e32 vcc, s4, v1
	s_and_saveexec_b64 s[4:5], vcc
	s_xor_b64 s[4:5], exec, s[4:5]
	s_cbranch_execz .LBB119_1652
; %bb.1637:
	s_movk_i32 s16, 0x80
	v_cmp_ne_u16_e32 vcc, s16, v1
	s_and_b64 s[16:17], vcc, exec
	s_andn2_saveexec_b64 s[4:5], s[4:5]
	s_cbranch_execnz .LBB119_1653
.LBB119_1638:
	s_or_b64 exec, exec, s[4:5]
	v_mov_b32_e32 v7, 0
	s_and_saveexec_b64 s[4:5], s[16:17]
	s_cbranch_execz .LBB119_1640
.LBB119_1639:
	v_lshlrev_b32_e32 v3, 24, v1
	v_and_b32_e32 v1, 0xffff, v1
	v_and_b32_e32 v5, 7, v1
	v_ffbh_u32_e32 v8, v5
	v_min_u32_e32 v8, 32, v8
	v_subrev_u32_e32 v10, 28, v8
	v_bfe_u32 v7, v1, 3, 4
	v_lshlrev_b32_e32 v1, v10, v1
	v_sub_u32_e32 v8, 29, v8
	v_and_b32_e32 v1, 7, v1
	v_cmp_eq_u32_e32 vcc, 0, v7
	v_cndmask_b32_e32 v7, v7, v8, vcc
	v_cndmask_b32_e32 v1, v5, v1, vcc
	v_mov_b32_e32 v5, 0x3b800000
	v_lshlrev_b32_e32 v1, 20, v1
	v_and_b32_e32 v3, 0x80000000, v3
	v_lshl_add_u32 v5, v7, 23, v5
	v_or3_b32 v1, v3, v5, v1
	v_cvt_i32_f32_e32 v7, v1
.LBB119_1640:
	s_or_b64 exec, exec, s[4:5]
.LBB119_1641:
	s_mov_b64 s[16:17], -1
.LBB119_1642:
	s_branch .LBB119_1672
.LBB119_1643:
	s_cmp_gt_i32 s19, 22
	s_cbranch_scc0 .LBB119_1651
; %bb.1644:
	s_cmp_lt_i32 s19, 24
	s_cbranch_scc1 .LBB119_1654
; %bb.1645:
	s_cmp_gt_i32 s19, 24
	s_cbranch_scc0 .LBB119_1655
; %bb.1646:
	global_load_ubyte v1, v[20:21], off
	s_movk_i32 s4, 0x7f
	s_waitcnt vmcnt(0)
	v_cmp_lt_i16_e32 vcc, s4, v1
	s_and_saveexec_b64 s[4:5], vcc
	s_xor_b64 s[4:5], exec, s[4:5]
	s_cbranch_execz .LBB119_1666
; %bb.1647:
	s_movk_i32 s6, 0x80
	v_cmp_ne_u16_e32 vcc, s6, v1
	s_and_b64 s[6:7], vcc, exec
	s_andn2_saveexec_b64 s[4:5], s[4:5]
	s_cbranch_execnz .LBB119_1667
.LBB119_1648:
	s_or_b64 exec, exec, s[4:5]
	v_mov_b32_e32 v7, 0
	s_and_saveexec_b64 s[4:5], s[6:7]
	s_cbranch_execz .LBB119_1650
.LBB119_1649:
	v_lshlrev_b32_e32 v3, 24, v1
	v_and_b32_e32 v1, 0xffff, v1
	v_and_b32_e32 v5, 3, v1
	v_ffbh_u32_e32 v8, v5
	v_min_u32_e32 v8, 32, v8
	v_subrev_u32_e32 v10, 29, v8
	v_bfe_u32 v7, v1, 2, 5
	v_lshlrev_b32_e32 v1, v10, v1
	v_sub_u32_e32 v8, 30, v8
	v_and_b32_e32 v1, 3, v1
	v_cmp_eq_u32_e32 vcc, 0, v7
	v_cndmask_b32_e32 v7, v7, v8, vcc
	v_cndmask_b32_e32 v1, v5, v1, vcc
	v_mov_b32_e32 v5, 0x37800000
	v_lshlrev_b32_e32 v1, 21, v1
	v_and_b32_e32 v3, 0x80000000, v3
	v_lshl_add_u32 v5, v7, 23, v5
	v_or3_b32 v1, v3, v5, v1
	v_cvt_i32_f32_e32 v7, v1
.LBB119_1650:
	s_or_b64 exec, exec, s[4:5]
	s_mov_b64 s[4:5], 0
	s_branch .LBB119_1656
.LBB119_1651:
                                        ; implicit-def: $vgpr7
	s_mov_b64 s[6:7], 0
	s_branch .LBB119_1662
.LBB119_1652:
	s_andn2_saveexec_b64 s[4:5], s[4:5]
	s_cbranch_execz .LBB119_1638
.LBB119_1653:
	v_cmp_ne_u16_e32 vcc, 0, v1
	s_andn2_b64 s[16:17], s[16:17], exec
	s_and_b64 s[20:21], vcc, exec
	s_or_b64 s[16:17], s[16:17], s[20:21]
	s_or_b64 exec, exec, s[4:5]
	v_mov_b32_e32 v7, 0
	s_and_saveexec_b64 s[4:5], s[16:17]
	s_cbranch_execnz .LBB119_1639
	s_branch .LBB119_1640
.LBB119_1654:
	s_mov_b64 s[4:5], -1
                                        ; implicit-def: $vgpr7
	s_branch .LBB119_1659
.LBB119_1655:
	s_mov_b64 s[4:5], -1
                                        ; implicit-def: $vgpr7
.LBB119_1656:
	s_and_b64 vcc, exec, s[4:5]
	s_cbranch_vccz .LBB119_1658
; %bb.1657:
	global_load_ubyte v1, v[20:21], off
	s_mov_b32 s4, 0x7f800000
	s_waitcnt vmcnt(0)
	v_lshlrev_b32_e32 v1, 24, v1
	v_and_b32_e32 v3, 0x7f000000, v1
	v_ffbh_u32_e32 v5, v3
	v_min_u32_e32 v5, 32, v5
	v_sub_u32_e64 v5, v5, 4 clamp
	v_lshlrev_b32_e32 v8, v5, v3
	v_lshlrev_b32_e32 v5, 23, v5
	v_lshrrev_b32_e32 v8, 4, v8
	v_add_u32_e32 v7, 0x1000000, v3
	v_sub_u32_e32 v5, v8, v5
	v_ashrrev_i32_e32 v7, 8, v7
	v_add_u32_e32 v5, 0x3c000000, v5
	v_and_or_b32 v5, v7, s4, v5
	v_cmp_ne_u32_e32 vcc, 0, v3
	v_cndmask_b32_e32 v3, 0, v5, vcc
	s_brev_b32 s4, 1
	v_and_or_b32 v1, v1, s4, v3
	v_cvt_i32_f32_e32 v7, v1
.LBB119_1658:
	s_mov_b64 s[4:5], 0
.LBB119_1659:
	s_andn2_b64 vcc, exec, s[4:5]
	s_cbranch_vccnz .LBB119_1661
; %bb.1660:
	global_load_ubyte v1, v[20:21], off
	s_movk_i32 s4, 0x7f00
	s_brev_b32 s5, 16
	s_waitcnt vmcnt(0)
	v_lshlrev_b16_e32 v3, 8, v1
	v_lshlrev_b32_e32 v1, 25, v1
	v_lshrrev_b32_e32 v5, 4, v1
	v_and_or_b32 v7, v3, s4, 0.5
	v_or_b32_e32 v5, 0x70000000, v5
	v_add_f32_e32 v7, -0.5, v7
	v_mul_f32_e32 v5, 0x7800000, v5
	v_cmp_gt_u32_e32 vcc, s5, v1
	v_bfe_i32 v3, v3, 0, 16
	v_cndmask_b32_e32 v1, v5, v7, vcc
	s_brev_b32 s4, 1
	v_and_or_b32 v1, v3, s4, v1
	v_cvt_i32_f32_e32 v7, v1
.LBB119_1661:
	s_mov_b64 s[16:17], -1
	s_mov_b64 s[6:7], 0
	s_cbranch_execnz .LBB119_1672
.LBB119_1662:
	s_cmp_gt_i32 s19, 14
	s_cbranch_scc0 .LBB119_1665
; %bb.1663:
	s_cmp_eq_u32 s19, 15
	s_cbranch_scc0 .LBB119_1668
; %bb.1664:
	global_load_ushort v1, v[20:21], off
	s_mov_b64 s[0:1], 0
	s_mov_b64 s[16:17], -1
	s_waitcnt vmcnt(0)
	v_lshlrev_b32_e32 v1, 16, v1
	v_cvt_i32_f32_e32 v7, v1
	s_branch .LBB119_1669
.LBB119_1665:
	s_mov_b64 s[4:5], -1
                                        ; implicit-def: $vgpr7
	s_branch .LBB119_1670
.LBB119_1666:
	s_andn2_saveexec_b64 s[4:5], s[4:5]
	s_cbranch_execz .LBB119_1648
.LBB119_1667:
	v_cmp_ne_u16_e32 vcc, 0, v1
	s_andn2_b64 s[6:7], s[6:7], exec
	s_and_b64 s[16:17], vcc, exec
	s_or_b64 s[6:7], s[6:7], s[16:17]
	s_or_b64 exec, exec, s[4:5]
	v_mov_b32_e32 v7, 0
	s_and_saveexec_b64 s[4:5], s[6:7]
	s_cbranch_execnz .LBB119_1649
	s_branch .LBB119_1650
.LBB119_1668:
	s_mov_b64 s[0:1], -1
                                        ; implicit-def: $vgpr7
.LBB119_1669:
	s_mov_b64 s[4:5], 0
.LBB119_1670:
	s_and_b64 vcc, exec, s[4:5]
	s_cbranch_vccz .LBB119_1672
; %bb.1671:
	s_cmp_lg_u32 s19, 11
	s_mov_b64 s[6:7], -1
	s_cselect_b64 s[0:1], -1, 0
.LBB119_1672:
	s_and_b64 vcc, exec, s[0:1]
	s_mov_b64 s[4:5], s[12:13]
	s_cbranch_vccnz .LBB119_1733
; %bb.1673:
	s_andn2_b64 vcc, exec, s[6:7]
	s_cbranch_vccnz .LBB119_1675
.LBB119_1674:
	global_load_ubyte v1, v[20:21], off
	s_mov_b64 s[16:17], -1
	s_waitcnt vmcnt(0)
	v_cmp_ne_u16_e32 vcc, 0, v1
	v_cndmask_b32_e64 v7, 0, 1, vcc
.LBB119_1675:
	s_branch .LBB119_1610
.LBB119_1676:
	s_and_b32 s6, 0xffff, s18
	s_cmp_lt_i32 s6, 5
	s_cbranch_scc1 .LBB119_1681
; %bb.1677:
	s_cmp_lt_i32 s6, 8
	s_cbranch_scc1 .LBB119_1682
; %bb.1678:
	;; [unrolled: 3-line block ×3, first 2 shown]
	s_cmp_gt_i32 s6, 9
	s_cbranch_scc0 .LBB119_1684
; %bb.1680:
	global_load_dwordx2 v[7:8], v[20:21], off
	s_mov_b64 s[0:1], 0
	s_waitcnt vmcnt(0)
	v_cvt_i32_f64_e32 v7, v[7:8]
	s_branch .LBB119_1685
.LBB119_1681:
                                        ; implicit-def: $vgpr7
	s_branch .LBB119_1702
.LBB119_1682:
                                        ; implicit-def: $vgpr7
	s_branch .LBB119_1691
.LBB119_1683:
	s_mov_b64 s[0:1], -1
                                        ; implicit-def: $vgpr7
	s_branch .LBB119_1688
.LBB119_1684:
	s_mov_b64 s[0:1], -1
                                        ; implicit-def: $vgpr7
.LBB119_1685:
	s_andn2_b64 vcc, exec, s[0:1]
	s_cbranch_vccnz .LBB119_1687
; %bb.1686:
	global_load_dword v1, v[20:21], off
	s_waitcnt vmcnt(0)
	v_cvt_i32_f32_e32 v7, v1
.LBB119_1687:
	s_mov_b64 s[0:1], 0
.LBB119_1688:
	s_andn2_b64 vcc, exec, s[0:1]
	s_cbranch_vccnz .LBB119_1690
; %bb.1689:
	global_load_dword v1, v[20:21], off
	s_waitcnt vmcnt(0)
	v_cvt_i16_f16_e32 v7, v1
.LBB119_1690:
	s_cbranch_execnz .LBB119_1701
.LBB119_1691:
	s_cmp_lt_i32 s6, 6
	s_cbranch_scc1 .LBB119_1694
; %bb.1692:
	s_cmp_gt_i32 s6, 6
	s_cbranch_scc0 .LBB119_1695
; %bb.1693:
	global_load_dwordx2 v[7:8], v[20:21], off
	s_mov_b64 s[0:1], 0
	s_waitcnt vmcnt(0)
	v_cvt_i32_f64_e32 v7, v[7:8]
	s_branch .LBB119_1696
.LBB119_1694:
	s_mov_b64 s[0:1], -1
                                        ; implicit-def: $vgpr7
	s_branch .LBB119_1699
.LBB119_1695:
	s_mov_b64 s[0:1], -1
                                        ; implicit-def: $vgpr7
.LBB119_1696:
	s_andn2_b64 vcc, exec, s[0:1]
	s_cbranch_vccnz .LBB119_1698
; %bb.1697:
	global_load_dword v1, v[20:21], off
	s_waitcnt vmcnt(0)
	v_cvt_i32_f32_e32 v7, v1
.LBB119_1698:
	s_mov_b64 s[0:1], 0
.LBB119_1699:
	s_andn2_b64 vcc, exec, s[0:1]
	s_cbranch_vccnz .LBB119_1701
; %bb.1700:
	global_load_ushort v1, v[20:21], off
	s_waitcnt vmcnt(0)
	v_cvt_i16_f16_e32 v7, v1
.LBB119_1701:
	s_cbranch_execnz .LBB119_1720
.LBB119_1702:
	s_cmp_lt_i32 s6, 2
	s_cbranch_scc1 .LBB119_1706
; %bb.1703:
	s_cmp_lt_i32 s6, 3
	s_cbranch_scc1 .LBB119_1707
; %bb.1704:
	s_cmp_gt_i32 s6, 3
	s_cbranch_scc0 .LBB119_1708
; %bb.1705:
	global_load_dwordx2 v[7:8], v[20:21], off
	s_mov_b64 s[0:1], 0
	s_branch .LBB119_1709
.LBB119_1706:
                                        ; implicit-def: $vgpr7
	s_branch .LBB119_1715
.LBB119_1707:
	s_mov_b64 s[0:1], -1
                                        ; implicit-def: $vgpr7
	s_branch .LBB119_1712
.LBB119_1708:
	s_mov_b64 s[0:1], -1
                                        ; implicit-def: $vgpr7
.LBB119_1709:
	s_andn2_b64 vcc, exec, s[0:1]
	s_cbranch_vccnz .LBB119_1711
; %bb.1710:
	global_load_dword v7, v[20:21], off
.LBB119_1711:
	s_mov_b64 s[0:1], 0
.LBB119_1712:
	s_andn2_b64 vcc, exec, s[0:1]
	s_cbranch_vccnz .LBB119_1714
; %bb.1713:
	global_load_ushort v7, v[20:21], off
.LBB119_1714:
	s_cbranch_execnz .LBB119_1720
.LBB119_1715:
	s_cmp_gt_i32 s6, 0
	s_cbranch_scc0 .LBB119_1717
; %bb.1716:
	global_load_sbyte v7, v[20:21], off
	s_mov_b64 s[0:1], 0
	s_branch .LBB119_1718
.LBB119_1717:
	s_mov_b64 s[0:1], -1
                                        ; implicit-def: $vgpr7
.LBB119_1718:
	s_andn2_b64 vcc, exec, s[0:1]
	s_cbranch_vccnz .LBB119_1720
; %bb.1719:
	global_load_ubyte v7, v[20:21], off
.LBB119_1720:
.LBB119_1721:
	s_load_dwordx2 s[0:1], s[2:3], 0x198
	s_bfe_u32 s22, s23, 0x80010
	s_cmp_lt_i32 s22, 11
	s_waitcnt lgkmcnt(0)
	v_mov_b32_e32 v1, s1
	v_add_co_u32_e32 v20, vcc, s0, v13
	v_addc_co_u32_e32 v21, vcc, 0, v1, vcc
	s_cbranch_scc1 .LBB119_1728
; %bb.1722:
	s_and_b32 s24, 0xffff, s22
	s_cmp_gt_i32 s24, 25
	s_mov_b64 s[16:17], 0
	s_cbranch_scc0 .LBB119_1730
; %bb.1723:
	s_cmp_gt_i32 s24, 28
	s_cbranch_scc0 .LBB119_1731
; %bb.1724:
	s_cmp_gt_i32 s24, 43
	s_cbranch_scc0 .LBB119_1732
; %bb.1725:
	s_cmp_gt_i32 s24, 45
	s_cbranch_scc0 .LBB119_1734
; %bb.1726:
	s_cmp_eq_u32 s24, 46
	s_mov_b64 s[20:21], 0
	s_cbranch_scc0 .LBB119_1737
; %bb.1727:
	global_load_dword v1, v[20:21], off
	s_mov_b64 s[6:7], 0
	s_mov_b64 s[18:19], -1
	s_waitcnt vmcnt(0)
	v_lshlrev_b32_e32 v1, 16, v1
	v_cvt_i32_f32_e32 v12, v1
	s_branch .LBB119_1738
.LBB119_1728:
	s_mov_b64 s[18:19], 0
                                        ; implicit-def: $vgpr12
	s_cbranch_execnz .LBB119_1799
.LBB119_1729:
	s_andn2_b64 vcc, exec, s[18:19]
	s_cbranch_vccnz .LBB119_3036
	s_branch .LBB119_1846
.LBB119_1730:
	s_mov_b64 s[18:19], 0
	s_mov_b64 s[6:7], 0
                                        ; implicit-def: $vgpr12
	s_cbranch_execnz .LBB119_1765
	s_branch .LBB119_1795
.LBB119_1731:
	s_mov_b64 s[20:21], -1
	s_mov_b64 s[18:19], 0
	s_mov_b64 s[6:7], 0
                                        ; implicit-def: $vgpr12
	s_branch .LBB119_1748
.LBB119_1732:
	s_mov_b64 s[20:21], -1
	s_mov_b64 s[18:19], 0
	s_mov_b64 s[6:7], 0
                                        ; implicit-def: $vgpr12
	s_branch .LBB119_1743
.LBB119_1733:
	s_or_b64 s[4:5], s[12:13], exec
	s_trap 2
	s_cbranch_execz .LBB119_1674
	s_branch .LBB119_1675
.LBB119_1734:
	s_mov_b64 s[20:21], -1
	s_mov_b64 s[18:19], 0
	s_mov_b64 s[6:7], 0
                                        ; implicit-def: $vgpr12
	s_branch .LBB119_1738
.LBB119_1735:
	s_andn2_saveexec_b64 s[18:19], s[18:19]
	s_cbranch_execz .LBB119_1482
.LBB119_1736:
	s_mov_b32 s21, 0x42800000
	v_add_f32_e64 v1, |v0|, s21
	v_and_b32_e32 v1, 0xff, v1
	v_cmp_ne_u32_e32 vcc, 0, v1
	s_andn2_b64 s[16:17], s[16:17], exec
	s_and_b64 s[28:29], vcc, exec
	s_or_b64 s[16:17], s[16:17], s[28:29]
	s_or_b64 exec, exec, s[18:19]
	v_mov_b32_e32 v5, 0
	s_and_saveexec_b64 s[18:19], s[16:17]
	s_cbranch_execnz .LBB119_1483
	s_branch .LBB119_1484
.LBB119_1737:
	s_mov_b64 s[6:7], -1
                                        ; implicit-def: $vgpr12
	s_mov_b64 s[18:19], 0
.LBB119_1738:
	s_and_b64 vcc, exec, s[20:21]
	s_cbranch_vccz .LBB119_1742
; %bb.1739:
	s_cmp_eq_u32 s24, 44
	s_cbranch_scc0 .LBB119_1741
; %bb.1740:
	global_load_ubyte v1, v[20:21], off
	s_mov_b64 s[6:7], 0
	s_mov_b64 s[18:19], -1
	s_waitcnt vmcnt(0)
	v_lshlrev_b32_e32 v3, 23, v1
	v_cvt_i32_f32_e32 v3, v3
	v_cmp_ne_u32_e32 vcc, 0, v1
	v_cndmask_b32_e32 v12, 0, v3, vcc
	s_branch .LBB119_1742
.LBB119_1741:
	s_mov_b64 s[6:7], -1
                                        ; implicit-def: $vgpr12
.LBB119_1742:
	s_mov_b64 s[20:21], 0
.LBB119_1743:
	s_and_b64 vcc, exec, s[20:21]
	s_cbranch_vccz .LBB119_1747
; %bb.1744:
	s_cmp_eq_u32 s24, 29
	s_cbranch_scc0 .LBB119_1746
; %bb.1745:
	global_load_dwordx2 v[12:13], v[20:21], off
	s_mov_b64 s[6:7], 0
	s_mov_b64 s[18:19], -1
	s_branch .LBB119_1747
.LBB119_1746:
	s_mov_b64 s[6:7], -1
                                        ; implicit-def: $vgpr12
.LBB119_1747:
	s_mov_b64 s[20:21], 0
.LBB119_1748:
	s_and_b64 vcc, exec, s[20:21]
	s_cbranch_vccz .LBB119_1764
; %bb.1749:
	s_cmp_lt_i32 s24, 27
	s_cbranch_scc1 .LBB119_1752
; %bb.1750:
	s_cmp_gt_i32 s24, 27
	s_cbranch_scc0 .LBB119_1753
; %bb.1751:
	global_load_dword v12, v[20:21], off
	s_mov_b64 s[18:19], 0
	s_branch .LBB119_1754
.LBB119_1752:
	s_mov_b64 s[18:19], -1
                                        ; implicit-def: $vgpr12
	s_branch .LBB119_1757
.LBB119_1753:
	s_mov_b64 s[18:19], -1
                                        ; implicit-def: $vgpr12
.LBB119_1754:
	s_andn2_b64 vcc, exec, s[18:19]
	s_cbranch_vccnz .LBB119_1756
; %bb.1755:
	global_load_ushort v12, v[20:21], off
.LBB119_1756:
	s_mov_b64 s[18:19], 0
.LBB119_1757:
	s_andn2_b64 vcc, exec, s[18:19]
	s_cbranch_vccnz .LBB119_1763
; %bb.1758:
	global_load_ubyte v1, v[20:21], off
	s_movk_i32 s18, 0x7f
	s_mov_b64 s[20:21], 0
	s_waitcnt vmcnt(0)
	v_cmp_lt_i16_e32 vcc, s18, v1
	s_and_saveexec_b64 s[18:19], vcc
	s_xor_b64 s[18:19], exec, s[18:19]
	s_cbranch_execz .LBB119_1774
; %bb.1759:
	s_movk_i32 s20, 0x80
	v_cmp_ne_u16_e32 vcc, s20, v1
	s_and_b64 s[20:21], vcc, exec
	s_andn2_saveexec_b64 s[18:19], s[18:19]
	s_cbranch_execnz .LBB119_1775
.LBB119_1760:
	s_or_b64 exec, exec, s[18:19]
	v_mov_b32_e32 v12, 0
	s_and_saveexec_b64 s[18:19], s[20:21]
	s_cbranch_execz .LBB119_1762
.LBB119_1761:
	v_lshlrev_b32_e32 v3, 24, v1
	v_and_b32_e32 v1, 0xffff, v1
	v_and_b32_e32 v5, 7, v1
	v_ffbh_u32_e32 v10, v5
	v_min_u32_e32 v10, 32, v10
	v_subrev_u32_e32 v12, 28, v10
	v_bfe_u32 v8, v1, 3, 4
	v_lshlrev_b32_e32 v1, v12, v1
	v_sub_u32_e32 v10, 29, v10
	v_and_b32_e32 v1, 7, v1
	v_cmp_eq_u32_e32 vcc, 0, v8
	v_cndmask_b32_e32 v8, v8, v10, vcc
	v_cndmask_b32_e32 v1, v5, v1, vcc
	v_mov_b32_e32 v5, 0x3b800000
	v_lshlrev_b32_e32 v1, 20, v1
	v_and_b32_e32 v3, 0x80000000, v3
	v_lshl_add_u32 v5, v8, 23, v5
	v_or3_b32 v1, v3, v5, v1
	v_cvt_i32_f32_e32 v12, v1
.LBB119_1762:
	s_or_b64 exec, exec, s[18:19]
.LBB119_1763:
	s_mov_b64 s[18:19], -1
.LBB119_1764:
	s_branch .LBB119_1795
.LBB119_1765:
	s_cmp_gt_i32 s24, 22
	s_cbranch_scc0 .LBB119_1773
; %bb.1766:
	s_cmp_lt_i32 s24, 24
	s_cbranch_scc1 .LBB119_1776
; %bb.1767:
	s_cmp_gt_i32 s24, 24
	s_cbranch_scc0 .LBB119_1777
; %bb.1768:
	global_load_ubyte v1, v[20:21], off
	s_movk_i32 s16, 0x7f
	s_mov_b64 s[18:19], 0
	s_waitcnt vmcnt(0)
	v_cmp_lt_i16_e32 vcc, s16, v1
	s_and_saveexec_b64 s[16:17], vcc
	s_xor_b64 s[16:17], exec, s[16:17]
	s_cbranch_execz .LBB119_1789
; %bb.1769:
	s_movk_i32 s18, 0x80
	v_cmp_ne_u16_e32 vcc, s18, v1
	s_and_b64 s[18:19], vcc, exec
	s_andn2_saveexec_b64 s[16:17], s[16:17]
	s_cbranch_execnz .LBB119_1790
.LBB119_1770:
	s_or_b64 exec, exec, s[16:17]
	v_mov_b32_e32 v12, 0
	s_and_saveexec_b64 s[16:17], s[18:19]
	s_cbranch_execz .LBB119_1772
.LBB119_1771:
	v_lshlrev_b32_e32 v3, 24, v1
	v_and_b32_e32 v1, 0xffff, v1
	v_and_b32_e32 v5, 3, v1
	v_ffbh_u32_e32 v10, v5
	v_min_u32_e32 v10, 32, v10
	v_subrev_u32_e32 v12, 29, v10
	v_bfe_u32 v8, v1, 2, 5
	v_lshlrev_b32_e32 v1, v12, v1
	v_sub_u32_e32 v10, 30, v10
	v_and_b32_e32 v1, 3, v1
	v_cmp_eq_u32_e32 vcc, 0, v8
	v_cndmask_b32_e32 v8, v8, v10, vcc
	v_cndmask_b32_e32 v1, v5, v1, vcc
	v_mov_b32_e32 v5, 0x37800000
	v_lshlrev_b32_e32 v1, 21, v1
	v_and_b32_e32 v3, 0x80000000, v3
	v_lshl_add_u32 v5, v8, 23, v5
	v_or3_b32 v1, v3, v5, v1
	v_cvt_i32_f32_e32 v12, v1
.LBB119_1772:
	s_or_b64 exec, exec, s[16:17]
	s_mov_b64 s[16:17], 0
	s_branch .LBB119_1778
.LBB119_1773:
	s_mov_b64 s[16:17], -1
                                        ; implicit-def: $vgpr12
	s_branch .LBB119_1784
.LBB119_1774:
	s_andn2_saveexec_b64 s[18:19], s[18:19]
	s_cbranch_execz .LBB119_1760
.LBB119_1775:
	v_cmp_ne_u16_e32 vcc, 0, v1
	s_andn2_b64 s[20:21], s[20:21], exec
	s_and_b64 s[26:27], vcc, exec
	s_or_b64 s[20:21], s[20:21], s[26:27]
	s_or_b64 exec, exec, s[18:19]
	v_mov_b32_e32 v12, 0
	s_and_saveexec_b64 s[18:19], s[20:21]
	s_cbranch_execnz .LBB119_1761
	s_branch .LBB119_1762
.LBB119_1776:
	s_mov_b64 s[16:17], -1
                                        ; implicit-def: $vgpr12
	s_branch .LBB119_1781
.LBB119_1777:
	s_mov_b64 s[16:17], -1
                                        ; implicit-def: $vgpr12
.LBB119_1778:
	s_and_b64 vcc, exec, s[16:17]
	s_cbranch_vccz .LBB119_1780
; %bb.1779:
	global_load_ubyte v1, v[20:21], off
	s_mov_b32 s16, 0x7f800000
	s_waitcnt vmcnt(0)
	v_lshlrev_b32_e32 v1, 24, v1
	v_and_b32_e32 v3, 0x7f000000, v1
	v_ffbh_u32_e32 v5, v3
	v_min_u32_e32 v5, 32, v5
	v_sub_u32_e64 v5, v5, 4 clamp
	v_lshlrev_b32_e32 v10, v5, v3
	v_lshlrev_b32_e32 v5, 23, v5
	v_lshrrev_b32_e32 v10, 4, v10
	v_add_u32_e32 v8, 0x1000000, v3
	v_sub_u32_e32 v5, v10, v5
	v_ashrrev_i32_e32 v8, 8, v8
	v_add_u32_e32 v5, 0x3c000000, v5
	v_and_or_b32 v5, v8, s16, v5
	v_cmp_ne_u32_e32 vcc, 0, v3
	v_cndmask_b32_e32 v3, 0, v5, vcc
	s_brev_b32 s16, 1
	v_and_or_b32 v1, v1, s16, v3
	v_cvt_i32_f32_e32 v12, v1
.LBB119_1780:
	s_mov_b64 s[16:17], 0
.LBB119_1781:
	s_andn2_b64 vcc, exec, s[16:17]
	s_cbranch_vccnz .LBB119_1783
; %bb.1782:
	global_load_ubyte v1, v[20:21], off
	s_movk_i32 s16, 0x7f00
	s_brev_b32 s17, 16
	s_waitcnt vmcnt(0)
	v_lshlrev_b16_e32 v3, 8, v1
	v_lshlrev_b32_e32 v1, 25, v1
	v_lshrrev_b32_e32 v5, 4, v1
	v_and_or_b32 v8, v3, s16, 0.5
	v_or_b32_e32 v5, 0x70000000, v5
	v_add_f32_e32 v8, -0.5, v8
	v_mul_f32_e32 v5, 0x7800000, v5
	v_cmp_gt_u32_e32 vcc, s17, v1
	v_bfe_i32 v3, v3, 0, 16
	v_cndmask_b32_e32 v1, v5, v8, vcc
	s_brev_b32 s16, 1
	v_and_or_b32 v1, v3, s16, v1
	v_cvt_i32_f32_e32 v12, v1
.LBB119_1783:
	s_mov_b64 s[16:17], 0
	s_mov_b64 s[18:19], -1
.LBB119_1784:
	s_andn2_b64 vcc, exec, s[16:17]
	s_mov_b64 s[16:17], 0
	s_cbranch_vccnz .LBB119_1795
; %bb.1785:
	s_cmp_gt_i32 s24, 14
	s_cbranch_scc0 .LBB119_1788
; %bb.1786:
	s_cmp_eq_u32 s24, 15
	s_cbranch_scc0 .LBB119_1791
; %bb.1787:
	global_load_ushort v1, v[20:21], off
	s_mov_b64 s[6:7], 0
	s_mov_b64 s[18:19], -1
	s_waitcnt vmcnt(0)
	v_lshlrev_b32_e32 v1, 16, v1
	v_cvt_i32_f32_e32 v12, v1
	s_branch .LBB119_1792
.LBB119_1788:
	s_mov_b64 s[20:21], -1
                                        ; implicit-def: $vgpr12
	s_branch .LBB119_1793
.LBB119_1789:
	s_andn2_saveexec_b64 s[16:17], s[16:17]
	s_cbranch_execz .LBB119_1770
.LBB119_1790:
	v_cmp_ne_u16_e32 vcc, 0, v1
	s_andn2_b64 s[18:19], s[18:19], exec
	s_and_b64 s[20:21], vcc, exec
	s_or_b64 s[18:19], s[18:19], s[20:21]
	s_or_b64 exec, exec, s[16:17]
	v_mov_b32_e32 v12, 0
	s_and_saveexec_b64 s[16:17], s[18:19]
	s_cbranch_execnz .LBB119_1771
	s_branch .LBB119_1772
.LBB119_1791:
	s_mov_b64 s[6:7], -1
                                        ; implicit-def: $vgpr12
.LBB119_1792:
	s_mov_b64 s[20:21], 0
.LBB119_1793:
	s_and_b64 vcc, exec, s[20:21]
	s_cbranch_vccz .LBB119_1795
; %bb.1794:
	s_cmp_lg_u32 s24, 11
	s_mov_b64 s[16:17], -1
	s_cselect_b64 s[6:7], -1, 0
.LBB119_1795:
	s_and_b64 vcc, exec, s[6:7]
	s_cbranch_vccnz .LBB119_1858
; %bb.1796:
	s_andn2_b64 vcc, exec, s[16:17]
	s_cbranch_vccnz .LBB119_1798
.LBB119_1797:
	global_load_ubyte v1, v[20:21], off
	s_mov_b64 s[18:19], -1
	s_waitcnt vmcnt(0)
	v_cmp_ne_u16_e32 vcc, 0, v1
	v_cndmask_b32_e64 v12, 0, 1, vcc
.LBB119_1798:
	s_branch .LBB119_1729
.LBB119_1799:
	s_and_b32 s16, 0xffff, s22
	s_cmp_lt_i32 s16, 5
	s_cbranch_scc1 .LBB119_1804
; %bb.1800:
	s_cmp_lt_i32 s16, 8
	s_cbranch_scc1 .LBB119_1805
; %bb.1801:
	;; [unrolled: 3-line block ×3, first 2 shown]
	s_cmp_gt_i32 s16, 9
	s_cbranch_scc0 .LBB119_1807
; %bb.1803:
	global_load_dwordx2 v[12:13], v[20:21], off
	s_mov_b64 s[6:7], 0
	s_waitcnt vmcnt(0)
	v_cvt_i32_f64_e32 v12, v[12:13]
	s_branch .LBB119_1808
.LBB119_1804:
                                        ; implicit-def: $vgpr12
	s_branch .LBB119_1826
.LBB119_1805:
	s_mov_b64 s[6:7], -1
                                        ; implicit-def: $vgpr12
	s_branch .LBB119_1814
.LBB119_1806:
	s_mov_b64 s[6:7], -1
                                        ; implicit-def: $vgpr12
	s_branch .LBB119_1811
.LBB119_1807:
	s_mov_b64 s[6:7], -1
                                        ; implicit-def: $vgpr12
.LBB119_1808:
	s_andn2_b64 vcc, exec, s[6:7]
	s_cbranch_vccnz .LBB119_1810
; %bb.1809:
	global_load_dword v1, v[20:21], off
	s_waitcnt vmcnt(0)
	v_cvt_i32_f32_e32 v12, v1
.LBB119_1810:
	s_mov_b64 s[6:7], 0
.LBB119_1811:
	s_andn2_b64 vcc, exec, s[6:7]
	s_cbranch_vccnz .LBB119_1813
; %bb.1812:
	global_load_dword v1, v[20:21], off
	s_waitcnt vmcnt(0)
	v_cvt_i16_f16_e32 v12, v1
.LBB119_1813:
	s_mov_b64 s[6:7], 0
.LBB119_1814:
	s_andn2_b64 vcc, exec, s[6:7]
	s_cbranch_vccnz .LBB119_1825
; %bb.1815:
	s_cmp_lt_i32 s16, 6
	s_cbranch_scc1 .LBB119_1818
; %bb.1816:
	s_cmp_gt_i32 s16, 6
	s_cbranch_scc0 .LBB119_1819
; %bb.1817:
	global_load_dwordx2 v[12:13], v[20:21], off
	s_mov_b64 s[6:7], 0
	s_waitcnt vmcnt(0)
	v_cvt_i32_f64_e32 v12, v[12:13]
	s_branch .LBB119_1820
.LBB119_1818:
	s_mov_b64 s[6:7], -1
                                        ; implicit-def: $vgpr12
	s_branch .LBB119_1823
.LBB119_1819:
	s_mov_b64 s[6:7], -1
                                        ; implicit-def: $vgpr12
.LBB119_1820:
	s_andn2_b64 vcc, exec, s[6:7]
	s_cbranch_vccnz .LBB119_1822
; %bb.1821:
	global_load_dword v1, v[20:21], off
	s_waitcnt vmcnt(0)
	v_cvt_i32_f32_e32 v12, v1
.LBB119_1822:
	s_mov_b64 s[6:7], 0
.LBB119_1823:
	s_andn2_b64 vcc, exec, s[6:7]
	s_cbranch_vccnz .LBB119_1825
; %bb.1824:
	global_load_ushort v1, v[20:21], off
	s_waitcnt vmcnt(0)
	v_cvt_i16_f16_e32 v12, v1
.LBB119_1825:
	s_cbranch_execnz .LBB119_1845
.LBB119_1826:
	s_cmp_lt_i32 s16, 2
	s_cbranch_scc1 .LBB119_1830
; %bb.1827:
	s_cmp_lt_i32 s16, 3
	s_cbranch_scc1 .LBB119_1831
; %bb.1828:
	s_cmp_gt_i32 s16, 3
	s_cbranch_scc0 .LBB119_1832
; %bb.1829:
	global_load_dwordx2 v[12:13], v[20:21], off
	s_mov_b64 s[6:7], 0
	s_branch .LBB119_1833
.LBB119_1830:
	s_mov_b64 s[6:7], -1
                                        ; implicit-def: $vgpr12
	s_branch .LBB119_1839
.LBB119_1831:
	s_mov_b64 s[6:7], -1
                                        ; implicit-def: $vgpr12
	s_branch .LBB119_1836
.LBB119_1832:
	s_mov_b64 s[6:7], -1
                                        ; implicit-def: $vgpr12
.LBB119_1833:
	s_andn2_b64 vcc, exec, s[6:7]
	s_cbranch_vccnz .LBB119_1835
; %bb.1834:
	global_load_dword v12, v[20:21], off
.LBB119_1835:
	s_mov_b64 s[6:7], 0
.LBB119_1836:
	s_andn2_b64 vcc, exec, s[6:7]
	s_cbranch_vccnz .LBB119_1838
; %bb.1837:
	global_load_ushort v12, v[20:21], off
.LBB119_1838:
	s_mov_b64 s[6:7], 0
.LBB119_1839:
	s_andn2_b64 vcc, exec, s[6:7]
	s_cbranch_vccnz .LBB119_1845
; %bb.1840:
	s_cmp_gt_i32 s16, 0
	s_cbranch_scc0 .LBB119_1842
; %bb.1841:
	global_load_sbyte v12, v[20:21], off
	s_mov_b64 s[6:7], 0
	s_branch .LBB119_1843
.LBB119_1842:
	s_mov_b64 s[6:7], -1
                                        ; implicit-def: $vgpr12
.LBB119_1843:
	s_andn2_b64 vcc, exec, s[6:7]
	s_cbranch_vccnz .LBB119_1845
; %bb.1844:
	global_load_ubyte v12, v[20:21], off
.LBB119_1845:
.LBB119_1846:
	s_lshr_b32 s6, s23, 8
	v_mov_b32_e32 v1, s11
	s_and_b32 s22, s6, 0xff
	v_add_co_u32_e32 v20, vcc, s10, v11
	s_cmp_lt_i32 s22, 11
	v_addc_co_u32_e32 v21, vcc, 0, v1, vcc
	s_cbranch_scc1 .LBB119_1853
; %bb.1847:
	s_and_b32 s24, 0xffff, s22
	s_cmp_gt_i32 s24, 25
	s_mov_b64 s[16:17], 0
	s_cbranch_scc0 .LBB119_1855
; %bb.1848:
	s_cmp_gt_i32 s24, 28
	s_cbranch_scc0 .LBB119_1856
; %bb.1849:
	s_cmp_gt_i32 s24, 43
	;; [unrolled: 3-line block ×3, first 2 shown]
	s_cbranch_scc0 .LBB119_1859
; %bb.1851:
	s_cmp_eq_u32 s24, 46
	s_mov_b64 s[20:21], 0
	s_cbranch_scc0 .LBB119_1860
; %bb.1852:
	global_load_dword v1, v[20:21], off
	s_mov_b64 s[6:7], 0
	s_mov_b64 s[18:19], -1
	s_waitcnt vmcnt(0)
	v_lshlrev_b32_e32 v1, 16, v1
	v_cvt_i32_f32_e32 v10, v1
	s_branch .LBB119_1861
.LBB119_1853:
	s_mov_b64 s[18:19], 0
                                        ; implicit-def: $vgpr10
	s_cbranch_execnz .LBB119_1923
.LBB119_1854:
	s_andn2_b64 vcc, exec, s[18:19]
	s_cbranch_vccnz .LBB119_3036
	s_branch .LBB119_1971
.LBB119_1855:
	s_mov_b64 s[20:21], -1
	s_mov_b64 s[18:19], 0
	s_mov_b64 s[6:7], 0
                                        ; implicit-def: $vgpr10
	s_branch .LBB119_1888
.LBB119_1856:
	s_mov_b64 s[20:21], -1
	s_mov_b64 s[18:19], 0
	s_mov_b64 s[6:7], 0
                                        ; implicit-def: $vgpr10
	s_branch .LBB119_1871
.LBB119_1857:
	s_mov_b64 s[20:21], -1
	s_mov_b64 s[18:19], 0
	s_mov_b64 s[6:7], 0
                                        ; implicit-def: $vgpr10
	s_branch .LBB119_1866
.LBB119_1858:
	s_trap 2
	s_or_b64 s[4:5], s[4:5], exec
	s_cbranch_execz .LBB119_1797
	s_branch .LBB119_1798
.LBB119_1859:
	s_mov_b64 s[20:21], -1
	s_mov_b64 s[18:19], 0
	s_mov_b64 s[6:7], 0
                                        ; implicit-def: $vgpr10
	s_branch .LBB119_1861
.LBB119_1860:
	s_mov_b64 s[6:7], -1
                                        ; implicit-def: $vgpr10
	s_mov_b64 s[18:19], 0
.LBB119_1861:
	s_and_b64 vcc, exec, s[20:21]
	s_cbranch_vccz .LBB119_1865
; %bb.1862:
	s_cmp_eq_u32 s24, 44
	s_cbranch_scc0 .LBB119_1864
; %bb.1863:
	global_load_ubyte v1, v[20:21], off
	s_mov_b64 s[6:7], 0
	s_mov_b64 s[18:19], -1
	s_waitcnt vmcnt(0)
	v_lshlrev_b32_e32 v3, 23, v1
	v_cvt_i32_f32_e32 v3, v3
	v_cmp_ne_u32_e32 vcc, 0, v1
	v_cndmask_b32_e32 v10, 0, v3, vcc
	s_branch .LBB119_1865
.LBB119_1864:
	s_mov_b64 s[6:7], -1
                                        ; implicit-def: $vgpr10
.LBB119_1865:
	s_mov_b64 s[20:21], 0
.LBB119_1866:
	s_and_b64 vcc, exec, s[20:21]
	s_cbranch_vccz .LBB119_1870
; %bb.1867:
	s_cmp_eq_u32 s24, 29
	s_cbranch_scc0 .LBB119_1869
; %bb.1868:
	global_load_dwordx2 v[10:11], v[20:21], off
	s_mov_b64 s[6:7], 0
	s_mov_b64 s[18:19], -1
	s_branch .LBB119_1870
.LBB119_1869:
	s_mov_b64 s[6:7], -1
                                        ; implicit-def: $vgpr10
.LBB119_1870:
	s_mov_b64 s[20:21], 0
.LBB119_1871:
	s_and_b64 vcc, exec, s[20:21]
	s_cbranch_vccz .LBB119_1887
; %bb.1872:
	s_cmp_lt_i32 s24, 27
	s_cbranch_scc1 .LBB119_1875
; %bb.1873:
	s_cmp_gt_i32 s24, 27
	s_cbranch_scc0 .LBB119_1876
; %bb.1874:
	global_load_dword v10, v[20:21], off
	s_mov_b64 s[18:19], 0
	s_branch .LBB119_1877
.LBB119_1875:
	s_mov_b64 s[18:19], -1
                                        ; implicit-def: $vgpr10
	s_branch .LBB119_1880
.LBB119_1876:
	s_mov_b64 s[18:19], -1
                                        ; implicit-def: $vgpr10
.LBB119_1877:
	s_andn2_b64 vcc, exec, s[18:19]
	s_cbranch_vccnz .LBB119_1879
; %bb.1878:
	global_load_ushort v10, v[20:21], off
.LBB119_1879:
	s_mov_b64 s[18:19], 0
.LBB119_1880:
	s_andn2_b64 vcc, exec, s[18:19]
	s_cbranch_vccnz .LBB119_1886
; %bb.1881:
	global_load_ubyte v1, v[20:21], off
	s_movk_i32 s18, 0x7f
	s_mov_b64 s[20:21], 0
	s_waitcnt vmcnt(0)
	v_cmp_lt_i16_e32 vcc, s18, v1
	s_and_saveexec_b64 s[18:19], vcc
	s_xor_b64 s[18:19], exec, s[18:19]
	s_cbranch_execz .LBB119_1898
; %bb.1882:
	s_movk_i32 s20, 0x80
	v_cmp_ne_u16_e32 vcc, s20, v1
	s_and_b64 s[20:21], vcc, exec
	s_andn2_saveexec_b64 s[18:19], s[18:19]
	s_cbranch_execnz .LBB119_1899
.LBB119_1883:
	s_or_b64 exec, exec, s[18:19]
	v_mov_b32_e32 v10, 0
	s_and_saveexec_b64 s[18:19], s[20:21]
	s_cbranch_execz .LBB119_1885
.LBB119_1884:
	v_lshlrev_b32_e32 v3, 24, v1
	v_and_b32_e32 v1, 0xffff, v1
	v_and_b32_e32 v5, 7, v1
	v_ffbh_u32_e32 v10, v5
	v_min_u32_e32 v10, 32, v10
	v_subrev_u32_e32 v11, 28, v10
	v_bfe_u32 v8, v1, 3, 4
	v_lshlrev_b32_e32 v1, v11, v1
	v_sub_u32_e32 v10, 29, v10
	v_and_b32_e32 v1, 7, v1
	v_cmp_eq_u32_e32 vcc, 0, v8
	v_cndmask_b32_e32 v8, v8, v10, vcc
	v_cndmask_b32_e32 v1, v5, v1, vcc
	v_mov_b32_e32 v5, 0x3b800000
	v_lshlrev_b32_e32 v1, 20, v1
	v_and_b32_e32 v3, 0x80000000, v3
	v_lshl_add_u32 v5, v8, 23, v5
	v_or3_b32 v1, v3, v5, v1
	v_cvt_i32_f32_e32 v10, v1
.LBB119_1885:
	s_or_b64 exec, exec, s[18:19]
.LBB119_1886:
	s_mov_b64 s[18:19], -1
.LBB119_1887:
	s_mov_b64 s[20:21], 0
.LBB119_1888:
	s_and_b64 vcc, exec, s[20:21]
	s_cbranch_vccz .LBB119_1919
; %bb.1889:
	s_cmp_gt_i32 s24, 22
	s_cbranch_scc0 .LBB119_1897
; %bb.1890:
	s_cmp_lt_i32 s24, 24
	s_cbranch_scc1 .LBB119_1900
; %bb.1891:
	s_cmp_gt_i32 s24, 24
	s_cbranch_scc0 .LBB119_1901
; %bb.1892:
	global_load_ubyte v1, v[20:21], off
	s_movk_i32 s16, 0x7f
	s_mov_b64 s[18:19], 0
	s_waitcnt vmcnt(0)
	v_cmp_lt_i16_e32 vcc, s16, v1
	s_and_saveexec_b64 s[16:17], vcc
	s_xor_b64 s[16:17], exec, s[16:17]
	s_cbranch_execz .LBB119_1913
; %bb.1893:
	s_movk_i32 s18, 0x80
	v_cmp_ne_u16_e32 vcc, s18, v1
	s_and_b64 s[18:19], vcc, exec
	s_andn2_saveexec_b64 s[16:17], s[16:17]
	s_cbranch_execnz .LBB119_1914
.LBB119_1894:
	s_or_b64 exec, exec, s[16:17]
	v_mov_b32_e32 v10, 0
	s_and_saveexec_b64 s[16:17], s[18:19]
	s_cbranch_execz .LBB119_1896
.LBB119_1895:
	v_lshlrev_b32_e32 v3, 24, v1
	v_and_b32_e32 v1, 0xffff, v1
	v_and_b32_e32 v5, 3, v1
	v_ffbh_u32_e32 v10, v5
	v_min_u32_e32 v10, 32, v10
	v_subrev_u32_e32 v11, 29, v10
	v_bfe_u32 v8, v1, 2, 5
	v_lshlrev_b32_e32 v1, v11, v1
	v_sub_u32_e32 v10, 30, v10
	v_and_b32_e32 v1, 3, v1
	v_cmp_eq_u32_e32 vcc, 0, v8
	v_cndmask_b32_e32 v8, v8, v10, vcc
	v_cndmask_b32_e32 v1, v5, v1, vcc
	v_mov_b32_e32 v5, 0x37800000
	v_lshlrev_b32_e32 v1, 21, v1
	v_and_b32_e32 v3, 0x80000000, v3
	v_lshl_add_u32 v5, v8, 23, v5
	v_or3_b32 v1, v3, v5, v1
	v_cvt_i32_f32_e32 v10, v1
.LBB119_1896:
	s_or_b64 exec, exec, s[16:17]
	s_mov_b64 s[16:17], 0
	s_branch .LBB119_1902
.LBB119_1897:
	s_mov_b64 s[16:17], -1
                                        ; implicit-def: $vgpr10
	s_branch .LBB119_1908
.LBB119_1898:
	s_andn2_saveexec_b64 s[18:19], s[18:19]
	s_cbranch_execz .LBB119_1883
.LBB119_1899:
	v_cmp_ne_u16_e32 vcc, 0, v1
	s_andn2_b64 s[20:21], s[20:21], exec
	s_and_b64 s[26:27], vcc, exec
	s_or_b64 s[20:21], s[20:21], s[26:27]
	s_or_b64 exec, exec, s[18:19]
	v_mov_b32_e32 v10, 0
	s_and_saveexec_b64 s[18:19], s[20:21]
	s_cbranch_execnz .LBB119_1884
	s_branch .LBB119_1885
.LBB119_1900:
	s_mov_b64 s[16:17], -1
                                        ; implicit-def: $vgpr10
	s_branch .LBB119_1905
.LBB119_1901:
	s_mov_b64 s[16:17], -1
                                        ; implicit-def: $vgpr10
.LBB119_1902:
	s_and_b64 vcc, exec, s[16:17]
	s_cbranch_vccz .LBB119_1904
; %bb.1903:
	global_load_ubyte v1, v[20:21], off
	s_mov_b32 s16, 0x7f800000
	s_waitcnt vmcnt(0)
	v_lshlrev_b32_e32 v1, 24, v1
	v_and_b32_e32 v3, 0x7f000000, v1
	v_ffbh_u32_e32 v5, v3
	v_min_u32_e32 v5, 32, v5
	v_sub_u32_e64 v5, v5, 4 clamp
	v_lshlrev_b32_e32 v10, v5, v3
	v_lshlrev_b32_e32 v5, 23, v5
	v_lshrrev_b32_e32 v10, 4, v10
	v_add_u32_e32 v8, 0x1000000, v3
	v_sub_u32_e32 v5, v10, v5
	v_ashrrev_i32_e32 v8, 8, v8
	v_add_u32_e32 v5, 0x3c000000, v5
	v_and_or_b32 v5, v8, s16, v5
	v_cmp_ne_u32_e32 vcc, 0, v3
	v_cndmask_b32_e32 v3, 0, v5, vcc
	s_brev_b32 s16, 1
	v_and_or_b32 v1, v1, s16, v3
	v_cvt_i32_f32_e32 v10, v1
.LBB119_1904:
	s_mov_b64 s[16:17], 0
.LBB119_1905:
	s_andn2_b64 vcc, exec, s[16:17]
	s_cbranch_vccnz .LBB119_1907
; %bb.1906:
	global_load_ubyte v1, v[20:21], off
	s_movk_i32 s16, 0x7f00
	s_brev_b32 s17, 16
	s_waitcnt vmcnt(0)
	v_lshlrev_b16_e32 v3, 8, v1
	v_lshlrev_b32_e32 v1, 25, v1
	v_lshrrev_b32_e32 v5, 4, v1
	v_and_or_b32 v8, v3, s16, 0.5
	v_or_b32_e32 v5, 0x70000000, v5
	v_add_f32_e32 v8, -0.5, v8
	v_mul_f32_e32 v5, 0x7800000, v5
	v_cmp_gt_u32_e32 vcc, s17, v1
	v_bfe_i32 v3, v3, 0, 16
	v_cndmask_b32_e32 v1, v5, v8, vcc
	s_brev_b32 s16, 1
	v_and_or_b32 v1, v3, s16, v1
	v_cvt_i32_f32_e32 v10, v1
.LBB119_1907:
	s_mov_b64 s[16:17], 0
	s_mov_b64 s[18:19], -1
.LBB119_1908:
	s_andn2_b64 vcc, exec, s[16:17]
	s_mov_b64 s[16:17], 0
	s_cbranch_vccnz .LBB119_1919
; %bb.1909:
	s_cmp_gt_i32 s24, 14
	s_cbranch_scc0 .LBB119_1912
; %bb.1910:
	s_cmp_eq_u32 s24, 15
	s_cbranch_scc0 .LBB119_1915
; %bb.1911:
	global_load_ushort v1, v[20:21], off
	s_mov_b64 s[6:7], 0
	s_mov_b64 s[18:19], -1
	s_waitcnt vmcnt(0)
	v_lshlrev_b32_e32 v1, 16, v1
	v_cvt_i32_f32_e32 v10, v1
	s_branch .LBB119_1916
.LBB119_1912:
	s_mov_b64 s[20:21], -1
                                        ; implicit-def: $vgpr10
	s_branch .LBB119_1917
.LBB119_1913:
	s_andn2_saveexec_b64 s[16:17], s[16:17]
	s_cbranch_execz .LBB119_1894
.LBB119_1914:
	v_cmp_ne_u16_e32 vcc, 0, v1
	s_andn2_b64 s[18:19], s[18:19], exec
	s_and_b64 s[20:21], vcc, exec
	s_or_b64 s[18:19], s[18:19], s[20:21]
	s_or_b64 exec, exec, s[16:17]
	v_mov_b32_e32 v10, 0
	s_and_saveexec_b64 s[16:17], s[18:19]
	s_cbranch_execnz .LBB119_1895
	s_branch .LBB119_1896
.LBB119_1915:
	s_mov_b64 s[6:7], -1
                                        ; implicit-def: $vgpr10
.LBB119_1916:
	s_mov_b64 s[20:21], 0
.LBB119_1917:
	s_and_b64 vcc, exec, s[20:21]
	s_cbranch_vccz .LBB119_1919
; %bb.1918:
	s_cmp_lg_u32 s24, 11
	s_mov_b64 s[16:17], -1
	s_cselect_b64 s[6:7], -1, 0
.LBB119_1919:
	s_and_b64 vcc, exec, s[6:7]
	s_cbranch_vccnz .LBB119_1982
; %bb.1920:
	s_andn2_b64 vcc, exec, s[16:17]
	s_cbranch_vccnz .LBB119_1922
.LBB119_1921:
	global_load_ubyte v1, v[20:21], off
	s_mov_b64 s[18:19], -1
	s_waitcnt vmcnt(0)
	v_cmp_ne_u16_e32 vcc, 0, v1
	v_cndmask_b32_e64 v10, 0, 1, vcc
.LBB119_1922:
	s_branch .LBB119_1854
.LBB119_1923:
	s_and_b32 s16, 0xffff, s22
	s_cmp_lt_i32 s16, 5
	s_cbranch_scc1 .LBB119_1928
; %bb.1924:
	s_cmp_lt_i32 s16, 8
	s_cbranch_scc1 .LBB119_1929
; %bb.1925:
	;; [unrolled: 3-line block ×3, first 2 shown]
	s_cmp_gt_i32 s16, 9
	s_cbranch_scc0 .LBB119_1931
; %bb.1927:
	global_load_dwordx2 v[10:11], v[20:21], off
	s_mov_b64 s[6:7], 0
	s_waitcnt vmcnt(0)
	v_cvt_i32_f64_e32 v10, v[10:11]
	s_branch .LBB119_1932
.LBB119_1928:
	s_mov_b64 s[6:7], -1
                                        ; implicit-def: $vgpr10
	s_branch .LBB119_1950
.LBB119_1929:
	s_mov_b64 s[6:7], -1
                                        ; implicit-def: $vgpr10
	s_branch .LBB119_1938
.LBB119_1930:
	s_mov_b64 s[6:7], -1
                                        ; implicit-def: $vgpr10
	s_branch .LBB119_1935
.LBB119_1931:
	s_mov_b64 s[6:7], -1
                                        ; implicit-def: $vgpr10
.LBB119_1932:
	s_andn2_b64 vcc, exec, s[6:7]
	s_cbranch_vccnz .LBB119_1934
; %bb.1933:
	global_load_dword v1, v[20:21], off
	s_waitcnt vmcnt(0)
	v_cvt_i32_f32_e32 v10, v1
.LBB119_1934:
	s_mov_b64 s[6:7], 0
.LBB119_1935:
	s_andn2_b64 vcc, exec, s[6:7]
	s_cbranch_vccnz .LBB119_1937
; %bb.1936:
	global_load_dword v1, v[20:21], off
	s_waitcnt vmcnt(0)
	v_cvt_i16_f16_e32 v10, v1
.LBB119_1937:
	s_mov_b64 s[6:7], 0
.LBB119_1938:
	s_andn2_b64 vcc, exec, s[6:7]
	s_cbranch_vccnz .LBB119_1949
; %bb.1939:
	s_cmp_lt_i32 s16, 6
	s_cbranch_scc1 .LBB119_1942
; %bb.1940:
	s_cmp_gt_i32 s16, 6
	s_cbranch_scc0 .LBB119_1943
; %bb.1941:
	global_load_dwordx2 v[10:11], v[20:21], off
	s_mov_b64 s[6:7], 0
	s_waitcnt vmcnt(0)
	v_cvt_i32_f64_e32 v10, v[10:11]
	s_branch .LBB119_1944
.LBB119_1942:
	s_mov_b64 s[6:7], -1
                                        ; implicit-def: $vgpr10
	s_branch .LBB119_1947
.LBB119_1943:
	s_mov_b64 s[6:7], -1
                                        ; implicit-def: $vgpr10
.LBB119_1944:
	s_andn2_b64 vcc, exec, s[6:7]
	s_cbranch_vccnz .LBB119_1946
; %bb.1945:
	global_load_dword v1, v[20:21], off
	s_waitcnt vmcnt(0)
	v_cvt_i32_f32_e32 v10, v1
.LBB119_1946:
	s_mov_b64 s[6:7], 0
.LBB119_1947:
	s_andn2_b64 vcc, exec, s[6:7]
	s_cbranch_vccnz .LBB119_1949
; %bb.1948:
	global_load_ushort v1, v[20:21], off
	s_waitcnt vmcnt(0)
	v_cvt_i16_f16_e32 v10, v1
.LBB119_1949:
	s_mov_b64 s[6:7], 0
.LBB119_1950:
	s_andn2_b64 vcc, exec, s[6:7]
	s_cbranch_vccnz .LBB119_1970
; %bb.1951:
	s_cmp_lt_i32 s16, 2
	s_cbranch_scc1 .LBB119_1955
; %bb.1952:
	s_cmp_lt_i32 s16, 3
	s_cbranch_scc1 .LBB119_1956
; %bb.1953:
	s_cmp_gt_i32 s16, 3
	s_cbranch_scc0 .LBB119_1957
; %bb.1954:
	global_load_dwordx2 v[10:11], v[20:21], off
	s_mov_b64 s[6:7], 0
	s_branch .LBB119_1958
.LBB119_1955:
	s_mov_b64 s[6:7], -1
                                        ; implicit-def: $vgpr10
	s_branch .LBB119_1964
.LBB119_1956:
	s_mov_b64 s[6:7], -1
                                        ; implicit-def: $vgpr10
	s_branch .LBB119_1961
.LBB119_1957:
	s_mov_b64 s[6:7], -1
                                        ; implicit-def: $vgpr10
.LBB119_1958:
	s_andn2_b64 vcc, exec, s[6:7]
	s_cbranch_vccnz .LBB119_1960
; %bb.1959:
	global_load_dword v10, v[20:21], off
.LBB119_1960:
	s_mov_b64 s[6:7], 0
.LBB119_1961:
	s_andn2_b64 vcc, exec, s[6:7]
	s_cbranch_vccnz .LBB119_1963
; %bb.1962:
	global_load_ushort v10, v[20:21], off
.LBB119_1963:
	s_mov_b64 s[6:7], 0
.LBB119_1964:
	s_andn2_b64 vcc, exec, s[6:7]
	s_cbranch_vccnz .LBB119_1970
; %bb.1965:
	s_cmp_gt_i32 s16, 0
	s_cbranch_scc0 .LBB119_1967
; %bb.1966:
	global_load_sbyte v10, v[20:21], off
	s_mov_b64 s[6:7], 0
	s_branch .LBB119_1968
.LBB119_1967:
	s_mov_b64 s[6:7], -1
                                        ; implicit-def: $vgpr10
.LBB119_1968:
	s_andn2_b64 vcc, exec, s[6:7]
	s_cbranch_vccnz .LBB119_1970
; %bb.1969:
	global_load_ubyte v10, v[20:21], off
.LBB119_1970:
.LBB119_1971:
	s_lshr_b32 s6, s23, 16
	v_mov_b32_e32 v1, s1
	s_and_b32 s23, s6, 0xff
	v_add_co_u32_e32 v20, vcc, s0, v18
	s_cmp_lt_i32 s23, 11
	v_addc_co_u32_e32 v21, vcc, 0, v1, vcc
	s_cbranch_scc1 .LBB119_1978
; %bb.1972:
	s_and_b32 s24, 0xffff, s23
	s_cmp_gt_i32 s24, 25
	s_mov_b64 s[16:17], 0
	s_cbranch_scc0 .LBB119_1979
; %bb.1973:
	s_cmp_gt_i32 s24, 28
	s_cbranch_scc0 .LBB119_1980
; %bb.1974:
	s_cmp_gt_i32 s24, 43
	s_cbranch_scc0 .LBB119_1981
; %bb.1975:
	s_cmp_gt_i32 s24, 45
	s_cbranch_scc0 .LBB119_1983
; %bb.1976:
	s_cmp_eq_u32 s24, 46
	s_mov_b64 s[20:21], 0
	s_cbranch_scc0 .LBB119_1984
; %bb.1977:
	global_load_dword v1, v[20:21], off
	s_mov_b64 s[6:7], 0
	s_mov_b64 s[18:19], -1
	s_waitcnt vmcnt(0)
	v_lshlrev_b32_e32 v1, 16, v1
	v_cvt_i32_f32_e32 v17, v1
	s_branch .LBB119_1985
.LBB119_1978:
	s_mov_b64 s[6:7], -1
	s_mov_b64 s[18:19], 0
                                        ; implicit-def: $vgpr17
	s_branch .LBB119_2047
.LBB119_1979:
	s_mov_b64 s[20:21], -1
	s_mov_b64 s[18:19], 0
	s_mov_b64 s[6:7], 0
                                        ; implicit-def: $vgpr17
	s_branch .LBB119_2012
.LBB119_1980:
	s_mov_b64 s[20:21], -1
	s_mov_b64 s[18:19], 0
	s_mov_b64 s[6:7], 0
                                        ; implicit-def: $vgpr17
	s_branch .LBB119_1995
.LBB119_1981:
	s_mov_b64 s[20:21], -1
	s_mov_b64 s[18:19], 0
	s_mov_b64 s[6:7], 0
                                        ; implicit-def: $vgpr17
	s_branch .LBB119_1990
.LBB119_1982:
	s_trap 2
	s_or_b64 s[4:5], s[4:5], exec
	s_cbranch_execz .LBB119_1921
	s_branch .LBB119_1922
.LBB119_1983:
	s_mov_b64 s[20:21], -1
	s_mov_b64 s[18:19], 0
	s_mov_b64 s[6:7], 0
                                        ; implicit-def: $vgpr17
	s_branch .LBB119_1985
.LBB119_1984:
	s_mov_b64 s[6:7], -1
                                        ; implicit-def: $vgpr17
	s_mov_b64 s[18:19], 0
.LBB119_1985:
	s_and_b64 vcc, exec, s[20:21]
	s_cbranch_vccz .LBB119_1989
; %bb.1986:
	s_cmp_eq_u32 s24, 44
	s_cbranch_scc0 .LBB119_1988
; %bb.1987:
	global_load_ubyte v1, v[20:21], off
	s_mov_b64 s[6:7], 0
	s_mov_b64 s[18:19], -1
	s_waitcnt vmcnt(0)
	v_lshlrev_b32_e32 v3, 23, v1
	v_cvt_i32_f32_e32 v3, v3
	v_cmp_ne_u32_e32 vcc, 0, v1
	v_cndmask_b32_e32 v17, 0, v3, vcc
	s_branch .LBB119_1989
.LBB119_1988:
	s_mov_b64 s[6:7], -1
                                        ; implicit-def: $vgpr17
.LBB119_1989:
	s_mov_b64 s[20:21], 0
.LBB119_1990:
	s_and_b64 vcc, exec, s[20:21]
	s_cbranch_vccz .LBB119_1994
; %bb.1991:
	s_cmp_eq_u32 s24, 29
	s_cbranch_scc0 .LBB119_1993
; %bb.1992:
	global_load_dwordx2 v[17:18], v[20:21], off
	s_mov_b64 s[6:7], 0
	s_mov_b64 s[18:19], -1
	s_branch .LBB119_1994
.LBB119_1993:
	s_mov_b64 s[6:7], -1
                                        ; implicit-def: $vgpr17
.LBB119_1994:
	s_mov_b64 s[20:21], 0
.LBB119_1995:
	s_and_b64 vcc, exec, s[20:21]
	s_cbranch_vccz .LBB119_2011
; %bb.1996:
	s_cmp_lt_i32 s24, 27
	s_cbranch_scc1 .LBB119_1999
; %bb.1997:
	s_cmp_gt_i32 s24, 27
	s_cbranch_scc0 .LBB119_2000
; %bb.1998:
	global_load_dword v17, v[20:21], off
	s_mov_b64 s[18:19], 0
	s_branch .LBB119_2001
.LBB119_1999:
	s_mov_b64 s[18:19], -1
                                        ; implicit-def: $vgpr17
	s_branch .LBB119_2004
.LBB119_2000:
	s_mov_b64 s[18:19], -1
                                        ; implicit-def: $vgpr17
.LBB119_2001:
	s_andn2_b64 vcc, exec, s[18:19]
	s_cbranch_vccnz .LBB119_2003
; %bb.2002:
	global_load_ushort v17, v[20:21], off
.LBB119_2003:
	s_mov_b64 s[18:19], 0
.LBB119_2004:
	s_andn2_b64 vcc, exec, s[18:19]
	s_cbranch_vccnz .LBB119_2010
; %bb.2005:
	global_load_ubyte v1, v[20:21], off
	s_movk_i32 s18, 0x7f
	s_mov_b64 s[20:21], 0
	s_waitcnt vmcnt(0)
	v_cmp_lt_i16_e32 vcc, s18, v1
	s_and_saveexec_b64 s[18:19], vcc
	s_xor_b64 s[18:19], exec, s[18:19]
	s_cbranch_execz .LBB119_2022
; %bb.2006:
	s_movk_i32 s20, 0x80
	v_cmp_ne_u16_e32 vcc, s20, v1
	s_and_b64 s[20:21], vcc, exec
	s_andn2_saveexec_b64 s[18:19], s[18:19]
	s_cbranch_execnz .LBB119_2023
.LBB119_2007:
	s_or_b64 exec, exec, s[18:19]
	v_mov_b32_e32 v17, 0
	s_and_saveexec_b64 s[18:19], s[20:21]
	s_cbranch_execz .LBB119_2009
.LBB119_2008:
	v_lshlrev_b32_e32 v3, 24, v1
	v_and_b32_e32 v1, 0xffff, v1
	v_and_b32_e32 v5, 7, v1
	v_ffbh_u32_e32 v11, v5
	v_min_u32_e32 v11, 32, v11
	v_subrev_u32_e32 v13, 28, v11
	v_bfe_u32 v8, v1, 3, 4
	v_lshlrev_b32_e32 v1, v13, v1
	v_sub_u32_e32 v11, 29, v11
	v_and_b32_e32 v1, 7, v1
	v_cmp_eq_u32_e32 vcc, 0, v8
	v_cndmask_b32_e32 v8, v8, v11, vcc
	v_cndmask_b32_e32 v1, v5, v1, vcc
	v_mov_b32_e32 v5, 0x3b800000
	v_lshlrev_b32_e32 v1, 20, v1
	v_and_b32_e32 v3, 0x80000000, v3
	v_lshl_add_u32 v5, v8, 23, v5
	v_or3_b32 v1, v3, v5, v1
	v_cvt_i32_f32_e32 v17, v1
.LBB119_2009:
	s_or_b64 exec, exec, s[18:19]
.LBB119_2010:
	s_mov_b64 s[18:19], -1
.LBB119_2011:
	s_mov_b64 s[20:21], 0
.LBB119_2012:
	s_and_b64 vcc, exec, s[20:21]
	s_cbranch_vccz .LBB119_2043
; %bb.2013:
	s_cmp_gt_i32 s24, 22
	s_cbranch_scc0 .LBB119_2021
; %bb.2014:
	s_cmp_lt_i32 s24, 24
	s_cbranch_scc1 .LBB119_2024
; %bb.2015:
	s_cmp_gt_i32 s24, 24
	s_cbranch_scc0 .LBB119_2025
; %bb.2016:
	global_load_ubyte v1, v[20:21], off
	s_movk_i32 s16, 0x7f
	s_mov_b64 s[18:19], 0
	s_waitcnt vmcnt(0)
	v_cmp_lt_i16_e32 vcc, s16, v1
	s_and_saveexec_b64 s[16:17], vcc
	s_xor_b64 s[16:17], exec, s[16:17]
	s_cbranch_execz .LBB119_2037
; %bb.2017:
	s_movk_i32 s18, 0x80
	v_cmp_ne_u16_e32 vcc, s18, v1
	s_and_b64 s[18:19], vcc, exec
	s_andn2_saveexec_b64 s[16:17], s[16:17]
	s_cbranch_execnz .LBB119_2038
.LBB119_2018:
	s_or_b64 exec, exec, s[16:17]
	v_mov_b32_e32 v17, 0
	s_and_saveexec_b64 s[16:17], s[18:19]
	s_cbranch_execz .LBB119_2020
.LBB119_2019:
	v_lshlrev_b32_e32 v3, 24, v1
	v_and_b32_e32 v1, 0xffff, v1
	v_and_b32_e32 v5, 3, v1
	v_ffbh_u32_e32 v11, v5
	v_min_u32_e32 v11, 32, v11
	v_subrev_u32_e32 v13, 29, v11
	v_bfe_u32 v8, v1, 2, 5
	v_lshlrev_b32_e32 v1, v13, v1
	v_sub_u32_e32 v11, 30, v11
	v_and_b32_e32 v1, 3, v1
	v_cmp_eq_u32_e32 vcc, 0, v8
	v_cndmask_b32_e32 v8, v8, v11, vcc
	v_cndmask_b32_e32 v1, v5, v1, vcc
	v_mov_b32_e32 v5, 0x37800000
	v_lshlrev_b32_e32 v1, 21, v1
	v_and_b32_e32 v3, 0x80000000, v3
	v_lshl_add_u32 v5, v8, 23, v5
	v_or3_b32 v1, v3, v5, v1
	v_cvt_i32_f32_e32 v17, v1
.LBB119_2020:
	s_or_b64 exec, exec, s[16:17]
	s_mov_b64 s[16:17], 0
	s_branch .LBB119_2026
.LBB119_2021:
	s_mov_b64 s[16:17], -1
                                        ; implicit-def: $vgpr17
	s_branch .LBB119_2032
.LBB119_2022:
	s_andn2_saveexec_b64 s[18:19], s[18:19]
	s_cbranch_execz .LBB119_2007
.LBB119_2023:
	v_cmp_ne_u16_e32 vcc, 0, v1
	s_andn2_b64 s[20:21], s[20:21], exec
	s_and_b64 s[26:27], vcc, exec
	s_or_b64 s[20:21], s[20:21], s[26:27]
	s_or_b64 exec, exec, s[18:19]
	v_mov_b32_e32 v17, 0
	s_and_saveexec_b64 s[18:19], s[20:21]
	s_cbranch_execnz .LBB119_2008
	s_branch .LBB119_2009
.LBB119_2024:
	s_mov_b64 s[16:17], -1
                                        ; implicit-def: $vgpr17
	s_branch .LBB119_2029
.LBB119_2025:
	s_mov_b64 s[16:17], -1
                                        ; implicit-def: $vgpr17
.LBB119_2026:
	s_and_b64 vcc, exec, s[16:17]
	s_cbranch_vccz .LBB119_2028
; %bb.2027:
	global_load_ubyte v1, v[20:21], off
	s_mov_b32 s16, 0x7f800000
	s_waitcnt vmcnt(0)
	v_lshlrev_b32_e32 v1, 24, v1
	v_and_b32_e32 v3, 0x7f000000, v1
	v_ffbh_u32_e32 v5, v3
	v_min_u32_e32 v5, 32, v5
	v_sub_u32_e64 v5, v5, 4 clamp
	v_lshlrev_b32_e32 v11, v5, v3
	v_lshlrev_b32_e32 v5, 23, v5
	v_lshrrev_b32_e32 v11, 4, v11
	v_add_u32_e32 v8, 0x1000000, v3
	v_sub_u32_e32 v5, v11, v5
	v_ashrrev_i32_e32 v8, 8, v8
	v_add_u32_e32 v5, 0x3c000000, v5
	v_and_or_b32 v5, v8, s16, v5
	v_cmp_ne_u32_e32 vcc, 0, v3
	v_cndmask_b32_e32 v3, 0, v5, vcc
	s_brev_b32 s16, 1
	v_and_or_b32 v1, v1, s16, v3
	v_cvt_i32_f32_e32 v17, v1
.LBB119_2028:
	s_mov_b64 s[16:17], 0
.LBB119_2029:
	s_andn2_b64 vcc, exec, s[16:17]
	s_cbranch_vccnz .LBB119_2031
; %bb.2030:
	global_load_ubyte v1, v[20:21], off
	s_movk_i32 s16, 0x7f00
	s_brev_b32 s17, 16
	s_waitcnt vmcnt(0)
	v_lshlrev_b16_e32 v3, 8, v1
	v_lshlrev_b32_e32 v1, 25, v1
	v_lshrrev_b32_e32 v5, 4, v1
	v_and_or_b32 v8, v3, s16, 0.5
	v_or_b32_e32 v5, 0x70000000, v5
	v_add_f32_e32 v8, -0.5, v8
	v_mul_f32_e32 v5, 0x7800000, v5
	v_cmp_gt_u32_e32 vcc, s17, v1
	v_bfe_i32 v3, v3, 0, 16
	v_cndmask_b32_e32 v1, v5, v8, vcc
	s_brev_b32 s16, 1
	v_and_or_b32 v1, v3, s16, v1
	v_cvt_i32_f32_e32 v17, v1
.LBB119_2031:
	s_mov_b64 s[16:17], 0
	s_mov_b64 s[18:19], -1
.LBB119_2032:
	s_andn2_b64 vcc, exec, s[16:17]
	s_mov_b64 s[16:17], 0
	s_cbranch_vccnz .LBB119_2043
; %bb.2033:
	s_cmp_gt_i32 s24, 14
	s_cbranch_scc0 .LBB119_2036
; %bb.2034:
	s_cmp_eq_u32 s24, 15
	s_cbranch_scc0 .LBB119_2039
; %bb.2035:
	global_load_ushort v1, v[20:21], off
	s_mov_b64 s[6:7], 0
	s_mov_b64 s[18:19], -1
	s_waitcnt vmcnt(0)
	v_lshlrev_b32_e32 v1, 16, v1
	v_cvt_i32_f32_e32 v17, v1
	s_branch .LBB119_2040
.LBB119_2036:
	s_mov_b64 s[20:21], -1
                                        ; implicit-def: $vgpr17
	s_branch .LBB119_2041
.LBB119_2037:
	s_andn2_saveexec_b64 s[16:17], s[16:17]
	s_cbranch_execz .LBB119_2018
.LBB119_2038:
	v_cmp_ne_u16_e32 vcc, 0, v1
	s_andn2_b64 s[18:19], s[18:19], exec
	s_and_b64 s[20:21], vcc, exec
	s_or_b64 s[18:19], s[18:19], s[20:21]
	s_or_b64 exec, exec, s[16:17]
	v_mov_b32_e32 v17, 0
	s_and_saveexec_b64 s[16:17], s[18:19]
	s_cbranch_execnz .LBB119_2019
	s_branch .LBB119_2020
.LBB119_2039:
	s_mov_b64 s[6:7], -1
                                        ; implicit-def: $vgpr17
.LBB119_2040:
	s_mov_b64 s[20:21], 0
.LBB119_2041:
	s_and_b64 vcc, exec, s[20:21]
	s_cbranch_vccz .LBB119_2043
; %bb.2042:
	s_cmp_lg_u32 s24, 11
	s_mov_b64 s[16:17], -1
	s_cselect_b64 s[6:7], -1, 0
.LBB119_2043:
	s_and_b64 vcc, exec, s[6:7]
	s_cbranch_vccnz .LBB119_2108
; %bb.2044:
	s_andn2_b64 vcc, exec, s[16:17]
	s_cbranch_vccnz .LBB119_2046
.LBB119_2045:
	global_load_ubyte v1, v[20:21], off
	s_mov_b64 s[18:19], -1
	s_waitcnt vmcnt(0)
	v_cmp_ne_u16_e32 vcc, 0, v1
	v_cndmask_b32_e64 v17, 0, 1, vcc
.LBB119_2046:
	s_mov_b64 s[6:7], 0
.LBB119_2047:
	s_and_b64 vcc, exec, s[6:7]
	s_cbranch_vccz .LBB119_2096
; %bb.2048:
	s_and_b32 s16, 0xffff, s23
	s_cmp_lt_i32 s16, 5
	s_cbranch_scc1 .LBB119_2053
; %bb.2049:
	s_cmp_lt_i32 s16, 8
	s_cbranch_scc1 .LBB119_2054
; %bb.2050:
	;; [unrolled: 3-line block ×3, first 2 shown]
	s_cmp_gt_i32 s16, 9
	s_cbranch_scc0 .LBB119_2056
; %bb.2052:
	global_load_dwordx2 v[17:18], v[20:21], off
	s_mov_b64 s[6:7], 0
	s_waitcnt vmcnt(0)
	v_cvt_i32_f64_e32 v17, v[17:18]
	s_branch .LBB119_2057
.LBB119_2053:
	s_mov_b64 s[6:7], -1
                                        ; implicit-def: $vgpr17
	s_branch .LBB119_2075
.LBB119_2054:
	s_mov_b64 s[6:7], -1
                                        ; implicit-def: $vgpr17
	s_branch .LBB119_2063
.LBB119_2055:
	s_mov_b64 s[6:7], -1
                                        ; implicit-def: $vgpr17
	s_branch .LBB119_2060
.LBB119_2056:
	s_mov_b64 s[6:7], -1
                                        ; implicit-def: $vgpr17
.LBB119_2057:
	s_andn2_b64 vcc, exec, s[6:7]
	s_cbranch_vccnz .LBB119_2059
; %bb.2058:
	global_load_dword v1, v[20:21], off
	s_waitcnt vmcnt(0)
	v_cvt_i32_f32_e32 v17, v1
.LBB119_2059:
	s_mov_b64 s[6:7], 0
.LBB119_2060:
	s_andn2_b64 vcc, exec, s[6:7]
	s_cbranch_vccnz .LBB119_2062
; %bb.2061:
	global_load_dword v1, v[20:21], off
	s_waitcnt vmcnt(0)
	v_cvt_i16_f16_e32 v17, v1
.LBB119_2062:
	s_mov_b64 s[6:7], 0
.LBB119_2063:
	s_andn2_b64 vcc, exec, s[6:7]
	s_cbranch_vccnz .LBB119_2074
; %bb.2064:
	s_cmp_lt_i32 s16, 6
	s_cbranch_scc1 .LBB119_2067
; %bb.2065:
	s_cmp_gt_i32 s16, 6
	s_cbranch_scc0 .LBB119_2068
; %bb.2066:
	global_load_dwordx2 v[17:18], v[20:21], off
	s_mov_b64 s[6:7], 0
	s_waitcnt vmcnt(0)
	v_cvt_i32_f64_e32 v17, v[17:18]
	s_branch .LBB119_2069
.LBB119_2067:
	s_mov_b64 s[6:7], -1
                                        ; implicit-def: $vgpr17
	s_branch .LBB119_2072
.LBB119_2068:
	s_mov_b64 s[6:7], -1
                                        ; implicit-def: $vgpr17
.LBB119_2069:
	s_andn2_b64 vcc, exec, s[6:7]
	s_cbranch_vccnz .LBB119_2071
; %bb.2070:
	global_load_dword v1, v[20:21], off
	s_waitcnt vmcnt(0)
	v_cvt_i32_f32_e32 v17, v1
.LBB119_2071:
	s_mov_b64 s[6:7], 0
.LBB119_2072:
	s_andn2_b64 vcc, exec, s[6:7]
	s_cbranch_vccnz .LBB119_2074
; %bb.2073:
	global_load_ushort v1, v[20:21], off
	s_waitcnt vmcnt(0)
	v_cvt_i16_f16_e32 v17, v1
.LBB119_2074:
	s_mov_b64 s[6:7], 0
.LBB119_2075:
	s_andn2_b64 vcc, exec, s[6:7]
	s_cbranch_vccnz .LBB119_2095
; %bb.2076:
	s_cmp_lt_i32 s16, 2
	s_cbranch_scc1 .LBB119_2080
; %bb.2077:
	s_cmp_lt_i32 s16, 3
	s_cbranch_scc1 .LBB119_2081
; %bb.2078:
	s_cmp_gt_i32 s16, 3
	s_cbranch_scc0 .LBB119_2082
; %bb.2079:
	global_load_dwordx2 v[17:18], v[20:21], off
	s_mov_b64 s[6:7], 0
	s_branch .LBB119_2083
.LBB119_2080:
	s_mov_b64 s[6:7], -1
                                        ; implicit-def: $vgpr17
	s_branch .LBB119_2089
.LBB119_2081:
	s_mov_b64 s[6:7], -1
                                        ; implicit-def: $vgpr17
	s_branch .LBB119_2086
.LBB119_2082:
	s_mov_b64 s[6:7], -1
                                        ; implicit-def: $vgpr17
.LBB119_2083:
	s_andn2_b64 vcc, exec, s[6:7]
	s_cbranch_vccnz .LBB119_2085
; %bb.2084:
	global_load_dword v17, v[20:21], off
.LBB119_2085:
	s_mov_b64 s[6:7], 0
.LBB119_2086:
	s_andn2_b64 vcc, exec, s[6:7]
	s_cbranch_vccnz .LBB119_2088
; %bb.2087:
	global_load_ushort v17, v[20:21], off
.LBB119_2088:
	s_mov_b64 s[6:7], 0
.LBB119_2089:
	s_andn2_b64 vcc, exec, s[6:7]
	s_cbranch_vccnz .LBB119_2095
; %bb.2090:
	s_cmp_gt_i32 s16, 0
	s_cbranch_scc0 .LBB119_2092
; %bb.2091:
	global_load_sbyte v17, v[20:21], off
	s_mov_b64 s[6:7], 0
	s_branch .LBB119_2093
.LBB119_2092:
	s_mov_b64 s[6:7], -1
                                        ; implicit-def: $vgpr17
.LBB119_2093:
	s_andn2_b64 vcc, exec, s[6:7]
	s_cbranch_vccnz .LBB119_2095
; %bb.2094:
	global_load_ubyte v17, v[20:21], off
.LBB119_2095:
	s_mov_b64 s[18:19], -1
.LBB119_2096:
	s_andn2_b64 vcc, exec, s[18:19]
	s_cbranch_vccnz .LBB119_3036
; %bb.2097:
	v_mov_b32_e32 v1, s11
	v_add_co_u32_e32 v20, vcc, s10, v16
	s_cmp_lt_i32 s22, 11
	v_addc_co_u32_e32 v21, vcc, 0, v1, vcc
	s_cbranch_scc1 .LBB119_2104
; %bb.2098:
	s_and_b32 s24, 0xffff, s22
	s_cmp_gt_i32 s24, 25
	s_mov_b64 s[16:17], 0
	s_cbranch_scc0 .LBB119_2105
; %bb.2099:
	s_cmp_gt_i32 s24, 28
	s_cbranch_scc0 .LBB119_2106
; %bb.2100:
	s_cmp_gt_i32 s24, 43
	;; [unrolled: 3-line block ×3, first 2 shown]
	s_cbranch_scc0 .LBB119_2109
; %bb.2102:
	s_cmp_eq_u32 s24, 46
	s_mov_b64 s[20:21], 0
	s_cbranch_scc0 .LBB119_2110
; %bb.2103:
	global_load_dword v1, v[20:21], off
	s_mov_b64 s[6:7], 0
	s_mov_b64 s[18:19], -1
	s_waitcnt vmcnt(0)
	v_lshlrev_b32_e32 v1, 16, v1
	v_cvt_i32_f32_e32 v15, v1
	s_branch .LBB119_2111
.LBB119_2104:
	s_mov_b64 s[6:7], -1
	s_mov_b64 s[18:19], 0
                                        ; implicit-def: $vgpr15
	s_branch .LBB119_2173
.LBB119_2105:
	s_mov_b64 s[20:21], -1
	s_mov_b64 s[18:19], 0
	s_mov_b64 s[6:7], 0
                                        ; implicit-def: $vgpr15
	s_branch .LBB119_2138
.LBB119_2106:
	s_mov_b64 s[20:21], -1
	s_mov_b64 s[18:19], 0
	s_mov_b64 s[6:7], 0
                                        ; implicit-def: $vgpr15
	s_branch .LBB119_2121
.LBB119_2107:
	s_mov_b64 s[20:21], -1
	s_mov_b64 s[18:19], 0
	s_mov_b64 s[6:7], 0
                                        ; implicit-def: $vgpr15
	s_branch .LBB119_2116
.LBB119_2108:
	s_trap 2
	s_or_b64 s[4:5], s[4:5], exec
	s_cbranch_execz .LBB119_2045
	s_branch .LBB119_2046
.LBB119_2109:
	s_mov_b64 s[20:21], -1
	s_mov_b64 s[18:19], 0
	s_mov_b64 s[6:7], 0
                                        ; implicit-def: $vgpr15
	s_branch .LBB119_2111
.LBB119_2110:
	s_mov_b64 s[6:7], -1
                                        ; implicit-def: $vgpr15
	s_mov_b64 s[18:19], 0
.LBB119_2111:
	s_and_b64 vcc, exec, s[20:21]
	s_cbranch_vccz .LBB119_2115
; %bb.2112:
	s_cmp_eq_u32 s24, 44
	s_cbranch_scc0 .LBB119_2114
; %bb.2113:
	global_load_ubyte v1, v[20:21], off
	s_mov_b64 s[6:7], 0
	s_mov_b64 s[18:19], -1
	s_waitcnt vmcnt(0)
	v_lshlrev_b32_e32 v3, 23, v1
	v_cvt_i32_f32_e32 v3, v3
	v_cmp_ne_u32_e32 vcc, 0, v1
	v_cndmask_b32_e32 v15, 0, v3, vcc
	s_branch .LBB119_2115
.LBB119_2114:
	s_mov_b64 s[6:7], -1
                                        ; implicit-def: $vgpr15
.LBB119_2115:
	s_mov_b64 s[20:21], 0
.LBB119_2116:
	s_and_b64 vcc, exec, s[20:21]
	s_cbranch_vccz .LBB119_2120
; %bb.2117:
	s_cmp_eq_u32 s24, 29
	s_cbranch_scc0 .LBB119_2119
; %bb.2118:
	global_load_dwordx2 v[15:16], v[20:21], off
	s_mov_b64 s[6:7], 0
	s_mov_b64 s[18:19], -1
	s_branch .LBB119_2120
.LBB119_2119:
	s_mov_b64 s[6:7], -1
                                        ; implicit-def: $vgpr15
.LBB119_2120:
	s_mov_b64 s[20:21], 0
.LBB119_2121:
	s_and_b64 vcc, exec, s[20:21]
	s_cbranch_vccz .LBB119_2137
; %bb.2122:
	s_cmp_lt_i32 s24, 27
	s_cbranch_scc1 .LBB119_2125
; %bb.2123:
	s_cmp_gt_i32 s24, 27
	s_cbranch_scc0 .LBB119_2126
; %bb.2124:
	global_load_dword v15, v[20:21], off
	s_mov_b64 s[18:19], 0
	s_branch .LBB119_2127
.LBB119_2125:
	s_mov_b64 s[18:19], -1
                                        ; implicit-def: $vgpr15
	s_branch .LBB119_2130
.LBB119_2126:
	s_mov_b64 s[18:19], -1
                                        ; implicit-def: $vgpr15
.LBB119_2127:
	s_andn2_b64 vcc, exec, s[18:19]
	s_cbranch_vccnz .LBB119_2129
; %bb.2128:
	global_load_ushort v15, v[20:21], off
.LBB119_2129:
	s_mov_b64 s[18:19], 0
.LBB119_2130:
	s_andn2_b64 vcc, exec, s[18:19]
	s_cbranch_vccnz .LBB119_2136
; %bb.2131:
	global_load_ubyte v1, v[20:21], off
	s_movk_i32 s18, 0x7f
	s_mov_b64 s[20:21], 0
	s_waitcnt vmcnt(0)
	v_cmp_lt_i16_e32 vcc, s18, v1
	s_and_saveexec_b64 s[18:19], vcc
	s_xor_b64 s[18:19], exec, s[18:19]
	s_cbranch_execz .LBB119_2148
; %bb.2132:
	s_movk_i32 s20, 0x80
	v_cmp_ne_u16_e32 vcc, s20, v1
	s_and_b64 s[20:21], vcc, exec
	s_andn2_saveexec_b64 s[18:19], s[18:19]
	s_cbranch_execnz .LBB119_2149
.LBB119_2133:
	s_or_b64 exec, exec, s[18:19]
	v_mov_b32_e32 v15, 0
	s_and_saveexec_b64 s[18:19], s[20:21]
	s_cbranch_execz .LBB119_2135
.LBB119_2134:
	v_lshlrev_b32_e32 v3, 24, v1
	v_and_b32_e32 v1, 0xffff, v1
	v_and_b32_e32 v5, 7, v1
	v_ffbh_u32_e32 v11, v5
	v_min_u32_e32 v11, 32, v11
	v_subrev_u32_e32 v13, 28, v11
	v_bfe_u32 v8, v1, 3, 4
	v_lshlrev_b32_e32 v1, v13, v1
	v_sub_u32_e32 v11, 29, v11
	v_and_b32_e32 v1, 7, v1
	v_cmp_eq_u32_e32 vcc, 0, v8
	v_cndmask_b32_e32 v8, v8, v11, vcc
	v_cndmask_b32_e32 v1, v5, v1, vcc
	v_mov_b32_e32 v5, 0x3b800000
	v_lshlrev_b32_e32 v1, 20, v1
	v_and_b32_e32 v3, 0x80000000, v3
	v_lshl_add_u32 v5, v8, 23, v5
	v_or3_b32 v1, v3, v5, v1
	v_cvt_i32_f32_e32 v15, v1
.LBB119_2135:
	s_or_b64 exec, exec, s[18:19]
.LBB119_2136:
	s_mov_b64 s[18:19], -1
.LBB119_2137:
	s_mov_b64 s[20:21], 0
.LBB119_2138:
	s_and_b64 vcc, exec, s[20:21]
	s_cbranch_vccz .LBB119_2169
; %bb.2139:
	s_cmp_gt_i32 s24, 22
	s_cbranch_scc0 .LBB119_2147
; %bb.2140:
	s_cmp_lt_i32 s24, 24
	s_cbranch_scc1 .LBB119_2150
; %bb.2141:
	s_cmp_gt_i32 s24, 24
	s_cbranch_scc0 .LBB119_2151
; %bb.2142:
	global_load_ubyte v1, v[20:21], off
	s_movk_i32 s16, 0x7f
	s_mov_b64 s[18:19], 0
	s_waitcnt vmcnt(0)
	v_cmp_lt_i16_e32 vcc, s16, v1
	s_and_saveexec_b64 s[16:17], vcc
	s_xor_b64 s[16:17], exec, s[16:17]
	s_cbranch_execz .LBB119_2163
; %bb.2143:
	s_movk_i32 s18, 0x80
	v_cmp_ne_u16_e32 vcc, s18, v1
	s_and_b64 s[18:19], vcc, exec
	s_andn2_saveexec_b64 s[16:17], s[16:17]
	s_cbranch_execnz .LBB119_2164
.LBB119_2144:
	s_or_b64 exec, exec, s[16:17]
	v_mov_b32_e32 v15, 0
	s_and_saveexec_b64 s[16:17], s[18:19]
	s_cbranch_execz .LBB119_2146
.LBB119_2145:
	v_lshlrev_b32_e32 v3, 24, v1
	v_and_b32_e32 v1, 0xffff, v1
	v_and_b32_e32 v5, 3, v1
	v_ffbh_u32_e32 v11, v5
	v_min_u32_e32 v11, 32, v11
	v_subrev_u32_e32 v13, 29, v11
	v_bfe_u32 v8, v1, 2, 5
	v_lshlrev_b32_e32 v1, v13, v1
	v_sub_u32_e32 v11, 30, v11
	v_and_b32_e32 v1, 3, v1
	v_cmp_eq_u32_e32 vcc, 0, v8
	v_cndmask_b32_e32 v8, v8, v11, vcc
	v_cndmask_b32_e32 v1, v5, v1, vcc
	v_mov_b32_e32 v5, 0x37800000
	v_lshlrev_b32_e32 v1, 21, v1
	v_and_b32_e32 v3, 0x80000000, v3
	v_lshl_add_u32 v5, v8, 23, v5
	v_or3_b32 v1, v3, v5, v1
	v_cvt_i32_f32_e32 v15, v1
.LBB119_2146:
	s_or_b64 exec, exec, s[16:17]
	s_mov_b64 s[16:17], 0
	s_branch .LBB119_2152
.LBB119_2147:
	s_mov_b64 s[16:17], -1
                                        ; implicit-def: $vgpr15
	s_branch .LBB119_2158
.LBB119_2148:
	s_andn2_saveexec_b64 s[18:19], s[18:19]
	s_cbranch_execz .LBB119_2133
.LBB119_2149:
	v_cmp_ne_u16_e32 vcc, 0, v1
	s_andn2_b64 s[20:21], s[20:21], exec
	s_and_b64 s[26:27], vcc, exec
	s_or_b64 s[20:21], s[20:21], s[26:27]
	s_or_b64 exec, exec, s[18:19]
	v_mov_b32_e32 v15, 0
	s_and_saveexec_b64 s[18:19], s[20:21]
	s_cbranch_execnz .LBB119_2134
	s_branch .LBB119_2135
.LBB119_2150:
	s_mov_b64 s[16:17], -1
                                        ; implicit-def: $vgpr15
	s_branch .LBB119_2155
.LBB119_2151:
	s_mov_b64 s[16:17], -1
                                        ; implicit-def: $vgpr15
.LBB119_2152:
	s_and_b64 vcc, exec, s[16:17]
	s_cbranch_vccz .LBB119_2154
; %bb.2153:
	global_load_ubyte v1, v[20:21], off
	s_mov_b32 s16, 0x7f800000
	s_waitcnt vmcnt(0)
	v_lshlrev_b32_e32 v1, 24, v1
	v_and_b32_e32 v3, 0x7f000000, v1
	v_ffbh_u32_e32 v5, v3
	v_min_u32_e32 v5, 32, v5
	v_sub_u32_e64 v5, v5, 4 clamp
	v_lshlrev_b32_e32 v11, v5, v3
	v_lshlrev_b32_e32 v5, 23, v5
	v_lshrrev_b32_e32 v11, 4, v11
	v_add_u32_e32 v8, 0x1000000, v3
	v_sub_u32_e32 v5, v11, v5
	v_ashrrev_i32_e32 v8, 8, v8
	v_add_u32_e32 v5, 0x3c000000, v5
	v_and_or_b32 v5, v8, s16, v5
	v_cmp_ne_u32_e32 vcc, 0, v3
	v_cndmask_b32_e32 v3, 0, v5, vcc
	s_brev_b32 s16, 1
	v_and_or_b32 v1, v1, s16, v3
	v_cvt_i32_f32_e32 v15, v1
.LBB119_2154:
	s_mov_b64 s[16:17], 0
.LBB119_2155:
	s_andn2_b64 vcc, exec, s[16:17]
	s_cbranch_vccnz .LBB119_2157
; %bb.2156:
	global_load_ubyte v1, v[20:21], off
	s_movk_i32 s16, 0x7f00
	s_brev_b32 s17, 16
	s_waitcnt vmcnt(0)
	v_lshlrev_b16_e32 v3, 8, v1
	v_lshlrev_b32_e32 v1, 25, v1
	v_lshrrev_b32_e32 v5, 4, v1
	v_and_or_b32 v8, v3, s16, 0.5
	v_or_b32_e32 v5, 0x70000000, v5
	v_add_f32_e32 v8, -0.5, v8
	v_mul_f32_e32 v5, 0x7800000, v5
	v_cmp_gt_u32_e32 vcc, s17, v1
	v_bfe_i32 v3, v3, 0, 16
	v_cndmask_b32_e32 v1, v5, v8, vcc
	s_brev_b32 s16, 1
	v_and_or_b32 v1, v3, s16, v1
	v_cvt_i32_f32_e32 v15, v1
.LBB119_2157:
	s_mov_b64 s[16:17], 0
	s_mov_b64 s[18:19], -1
.LBB119_2158:
	s_andn2_b64 vcc, exec, s[16:17]
	s_mov_b64 s[16:17], 0
	s_cbranch_vccnz .LBB119_2169
; %bb.2159:
	s_cmp_gt_i32 s24, 14
	s_cbranch_scc0 .LBB119_2162
; %bb.2160:
	s_cmp_eq_u32 s24, 15
	s_cbranch_scc0 .LBB119_2165
; %bb.2161:
	global_load_ushort v1, v[20:21], off
	s_mov_b64 s[6:7], 0
	s_mov_b64 s[18:19], -1
	s_waitcnt vmcnt(0)
	v_lshlrev_b32_e32 v1, 16, v1
	v_cvt_i32_f32_e32 v15, v1
	s_branch .LBB119_2166
.LBB119_2162:
	s_mov_b64 s[20:21], -1
                                        ; implicit-def: $vgpr15
	s_branch .LBB119_2167
.LBB119_2163:
	s_andn2_saveexec_b64 s[16:17], s[16:17]
	s_cbranch_execz .LBB119_2144
.LBB119_2164:
	v_cmp_ne_u16_e32 vcc, 0, v1
	s_andn2_b64 s[18:19], s[18:19], exec
	s_and_b64 s[20:21], vcc, exec
	s_or_b64 s[18:19], s[18:19], s[20:21]
	s_or_b64 exec, exec, s[16:17]
	v_mov_b32_e32 v15, 0
	s_and_saveexec_b64 s[16:17], s[18:19]
	s_cbranch_execnz .LBB119_2145
	s_branch .LBB119_2146
.LBB119_2165:
	s_mov_b64 s[6:7], -1
                                        ; implicit-def: $vgpr15
.LBB119_2166:
	s_mov_b64 s[20:21], 0
.LBB119_2167:
	s_and_b64 vcc, exec, s[20:21]
	s_cbranch_vccz .LBB119_2169
; %bb.2168:
	s_cmp_lg_u32 s24, 11
	s_mov_b64 s[16:17], -1
	s_cselect_b64 s[6:7], -1, 0
.LBB119_2169:
	s_and_b64 vcc, exec, s[6:7]
	s_cbranch_vccnz .LBB119_2234
; %bb.2170:
	s_andn2_b64 vcc, exec, s[16:17]
	s_cbranch_vccnz .LBB119_2172
.LBB119_2171:
	global_load_ubyte v1, v[20:21], off
	s_mov_b64 s[18:19], -1
	s_waitcnt vmcnt(0)
	v_cmp_ne_u16_e32 vcc, 0, v1
	v_cndmask_b32_e64 v15, 0, 1, vcc
.LBB119_2172:
	s_mov_b64 s[6:7], 0
.LBB119_2173:
	s_and_b64 vcc, exec, s[6:7]
	s_cbranch_vccz .LBB119_2222
; %bb.2174:
	s_and_b32 s16, 0xffff, s22
	s_cmp_lt_i32 s16, 5
	s_cbranch_scc1 .LBB119_2179
; %bb.2175:
	s_cmp_lt_i32 s16, 8
	s_cbranch_scc1 .LBB119_2180
; %bb.2176:
	s_cmp_lt_i32 s16, 9
	s_cbranch_scc1 .LBB119_2181
; %bb.2177:
	s_cmp_gt_i32 s16, 9
	s_cbranch_scc0 .LBB119_2182
; %bb.2178:
	global_load_dwordx2 v[15:16], v[20:21], off
	s_mov_b64 s[6:7], 0
	s_waitcnt vmcnt(0)
	v_cvt_i32_f64_e32 v15, v[15:16]
	s_branch .LBB119_2183
.LBB119_2179:
	s_mov_b64 s[6:7], -1
                                        ; implicit-def: $vgpr15
	s_branch .LBB119_2201
.LBB119_2180:
	s_mov_b64 s[6:7], -1
                                        ; implicit-def: $vgpr15
	s_branch .LBB119_2189
.LBB119_2181:
	s_mov_b64 s[6:7], -1
                                        ; implicit-def: $vgpr15
	s_branch .LBB119_2186
.LBB119_2182:
	s_mov_b64 s[6:7], -1
                                        ; implicit-def: $vgpr15
.LBB119_2183:
	s_andn2_b64 vcc, exec, s[6:7]
	s_cbranch_vccnz .LBB119_2185
; %bb.2184:
	global_load_dword v1, v[20:21], off
	s_waitcnt vmcnt(0)
	v_cvt_i32_f32_e32 v15, v1
.LBB119_2185:
	s_mov_b64 s[6:7], 0
.LBB119_2186:
	s_andn2_b64 vcc, exec, s[6:7]
	s_cbranch_vccnz .LBB119_2188
; %bb.2187:
	global_load_dword v1, v[20:21], off
	s_waitcnt vmcnt(0)
	v_cvt_i16_f16_e32 v15, v1
.LBB119_2188:
	s_mov_b64 s[6:7], 0
.LBB119_2189:
	s_andn2_b64 vcc, exec, s[6:7]
	s_cbranch_vccnz .LBB119_2200
; %bb.2190:
	s_cmp_lt_i32 s16, 6
	s_cbranch_scc1 .LBB119_2193
; %bb.2191:
	s_cmp_gt_i32 s16, 6
	s_cbranch_scc0 .LBB119_2194
; %bb.2192:
	global_load_dwordx2 v[15:16], v[20:21], off
	s_mov_b64 s[6:7], 0
	s_waitcnt vmcnt(0)
	v_cvt_i32_f64_e32 v15, v[15:16]
	s_branch .LBB119_2195
.LBB119_2193:
	s_mov_b64 s[6:7], -1
                                        ; implicit-def: $vgpr15
	s_branch .LBB119_2198
.LBB119_2194:
	s_mov_b64 s[6:7], -1
                                        ; implicit-def: $vgpr15
.LBB119_2195:
	s_andn2_b64 vcc, exec, s[6:7]
	s_cbranch_vccnz .LBB119_2197
; %bb.2196:
	global_load_dword v1, v[20:21], off
	s_waitcnt vmcnt(0)
	v_cvt_i32_f32_e32 v15, v1
.LBB119_2197:
	s_mov_b64 s[6:7], 0
.LBB119_2198:
	s_andn2_b64 vcc, exec, s[6:7]
	s_cbranch_vccnz .LBB119_2200
; %bb.2199:
	global_load_ushort v1, v[20:21], off
	s_waitcnt vmcnt(0)
	v_cvt_i16_f16_e32 v15, v1
.LBB119_2200:
	s_mov_b64 s[6:7], 0
.LBB119_2201:
	s_andn2_b64 vcc, exec, s[6:7]
	s_cbranch_vccnz .LBB119_2221
; %bb.2202:
	s_cmp_lt_i32 s16, 2
	s_cbranch_scc1 .LBB119_2206
; %bb.2203:
	s_cmp_lt_i32 s16, 3
	s_cbranch_scc1 .LBB119_2207
; %bb.2204:
	s_cmp_gt_i32 s16, 3
	s_cbranch_scc0 .LBB119_2208
; %bb.2205:
	global_load_dwordx2 v[15:16], v[20:21], off
	s_mov_b64 s[6:7], 0
	s_branch .LBB119_2209
.LBB119_2206:
	s_mov_b64 s[6:7], -1
                                        ; implicit-def: $vgpr15
	s_branch .LBB119_2215
.LBB119_2207:
	s_mov_b64 s[6:7], -1
                                        ; implicit-def: $vgpr15
	s_branch .LBB119_2212
.LBB119_2208:
	s_mov_b64 s[6:7], -1
                                        ; implicit-def: $vgpr15
.LBB119_2209:
	s_andn2_b64 vcc, exec, s[6:7]
	s_cbranch_vccnz .LBB119_2211
; %bb.2210:
	global_load_dword v15, v[20:21], off
.LBB119_2211:
	s_mov_b64 s[6:7], 0
.LBB119_2212:
	s_andn2_b64 vcc, exec, s[6:7]
	s_cbranch_vccnz .LBB119_2214
; %bb.2213:
	global_load_ushort v15, v[20:21], off
.LBB119_2214:
	s_mov_b64 s[6:7], 0
.LBB119_2215:
	s_andn2_b64 vcc, exec, s[6:7]
	s_cbranch_vccnz .LBB119_2221
; %bb.2216:
	s_cmp_gt_i32 s16, 0
	s_cbranch_scc0 .LBB119_2218
; %bb.2217:
	global_load_sbyte v15, v[20:21], off
	s_mov_b64 s[6:7], 0
	s_branch .LBB119_2219
.LBB119_2218:
	s_mov_b64 s[6:7], -1
                                        ; implicit-def: $vgpr15
.LBB119_2219:
	s_andn2_b64 vcc, exec, s[6:7]
	s_cbranch_vccnz .LBB119_2221
; %bb.2220:
	global_load_ubyte v15, v[20:21], off
.LBB119_2221:
	s_mov_b64 s[18:19], -1
.LBB119_2222:
	s_andn2_b64 vcc, exec, s[18:19]
	s_cbranch_vccnz .LBB119_3036
; %bb.2223:
	v_mov_b32_e32 v1, s1
	v_add_co_u32_e32 v20, vcc, s0, v19
	s_cmp_lt_i32 s23, 11
	v_addc_co_u32_e32 v21, vcc, 0, v1, vcc
	s_cbranch_scc1 .LBB119_2230
; %bb.2224:
	s_and_b32 s24, 0xffff, s23
	s_cmp_gt_i32 s24, 25
	s_mov_b64 s[16:17], 0
	s_cbranch_scc0 .LBB119_2231
; %bb.2225:
	s_cmp_gt_i32 s24, 28
	s_cbranch_scc0 .LBB119_2232
; %bb.2226:
	s_cmp_gt_i32 s24, 43
	;; [unrolled: 3-line block ×3, first 2 shown]
	s_cbranch_scc0 .LBB119_2235
; %bb.2228:
	s_cmp_eq_u32 s24, 46
	s_mov_b64 s[20:21], 0
	s_cbranch_scc0 .LBB119_2238
; %bb.2229:
	global_load_dword v1, v[20:21], off
	s_mov_b64 s[6:7], 0
	s_mov_b64 s[18:19], -1
	s_waitcnt vmcnt(0)
	v_lshlrev_b32_e32 v1, 16, v1
	v_cvt_i32_f32_e32 v18, v1
	s_branch .LBB119_2239
.LBB119_2230:
	s_mov_b64 s[6:7], -1
	s_mov_b64 s[18:19], 0
                                        ; implicit-def: $vgpr18
	s_branch .LBB119_2301
.LBB119_2231:
	s_mov_b64 s[20:21], -1
	s_mov_b64 s[18:19], 0
	s_mov_b64 s[6:7], 0
                                        ; implicit-def: $vgpr18
	s_branch .LBB119_2266
.LBB119_2232:
	s_mov_b64 s[20:21], -1
	s_mov_b64 s[18:19], 0
	s_mov_b64 s[6:7], 0
                                        ; implicit-def: $vgpr18
	s_branch .LBB119_2249
.LBB119_2233:
	s_mov_b64 s[20:21], -1
	s_mov_b64 s[18:19], 0
	s_mov_b64 s[6:7], 0
                                        ; implicit-def: $vgpr18
	s_branch .LBB119_2244
.LBB119_2234:
	s_trap 2
	s_or_b64 s[4:5], s[4:5], exec
	s_cbranch_execz .LBB119_2171
	s_branch .LBB119_2172
.LBB119_2235:
	s_mov_b64 s[20:21], -1
	s_mov_b64 s[18:19], 0
	s_mov_b64 s[6:7], 0
                                        ; implicit-def: $vgpr18
	s_branch .LBB119_2239
.LBB119_2236:
	s_andn2_saveexec_b64 s[64:65], s[64:65]
	s_cbranch_execz .LBB119_1095
.LBB119_2237:
	s_mov_b32 s69, 0x42800000
	v_add_f32_e64 v4, |v3|, s69
	v_and_b32_e32 v4, 0xff, v4
	v_cmp_ne_u32_e32 vcc, 0, v4
	s_andn2_b64 s[62:63], s[62:63], exec
	s_and_b64 s[76:77], vcc, exec
	s_or_b64 s[62:63], s[62:63], s[76:77]
	s_or_b64 exec, exec, s[64:65]
	v_mov_b32_e32 v5, 0
	s_and_saveexec_b64 s[64:65], s[62:63]
	s_cbranch_execnz .LBB119_1096
	s_branch .LBB119_1097
.LBB119_2238:
	s_mov_b64 s[6:7], -1
                                        ; implicit-def: $vgpr18
	s_mov_b64 s[18:19], 0
.LBB119_2239:
	s_and_b64 vcc, exec, s[20:21]
	s_cbranch_vccz .LBB119_2243
; %bb.2240:
	s_cmp_eq_u32 s24, 44
	s_cbranch_scc0 .LBB119_2242
; %bb.2241:
	global_load_ubyte v1, v[20:21], off
	s_mov_b64 s[6:7], 0
	s_mov_b64 s[18:19], -1
	s_waitcnt vmcnt(0)
	v_lshlrev_b32_e32 v3, 23, v1
	v_cvt_i32_f32_e32 v3, v3
	v_cmp_ne_u32_e32 vcc, 0, v1
	v_cndmask_b32_e32 v18, 0, v3, vcc
	s_branch .LBB119_2243
.LBB119_2242:
	s_mov_b64 s[6:7], -1
                                        ; implicit-def: $vgpr18
.LBB119_2243:
	s_mov_b64 s[20:21], 0
.LBB119_2244:
	s_and_b64 vcc, exec, s[20:21]
	s_cbranch_vccz .LBB119_2248
; %bb.2245:
	s_cmp_eq_u32 s24, 29
	s_cbranch_scc0 .LBB119_2247
; %bb.2246:
	global_load_dwordx2 v[18:19], v[20:21], off
	s_mov_b64 s[6:7], 0
	s_mov_b64 s[18:19], -1
	s_branch .LBB119_2248
.LBB119_2247:
	s_mov_b64 s[6:7], -1
                                        ; implicit-def: $vgpr18
.LBB119_2248:
	s_mov_b64 s[20:21], 0
.LBB119_2249:
	s_and_b64 vcc, exec, s[20:21]
	s_cbranch_vccz .LBB119_2265
; %bb.2250:
	s_cmp_lt_i32 s24, 27
	s_cbranch_scc1 .LBB119_2253
; %bb.2251:
	s_cmp_gt_i32 s24, 27
	s_cbranch_scc0 .LBB119_2254
; %bb.2252:
	global_load_dword v18, v[20:21], off
	s_mov_b64 s[18:19], 0
	s_branch .LBB119_2255
.LBB119_2253:
	s_mov_b64 s[18:19], -1
                                        ; implicit-def: $vgpr18
	s_branch .LBB119_2258
.LBB119_2254:
	s_mov_b64 s[18:19], -1
                                        ; implicit-def: $vgpr18
.LBB119_2255:
	s_andn2_b64 vcc, exec, s[18:19]
	s_cbranch_vccnz .LBB119_2257
; %bb.2256:
	global_load_ushort v18, v[20:21], off
.LBB119_2257:
	s_mov_b64 s[18:19], 0
.LBB119_2258:
	s_andn2_b64 vcc, exec, s[18:19]
	s_cbranch_vccnz .LBB119_2264
; %bb.2259:
	global_load_ubyte v1, v[20:21], off
	s_movk_i32 s18, 0x7f
	s_mov_b64 s[20:21], 0
	s_waitcnt vmcnt(0)
	v_cmp_lt_i16_e32 vcc, s18, v1
	s_and_saveexec_b64 s[18:19], vcc
	s_xor_b64 s[18:19], exec, s[18:19]
	s_cbranch_execz .LBB119_2276
; %bb.2260:
	s_movk_i32 s20, 0x80
	v_cmp_ne_u16_e32 vcc, s20, v1
	s_and_b64 s[20:21], vcc, exec
	s_andn2_saveexec_b64 s[18:19], s[18:19]
	s_cbranch_execnz .LBB119_2277
.LBB119_2261:
	s_or_b64 exec, exec, s[18:19]
	v_mov_b32_e32 v18, 0
	s_and_saveexec_b64 s[18:19], s[20:21]
	s_cbranch_execz .LBB119_2263
.LBB119_2262:
	v_lshlrev_b32_e32 v3, 24, v1
	v_and_b32_e32 v1, 0xffff, v1
	v_and_b32_e32 v5, 7, v1
	v_ffbh_u32_e32 v11, v5
	v_min_u32_e32 v11, 32, v11
	v_subrev_u32_e32 v13, 28, v11
	v_bfe_u32 v8, v1, 3, 4
	v_lshlrev_b32_e32 v1, v13, v1
	v_sub_u32_e32 v11, 29, v11
	v_and_b32_e32 v1, 7, v1
	v_cmp_eq_u32_e32 vcc, 0, v8
	v_cndmask_b32_e32 v8, v8, v11, vcc
	v_cndmask_b32_e32 v1, v5, v1, vcc
	v_mov_b32_e32 v5, 0x3b800000
	v_lshlrev_b32_e32 v1, 20, v1
	v_and_b32_e32 v3, 0x80000000, v3
	v_lshl_add_u32 v5, v8, 23, v5
	v_or3_b32 v1, v3, v5, v1
	v_cvt_i32_f32_e32 v18, v1
.LBB119_2263:
	s_or_b64 exec, exec, s[18:19]
.LBB119_2264:
	s_mov_b64 s[18:19], -1
.LBB119_2265:
	s_mov_b64 s[20:21], 0
.LBB119_2266:
	s_and_b64 vcc, exec, s[20:21]
	s_cbranch_vccz .LBB119_2297
; %bb.2267:
	s_cmp_gt_i32 s24, 22
	s_cbranch_scc0 .LBB119_2275
; %bb.2268:
	s_cmp_lt_i32 s24, 24
	s_cbranch_scc1 .LBB119_2278
; %bb.2269:
	s_cmp_gt_i32 s24, 24
	s_cbranch_scc0 .LBB119_2279
; %bb.2270:
	global_load_ubyte v1, v[20:21], off
	s_movk_i32 s16, 0x7f
	s_mov_b64 s[18:19], 0
	s_waitcnt vmcnt(0)
	v_cmp_lt_i16_e32 vcc, s16, v1
	s_and_saveexec_b64 s[16:17], vcc
	s_xor_b64 s[16:17], exec, s[16:17]
	s_cbranch_execz .LBB119_2291
; %bb.2271:
	s_movk_i32 s18, 0x80
	v_cmp_ne_u16_e32 vcc, s18, v1
	s_and_b64 s[18:19], vcc, exec
	s_andn2_saveexec_b64 s[16:17], s[16:17]
	s_cbranch_execnz .LBB119_2292
.LBB119_2272:
	s_or_b64 exec, exec, s[16:17]
	v_mov_b32_e32 v18, 0
	s_and_saveexec_b64 s[16:17], s[18:19]
	s_cbranch_execz .LBB119_2274
.LBB119_2273:
	v_lshlrev_b32_e32 v3, 24, v1
	v_and_b32_e32 v1, 0xffff, v1
	v_and_b32_e32 v5, 3, v1
	v_ffbh_u32_e32 v11, v5
	v_min_u32_e32 v11, 32, v11
	v_subrev_u32_e32 v13, 29, v11
	v_bfe_u32 v8, v1, 2, 5
	v_lshlrev_b32_e32 v1, v13, v1
	v_sub_u32_e32 v11, 30, v11
	v_and_b32_e32 v1, 3, v1
	v_cmp_eq_u32_e32 vcc, 0, v8
	v_cndmask_b32_e32 v8, v8, v11, vcc
	v_cndmask_b32_e32 v1, v5, v1, vcc
	v_mov_b32_e32 v5, 0x37800000
	v_lshlrev_b32_e32 v1, 21, v1
	v_and_b32_e32 v3, 0x80000000, v3
	v_lshl_add_u32 v5, v8, 23, v5
	v_or3_b32 v1, v3, v5, v1
	v_cvt_i32_f32_e32 v18, v1
.LBB119_2274:
	s_or_b64 exec, exec, s[16:17]
	s_mov_b64 s[16:17], 0
	s_branch .LBB119_2280
.LBB119_2275:
	s_mov_b64 s[16:17], -1
                                        ; implicit-def: $vgpr18
	s_branch .LBB119_2286
.LBB119_2276:
	s_andn2_saveexec_b64 s[18:19], s[18:19]
	s_cbranch_execz .LBB119_2261
.LBB119_2277:
	v_cmp_ne_u16_e32 vcc, 0, v1
	s_andn2_b64 s[20:21], s[20:21], exec
	s_and_b64 s[26:27], vcc, exec
	s_or_b64 s[20:21], s[20:21], s[26:27]
	s_or_b64 exec, exec, s[18:19]
	v_mov_b32_e32 v18, 0
	s_and_saveexec_b64 s[18:19], s[20:21]
	s_cbranch_execnz .LBB119_2262
	s_branch .LBB119_2263
.LBB119_2278:
	s_mov_b64 s[16:17], -1
                                        ; implicit-def: $vgpr18
	s_branch .LBB119_2283
.LBB119_2279:
	s_mov_b64 s[16:17], -1
                                        ; implicit-def: $vgpr18
.LBB119_2280:
	s_and_b64 vcc, exec, s[16:17]
	s_cbranch_vccz .LBB119_2282
; %bb.2281:
	global_load_ubyte v1, v[20:21], off
	s_mov_b32 s16, 0x7f800000
	s_waitcnt vmcnt(0)
	v_lshlrev_b32_e32 v1, 24, v1
	v_and_b32_e32 v3, 0x7f000000, v1
	v_ffbh_u32_e32 v5, v3
	v_min_u32_e32 v5, 32, v5
	v_sub_u32_e64 v5, v5, 4 clamp
	v_lshlrev_b32_e32 v11, v5, v3
	v_lshlrev_b32_e32 v5, 23, v5
	v_lshrrev_b32_e32 v11, 4, v11
	v_add_u32_e32 v8, 0x1000000, v3
	v_sub_u32_e32 v5, v11, v5
	v_ashrrev_i32_e32 v8, 8, v8
	v_add_u32_e32 v5, 0x3c000000, v5
	v_and_or_b32 v5, v8, s16, v5
	v_cmp_ne_u32_e32 vcc, 0, v3
	v_cndmask_b32_e32 v3, 0, v5, vcc
	s_brev_b32 s16, 1
	v_and_or_b32 v1, v1, s16, v3
	v_cvt_i32_f32_e32 v18, v1
.LBB119_2282:
	s_mov_b64 s[16:17], 0
.LBB119_2283:
	s_andn2_b64 vcc, exec, s[16:17]
	s_cbranch_vccnz .LBB119_2285
; %bb.2284:
	global_load_ubyte v1, v[20:21], off
	s_movk_i32 s16, 0x7f00
	s_brev_b32 s17, 16
	s_waitcnt vmcnt(0)
	v_lshlrev_b16_e32 v3, 8, v1
	v_lshlrev_b32_e32 v1, 25, v1
	v_lshrrev_b32_e32 v5, 4, v1
	v_and_or_b32 v8, v3, s16, 0.5
	v_or_b32_e32 v5, 0x70000000, v5
	v_add_f32_e32 v8, -0.5, v8
	v_mul_f32_e32 v5, 0x7800000, v5
	v_cmp_gt_u32_e32 vcc, s17, v1
	v_bfe_i32 v3, v3, 0, 16
	v_cndmask_b32_e32 v1, v5, v8, vcc
	s_brev_b32 s16, 1
	v_and_or_b32 v1, v3, s16, v1
	v_cvt_i32_f32_e32 v18, v1
.LBB119_2285:
	s_mov_b64 s[16:17], 0
	s_mov_b64 s[18:19], -1
.LBB119_2286:
	s_andn2_b64 vcc, exec, s[16:17]
	s_mov_b64 s[16:17], 0
	s_cbranch_vccnz .LBB119_2297
; %bb.2287:
	s_cmp_gt_i32 s24, 14
	s_cbranch_scc0 .LBB119_2290
; %bb.2288:
	s_cmp_eq_u32 s24, 15
	s_cbranch_scc0 .LBB119_2293
; %bb.2289:
	global_load_ushort v1, v[20:21], off
	s_mov_b64 s[6:7], 0
	s_mov_b64 s[18:19], -1
	s_waitcnt vmcnt(0)
	v_lshlrev_b32_e32 v1, 16, v1
	v_cvt_i32_f32_e32 v18, v1
	s_branch .LBB119_2294
.LBB119_2290:
	s_mov_b64 s[20:21], -1
                                        ; implicit-def: $vgpr18
	s_branch .LBB119_2295
.LBB119_2291:
	s_andn2_saveexec_b64 s[16:17], s[16:17]
	s_cbranch_execz .LBB119_2272
.LBB119_2292:
	v_cmp_ne_u16_e32 vcc, 0, v1
	s_andn2_b64 s[18:19], s[18:19], exec
	s_and_b64 s[20:21], vcc, exec
	s_or_b64 s[18:19], s[18:19], s[20:21]
	s_or_b64 exec, exec, s[16:17]
	v_mov_b32_e32 v18, 0
	s_and_saveexec_b64 s[16:17], s[18:19]
	s_cbranch_execnz .LBB119_2273
	s_branch .LBB119_2274
.LBB119_2293:
	s_mov_b64 s[6:7], -1
                                        ; implicit-def: $vgpr18
.LBB119_2294:
	s_mov_b64 s[20:21], 0
.LBB119_2295:
	s_and_b64 vcc, exec, s[20:21]
	s_cbranch_vccz .LBB119_2297
; %bb.2296:
	s_cmp_lg_u32 s24, 11
	s_mov_b64 s[16:17], -1
	s_cselect_b64 s[6:7], -1, 0
.LBB119_2297:
	s_and_b64 vcc, exec, s[6:7]
	s_cbranch_vccnz .LBB119_2362
; %bb.2298:
	s_andn2_b64 vcc, exec, s[16:17]
	s_cbranch_vccnz .LBB119_2300
.LBB119_2299:
	global_load_ubyte v1, v[20:21], off
	s_mov_b64 s[18:19], -1
	s_waitcnt vmcnt(0)
	v_cmp_ne_u16_e32 vcc, 0, v1
	v_cndmask_b32_e64 v18, 0, 1, vcc
.LBB119_2300:
	s_mov_b64 s[6:7], 0
.LBB119_2301:
	s_and_b64 vcc, exec, s[6:7]
	s_cbranch_vccz .LBB119_2350
; %bb.2302:
	s_and_b32 s16, 0xffff, s23
	s_cmp_lt_i32 s16, 5
	s_cbranch_scc1 .LBB119_2307
; %bb.2303:
	s_cmp_lt_i32 s16, 8
	s_cbranch_scc1 .LBB119_2308
; %bb.2304:
	;; [unrolled: 3-line block ×3, first 2 shown]
	s_cmp_gt_i32 s16, 9
	s_cbranch_scc0 .LBB119_2310
; %bb.2306:
	global_load_dwordx2 v[18:19], v[20:21], off
	s_mov_b64 s[6:7], 0
	s_waitcnt vmcnt(0)
	v_cvt_i32_f64_e32 v18, v[18:19]
	s_branch .LBB119_2311
.LBB119_2307:
	s_mov_b64 s[6:7], -1
                                        ; implicit-def: $vgpr18
	s_branch .LBB119_2329
.LBB119_2308:
	s_mov_b64 s[6:7], -1
                                        ; implicit-def: $vgpr18
	s_branch .LBB119_2317
.LBB119_2309:
	s_mov_b64 s[6:7], -1
                                        ; implicit-def: $vgpr18
	s_branch .LBB119_2314
.LBB119_2310:
	s_mov_b64 s[6:7], -1
                                        ; implicit-def: $vgpr18
.LBB119_2311:
	s_andn2_b64 vcc, exec, s[6:7]
	s_cbranch_vccnz .LBB119_2313
; %bb.2312:
	global_load_dword v1, v[20:21], off
	s_waitcnt vmcnt(0)
	v_cvt_i32_f32_e32 v18, v1
.LBB119_2313:
	s_mov_b64 s[6:7], 0
.LBB119_2314:
	s_andn2_b64 vcc, exec, s[6:7]
	s_cbranch_vccnz .LBB119_2316
; %bb.2315:
	global_load_dword v1, v[20:21], off
	s_waitcnt vmcnt(0)
	v_cvt_i16_f16_e32 v18, v1
.LBB119_2316:
	s_mov_b64 s[6:7], 0
.LBB119_2317:
	s_andn2_b64 vcc, exec, s[6:7]
	s_cbranch_vccnz .LBB119_2328
; %bb.2318:
	s_cmp_lt_i32 s16, 6
	s_cbranch_scc1 .LBB119_2321
; %bb.2319:
	s_cmp_gt_i32 s16, 6
	s_cbranch_scc0 .LBB119_2322
; %bb.2320:
	global_load_dwordx2 v[18:19], v[20:21], off
	s_mov_b64 s[6:7], 0
	s_waitcnt vmcnt(0)
	v_cvt_i32_f64_e32 v18, v[18:19]
	s_branch .LBB119_2323
.LBB119_2321:
	s_mov_b64 s[6:7], -1
                                        ; implicit-def: $vgpr18
	s_branch .LBB119_2326
.LBB119_2322:
	s_mov_b64 s[6:7], -1
                                        ; implicit-def: $vgpr18
.LBB119_2323:
	s_andn2_b64 vcc, exec, s[6:7]
	s_cbranch_vccnz .LBB119_2325
; %bb.2324:
	global_load_dword v1, v[20:21], off
	s_waitcnt vmcnt(0)
	v_cvt_i32_f32_e32 v18, v1
.LBB119_2325:
	s_mov_b64 s[6:7], 0
.LBB119_2326:
	s_andn2_b64 vcc, exec, s[6:7]
	s_cbranch_vccnz .LBB119_2328
; %bb.2327:
	global_load_ushort v1, v[20:21], off
	s_waitcnt vmcnt(0)
	v_cvt_i16_f16_e32 v18, v1
.LBB119_2328:
	s_mov_b64 s[6:7], 0
.LBB119_2329:
	s_andn2_b64 vcc, exec, s[6:7]
	s_cbranch_vccnz .LBB119_2349
; %bb.2330:
	s_cmp_lt_i32 s16, 2
	s_cbranch_scc1 .LBB119_2334
; %bb.2331:
	s_cmp_lt_i32 s16, 3
	s_cbranch_scc1 .LBB119_2335
; %bb.2332:
	s_cmp_gt_i32 s16, 3
	s_cbranch_scc0 .LBB119_2336
; %bb.2333:
	global_load_dwordx2 v[18:19], v[20:21], off
	s_mov_b64 s[6:7], 0
	s_branch .LBB119_2337
.LBB119_2334:
	s_mov_b64 s[6:7], -1
                                        ; implicit-def: $vgpr18
	s_branch .LBB119_2343
.LBB119_2335:
	s_mov_b64 s[6:7], -1
                                        ; implicit-def: $vgpr18
	s_branch .LBB119_2340
.LBB119_2336:
	s_mov_b64 s[6:7], -1
                                        ; implicit-def: $vgpr18
.LBB119_2337:
	s_andn2_b64 vcc, exec, s[6:7]
	s_cbranch_vccnz .LBB119_2339
; %bb.2338:
	global_load_dword v18, v[20:21], off
.LBB119_2339:
	s_mov_b64 s[6:7], 0
.LBB119_2340:
	s_andn2_b64 vcc, exec, s[6:7]
	s_cbranch_vccnz .LBB119_2342
; %bb.2341:
	global_load_ushort v18, v[20:21], off
.LBB119_2342:
	s_mov_b64 s[6:7], 0
.LBB119_2343:
	s_andn2_b64 vcc, exec, s[6:7]
	s_cbranch_vccnz .LBB119_2349
; %bb.2344:
	s_cmp_gt_i32 s16, 0
	s_cbranch_scc0 .LBB119_2346
; %bb.2345:
	global_load_sbyte v18, v[20:21], off
	s_mov_b64 s[6:7], 0
	s_branch .LBB119_2347
.LBB119_2346:
	s_mov_b64 s[6:7], -1
                                        ; implicit-def: $vgpr18
.LBB119_2347:
	s_andn2_b64 vcc, exec, s[6:7]
	s_cbranch_vccnz .LBB119_2349
; %bb.2348:
	global_load_ubyte v18, v[20:21], off
.LBB119_2349:
	s_mov_b64 s[18:19], -1
.LBB119_2350:
	s_andn2_b64 vcc, exec, s[18:19]
	s_cbranch_vccnz .LBB119_3036
; %bb.2351:
	v_mov_b32_e32 v1, s11
	s_waitcnt vmcnt(0)
	v_add_co_u32_e32 v19, vcc, s10, v14
	s_cmp_lt_i32 s22, 11
	v_addc_co_u32_e32 v20, vcc, 0, v1, vcc
	s_cbranch_scc1 .LBB119_2358
; %bb.2352:
	s_and_b32 s20, 0xffff, s22
	s_cmp_gt_i32 s20, 25
	s_mov_b64 s[10:11], 0
	s_cbranch_scc0 .LBB119_2359
; %bb.2353:
	s_cmp_gt_i32 s20, 28
	s_cbranch_scc0 .LBB119_2360
; %bb.2354:
	s_cmp_gt_i32 s20, 43
	;; [unrolled: 3-line block ×3, first 2 shown]
	s_cbranch_scc0 .LBB119_2363
; %bb.2356:
	s_cmp_eq_u32 s20, 46
	s_mov_b64 s[18:19], 0
	s_cbranch_scc0 .LBB119_2364
; %bb.2357:
	global_load_dword v1, v[19:20], off
	s_mov_b64 s[6:7], 0
	s_mov_b64 s[16:17], -1
	s_waitcnt vmcnt(0)
	v_lshlrev_b32_e32 v1, 16, v1
	v_cvt_i32_f32_e32 v13, v1
	s_branch .LBB119_2365
.LBB119_2358:
	s_mov_b64 s[6:7], -1
	s_mov_b64 s[16:17], 0
                                        ; implicit-def: $vgpr13
	s_branch .LBB119_2427
.LBB119_2359:
	s_mov_b64 s[18:19], -1
	s_mov_b64 s[16:17], 0
	s_mov_b64 s[6:7], 0
                                        ; implicit-def: $vgpr13
	s_branch .LBB119_2392
.LBB119_2360:
	s_mov_b64 s[18:19], -1
	s_mov_b64 s[16:17], 0
	s_mov_b64 s[6:7], 0
                                        ; implicit-def: $vgpr13
	s_branch .LBB119_2375
.LBB119_2361:
	s_mov_b64 s[18:19], -1
	s_mov_b64 s[16:17], 0
	s_mov_b64 s[6:7], 0
                                        ; implicit-def: $vgpr13
	s_branch .LBB119_2370
.LBB119_2362:
	s_trap 2
	s_or_b64 s[4:5], s[4:5], exec
	s_cbranch_execz .LBB119_2299
	s_branch .LBB119_2300
.LBB119_2363:
	s_mov_b64 s[18:19], -1
	s_mov_b64 s[16:17], 0
	s_mov_b64 s[6:7], 0
                                        ; implicit-def: $vgpr13
	s_branch .LBB119_2365
.LBB119_2364:
	s_mov_b64 s[6:7], -1
                                        ; implicit-def: $vgpr13
	s_mov_b64 s[16:17], 0
.LBB119_2365:
	s_and_b64 vcc, exec, s[18:19]
	s_cbranch_vccz .LBB119_2369
; %bb.2366:
	s_cmp_eq_u32 s20, 44
	s_cbranch_scc0 .LBB119_2368
; %bb.2367:
	global_load_ubyte v1, v[19:20], off
	s_mov_b64 s[6:7], 0
	s_mov_b64 s[16:17], -1
	s_waitcnt vmcnt(0)
	v_lshlrev_b32_e32 v3, 23, v1
	v_cvt_i32_f32_e32 v3, v3
	v_cmp_ne_u32_e32 vcc, 0, v1
	v_cndmask_b32_e32 v13, 0, v3, vcc
	s_branch .LBB119_2369
.LBB119_2368:
	s_mov_b64 s[6:7], -1
                                        ; implicit-def: $vgpr13
.LBB119_2369:
	s_mov_b64 s[18:19], 0
.LBB119_2370:
	s_and_b64 vcc, exec, s[18:19]
	s_cbranch_vccz .LBB119_2374
; %bb.2371:
	s_cmp_eq_u32 s20, 29
	s_cbranch_scc0 .LBB119_2373
; %bb.2372:
	global_load_dwordx2 v[13:14], v[19:20], off
	s_mov_b64 s[6:7], 0
	s_mov_b64 s[16:17], -1
	s_branch .LBB119_2374
.LBB119_2373:
	s_mov_b64 s[6:7], -1
                                        ; implicit-def: $vgpr13
.LBB119_2374:
	s_mov_b64 s[18:19], 0
.LBB119_2375:
	s_and_b64 vcc, exec, s[18:19]
	s_cbranch_vccz .LBB119_2391
; %bb.2376:
	s_cmp_lt_i32 s20, 27
	s_cbranch_scc1 .LBB119_2379
; %bb.2377:
	s_cmp_gt_i32 s20, 27
	s_cbranch_scc0 .LBB119_2380
; %bb.2378:
	global_load_dword v13, v[19:20], off
	s_mov_b64 s[16:17], 0
	s_branch .LBB119_2381
.LBB119_2379:
	s_mov_b64 s[16:17], -1
                                        ; implicit-def: $vgpr13
	s_branch .LBB119_2384
.LBB119_2380:
	s_mov_b64 s[16:17], -1
                                        ; implicit-def: $vgpr13
.LBB119_2381:
	s_andn2_b64 vcc, exec, s[16:17]
	s_cbranch_vccnz .LBB119_2383
; %bb.2382:
	global_load_ushort v13, v[19:20], off
.LBB119_2383:
	s_mov_b64 s[16:17], 0
.LBB119_2384:
	s_andn2_b64 vcc, exec, s[16:17]
	s_cbranch_vccnz .LBB119_2390
; %bb.2385:
	global_load_ubyte v1, v[19:20], off
	s_movk_i32 s16, 0x7f
	s_mov_b64 s[18:19], 0
	s_waitcnt vmcnt(0)
	v_cmp_lt_i16_e32 vcc, s16, v1
	s_and_saveexec_b64 s[16:17], vcc
	s_xor_b64 s[16:17], exec, s[16:17]
	s_cbranch_execz .LBB119_2402
; %bb.2386:
	s_movk_i32 s18, 0x80
	v_cmp_ne_u16_e32 vcc, s18, v1
	s_and_b64 s[18:19], vcc, exec
	s_andn2_saveexec_b64 s[16:17], s[16:17]
	s_cbranch_execnz .LBB119_2403
.LBB119_2387:
	s_or_b64 exec, exec, s[16:17]
	v_mov_b32_e32 v13, 0
	s_and_saveexec_b64 s[16:17], s[18:19]
	s_cbranch_execz .LBB119_2389
.LBB119_2388:
	v_lshlrev_b32_e32 v3, 24, v1
	v_and_b32_e32 v1, 0xffff, v1
	v_and_b32_e32 v5, 7, v1
	v_ffbh_u32_e32 v11, v5
	v_min_u32_e32 v11, 32, v11
	v_subrev_u32_e32 v13, 28, v11
	v_bfe_u32 v8, v1, 3, 4
	v_lshlrev_b32_e32 v1, v13, v1
	v_sub_u32_e32 v11, 29, v11
	v_and_b32_e32 v1, 7, v1
	v_cmp_eq_u32_e32 vcc, 0, v8
	v_cndmask_b32_e32 v8, v8, v11, vcc
	v_cndmask_b32_e32 v1, v5, v1, vcc
	v_mov_b32_e32 v5, 0x3b800000
	v_lshlrev_b32_e32 v1, 20, v1
	v_and_b32_e32 v3, 0x80000000, v3
	v_lshl_add_u32 v5, v8, 23, v5
	v_or3_b32 v1, v3, v5, v1
	v_cvt_i32_f32_e32 v13, v1
.LBB119_2389:
	s_or_b64 exec, exec, s[16:17]
.LBB119_2390:
	s_mov_b64 s[16:17], -1
.LBB119_2391:
	s_mov_b64 s[18:19], 0
.LBB119_2392:
	s_and_b64 vcc, exec, s[18:19]
	s_cbranch_vccz .LBB119_2423
; %bb.2393:
	s_cmp_gt_i32 s20, 22
	s_cbranch_scc0 .LBB119_2401
; %bb.2394:
	s_cmp_lt_i32 s20, 24
	s_cbranch_scc1 .LBB119_2404
; %bb.2395:
	s_cmp_gt_i32 s20, 24
	s_cbranch_scc0 .LBB119_2405
; %bb.2396:
	global_load_ubyte v1, v[19:20], off
	s_movk_i32 s10, 0x7f
	s_mov_b64 s[16:17], 0
	s_waitcnt vmcnt(0)
	v_cmp_lt_i16_e32 vcc, s10, v1
	s_and_saveexec_b64 s[10:11], vcc
	s_xor_b64 s[10:11], exec, s[10:11]
	s_cbranch_execz .LBB119_2417
; %bb.2397:
	s_movk_i32 s16, 0x80
	v_cmp_ne_u16_e32 vcc, s16, v1
	s_and_b64 s[16:17], vcc, exec
	s_andn2_saveexec_b64 s[10:11], s[10:11]
	s_cbranch_execnz .LBB119_2418
.LBB119_2398:
	s_or_b64 exec, exec, s[10:11]
	v_mov_b32_e32 v13, 0
	s_and_saveexec_b64 s[10:11], s[16:17]
	s_cbranch_execz .LBB119_2400
.LBB119_2399:
	v_lshlrev_b32_e32 v3, 24, v1
	v_and_b32_e32 v1, 0xffff, v1
	v_and_b32_e32 v5, 3, v1
	v_ffbh_u32_e32 v11, v5
	v_min_u32_e32 v11, 32, v11
	v_subrev_u32_e32 v13, 29, v11
	v_bfe_u32 v8, v1, 2, 5
	v_lshlrev_b32_e32 v1, v13, v1
	v_sub_u32_e32 v11, 30, v11
	v_and_b32_e32 v1, 3, v1
	v_cmp_eq_u32_e32 vcc, 0, v8
	v_cndmask_b32_e32 v8, v8, v11, vcc
	v_cndmask_b32_e32 v1, v5, v1, vcc
	v_mov_b32_e32 v5, 0x37800000
	v_lshlrev_b32_e32 v1, 21, v1
	v_and_b32_e32 v3, 0x80000000, v3
	v_lshl_add_u32 v5, v8, 23, v5
	v_or3_b32 v1, v3, v5, v1
	v_cvt_i32_f32_e32 v13, v1
.LBB119_2400:
	s_or_b64 exec, exec, s[10:11]
	s_mov_b64 s[10:11], 0
	s_branch .LBB119_2406
.LBB119_2401:
	s_mov_b64 s[10:11], -1
                                        ; implicit-def: $vgpr13
	s_branch .LBB119_2412
.LBB119_2402:
	s_andn2_saveexec_b64 s[16:17], s[16:17]
	s_cbranch_execz .LBB119_2387
.LBB119_2403:
	v_cmp_ne_u16_e32 vcc, 0, v1
	s_andn2_b64 s[18:19], s[18:19], exec
	s_and_b64 s[24:25], vcc, exec
	s_or_b64 s[18:19], s[18:19], s[24:25]
	s_or_b64 exec, exec, s[16:17]
	v_mov_b32_e32 v13, 0
	s_and_saveexec_b64 s[16:17], s[18:19]
	s_cbranch_execnz .LBB119_2388
	s_branch .LBB119_2389
.LBB119_2404:
	s_mov_b64 s[10:11], -1
                                        ; implicit-def: $vgpr13
	s_branch .LBB119_2409
.LBB119_2405:
	s_mov_b64 s[10:11], -1
                                        ; implicit-def: $vgpr13
.LBB119_2406:
	s_and_b64 vcc, exec, s[10:11]
	s_cbranch_vccz .LBB119_2408
; %bb.2407:
	global_load_ubyte v1, v[19:20], off
	s_mov_b32 s10, 0x7f800000
	s_waitcnt vmcnt(0)
	v_lshlrev_b32_e32 v1, 24, v1
	v_and_b32_e32 v3, 0x7f000000, v1
	v_ffbh_u32_e32 v5, v3
	v_min_u32_e32 v5, 32, v5
	v_sub_u32_e64 v5, v5, 4 clamp
	v_lshlrev_b32_e32 v11, v5, v3
	v_lshlrev_b32_e32 v5, 23, v5
	v_lshrrev_b32_e32 v11, 4, v11
	v_add_u32_e32 v8, 0x1000000, v3
	v_sub_u32_e32 v5, v11, v5
	v_ashrrev_i32_e32 v8, 8, v8
	v_add_u32_e32 v5, 0x3c000000, v5
	v_and_or_b32 v5, v8, s10, v5
	v_cmp_ne_u32_e32 vcc, 0, v3
	v_cndmask_b32_e32 v3, 0, v5, vcc
	s_brev_b32 s10, 1
	v_and_or_b32 v1, v1, s10, v3
	v_cvt_i32_f32_e32 v13, v1
.LBB119_2408:
	s_mov_b64 s[10:11], 0
.LBB119_2409:
	s_andn2_b64 vcc, exec, s[10:11]
	s_cbranch_vccnz .LBB119_2411
; %bb.2410:
	global_load_ubyte v1, v[19:20], off
	s_movk_i32 s10, 0x7f00
	s_brev_b32 s11, 16
	s_waitcnt vmcnt(0)
	v_lshlrev_b16_e32 v3, 8, v1
	v_lshlrev_b32_e32 v1, 25, v1
	v_lshrrev_b32_e32 v5, 4, v1
	v_and_or_b32 v8, v3, s10, 0.5
	v_or_b32_e32 v5, 0x70000000, v5
	v_add_f32_e32 v8, -0.5, v8
	v_mul_f32_e32 v5, 0x7800000, v5
	v_cmp_gt_u32_e32 vcc, s11, v1
	v_bfe_i32 v3, v3, 0, 16
	v_cndmask_b32_e32 v1, v5, v8, vcc
	s_brev_b32 s10, 1
	v_and_or_b32 v1, v3, s10, v1
	v_cvt_i32_f32_e32 v13, v1
.LBB119_2411:
	s_mov_b64 s[10:11], 0
	s_mov_b64 s[16:17], -1
.LBB119_2412:
	s_andn2_b64 vcc, exec, s[10:11]
	s_mov_b64 s[10:11], 0
	s_cbranch_vccnz .LBB119_2423
; %bb.2413:
	s_cmp_gt_i32 s20, 14
	s_cbranch_scc0 .LBB119_2416
; %bb.2414:
	s_cmp_eq_u32 s20, 15
	s_cbranch_scc0 .LBB119_2419
; %bb.2415:
	global_load_ushort v1, v[19:20], off
	s_mov_b64 s[6:7], 0
	s_mov_b64 s[16:17], -1
	s_waitcnt vmcnt(0)
	v_lshlrev_b32_e32 v1, 16, v1
	v_cvt_i32_f32_e32 v13, v1
	s_branch .LBB119_2420
.LBB119_2416:
	s_mov_b64 s[18:19], -1
                                        ; implicit-def: $vgpr13
	s_branch .LBB119_2421
.LBB119_2417:
	s_andn2_saveexec_b64 s[10:11], s[10:11]
	s_cbranch_execz .LBB119_2398
.LBB119_2418:
	v_cmp_ne_u16_e32 vcc, 0, v1
	s_andn2_b64 s[16:17], s[16:17], exec
	s_and_b64 s[18:19], vcc, exec
	s_or_b64 s[16:17], s[16:17], s[18:19]
	s_or_b64 exec, exec, s[10:11]
	v_mov_b32_e32 v13, 0
	s_and_saveexec_b64 s[10:11], s[16:17]
	s_cbranch_execnz .LBB119_2399
	s_branch .LBB119_2400
.LBB119_2419:
	s_mov_b64 s[6:7], -1
                                        ; implicit-def: $vgpr13
.LBB119_2420:
	s_mov_b64 s[18:19], 0
.LBB119_2421:
	s_and_b64 vcc, exec, s[18:19]
	s_cbranch_vccz .LBB119_2423
; %bb.2422:
	s_cmp_lg_u32 s20, 11
	s_mov_b64 s[10:11], -1
	s_cselect_b64 s[6:7], -1, 0
.LBB119_2423:
	s_and_b64 vcc, exec, s[6:7]
	s_cbranch_vccnz .LBB119_2488
; %bb.2424:
	s_andn2_b64 vcc, exec, s[10:11]
	s_cbranch_vccnz .LBB119_2426
.LBB119_2425:
	global_load_ubyte v1, v[19:20], off
	s_mov_b64 s[16:17], -1
	s_waitcnt vmcnt(0)
	v_cmp_ne_u16_e32 vcc, 0, v1
	v_cndmask_b32_e64 v13, 0, 1, vcc
.LBB119_2426:
	s_mov_b64 s[6:7], 0
.LBB119_2427:
	s_and_b64 vcc, exec, s[6:7]
	s_cbranch_vccz .LBB119_2476
; %bb.2428:
	s_and_b32 s10, 0xffff, s22
	s_cmp_lt_i32 s10, 5
	s_cbranch_scc1 .LBB119_2433
; %bb.2429:
	s_cmp_lt_i32 s10, 8
	s_cbranch_scc1 .LBB119_2434
; %bb.2430:
	;; [unrolled: 3-line block ×3, first 2 shown]
	s_cmp_gt_i32 s10, 9
	s_cbranch_scc0 .LBB119_2436
; %bb.2432:
	global_load_dwordx2 v[13:14], v[19:20], off
	s_mov_b64 s[6:7], 0
	s_waitcnt vmcnt(0)
	v_cvt_i32_f64_e32 v13, v[13:14]
	s_branch .LBB119_2437
.LBB119_2433:
	s_mov_b64 s[6:7], -1
                                        ; implicit-def: $vgpr13
	s_branch .LBB119_2455
.LBB119_2434:
	s_mov_b64 s[6:7], -1
                                        ; implicit-def: $vgpr13
	s_branch .LBB119_2443
.LBB119_2435:
	s_mov_b64 s[6:7], -1
                                        ; implicit-def: $vgpr13
	s_branch .LBB119_2440
.LBB119_2436:
	s_mov_b64 s[6:7], -1
                                        ; implicit-def: $vgpr13
.LBB119_2437:
	s_andn2_b64 vcc, exec, s[6:7]
	s_cbranch_vccnz .LBB119_2439
; %bb.2438:
	global_load_dword v1, v[19:20], off
	s_waitcnt vmcnt(0)
	v_cvt_i32_f32_e32 v13, v1
.LBB119_2439:
	s_mov_b64 s[6:7], 0
.LBB119_2440:
	s_andn2_b64 vcc, exec, s[6:7]
	s_cbranch_vccnz .LBB119_2442
; %bb.2441:
	global_load_dword v1, v[19:20], off
	s_waitcnt vmcnt(0)
	v_cvt_i16_f16_e32 v13, v1
.LBB119_2442:
	s_mov_b64 s[6:7], 0
.LBB119_2443:
	s_andn2_b64 vcc, exec, s[6:7]
	s_cbranch_vccnz .LBB119_2454
; %bb.2444:
	s_cmp_lt_i32 s10, 6
	s_cbranch_scc1 .LBB119_2447
; %bb.2445:
	s_cmp_gt_i32 s10, 6
	s_cbranch_scc0 .LBB119_2448
; %bb.2446:
	global_load_dwordx2 v[13:14], v[19:20], off
	s_mov_b64 s[6:7], 0
	s_waitcnt vmcnt(0)
	v_cvt_i32_f64_e32 v13, v[13:14]
	s_branch .LBB119_2449
.LBB119_2447:
	s_mov_b64 s[6:7], -1
                                        ; implicit-def: $vgpr13
	s_branch .LBB119_2452
.LBB119_2448:
	s_mov_b64 s[6:7], -1
                                        ; implicit-def: $vgpr13
.LBB119_2449:
	s_andn2_b64 vcc, exec, s[6:7]
	s_cbranch_vccnz .LBB119_2451
; %bb.2450:
	global_load_dword v1, v[19:20], off
	s_waitcnt vmcnt(0)
	v_cvt_i32_f32_e32 v13, v1
.LBB119_2451:
	s_mov_b64 s[6:7], 0
.LBB119_2452:
	s_andn2_b64 vcc, exec, s[6:7]
	s_cbranch_vccnz .LBB119_2454
; %bb.2453:
	global_load_ushort v1, v[19:20], off
	s_waitcnt vmcnt(0)
	v_cvt_i16_f16_e32 v13, v1
.LBB119_2454:
	s_mov_b64 s[6:7], 0
.LBB119_2455:
	s_andn2_b64 vcc, exec, s[6:7]
	s_cbranch_vccnz .LBB119_2475
; %bb.2456:
	s_cmp_lt_i32 s10, 2
	s_cbranch_scc1 .LBB119_2460
; %bb.2457:
	s_cmp_lt_i32 s10, 3
	s_cbranch_scc1 .LBB119_2461
; %bb.2458:
	s_cmp_gt_i32 s10, 3
	s_cbranch_scc0 .LBB119_2462
; %bb.2459:
	global_load_dwordx2 v[13:14], v[19:20], off
	s_mov_b64 s[6:7], 0
	s_branch .LBB119_2463
.LBB119_2460:
	s_mov_b64 s[6:7], -1
                                        ; implicit-def: $vgpr13
	s_branch .LBB119_2469
.LBB119_2461:
	s_mov_b64 s[6:7], -1
                                        ; implicit-def: $vgpr13
	s_branch .LBB119_2466
.LBB119_2462:
	s_mov_b64 s[6:7], -1
                                        ; implicit-def: $vgpr13
.LBB119_2463:
	s_andn2_b64 vcc, exec, s[6:7]
	s_cbranch_vccnz .LBB119_2465
; %bb.2464:
	global_load_dword v13, v[19:20], off
.LBB119_2465:
	s_mov_b64 s[6:7], 0
.LBB119_2466:
	s_andn2_b64 vcc, exec, s[6:7]
	s_cbranch_vccnz .LBB119_2468
; %bb.2467:
	global_load_ushort v13, v[19:20], off
.LBB119_2468:
	s_mov_b64 s[6:7], 0
.LBB119_2469:
	s_andn2_b64 vcc, exec, s[6:7]
	s_cbranch_vccnz .LBB119_2475
; %bb.2470:
	s_cmp_gt_i32 s10, 0
	s_cbranch_scc0 .LBB119_2472
; %bb.2471:
	global_load_sbyte v13, v[19:20], off
	s_mov_b64 s[6:7], 0
	s_branch .LBB119_2473
.LBB119_2472:
	s_mov_b64 s[6:7], -1
                                        ; implicit-def: $vgpr13
.LBB119_2473:
	s_andn2_b64 vcc, exec, s[6:7]
	s_cbranch_vccnz .LBB119_2475
; %bb.2474:
	global_load_ubyte v13, v[19:20], off
.LBB119_2475:
	s_mov_b64 s[16:17], -1
.LBB119_2476:
	s_andn2_b64 vcc, exec, s[16:17]
	s_cbranch_vccnz .LBB119_3036
; %bb.2477:
	v_mov_b32_e32 v1, s1
	v_add_co_u32_e32 v19, vcc, s0, v9
	s_cmp_lt_i32 s23, 11
	v_addc_co_u32_e32 v20, vcc, 0, v1, vcc
	s_cbranch_scc1 .LBB119_2484
; %bb.2478:
	s_and_b32 s18, 0xffff, s23
	s_cmp_gt_i32 s18, 25
	s_mov_b64 s[6:7], 0
	s_cbranch_scc0 .LBB119_2485
; %bb.2479:
	s_cmp_gt_i32 s18, 28
	s_cbranch_scc0 .LBB119_2486
; %bb.2480:
	s_cmp_gt_i32 s18, 43
	;; [unrolled: 3-line block ×3, first 2 shown]
	s_cbranch_scc0 .LBB119_2489
; %bb.2482:
	s_cmp_eq_u32 s18, 46
	s_mov_b64 s[16:17], 0
	s_cbranch_scc0 .LBB119_2490
; %bb.2483:
	global_load_dword v1, v[19:20], off
	s_mov_b64 s[0:1], 0
	s_mov_b64 s[10:11], -1
	s_waitcnt vmcnt(0)
	v_lshlrev_b32_e32 v1, 16, v1
	v_cvt_i32_f32_e32 v8, v1
	s_branch .LBB119_2491
.LBB119_2484:
	s_mov_b64 s[0:1], -1
	s_mov_b64 s[10:11], 0
                                        ; implicit-def: $vgpr8
	s_branch .LBB119_2553
.LBB119_2485:
	s_mov_b64 s[16:17], -1
	s_mov_b64 s[10:11], 0
	s_mov_b64 s[0:1], 0
                                        ; implicit-def: $vgpr8
	s_branch .LBB119_2518
.LBB119_2486:
	s_mov_b64 s[16:17], -1
	s_mov_b64 s[10:11], 0
	s_mov_b64 s[0:1], 0
                                        ; implicit-def: $vgpr8
	s_branch .LBB119_2501
.LBB119_2487:
	s_mov_b64 s[16:17], -1
	s_mov_b64 s[10:11], 0
	s_mov_b64 s[0:1], 0
                                        ; implicit-def: $vgpr8
	s_branch .LBB119_2496
.LBB119_2488:
	s_trap 2
	s_or_b64 s[4:5], s[4:5], exec
	s_cbranch_execz .LBB119_2425
	s_branch .LBB119_2426
.LBB119_2489:
	s_mov_b64 s[16:17], -1
	s_mov_b64 s[10:11], 0
	s_mov_b64 s[0:1], 0
                                        ; implicit-def: $vgpr8
	s_branch .LBB119_2491
.LBB119_2490:
	s_mov_b64 s[0:1], -1
                                        ; implicit-def: $vgpr8
	s_mov_b64 s[10:11], 0
.LBB119_2491:
	s_and_b64 vcc, exec, s[16:17]
	s_cbranch_vccz .LBB119_2495
; %bb.2492:
	s_cmp_eq_u32 s18, 44
	s_cbranch_scc0 .LBB119_2494
; %bb.2493:
	global_load_ubyte v1, v[19:20], off
	s_mov_b64 s[0:1], 0
	s_mov_b64 s[10:11], -1
	s_waitcnt vmcnt(0)
	v_lshlrev_b32_e32 v3, 23, v1
	v_cvt_i32_f32_e32 v3, v3
	v_cmp_ne_u32_e32 vcc, 0, v1
	v_cndmask_b32_e32 v8, 0, v3, vcc
	s_branch .LBB119_2495
.LBB119_2494:
	s_mov_b64 s[0:1], -1
                                        ; implicit-def: $vgpr8
.LBB119_2495:
	s_mov_b64 s[16:17], 0
.LBB119_2496:
	s_and_b64 vcc, exec, s[16:17]
	s_cbranch_vccz .LBB119_2500
; %bb.2497:
	s_cmp_eq_u32 s18, 29
	s_cbranch_scc0 .LBB119_2499
; %bb.2498:
	global_load_dwordx2 v[8:9], v[19:20], off
	s_mov_b64 s[0:1], 0
	s_mov_b64 s[10:11], -1
	s_branch .LBB119_2500
.LBB119_2499:
	s_mov_b64 s[0:1], -1
                                        ; implicit-def: $vgpr8
.LBB119_2500:
	s_mov_b64 s[16:17], 0
.LBB119_2501:
	s_and_b64 vcc, exec, s[16:17]
	s_cbranch_vccz .LBB119_2517
; %bb.2502:
	s_cmp_lt_i32 s18, 27
	s_cbranch_scc1 .LBB119_2505
; %bb.2503:
	s_cmp_gt_i32 s18, 27
	s_cbranch_scc0 .LBB119_2506
; %bb.2504:
	global_load_dword v8, v[19:20], off
	s_mov_b64 s[10:11], 0
	s_branch .LBB119_2507
.LBB119_2505:
	s_mov_b64 s[10:11], -1
                                        ; implicit-def: $vgpr8
	s_branch .LBB119_2510
.LBB119_2506:
	s_mov_b64 s[10:11], -1
                                        ; implicit-def: $vgpr8
.LBB119_2507:
	s_andn2_b64 vcc, exec, s[10:11]
	s_cbranch_vccnz .LBB119_2509
; %bb.2508:
	global_load_ushort v8, v[19:20], off
.LBB119_2509:
	s_mov_b64 s[10:11], 0
.LBB119_2510:
	s_andn2_b64 vcc, exec, s[10:11]
	s_cbranch_vccnz .LBB119_2516
; %bb.2511:
	global_load_ubyte v1, v[19:20], off
	s_movk_i32 s10, 0x7f
	s_mov_b64 s[16:17], 0
	s_waitcnt vmcnt(0)
	v_cmp_lt_i16_e32 vcc, s10, v1
	s_and_saveexec_b64 s[10:11], vcc
	s_xor_b64 s[10:11], exec, s[10:11]
	s_cbranch_execz .LBB119_2528
; %bb.2512:
	s_movk_i32 s16, 0x80
	v_cmp_ne_u16_e32 vcc, s16, v1
	s_and_b64 s[16:17], vcc, exec
	s_andn2_saveexec_b64 s[10:11], s[10:11]
	s_cbranch_execnz .LBB119_2529
.LBB119_2513:
	s_or_b64 exec, exec, s[10:11]
	v_mov_b32_e32 v8, 0
	s_and_saveexec_b64 s[10:11], s[16:17]
	s_cbranch_execz .LBB119_2515
.LBB119_2514:
	v_lshlrev_b32_e32 v3, 24, v1
	v_and_b32_e32 v1, 0xffff, v1
	v_and_b32_e32 v5, 7, v1
	v_ffbh_u32_e32 v9, v5
	v_min_u32_e32 v9, 32, v9
	v_subrev_u32_e32 v11, 28, v9
	v_bfe_u32 v8, v1, 3, 4
	v_lshlrev_b32_e32 v1, v11, v1
	v_sub_u32_e32 v9, 29, v9
	v_and_b32_e32 v1, 7, v1
	v_cmp_eq_u32_e32 vcc, 0, v8
	v_cndmask_b32_e32 v8, v8, v9, vcc
	v_cndmask_b32_e32 v1, v5, v1, vcc
	v_mov_b32_e32 v5, 0x3b800000
	v_lshlrev_b32_e32 v1, 20, v1
	v_and_b32_e32 v3, 0x80000000, v3
	v_lshl_add_u32 v5, v8, 23, v5
	v_or3_b32 v1, v3, v5, v1
	v_cvt_i32_f32_e32 v8, v1
.LBB119_2515:
	s_or_b64 exec, exec, s[10:11]
.LBB119_2516:
	s_mov_b64 s[10:11], -1
.LBB119_2517:
	s_mov_b64 s[16:17], 0
.LBB119_2518:
	s_and_b64 vcc, exec, s[16:17]
	s_cbranch_vccz .LBB119_2549
; %bb.2519:
	s_cmp_gt_i32 s18, 22
	s_cbranch_scc0 .LBB119_2527
; %bb.2520:
	s_cmp_lt_i32 s18, 24
	s_cbranch_scc1 .LBB119_2530
; %bb.2521:
	s_cmp_gt_i32 s18, 24
	s_cbranch_scc0 .LBB119_2531
; %bb.2522:
	global_load_ubyte v1, v[19:20], off
	s_movk_i32 s6, 0x7f
	s_mov_b64 s[10:11], 0
	s_waitcnt vmcnt(0)
	v_cmp_lt_i16_e32 vcc, s6, v1
	s_and_saveexec_b64 s[6:7], vcc
	s_xor_b64 s[6:7], exec, s[6:7]
	s_cbranch_execz .LBB119_2543
; %bb.2523:
	s_movk_i32 s10, 0x80
	v_cmp_ne_u16_e32 vcc, s10, v1
	s_and_b64 s[10:11], vcc, exec
	s_andn2_saveexec_b64 s[6:7], s[6:7]
	s_cbranch_execnz .LBB119_2544
.LBB119_2524:
	s_or_b64 exec, exec, s[6:7]
	v_mov_b32_e32 v8, 0
	s_and_saveexec_b64 s[6:7], s[10:11]
	s_cbranch_execz .LBB119_2526
.LBB119_2525:
	v_lshlrev_b32_e32 v3, 24, v1
	v_and_b32_e32 v1, 0xffff, v1
	v_and_b32_e32 v5, 3, v1
	v_ffbh_u32_e32 v9, v5
	v_min_u32_e32 v9, 32, v9
	v_subrev_u32_e32 v11, 29, v9
	v_bfe_u32 v8, v1, 2, 5
	v_lshlrev_b32_e32 v1, v11, v1
	v_sub_u32_e32 v9, 30, v9
	v_and_b32_e32 v1, 3, v1
	v_cmp_eq_u32_e32 vcc, 0, v8
	v_cndmask_b32_e32 v8, v8, v9, vcc
	v_cndmask_b32_e32 v1, v5, v1, vcc
	v_mov_b32_e32 v5, 0x37800000
	v_lshlrev_b32_e32 v1, 21, v1
	v_and_b32_e32 v3, 0x80000000, v3
	v_lshl_add_u32 v5, v8, 23, v5
	v_or3_b32 v1, v3, v5, v1
	v_cvt_i32_f32_e32 v8, v1
.LBB119_2526:
	s_or_b64 exec, exec, s[6:7]
	s_mov_b64 s[6:7], 0
	s_branch .LBB119_2532
.LBB119_2527:
	s_mov_b64 s[6:7], -1
                                        ; implicit-def: $vgpr8
	s_branch .LBB119_2538
.LBB119_2528:
	s_andn2_saveexec_b64 s[10:11], s[10:11]
	s_cbranch_execz .LBB119_2513
.LBB119_2529:
	v_cmp_ne_u16_e32 vcc, 0, v1
	s_andn2_b64 s[16:17], s[16:17], exec
	s_and_b64 s[20:21], vcc, exec
	s_or_b64 s[16:17], s[16:17], s[20:21]
	s_or_b64 exec, exec, s[10:11]
	v_mov_b32_e32 v8, 0
	s_and_saveexec_b64 s[10:11], s[16:17]
	s_cbranch_execnz .LBB119_2514
	s_branch .LBB119_2515
.LBB119_2530:
	s_mov_b64 s[6:7], -1
                                        ; implicit-def: $vgpr8
	s_branch .LBB119_2535
.LBB119_2531:
	s_mov_b64 s[6:7], -1
                                        ; implicit-def: $vgpr8
.LBB119_2532:
	s_and_b64 vcc, exec, s[6:7]
	s_cbranch_vccz .LBB119_2534
; %bb.2533:
	global_load_ubyte v1, v[19:20], off
	s_mov_b32 s6, 0x7f800000
	s_waitcnt vmcnt(0)
	v_lshlrev_b32_e32 v1, 24, v1
	v_and_b32_e32 v3, 0x7f000000, v1
	v_ffbh_u32_e32 v5, v3
	v_min_u32_e32 v5, 32, v5
	v_sub_u32_e64 v5, v5, 4 clamp
	v_lshlrev_b32_e32 v9, v5, v3
	v_lshlrev_b32_e32 v5, 23, v5
	v_lshrrev_b32_e32 v9, 4, v9
	v_add_u32_e32 v8, 0x1000000, v3
	v_sub_u32_e32 v5, v9, v5
	v_ashrrev_i32_e32 v8, 8, v8
	v_add_u32_e32 v5, 0x3c000000, v5
	v_and_or_b32 v5, v8, s6, v5
	v_cmp_ne_u32_e32 vcc, 0, v3
	v_cndmask_b32_e32 v3, 0, v5, vcc
	s_brev_b32 s6, 1
	v_and_or_b32 v1, v1, s6, v3
	v_cvt_i32_f32_e32 v8, v1
.LBB119_2534:
	s_mov_b64 s[6:7], 0
.LBB119_2535:
	s_andn2_b64 vcc, exec, s[6:7]
	s_cbranch_vccnz .LBB119_2537
; %bb.2536:
	global_load_ubyte v1, v[19:20], off
	s_movk_i32 s6, 0x7f00
	s_brev_b32 s7, 16
	s_waitcnt vmcnt(0)
	v_lshlrev_b16_e32 v3, 8, v1
	v_lshlrev_b32_e32 v1, 25, v1
	v_lshrrev_b32_e32 v5, 4, v1
	v_and_or_b32 v8, v3, s6, 0.5
	v_or_b32_e32 v5, 0x70000000, v5
	v_add_f32_e32 v8, -0.5, v8
	v_mul_f32_e32 v5, 0x7800000, v5
	v_cmp_gt_u32_e32 vcc, s7, v1
	v_bfe_i32 v3, v3, 0, 16
	v_cndmask_b32_e32 v1, v5, v8, vcc
	s_brev_b32 s6, 1
	v_and_or_b32 v1, v3, s6, v1
	v_cvt_i32_f32_e32 v8, v1
.LBB119_2537:
	s_mov_b64 s[6:7], 0
	s_mov_b64 s[10:11], -1
.LBB119_2538:
	s_andn2_b64 vcc, exec, s[6:7]
	s_mov_b64 s[6:7], 0
	s_cbranch_vccnz .LBB119_2549
; %bb.2539:
	s_cmp_gt_i32 s18, 14
	s_cbranch_scc0 .LBB119_2542
; %bb.2540:
	s_cmp_eq_u32 s18, 15
	s_cbranch_scc0 .LBB119_2545
; %bb.2541:
	global_load_ushort v1, v[19:20], off
	s_mov_b64 s[0:1], 0
	s_mov_b64 s[10:11], -1
	s_waitcnt vmcnt(0)
	v_lshlrev_b32_e32 v1, 16, v1
	v_cvt_i32_f32_e32 v8, v1
	s_branch .LBB119_2546
.LBB119_2542:
	s_mov_b64 s[16:17], -1
                                        ; implicit-def: $vgpr8
	s_branch .LBB119_2547
.LBB119_2543:
	s_andn2_saveexec_b64 s[6:7], s[6:7]
	s_cbranch_execz .LBB119_2524
.LBB119_2544:
	v_cmp_ne_u16_e32 vcc, 0, v1
	s_andn2_b64 s[10:11], s[10:11], exec
	s_and_b64 s[16:17], vcc, exec
	s_or_b64 s[10:11], s[10:11], s[16:17]
	s_or_b64 exec, exec, s[6:7]
	v_mov_b32_e32 v8, 0
	s_and_saveexec_b64 s[6:7], s[10:11]
	s_cbranch_execnz .LBB119_2525
	s_branch .LBB119_2526
.LBB119_2545:
	s_mov_b64 s[0:1], -1
                                        ; implicit-def: $vgpr8
.LBB119_2546:
	s_mov_b64 s[16:17], 0
.LBB119_2547:
	s_and_b64 vcc, exec, s[16:17]
	s_cbranch_vccz .LBB119_2549
; %bb.2548:
	s_cmp_lg_u32 s18, 11
	s_mov_b64 s[6:7], -1
	s_cselect_b64 s[0:1], -1, 0
.LBB119_2549:
	s_and_b64 vcc, exec, s[0:1]
	s_cbranch_vccnz .LBB119_3082
; %bb.2550:
	s_andn2_b64 vcc, exec, s[6:7]
	s_cbranch_vccnz .LBB119_2552
.LBB119_2551:
	global_load_ubyte v1, v[19:20], off
	s_mov_b64 s[10:11], -1
	s_waitcnt vmcnt(0)
	v_cmp_ne_u16_e32 vcc, 0, v1
	v_cndmask_b32_e64 v8, 0, 1, vcc
.LBB119_2552:
	s_mov_b64 s[0:1], 0
.LBB119_2553:
	s_and_b64 vcc, exec, s[0:1]
	s_cbranch_vccz .LBB119_2602
; %bb.2554:
	s_and_b32 s6, 0xffff, s23
	s_cmp_lt_i32 s6, 5
	s_cbranch_scc1 .LBB119_2559
; %bb.2555:
	s_cmp_lt_i32 s6, 8
	s_cbranch_scc1 .LBB119_2560
; %bb.2556:
	;; [unrolled: 3-line block ×3, first 2 shown]
	s_cmp_gt_i32 s6, 9
	s_cbranch_scc0 .LBB119_2562
; %bb.2558:
	global_load_dwordx2 v[8:9], v[19:20], off
	s_mov_b64 s[0:1], 0
	s_waitcnt vmcnt(0)
	v_cvt_i32_f64_e32 v8, v[8:9]
	s_branch .LBB119_2563
.LBB119_2559:
	s_mov_b64 s[0:1], -1
                                        ; implicit-def: $vgpr8
	s_branch .LBB119_2581
.LBB119_2560:
	s_mov_b64 s[0:1], -1
                                        ; implicit-def: $vgpr8
	s_branch .LBB119_2569
.LBB119_2561:
	s_mov_b64 s[0:1], -1
                                        ; implicit-def: $vgpr8
	s_branch .LBB119_2566
.LBB119_2562:
	s_mov_b64 s[0:1], -1
                                        ; implicit-def: $vgpr8
.LBB119_2563:
	s_andn2_b64 vcc, exec, s[0:1]
	s_cbranch_vccnz .LBB119_2565
; %bb.2564:
	global_load_dword v1, v[19:20], off
	s_waitcnt vmcnt(0)
	v_cvt_i32_f32_e32 v8, v1
.LBB119_2565:
	s_mov_b64 s[0:1], 0
.LBB119_2566:
	s_andn2_b64 vcc, exec, s[0:1]
	s_cbranch_vccnz .LBB119_2568
; %bb.2567:
	global_load_dword v1, v[19:20], off
	s_waitcnt vmcnt(0)
	v_cvt_i16_f16_e32 v8, v1
.LBB119_2568:
	s_mov_b64 s[0:1], 0
.LBB119_2569:
	s_andn2_b64 vcc, exec, s[0:1]
	s_cbranch_vccnz .LBB119_2580
; %bb.2570:
	s_cmp_lt_i32 s6, 6
	s_cbranch_scc1 .LBB119_2573
; %bb.2571:
	s_cmp_gt_i32 s6, 6
	s_cbranch_scc0 .LBB119_2574
; %bb.2572:
	global_load_dwordx2 v[8:9], v[19:20], off
	s_mov_b64 s[0:1], 0
	s_waitcnt vmcnt(0)
	v_cvt_i32_f64_e32 v8, v[8:9]
	s_branch .LBB119_2575
.LBB119_2573:
	s_mov_b64 s[0:1], -1
                                        ; implicit-def: $vgpr8
	s_branch .LBB119_2578
.LBB119_2574:
	s_mov_b64 s[0:1], -1
                                        ; implicit-def: $vgpr8
.LBB119_2575:
	s_andn2_b64 vcc, exec, s[0:1]
	s_cbranch_vccnz .LBB119_2577
; %bb.2576:
	global_load_dword v1, v[19:20], off
	s_waitcnt vmcnt(0)
	v_cvt_i32_f32_e32 v8, v1
.LBB119_2577:
	s_mov_b64 s[0:1], 0
.LBB119_2578:
	s_andn2_b64 vcc, exec, s[0:1]
	s_cbranch_vccnz .LBB119_2580
; %bb.2579:
	global_load_ushort v1, v[19:20], off
	s_waitcnt vmcnt(0)
	v_cvt_i16_f16_e32 v8, v1
.LBB119_2580:
	s_mov_b64 s[0:1], 0
.LBB119_2581:
	s_andn2_b64 vcc, exec, s[0:1]
	s_cbranch_vccnz .LBB119_2601
; %bb.2582:
	s_cmp_lt_i32 s6, 2
	s_cbranch_scc1 .LBB119_2586
; %bb.2583:
	s_cmp_lt_i32 s6, 3
	s_cbranch_scc1 .LBB119_2587
; %bb.2584:
	s_cmp_gt_i32 s6, 3
	s_cbranch_scc0 .LBB119_2588
; %bb.2585:
	global_load_dwordx2 v[8:9], v[19:20], off
	s_mov_b64 s[0:1], 0
	s_branch .LBB119_2589
.LBB119_2586:
	s_mov_b64 s[0:1], -1
                                        ; implicit-def: $vgpr8
	s_branch .LBB119_2595
.LBB119_2587:
	s_mov_b64 s[0:1], -1
                                        ; implicit-def: $vgpr8
	s_branch .LBB119_2592
.LBB119_2588:
	s_mov_b64 s[0:1], -1
                                        ; implicit-def: $vgpr8
.LBB119_2589:
	s_andn2_b64 vcc, exec, s[0:1]
	s_cbranch_vccnz .LBB119_2591
; %bb.2590:
	global_load_dword v8, v[19:20], off
.LBB119_2591:
	s_mov_b64 s[0:1], 0
.LBB119_2592:
	s_andn2_b64 vcc, exec, s[0:1]
	s_cbranch_vccnz .LBB119_2594
; %bb.2593:
	global_load_ushort v8, v[19:20], off
.LBB119_2594:
	s_mov_b64 s[0:1], 0
.LBB119_2595:
	s_andn2_b64 vcc, exec, s[0:1]
	s_cbranch_vccnz .LBB119_2601
; %bb.2596:
	s_cmp_gt_i32 s6, 0
	s_cbranch_scc0 .LBB119_2598
; %bb.2597:
	global_load_sbyte v8, v[19:20], off
	s_mov_b64 s[0:1], 0
	s_branch .LBB119_2599
.LBB119_2598:
	s_mov_b64 s[0:1], -1
                                        ; implicit-def: $vgpr8
.LBB119_2599:
	s_andn2_b64 vcc, exec, s[0:1]
	s_cbranch_vccnz .LBB119_2601
; %bb.2600:
	global_load_ubyte v8, v[19:20], off
.LBB119_2601:
	s_mov_b64 s[10:11], -1
.LBB119_2602:
	s_andn2_b64 vcc, exec, s[10:11]
	s_cbranch_vccnz .LBB119_3036
; %bb.2603:
	s_load_dwordx2 s[2:3], s[2:3], 0x1a0
	v_mov_b32_e32 v3, s9
	s_waitcnt lgkmcnt(0)
	s_lshr_b32 s21, s2, 16
	v_mov_b32_e32 v1, s21
	v_cmp_lt_i16_e32 vcc, s2, v7
	s_and_b32 s20, s3, 0xff
	v_cndmask_b32_e32 v1, v1, v12, vcc
	v_add_co_u32_e32 v5, vcc, s8, v6
	s_cmp_lt_i32 s20, 11
	v_addc_co_u32_e32 v6, vcc, 0, v3, vcc
	s_cbranch_scc1 .LBB119_2681
; %bb.2604:
	s_and_b32 s3, 0xffff, s20
	s_mov_b64 s[16:17], -1
	s_mov_b64 s[6:7], 0
	s_cmp_gt_i32 s3, 25
	s_mov_b64 s[10:11], 0
	s_mov_b64 s[0:1], 0
	s_cbranch_scc0 .LBB119_2637
; %bb.2605:
	s_cmp_gt_i32 s3, 28
	s_cbranch_scc0 .LBB119_2620
; %bb.2606:
	s_cmp_gt_i32 s3, 43
	;; [unrolled: 3-line block ×3, first 2 shown]
	s_cbranch_scc0 .LBB119_2610
; %bb.2608:
	s_mov_b64 s[0:1], -1
	s_mov_b64 s[16:17], 0
	s_cmp_eq_u32 s3, 46
	s_cbranch_scc0 .LBB119_2610
; %bb.2609:
	v_cvt_f32_i32_sdwa v3, sext(v1) dst_sel:DWORD dst_unused:UNUSED_PAD src0_sel:WORD_0
	s_movk_i32 s10, 0x7fff
	s_mov_b64 s[0:1], 0
	v_bfe_u32 v7, v3, 16, 1
	v_add3_u32 v3, v3, v7, s10
	v_lshrrev_b32_e32 v3, 16, v3
	global_store_dword v[5:6], v3, off
	s_mov_b64 s[10:11], -1
.LBB119_2610:
	s_and_b64 vcc, exec, s[16:17]
	s_cbranch_vccz .LBB119_2615
; %bb.2611:
	s_cmp_eq_u32 s3, 44
	s_mov_b64 s[0:1], -1
	s_cbranch_scc0 .LBB119_2615
; %bb.2612:
	v_cvt_f32_i32_sdwa v3, sext(v1) dst_sel:DWORD dst_unused:UNUSED_PAD src0_sel:WORD_0
	s_movk_i32 s0, 0xff
	s_waitcnt vmcnt(0)
	v_mov_b32_e32 v9, 0xff
	v_bfe_u32 v7, v3, 23, 8
	v_cmp_ne_u32_e32 vcc, s0, v7
	s_and_saveexec_b64 s[10:11], vcc
; %bb.2613:
	s_mov_b32 s0, 0x3fffff
	v_lshrrev_b32_e32 v9, 23, v3
	v_and_b32_e32 v11, 0x400000, v3
	v_and_or_b32 v3, v3, s0, v7
	v_cmp_ne_u32_e32 vcc, 0, v11
	v_cmp_ne_u32_e64 s[0:1], 0, v3
	s_and_b64 s[0:1], vcc, s[0:1]
	v_cndmask_b32_e64 v3, 0, 1, s[0:1]
	v_add_u32_e32 v9, v9, v3
; %bb.2614:
	s_or_b64 exec, exec, s[10:11]
	s_mov_b64 s[0:1], 0
	s_mov_b64 s[10:11], -1
	global_store_byte v[5:6], v9, off
.LBB119_2615:
	s_mov_b64 s[16:17], 0
.LBB119_2616:
	s_and_b64 vcc, exec, s[16:17]
	s_cbranch_vccz .LBB119_2619
; %bb.2617:
	s_cmp_eq_u32 s3, 29
	s_mov_b64 s[0:1], -1
	s_cbranch_scc0 .LBB119_2619
; %bb.2618:
	v_bfe_i32 v11, v1, 0, 16
	v_ashrrev_i32_e32 v12, 31, v11
	global_store_dwordx2 v[5:6], v[11:12], off
	s_mov_b64 s[0:1], 0
	s_mov_b64 s[10:11], -1
.LBB119_2619:
	s_mov_b64 s[16:17], 0
.LBB119_2620:
	s_and_b64 vcc, exec, s[16:17]
	s_cbranch_vccz .LBB119_2636
; %bb.2621:
	s_cmp_lt_i32 s3, 27
	s_mov_b64 s[10:11], -1
	s_cbranch_scc1 .LBB119_2627
; %bb.2622:
	s_cmp_gt_i32 s3, 27
	s_cbranch_scc0 .LBB119_2624
; %bb.2623:
	v_bfe_i32 v3, v1, 0, 16
	s_mov_b64 s[10:11], 0
	global_store_dword v[5:6], v3, off
.LBB119_2624:
	s_andn2_b64 vcc, exec, s[10:11]
	s_cbranch_vccnz .LBB119_2626
; %bb.2625:
	global_store_short v[5:6], v1, off
.LBB119_2626:
	s_mov_b64 s[10:11], 0
.LBB119_2627:
	s_andn2_b64 vcc, exec, s[10:11]
	s_cbranch_vccnz .LBB119_2635
; %bb.2628:
	v_cvt_f32_i32_sdwa v3, sext(v1) dst_sel:DWORD dst_unused:UNUSED_PAD src0_sel:WORD_0
	s_mov_b32 s10, 0x43800000
	s_waitcnt vmcnt(0)
	v_mov_b32_e32 v9, 0x80
	v_and_b32_e32 v7, 0x7fffffff, v3
	v_cmp_gt_u32_e32 vcc, s10, v7
	s_and_saveexec_b64 s[10:11], vcc
	s_cbranch_execz .LBB119_2634
; %bb.2629:
	s_mov_b32 s16, 0x3bffffff
	v_cmp_lt_u32_e32 vcc, s16, v7
	s_mov_b64 s[16:17], 0
                                        ; implicit-def: $vgpr7
	s_and_saveexec_b64 s[18:19], vcc
	s_xor_b64 s[18:19], exec, s[18:19]
	s_cbranch_execz .LBB119_3083
; %bb.2630:
	v_bfe_u32 v7, v3, 20, 1
	s_mov_b32 s22, 0x487ffff
	v_add3_u32 v7, v3, v7, s22
	s_mov_b64 s[16:17], exec
	v_lshrrev_b32_e32 v7, 20, v7
	s_andn2_saveexec_b64 s[18:19], s[18:19]
	s_cbranch_execnz .LBB119_3084
.LBB119_2631:
	s_or_b64 exec, exec, s[18:19]
	v_mov_b32_e32 v9, 0
	s_and_saveexec_b64 s[18:19], s[16:17]
.LBB119_2632:
	v_lshrrev_b32_e32 v3, 24, v3
	s_movk_i32 s16, 0x80
	v_and_or_b32 v9, v3, s16, v7
.LBB119_2633:
	s_or_b64 exec, exec, s[18:19]
.LBB119_2634:
	s_or_b64 exec, exec, s[10:11]
	global_store_byte v[5:6], v9, off
.LBB119_2635:
	s_mov_b64 s[10:11], -1
.LBB119_2636:
	s_mov_b64 s[16:17], 0
.LBB119_2637:
	s_and_b64 vcc, exec, s[16:17]
	s_cbranch_vccz .LBB119_2677
; %bb.2638:
	s_cmp_gt_i32 s3, 22
	s_mov_b64 s[6:7], -1
	s_cbranch_scc0 .LBB119_2670
; %bb.2639:
	s_cmp_lt_i32 s3, 24
	s_cbranch_scc1 .LBB119_2659
; %bb.2640:
	s_cmp_gt_i32 s3, 24
	s_cbranch_scc0 .LBB119_2648
; %bb.2641:
	v_cvt_f32_i32_sdwa v3, sext(v1) dst_sel:DWORD dst_unused:UNUSED_PAD src0_sel:WORD_0
	s_mov_b32 s6, 0x47800000
	s_waitcnt vmcnt(0)
	v_mov_b32_e32 v9, 0x80
	v_and_b32_e32 v7, 0x7fffffff, v3
	v_cmp_gt_u32_e32 vcc, s6, v7
	s_and_saveexec_b64 s[6:7], vcc
	s_cbranch_execz .LBB119_2647
; %bb.2642:
	s_mov_b32 s10, 0x37ffffff
	v_cmp_lt_u32_e32 vcc, s10, v7
	s_mov_b64 s[10:11], 0
                                        ; implicit-def: $vgpr7
	s_and_saveexec_b64 s[16:17], vcc
	s_xor_b64 s[16:17], exec, s[16:17]
	s_cbranch_execz .LBB119_3086
; %bb.2643:
	v_bfe_u32 v7, v3, 21, 1
	s_mov_b32 s18, 0x88fffff
	v_add3_u32 v7, v3, v7, s18
	s_mov_b64 s[10:11], exec
	v_lshrrev_b32_e32 v7, 21, v7
	s_andn2_saveexec_b64 s[16:17], s[16:17]
	s_cbranch_execnz .LBB119_3087
.LBB119_2644:
	s_or_b64 exec, exec, s[16:17]
	v_mov_b32_e32 v9, 0
	s_and_saveexec_b64 s[16:17], s[10:11]
.LBB119_2645:
	v_lshrrev_b32_e32 v3, 24, v3
	s_movk_i32 s10, 0x80
	v_and_or_b32 v9, v3, s10, v7
.LBB119_2646:
	s_or_b64 exec, exec, s[16:17]
.LBB119_2647:
	s_or_b64 exec, exec, s[6:7]
	s_mov_b64 s[6:7], 0
	global_store_byte v[5:6], v9, off
.LBB119_2648:
	s_and_b64 vcc, exec, s[6:7]
	s_cbranch_vccz .LBB119_2658
; %bb.2649:
	v_cvt_f32_i32_sdwa v3, sext(v1) dst_sel:DWORD dst_unused:UNUSED_PAD src0_sel:WORD_0
	s_mov_b32 s6, 0x43f00000
                                        ; implicit-def: $vgpr7
	s_waitcnt vmcnt(0)
	v_and_b32_e32 v9, 0x7fffffff, v3
	v_cmp_gt_u32_e32 vcc, s6, v9
	s_and_saveexec_b64 s[6:7], vcc
	s_xor_b64 s[6:7], exec, s[6:7]
	s_cbranch_execz .LBB119_2655
; %bb.2650:
	s_mov_b32 s10, 0x3c7fffff
	v_cmp_lt_u32_e32 vcc, s10, v9
                                        ; implicit-def: $vgpr7
	s_and_saveexec_b64 s[10:11], vcc
	s_xor_b64 s[10:11], exec, s[10:11]
; %bb.2651:
	v_bfe_u32 v7, v3, 20, 1
	s_mov_b32 s16, 0x407ffff
	v_add3_u32 v7, v3, v7, s16
	v_lshrrev_b32_e32 v9, 20, v7
	v_and_b32_e32 v7, 0xff00000, v7
	s_mov_b32 s16, 0x7f00000
	v_mov_b32_e32 v11, 0x7e
	v_cmp_ne_u32_e32 vcc, s16, v7
	v_cndmask_b32_e32 v7, v11, v9, vcc
; %bb.2652:
	s_andn2_saveexec_b64 s[10:11], s[10:11]
; %bb.2653:
	s_mov_b32 s16, 0x46800000
	v_add_f32_e64 v7, |v3|, s16
; %bb.2654:
	s_or_b64 exec, exec, s[10:11]
                                        ; implicit-def: $vgpr9
.LBB119_2655:
	s_andn2_saveexec_b64 s[6:7], s[6:7]
; %bb.2656:
	s_mov_b32 s10, 0x7f800000
	v_mov_b32_e32 v7, 0x7e
	v_mov_b32_e32 v11, 0x7f
	v_cmp_lt_u32_e32 vcc, s10, v9
	v_cndmask_b32_e32 v7, v7, v11, vcc
; %bb.2657:
	s_or_b64 exec, exec, s[6:7]
	v_lshrrev_b32_e32 v3, 24, v3
	s_movk_i32 s6, 0x80
	v_and_or_b32 v3, v3, s6, v7
	global_store_byte v[5:6], v3, off
.LBB119_2658:
	s_mov_b64 s[6:7], 0
.LBB119_2659:
	s_andn2_b64 vcc, exec, s[6:7]
	s_cbranch_vccnz .LBB119_2669
; %bb.2660:
	v_cvt_f32_i32_sdwa v3, sext(v1) dst_sel:DWORD dst_unused:UNUSED_PAD src0_sel:WORD_0
	s_mov_b32 s6, 0x47800000
                                        ; implicit-def: $vgpr7
	s_waitcnt vmcnt(0)
	v_and_b32_e32 v9, 0x7fffffff, v3
	v_cmp_gt_u32_e32 vcc, s6, v9
	s_and_saveexec_b64 s[6:7], vcc
	s_xor_b64 s[6:7], exec, s[6:7]
	s_cbranch_execz .LBB119_2666
; %bb.2661:
	s_mov_b32 s10, 0x387fffff
	v_cmp_lt_u32_e32 vcc, s10, v9
                                        ; implicit-def: $vgpr7
	s_and_saveexec_b64 s[10:11], vcc
	s_xor_b64 s[10:11], exec, s[10:11]
; %bb.2662:
	v_bfe_u32 v7, v3, 21, 1
	s_mov_b32 s16, 0x80fffff
	v_add3_u32 v7, v3, v7, s16
	v_lshrrev_b32_e32 v7, 21, v7
; %bb.2663:
	s_andn2_saveexec_b64 s[10:11], s[10:11]
; %bb.2664:
	s_mov_b32 s16, 0x43000000
	v_add_f32_e64 v7, |v3|, s16
; %bb.2665:
	s_or_b64 exec, exec, s[10:11]
                                        ; implicit-def: $vgpr9
.LBB119_2666:
	s_andn2_saveexec_b64 s[6:7], s[6:7]
; %bb.2667:
	s_mov_b32 s10, 0x7f800000
	v_mov_b32_e32 v7, 0x7c
	v_mov_b32_e32 v11, 0x7f
	v_cmp_lt_u32_e32 vcc, s10, v9
	v_cndmask_b32_e32 v7, v7, v11, vcc
; %bb.2668:
	s_or_b64 exec, exec, s[6:7]
	v_lshrrev_b32_e32 v3, 24, v3
	s_movk_i32 s6, 0x80
	v_and_or_b32 v3, v3, s6, v7
	global_store_byte v[5:6], v3, off
.LBB119_2669:
	s_mov_b64 s[6:7], 0
	s_mov_b64 s[10:11], -1
.LBB119_2670:
	s_andn2_b64 vcc, exec, s[6:7]
	s_mov_b64 s[6:7], 0
	s_cbranch_vccnz .LBB119_2677
; %bb.2671:
	s_cmp_gt_i32 s3, 14
	s_mov_b64 s[16:17], -1
	s_cbranch_scc0 .LBB119_2675
; %bb.2672:
	s_cmp_eq_u32 s3, 15
	s_mov_b64 s[0:1], -1
	s_cbranch_scc0 .LBB119_2674
; %bb.2673:
	v_cvt_f32_i32_sdwa v3, sext(v1) dst_sel:DWORD dst_unused:UNUSED_PAD src0_sel:WORD_0
	s_movk_i32 s6, 0x7fff
	s_mov_b64 s[0:1], 0
	s_mov_b64 s[10:11], -1
	v_bfe_u32 v7, v3, 16, 1
	v_add3_u32 v3, v3, v7, s6
	global_store_short_d16_hi v[5:6], v3, off
.LBB119_2674:
	s_mov_b64 s[16:17], 0
.LBB119_2675:
	s_mov_b64 s[6:7], 0
	s_and_b64 vcc, exec, s[16:17]
	s_cbranch_vccz .LBB119_2677
; %bb.2676:
	s_cmp_lg_u32 s3, 11
	s_mov_b64 s[6:7], -1
	s_cselect_b64 s[0:1], -1, 0
.LBB119_2677:
	s_and_b64 vcc, exec, s[0:1]
	s_cbranch_vccnz .LBB119_3085
; %bb.2678:
	s_andn2_b64 vcc, exec, s[6:7]
	s_cbranch_vccnz .LBB119_2680
.LBB119_2679:
	v_cmp_ne_u16_e32 vcc, 0, v1
	v_cndmask_b32_e64 v3, 0, 1, vcc
	s_mov_b64 s[10:11], -1
	global_store_byte v[5:6], v3, off
.LBB119_2680:
	s_mov_b64 s[0:1], 0
	s_branch .LBB119_2682
.LBB119_2681:
	s_mov_b64 s[0:1], -1
	s_mov_b64 s[10:11], 0
.LBB119_2682:
	s_and_b64 vcc, exec, s[0:1]
	s_cbranch_vccz .LBB119_2721
; %bb.2683:
	s_and_b32 s3, 0xffff, s20
	s_cmp_lt_i32 s3, 5
	s_mov_b64 s[0:1], -1
	s_cbranch_scc1 .LBB119_2704
; %bb.2684:
	s_cmp_lt_i32 s3, 8
	s_cbranch_scc1 .LBB119_2694
; %bb.2685:
	s_cmp_lt_i32 s3, 9
	s_cbranch_scc1 .LBB119_2691
; %bb.2686:
	s_cmp_gt_i32 s3, 9
	s_cbranch_scc0 .LBB119_2688
; %bb.2687:
	v_bfe_i32 v3, v1, 0, 16
	v_cvt_f64_i32_e32 v[19:20], v3
	v_mov_b32_e32 v21, 0
	v_mov_b32_e32 v22, v21
	s_mov_b64 s[0:1], 0
	global_store_dwordx4 v[5:6], v[19:22], off
.LBB119_2688:
	s_andn2_b64 vcc, exec, s[0:1]
	s_cbranch_vccnz .LBB119_2690
; %bb.2689:
	v_cvt_f32_i32_sdwa v11, sext(v1) dst_sel:DWORD dst_unused:UNUSED_PAD src0_sel:WORD_0
	v_mov_b32_e32 v12, 0
	global_store_dwordx2 v[5:6], v[11:12], off
.LBB119_2690:
	s_mov_b64 s[0:1], 0
.LBB119_2691:
	s_andn2_b64 vcc, exec, s[0:1]
	s_cbranch_vccnz .LBB119_2693
; %bb.2692:
	v_cvt_f16_i16_e32 v3, v1
	global_store_dword v[5:6], v3, off
.LBB119_2693:
	s_mov_b64 s[0:1], 0
.LBB119_2694:
	s_andn2_b64 vcc, exec, s[0:1]
	s_cbranch_vccnz .LBB119_2703
; %bb.2695:
	s_cmp_lt_i32 s3, 6
	s_mov_b64 s[0:1], -1
	s_cbranch_scc1 .LBB119_2701
; %bb.2696:
	s_cmp_gt_i32 s3, 6
	s_cbranch_scc0 .LBB119_2698
; %bb.2697:
	v_bfe_i32 v3, v1, 0, 16
	v_cvt_f64_i32_e32 v[11:12], v3
	s_mov_b64 s[0:1], 0
	global_store_dwordx2 v[5:6], v[11:12], off
.LBB119_2698:
	s_andn2_b64 vcc, exec, s[0:1]
	s_cbranch_vccnz .LBB119_2700
; %bb.2699:
	v_cvt_f32_i32_sdwa v3, sext(v1) dst_sel:DWORD dst_unused:UNUSED_PAD src0_sel:WORD_0
	global_store_dword v[5:6], v3, off
.LBB119_2700:
	s_mov_b64 s[0:1], 0
.LBB119_2701:
	s_andn2_b64 vcc, exec, s[0:1]
	s_cbranch_vccnz .LBB119_2703
; %bb.2702:
	v_cvt_f16_i16_e32 v3, v1
	global_store_short v[5:6], v3, off
.LBB119_2703:
	s_mov_b64 s[0:1], 0
.LBB119_2704:
	s_andn2_b64 vcc, exec, s[0:1]
	s_cbranch_vccnz .LBB119_2720
; %bb.2705:
	s_cmp_lt_i32 s3, 2
	s_mov_b64 s[0:1], -1
	s_cbranch_scc1 .LBB119_2715
; %bb.2706:
	s_cmp_lt_i32 s3, 3
	s_cbranch_scc1 .LBB119_2712
; %bb.2707:
	s_cmp_gt_i32 s3, 3
	v_bfe_i32 v11, v1, 0, 16
	s_cbranch_scc0 .LBB119_2709
; %bb.2708:
	v_ashrrev_i32_e32 v12, 31, v11
	global_store_dwordx2 v[5:6], v[11:12], off
	s_mov_b64 s[0:1], 0
.LBB119_2709:
	s_andn2_b64 vcc, exec, s[0:1]
	s_cbranch_vccnz .LBB119_2711
; %bb.2710:
	global_store_dword v[5:6], v11, off
.LBB119_2711:
	s_mov_b64 s[0:1], 0
.LBB119_2712:
	s_andn2_b64 vcc, exec, s[0:1]
	s_cbranch_vccnz .LBB119_2714
; %bb.2713:
	global_store_short v[5:6], v1, off
.LBB119_2714:
	s_mov_b64 s[0:1], 0
.LBB119_2715:
	s_andn2_b64 vcc, exec, s[0:1]
	s_cbranch_vccnz .LBB119_2720
; %bb.2716:
	s_cmp_gt_i32 s3, 0
	s_mov_b64 s[0:1], -1
	s_cbranch_scc0 .LBB119_2718
; %bb.2717:
	global_store_byte v[5:6], v1, off
	s_mov_b64 s[0:1], 0
.LBB119_2718:
	s_andn2_b64 vcc, exec, s[0:1]
	s_cbranch_vccnz .LBB119_2720
; %bb.2719:
	global_store_byte v[5:6], v1, off
.LBB119_2720:
	s_mov_b64 s[10:11], -1
.LBB119_2721:
	s_andn2_b64 vcc, exec, s[10:11]
	s_cbranch_vccnz .LBB119_3036
; %bb.2722:
	v_mov_b32_e32 v1, s21
	v_cmp_lt_i16_e32 vcc, s2, v10
	v_cndmask_b32_e32 v1, v1, v17, vcc
	v_mov_b32_e32 v5, s9
	s_and_b32 s22, 0xffff, s20
	v_add_co_u32_e32 v3, vcc, s8, v4
	s_cmp_lt_i32 s22, 11
	v_addc_co_u32_e32 v4, vcc, 0, v5, vcc
	s_cbranch_scc1 .LBB119_2800
; %bb.2723:
	s_mov_b64 s[16:17], -1
	s_mov_b64 s[6:7], 0
	s_cmp_gt_i32 s22, 25
	s_mov_b64 s[10:11], 0
	s_mov_b64 s[0:1], 0
	s_cbranch_scc0 .LBB119_2756
; %bb.2724:
	s_cmp_gt_i32 s22, 28
	s_cbranch_scc0 .LBB119_2739
; %bb.2725:
	s_cmp_gt_i32 s22, 43
	;; [unrolled: 3-line block ×3, first 2 shown]
	s_cbranch_scc0 .LBB119_2729
; %bb.2727:
	s_mov_b64 s[0:1], -1
	s_mov_b64 s[16:17], 0
	s_cmp_eq_u32 s22, 46
	s_cbranch_scc0 .LBB119_2729
; %bb.2728:
	v_cvt_f32_i32_sdwa v5, sext(v1) dst_sel:DWORD dst_unused:UNUSED_PAD src0_sel:WORD_0
	s_movk_i32 s3, 0x7fff
	s_mov_b64 s[0:1], 0
	s_mov_b64 s[10:11], -1
	v_bfe_u32 v6, v5, 16, 1
	v_add3_u32 v5, v5, v6, s3
	v_lshrrev_b32_e32 v5, 16, v5
	global_store_dword v[3:4], v5, off
.LBB119_2729:
	s_and_b64 vcc, exec, s[16:17]
	s_cbranch_vccz .LBB119_2734
; %bb.2730:
	s_cmp_eq_u32 s22, 44
	s_mov_b64 s[0:1], -1
	s_cbranch_scc0 .LBB119_2734
; %bb.2731:
	v_cvt_f32_i32_sdwa v5, sext(v1) dst_sel:DWORD dst_unused:UNUSED_PAD src0_sel:WORD_0
	s_movk_i32 s0, 0xff
	v_mov_b32_e32 v7, 0xff
	v_bfe_u32 v6, v5, 23, 8
	v_cmp_ne_u32_e32 vcc, s0, v6
	s_and_saveexec_b64 s[10:11], vcc
	s_cbranch_execz .LBB119_2733
; %bb.2732:
	s_mov_b32 s0, 0x3fffff
	v_lshrrev_b32_e32 v7, 23, v5
	s_waitcnt vmcnt(0)
	v_and_b32_e32 v9, 0x400000, v5
	v_and_or_b32 v5, v5, s0, v6
	v_cmp_ne_u32_e32 vcc, 0, v9
	v_cmp_ne_u32_e64 s[0:1], 0, v5
	s_and_b64 s[0:1], vcc, s[0:1]
	v_cndmask_b32_e64 v5, 0, 1, s[0:1]
	v_add_u32_e32 v7, v7, v5
.LBB119_2733:
	s_or_b64 exec, exec, s[10:11]
	s_mov_b64 s[0:1], 0
	s_mov_b64 s[10:11], -1
	global_store_byte v[3:4], v7, off
.LBB119_2734:
	s_mov_b64 s[16:17], 0
.LBB119_2735:
	s_and_b64 vcc, exec, s[16:17]
	s_cbranch_vccz .LBB119_2738
; %bb.2736:
	s_cmp_eq_u32 s22, 29
	s_mov_b64 s[0:1], -1
	s_cbranch_scc0 .LBB119_2738
; %bb.2737:
	v_bfe_i32 v5, v1, 0, 16
	v_ashrrev_i32_e32 v6, 31, v5
	global_store_dwordx2 v[3:4], v[5:6], off
	s_mov_b64 s[0:1], 0
	s_mov_b64 s[10:11], -1
.LBB119_2738:
	s_mov_b64 s[16:17], 0
.LBB119_2739:
	s_and_b64 vcc, exec, s[16:17]
	s_cbranch_vccz .LBB119_2755
; %bb.2740:
	s_cmp_lt_i32 s22, 27
	s_mov_b64 s[10:11], -1
	s_cbranch_scc1 .LBB119_2746
; %bb.2741:
	s_cmp_gt_i32 s22, 27
	s_cbranch_scc0 .LBB119_2743
; %bb.2742:
	v_bfe_i32 v5, v1, 0, 16
	s_mov_b64 s[10:11], 0
	global_store_dword v[3:4], v5, off
.LBB119_2743:
	s_andn2_b64 vcc, exec, s[10:11]
	s_cbranch_vccnz .LBB119_2745
; %bb.2744:
	global_store_short v[3:4], v1, off
.LBB119_2745:
	s_mov_b64 s[10:11], 0
.LBB119_2746:
	s_andn2_b64 vcc, exec, s[10:11]
	s_cbranch_vccnz .LBB119_2754
; %bb.2747:
	v_cvt_f32_i32_sdwa v5, sext(v1) dst_sel:DWORD dst_unused:UNUSED_PAD src0_sel:WORD_0
	s_mov_b32 s3, 0x43800000
	v_mov_b32_e32 v7, 0x80
	v_and_b32_e32 v6, 0x7fffffff, v5
	v_cmp_gt_u32_e32 vcc, s3, v6
	s_and_saveexec_b64 s[10:11], vcc
	s_cbranch_execz .LBB119_2753
; %bb.2748:
	s_mov_b32 s3, 0x3bffffff
	v_cmp_lt_u32_e32 vcc, s3, v6
	s_mov_b64 s[16:17], 0
                                        ; implicit-def: $vgpr6
	s_and_saveexec_b64 s[18:19], vcc
	s_xor_b64 s[18:19], exec, s[18:19]
	s_cbranch_execz .LBB119_3088
; %bb.2749:
	v_bfe_u32 v6, v5, 20, 1
	s_mov_b32 s3, 0x487ffff
	v_add3_u32 v6, v5, v6, s3
	s_mov_b64 s[16:17], exec
	v_lshrrev_b32_e32 v6, 20, v6
	s_andn2_saveexec_b64 s[18:19], s[18:19]
	s_cbranch_execnz .LBB119_3089
.LBB119_2750:
	s_or_b64 exec, exec, s[18:19]
	v_mov_b32_e32 v7, 0
	s_and_saveexec_b64 s[18:19], s[16:17]
.LBB119_2751:
	v_lshrrev_b32_e32 v5, 24, v5
	s_movk_i32 s3, 0x80
	v_and_or_b32 v7, v5, s3, v6
.LBB119_2752:
	s_or_b64 exec, exec, s[18:19]
.LBB119_2753:
	s_or_b64 exec, exec, s[10:11]
	global_store_byte v[3:4], v7, off
.LBB119_2754:
	s_mov_b64 s[10:11], -1
.LBB119_2755:
	s_mov_b64 s[16:17], 0
.LBB119_2756:
	s_and_b64 vcc, exec, s[16:17]
	s_cbranch_vccz .LBB119_2796
; %bb.2757:
	s_cmp_gt_i32 s22, 22
	s_mov_b64 s[6:7], -1
	s_cbranch_scc0 .LBB119_2789
; %bb.2758:
	s_cmp_lt_i32 s22, 24
	s_cbranch_scc1 .LBB119_2778
; %bb.2759:
	s_cmp_gt_i32 s22, 24
	s_cbranch_scc0 .LBB119_2767
; %bb.2760:
	v_cvt_f32_i32_sdwa v5, sext(v1) dst_sel:DWORD dst_unused:UNUSED_PAD src0_sel:WORD_0
	s_mov_b32 s3, 0x47800000
	v_mov_b32_e32 v7, 0x80
	v_and_b32_e32 v6, 0x7fffffff, v5
	v_cmp_gt_u32_e32 vcc, s3, v6
	s_and_saveexec_b64 s[6:7], vcc
	s_cbranch_execz .LBB119_2766
; %bb.2761:
	s_mov_b32 s3, 0x37ffffff
	v_cmp_lt_u32_e32 vcc, s3, v6
	s_mov_b64 s[10:11], 0
                                        ; implicit-def: $vgpr6
	s_and_saveexec_b64 s[16:17], vcc
	s_xor_b64 s[16:17], exec, s[16:17]
	s_cbranch_execz .LBB119_3091
; %bb.2762:
	v_bfe_u32 v6, v5, 21, 1
	s_mov_b32 s3, 0x88fffff
	v_add3_u32 v6, v5, v6, s3
	s_mov_b64 s[10:11], exec
	v_lshrrev_b32_e32 v6, 21, v6
	s_andn2_saveexec_b64 s[16:17], s[16:17]
	s_cbranch_execnz .LBB119_3092
.LBB119_2763:
	s_or_b64 exec, exec, s[16:17]
	v_mov_b32_e32 v7, 0
	s_and_saveexec_b64 s[16:17], s[10:11]
.LBB119_2764:
	v_lshrrev_b32_e32 v5, 24, v5
	s_movk_i32 s3, 0x80
	v_and_or_b32 v7, v5, s3, v6
.LBB119_2765:
	s_or_b64 exec, exec, s[16:17]
.LBB119_2766:
	s_or_b64 exec, exec, s[6:7]
	s_mov_b64 s[6:7], 0
	global_store_byte v[3:4], v7, off
.LBB119_2767:
	s_and_b64 vcc, exec, s[6:7]
	s_cbranch_vccz .LBB119_2777
; %bb.2768:
	v_cvt_f32_i32_sdwa v5, sext(v1) dst_sel:DWORD dst_unused:UNUSED_PAD src0_sel:WORD_0
	s_mov_b32 s3, 0x43f00000
                                        ; implicit-def: $vgpr6
	v_and_b32_e32 v7, 0x7fffffff, v5
	v_cmp_gt_u32_e32 vcc, s3, v7
	s_and_saveexec_b64 s[6:7], vcc
	s_xor_b64 s[6:7], exec, s[6:7]
	s_cbranch_execz .LBB119_2774
; %bb.2769:
	s_mov_b32 s3, 0x3c7fffff
	v_cmp_lt_u32_e32 vcc, s3, v7
                                        ; implicit-def: $vgpr6
	s_and_saveexec_b64 s[10:11], vcc
	s_xor_b64 s[10:11], exec, s[10:11]
	s_cbranch_execz .LBB119_2771
; %bb.2770:
	v_bfe_u32 v6, v5, 20, 1
	s_mov_b32 s3, 0x407ffff
	v_add3_u32 v6, v5, v6, s3
	v_lshrrev_b32_e32 v7, 20, v6
	v_and_b32_e32 v6, 0xff00000, v6
	s_mov_b32 s3, 0x7f00000
	s_waitcnt vmcnt(0)
	v_mov_b32_e32 v9, 0x7e
	v_cmp_ne_u32_e32 vcc, s3, v6
	v_cndmask_b32_e32 v6, v9, v7, vcc
.LBB119_2771:
	s_andn2_saveexec_b64 s[10:11], s[10:11]
; %bb.2772:
	s_mov_b32 s3, 0x46800000
	v_add_f32_e64 v6, |v5|, s3
; %bb.2773:
	s_or_b64 exec, exec, s[10:11]
                                        ; implicit-def: $vgpr7
.LBB119_2774:
	s_andn2_saveexec_b64 s[6:7], s[6:7]
	s_cbranch_execz .LBB119_2776
; %bb.2775:
	s_mov_b32 s3, 0x7f800000
	v_mov_b32_e32 v6, 0x7e
	s_waitcnt vmcnt(0)
	v_mov_b32_e32 v9, 0x7f
	v_cmp_lt_u32_e32 vcc, s3, v7
	v_cndmask_b32_e32 v6, v6, v9, vcc
.LBB119_2776:
	s_or_b64 exec, exec, s[6:7]
	v_lshrrev_b32_e32 v5, 24, v5
	s_movk_i32 s3, 0x80
	v_and_or_b32 v5, v5, s3, v6
	global_store_byte v[3:4], v5, off
.LBB119_2777:
	s_mov_b64 s[6:7], 0
.LBB119_2778:
	s_andn2_b64 vcc, exec, s[6:7]
	s_cbranch_vccnz .LBB119_2788
; %bb.2779:
	v_cvt_f32_i32_sdwa v5, sext(v1) dst_sel:DWORD dst_unused:UNUSED_PAD src0_sel:WORD_0
	s_mov_b32 s3, 0x47800000
                                        ; implicit-def: $vgpr6
	v_and_b32_e32 v7, 0x7fffffff, v5
	v_cmp_gt_u32_e32 vcc, s3, v7
	s_and_saveexec_b64 s[6:7], vcc
	s_xor_b64 s[6:7], exec, s[6:7]
	s_cbranch_execz .LBB119_2785
; %bb.2780:
	s_mov_b32 s3, 0x387fffff
	v_cmp_lt_u32_e32 vcc, s3, v7
                                        ; implicit-def: $vgpr6
	s_and_saveexec_b64 s[10:11], vcc
	s_xor_b64 s[10:11], exec, s[10:11]
; %bb.2781:
	v_bfe_u32 v6, v5, 21, 1
	s_mov_b32 s3, 0x80fffff
	v_add3_u32 v6, v5, v6, s3
	v_lshrrev_b32_e32 v6, 21, v6
; %bb.2782:
	s_andn2_saveexec_b64 s[10:11], s[10:11]
; %bb.2783:
	s_mov_b32 s3, 0x43000000
	v_add_f32_e64 v6, |v5|, s3
; %bb.2784:
	s_or_b64 exec, exec, s[10:11]
                                        ; implicit-def: $vgpr7
.LBB119_2785:
	s_andn2_saveexec_b64 s[6:7], s[6:7]
	s_cbranch_execz .LBB119_2787
; %bb.2786:
	s_mov_b32 s3, 0x7f800000
	v_mov_b32_e32 v6, 0x7c
	s_waitcnt vmcnt(0)
	v_mov_b32_e32 v9, 0x7f
	v_cmp_lt_u32_e32 vcc, s3, v7
	v_cndmask_b32_e32 v6, v6, v9, vcc
.LBB119_2787:
	s_or_b64 exec, exec, s[6:7]
	v_lshrrev_b32_e32 v5, 24, v5
	s_movk_i32 s3, 0x80
	v_and_or_b32 v5, v5, s3, v6
	global_store_byte v[3:4], v5, off
.LBB119_2788:
	s_mov_b64 s[6:7], 0
	s_mov_b64 s[10:11], -1
.LBB119_2789:
	s_andn2_b64 vcc, exec, s[6:7]
	s_mov_b64 s[6:7], 0
	s_cbranch_vccnz .LBB119_2796
; %bb.2790:
	s_cmp_gt_i32 s22, 14
	s_mov_b64 s[16:17], -1
	s_cbranch_scc0 .LBB119_2794
; %bb.2791:
	s_cmp_eq_u32 s22, 15
	s_mov_b64 s[0:1], -1
	s_cbranch_scc0 .LBB119_2793
; %bb.2792:
	v_cvt_f32_i32_sdwa v5, sext(v1) dst_sel:DWORD dst_unused:UNUSED_PAD src0_sel:WORD_0
	s_movk_i32 s3, 0x7fff
	s_mov_b64 s[0:1], 0
	s_mov_b64 s[10:11], -1
	v_bfe_u32 v6, v5, 16, 1
	v_add3_u32 v5, v5, v6, s3
	global_store_short_d16_hi v[3:4], v5, off
.LBB119_2793:
	s_mov_b64 s[16:17], 0
.LBB119_2794:
	s_and_b64 vcc, exec, s[16:17]
	s_cbranch_vccz .LBB119_2796
; %bb.2795:
	s_cmp_lg_u32 s22, 11
	s_mov_b64 s[6:7], -1
	s_cselect_b64 s[0:1], -1, 0
.LBB119_2796:
	s_and_b64 vcc, exec, s[0:1]
	s_cbranch_vccnz .LBB119_3090
; %bb.2797:
	s_andn2_b64 vcc, exec, s[6:7]
	s_cbranch_vccnz .LBB119_2799
.LBB119_2798:
	v_cmp_ne_u16_e32 vcc, 0, v1
	v_cndmask_b32_e64 v5, 0, 1, vcc
	s_mov_b64 s[10:11], -1
	global_store_byte v[3:4], v5, off
.LBB119_2799:
	s_mov_b64 s[0:1], 0
	s_branch .LBB119_2801
.LBB119_2800:
	s_mov_b64 s[0:1], -1
	s_mov_b64 s[10:11], 0
.LBB119_2801:
	s_and_b64 vcc, exec, s[0:1]
	s_cbranch_vccz .LBB119_2840
; %bb.2802:
	s_cmp_lt_i32 s22, 5
	s_mov_b64 s[0:1], -1
	s_cbranch_scc1 .LBB119_2823
; %bb.2803:
	s_cmp_lt_i32 s22, 8
	s_cbranch_scc1 .LBB119_2813
; %bb.2804:
	s_cmp_lt_i32 s22, 9
	s_cbranch_scc1 .LBB119_2810
; %bb.2805:
	s_cmp_gt_i32 s22, 9
	s_cbranch_scc0 .LBB119_2807
; %bb.2806:
	v_bfe_i32 v5, v1, 0, 16
	s_waitcnt vmcnt(0)
	v_cvt_f64_i32_e32 v[9:10], v5
	v_mov_b32_e32 v11, 0
	v_mov_b32_e32 v12, v11
	s_mov_b64 s[0:1], 0
	global_store_dwordx4 v[3:4], v[9:12], off
.LBB119_2807:
	s_andn2_b64 vcc, exec, s[0:1]
	s_cbranch_vccnz .LBB119_2809
; %bb.2808:
	v_cvt_f32_i32_sdwa v5, sext(v1) dst_sel:DWORD dst_unused:UNUSED_PAD src0_sel:WORD_0
	v_mov_b32_e32 v6, 0
	global_store_dwordx2 v[3:4], v[5:6], off
.LBB119_2809:
	s_mov_b64 s[0:1], 0
.LBB119_2810:
	s_andn2_b64 vcc, exec, s[0:1]
	s_cbranch_vccnz .LBB119_2812
; %bb.2811:
	v_cvt_f16_i16_e32 v5, v1
	global_store_dword v[3:4], v5, off
.LBB119_2812:
	s_mov_b64 s[0:1], 0
.LBB119_2813:
	s_andn2_b64 vcc, exec, s[0:1]
	s_cbranch_vccnz .LBB119_2822
; %bb.2814:
	s_cmp_lt_i32 s22, 6
	s_mov_b64 s[0:1], -1
	s_cbranch_scc1 .LBB119_2820
; %bb.2815:
	s_cmp_gt_i32 s22, 6
	s_cbranch_scc0 .LBB119_2817
; %bb.2816:
	v_bfe_i32 v5, v1, 0, 16
	v_cvt_f64_i32_e32 v[5:6], v5
	s_mov_b64 s[0:1], 0
	global_store_dwordx2 v[3:4], v[5:6], off
.LBB119_2817:
	s_andn2_b64 vcc, exec, s[0:1]
	s_cbranch_vccnz .LBB119_2819
; %bb.2818:
	v_cvt_f32_i32_sdwa v5, sext(v1) dst_sel:DWORD dst_unused:UNUSED_PAD src0_sel:WORD_0
	global_store_dword v[3:4], v5, off
.LBB119_2819:
	s_mov_b64 s[0:1], 0
.LBB119_2820:
	s_andn2_b64 vcc, exec, s[0:1]
	s_cbranch_vccnz .LBB119_2822
; %bb.2821:
	v_cvt_f16_i16_e32 v5, v1
	global_store_short v[3:4], v5, off
.LBB119_2822:
	s_mov_b64 s[0:1], 0
.LBB119_2823:
	s_andn2_b64 vcc, exec, s[0:1]
	s_cbranch_vccnz .LBB119_2839
; %bb.2824:
	s_cmp_lt_i32 s22, 2
	s_mov_b64 s[0:1], -1
	s_cbranch_scc1 .LBB119_2834
; %bb.2825:
	s_cmp_lt_i32 s22, 3
	s_cbranch_scc1 .LBB119_2831
; %bb.2826:
	s_cmp_gt_i32 s22, 3
	s_cbranch_scc0 .LBB119_2828
; %bb.2827:
	v_bfe_i32 v5, v1, 0, 16
	v_ashrrev_i32_e32 v6, 31, v5
	global_store_dwordx2 v[3:4], v[5:6], off
	s_mov_b64 s[0:1], 0
.LBB119_2828:
	s_andn2_b64 vcc, exec, s[0:1]
	s_cbranch_vccnz .LBB119_2830
; %bb.2829:
	v_bfe_i32 v5, v1, 0, 16
	global_store_dword v[3:4], v5, off
.LBB119_2830:
	s_mov_b64 s[0:1], 0
.LBB119_2831:
	s_andn2_b64 vcc, exec, s[0:1]
	s_cbranch_vccnz .LBB119_2833
; %bb.2832:
	global_store_short v[3:4], v1, off
.LBB119_2833:
	s_mov_b64 s[0:1], 0
.LBB119_2834:
	s_andn2_b64 vcc, exec, s[0:1]
	s_cbranch_vccnz .LBB119_2839
; %bb.2835:
	s_cmp_gt_i32 s22, 0
	s_mov_b64 s[0:1], -1
	s_cbranch_scc0 .LBB119_2837
; %bb.2836:
	global_store_byte v[3:4], v1, off
	s_mov_b64 s[0:1], 0
.LBB119_2837:
	s_andn2_b64 vcc, exec, s[0:1]
	s_cbranch_vccnz .LBB119_2839
; %bb.2838:
	global_store_byte v[3:4], v1, off
.LBB119_2839:
	s_mov_b64 s[10:11], -1
.LBB119_2840:
	s_andn2_b64 vcc, exec, s[10:11]
	s_cbranch_vccnz .LBB119_3036
; %bb.2841:
	v_mov_b32_e32 v1, s21
	v_cmp_lt_i16_e32 vcc, s2, v15
	v_cndmask_b32_e32 v3, v1, v18, vcc
	v_mov_b32_e32 v4, s9
	v_add_co_u32_e32 v1, vcc, s8, v2
	s_cmp_lt_i32 s22, 11
	v_addc_co_u32_e32 v2, vcc, 0, v4, vcc
	s_cbranch_scc1 .LBB119_2919
; %bb.2842:
	s_mov_b64 s[16:17], -1
	s_mov_b64 s[6:7], 0
	s_cmp_gt_i32 s22, 25
	s_mov_b64 s[10:11], 0
	s_mov_b64 s[0:1], 0
	s_cbranch_scc0 .LBB119_2875
; %bb.2843:
	s_cmp_gt_i32 s22, 28
	s_cbranch_scc0 .LBB119_2858
; %bb.2844:
	s_cmp_gt_i32 s22, 43
	;; [unrolled: 3-line block ×3, first 2 shown]
	s_cbranch_scc0 .LBB119_2848
; %bb.2846:
	s_mov_b64 s[0:1], -1
	s_mov_b64 s[16:17], 0
	s_cmp_eq_u32 s22, 46
	s_cbranch_scc0 .LBB119_2848
; %bb.2847:
	v_cvt_f32_i32_sdwa v4, sext(v3) dst_sel:DWORD dst_unused:UNUSED_PAD src0_sel:WORD_0
	s_movk_i32 s3, 0x7fff
	s_mov_b64 s[0:1], 0
	s_mov_b64 s[10:11], -1
	v_bfe_u32 v5, v4, 16, 1
	v_add3_u32 v4, v4, v5, s3
	v_lshrrev_b32_e32 v4, 16, v4
	global_store_dword v[1:2], v4, off
.LBB119_2848:
	s_and_b64 vcc, exec, s[16:17]
	s_cbranch_vccz .LBB119_2853
; %bb.2849:
	s_cmp_eq_u32 s22, 44
	s_mov_b64 s[0:1], -1
	s_cbranch_scc0 .LBB119_2853
; %bb.2850:
	v_cvt_f32_i32_sdwa v4, sext(v3) dst_sel:DWORD dst_unused:UNUSED_PAD src0_sel:WORD_0
	s_movk_i32 s0, 0xff
	v_mov_b32_e32 v6, 0xff
	v_bfe_u32 v5, v4, 23, 8
	v_cmp_ne_u32_e32 vcc, s0, v5
	s_and_saveexec_b64 s[10:11], vcc
; %bb.2851:
	s_mov_b32 s0, 0x3fffff
	v_lshrrev_b32_e32 v6, 23, v4
	v_and_b32_e32 v7, 0x400000, v4
	v_and_or_b32 v4, v4, s0, v5
	v_cmp_ne_u32_e32 vcc, 0, v7
	v_cmp_ne_u32_e64 s[0:1], 0, v4
	s_and_b64 s[0:1], vcc, s[0:1]
	v_cndmask_b32_e64 v4, 0, 1, s[0:1]
	v_add_u32_e32 v6, v6, v4
; %bb.2852:
	s_or_b64 exec, exec, s[10:11]
	s_mov_b64 s[0:1], 0
	s_mov_b64 s[10:11], -1
	global_store_byte v[1:2], v6, off
.LBB119_2853:
	s_mov_b64 s[16:17], 0
.LBB119_2854:
	s_and_b64 vcc, exec, s[16:17]
	s_cbranch_vccz .LBB119_2857
; %bb.2855:
	s_cmp_eq_u32 s22, 29
	s_mov_b64 s[0:1], -1
	s_cbranch_scc0 .LBB119_2857
; %bb.2856:
	v_bfe_i32 v4, v3, 0, 16
	v_ashrrev_i32_e32 v5, 31, v4
	global_store_dwordx2 v[1:2], v[4:5], off
	s_mov_b64 s[0:1], 0
	s_mov_b64 s[10:11], -1
.LBB119_2857:
	s_mov_b64 s[16:17], 0
.LBB119_2858:
	s_and_b64 vcc, exec, s[16:17]
	s_cbranch_vccz .LBB119_2874
; %bb.2859:
	s_cmp_lt_i32 s22, 27
	s_mov_b64 s[10:11], -1
	s_cbranch_scc1 .LBB119_2865
; %bb.2860:
	s_cmp_gt_i32 s22, 27
	s_cbranch_scc0 .LBB119_2862
; %bb.2861:
	v_bfe_i32 v4, v3, 0, 16
	s_mov_b64 s[10:11], 0
	global_store_dword v[1:2], v4, off
.LBB119_2862:
	s_andn2_b64 vcc, exec, s[10:11]
	s_cbranch_vccnz .LBB119_2864
; %bb.2863:
	global_store_short v[1:2], v3, off
.LBB119_2864:
	s_mov_b64 s[10:11], 0
.LBB119_2865:
	s_andn2_b64 vcc, exec, s[10:11]
	s_cbranch_vccnz .LBB119_2873
; %bb.2866:
	v_cvt_f32_i32_sdwa v4, sext(v3) dst_sel:DWORD dst_unused:UNUSED_PAD src0_sel:WORD_0
	s_mov_b32 s3, 0x43800000
	v_mov_b32_e32 v6, 0x80
	v_and_b32_e32 v5, 0x7fffffff, v4
	v_cmp_gt_u32_e32 vcc, s3, v5
	s_and_saveexec_b64 s[10:11], vcc
	s_cbranch_execz .LBB119_2872
; %bb.2867:
	s_mov_b32 s3, 0x3bffffff
	v_cmp_lt_u32_e32 vcc, s3, v5
	s_mov_b64 s[16:17], 0
                                        ; implicit-def: $vgpr5
	s_and_saveexec_b64 s[18:19], vcc
	s_xor_b64 s[18:19], exec, s[18:19]
	s_cbranch_execz .LBB119_3093
; %bb.2868:
	v_bfe_u32 v5, v4, 20, 1
	s_mov_b32 s3, 0x487ffff
	v_add3_u32 v5, v4, v5, s3
	s_mov_b64 s[16:17], exec
	v_lshrrev_b32_e32 v5, 20, v5
	s_andn2_saveexec_b64 s[18:19], s[18:19]
	s_cbranch_execnz .LBB119_3094
.LBB119_2869:
	s_or_b64 exec, exec, s[18:19]
	v_mov_b32_e32 v6, 0
	s_and_saveexec_b64 s[18:19], s[16:17]
.LBB119_2870:
	v_lshrrev_b32_e32 v4, 24, v4
	s_movk_i32 s3, 0x80
	v_and_or_b32 v6, v4, s3, v5
.LBB119_2871:
	s_or_b64 exec, exec, s[18:19]
.LBB119_2872:
	s_or_b64 exec, exec, s[10:11]
	global_store_byte v[1:2], v6, off
.LBB119_2873:
	s_mov_b64 s[10:11], -1
.LBB119_2874:
	s_mov_b64 s[16:17], 0
.LBB119_2875:
	s_and_b64 vcc, exec, s[16:17]
	s_cbranch_vccz .LBB119_2915
; %bb.2876:
	s_cmp_gt_i32 s22, 22
	s_mov_b64 s[6:7], -1
	s_cbranch_scc0 .LBB119_2908
; %bb.2877:
	s_cmp_lt_i32 s22, 24
	s_cbranch_scc1 .LBB119_2897
; %bb.2878:
	s_cmp_gt_i32 s22, 24
	s_cbranch_scc0 .LBB119_2886
; %bb.2879:
	v_cvt_f32_i32_sdwa v4, sext(v3) dst_sel:DWORD dst_unused:UNUSED_PAD src0_sel:WORD_0
	s_mov_b32 s3, 0x47800000
	v_mov_b32_e32 v6, 0x80
	v_and_b32_e32 v5, 0x7fffffff, v4
	v_cmp_gt_u32_e32 vcc, s3, v5
	s_and_saveexec_b64 s[6:7], vcc
	s_cbranch_execz .LBB119_2885
; %bb.2880:
	s_mov_b32 s3, 0x37ffffff
	v_cmp_lt_u32_e32 vcc, s3, v5
	s_mov_b64 s[10:11], 0
                                        ; implicit-def: $vgpr5
	s_and_saveexec_b64 s[16:17], vcc
	s_xor_b64 s[16:17], exec, s[16:17]
	s_cbranch_execz .LBB119_3096
; %bb.2881:
	v_bfe_u32 v5, v4, 21, 1
	s_mov_b32 s3, 0x88fffff
	v_add3_u32 v5, v4, v5, s3
	s_mov_b64 s[10:11], exec
	v_lshrrev_b32_e32 v5, 21, v5
	s_andn2_saveexec_b64 s[16:17], s[16:17]
	s_cbranch_execnz .LBB119_3097
.LBB119_2882:
	s_or_b64 exec, exec, s[16:17]
	v_mov_b32_e32 v6, 0
	s_and_saveexec_b64 s[16:17], s[10:11]
.LBB119_2883:
	v_lshrrev_b32_e32 v4, 24, v4
	s_movk_i32 s3, 0x80
	v_and_or_b32 v6, v4, s3, v5
.LBB119_2884:
	s_or_b64 exec, exec, s[16:17]
.LBB119_2885:
	s_or_b64 exec, exec, s[6:7]
	s_mov_b64 s[6:7], 0
	global_store_byte v[1:2], v6, off
.LBB119_2886:
	s_and_b64 vcc, exec, s[6:7]
	s_cbranch_vccz .LBB119_2896
; %bb.2887:
	v_cvt_f32_i32_sdwa v4, sext(v3) dst_sel:DWORD dst_unused:UNUSED_PAD src0_sel:WORD_0
	s_mov_b32 s3, 0x43f00000
                                        ; implicit-def: $vgpr5
	v_and_b32_e32 v6, 0x7fffffff, v4
	v_cmp_gt_u32_e32 vcc, s3, v6
	s_and_saveexec_b64 s[6:7], vcc
	s_xor_b64 s[6:7], exec, s[6:7]
	s_cbranch_execz .LBB119_2893
; %bb.2888:
	s_mov_b32 s3, 0x3c7fffff
	v_cmp_lt_u32_e32 vcc, s3, v6
                                        ; implicit-def: $vgpr5
	s_and_saveexec_b64 s[10:11], vcc
	s_xor_b64 s[10:11], exec, s[10:11]
; %bb.2889:
	v_bfe_u32 v5, v4, 20, 1
	s_mov_b32 s3, 0x407ffff
	v_add3_u32 v5, v4, v5, s3
	v_lshrrev_b32_e32 v6, 20, v5
	v_and_b32_e32 v5, 0xff00000, v5
	s_mov_b32 s3, 0x7f00000
	v_mov_b32_e32 v7, 0x7e
	v_cmp_ne_u32_e32 vcc, s3, v5
	v_cndmask_b32_e32 v5, v7, v6, vcc
; %bb.2890:
	s_andn2_saveexec_b64 s[10:11], s[10:11]
; %bb.2891:
	s_mov_b32 s3, 0x46800000
	v_add_f32_e64 v5, |v4|, s3
; %bb.2892:
	s_or_b64 exec, exec, s[10:11]
                                        ; implicit-def: $vgpr6
.LBB119_2893:
	s_andn2_saveexec_b64 s[6:7], s[6:7]
; %bb.2894:
	s_mov_b32 s3, 0x7f800000
	v_mov_b32_e32 v5, 0x7e
	v_mov_b32_e32 v7, 0x7f
	v_cmp_lt_u32_e32 vcc, s3, v6
	v_cndmask_b32_e32 v5, v5, v7, vcc
; %bb.2895:
	s_or_b64 exec, exec, s[6:7]
	v_lshrrev_b32_e32 v4, 24, v4
	s_movk_i32 s3, 0x80
	v_and_or_b32 v4, v4, s3, v5
	global_store_byte v[1:2], v4, off
.LBB119_2896:
	s_mov_b64 s[6:7], 0
.LBB119_2897:
	s_andn2_b64 vcc, exec, s[6:7]
	s_cbranch_vccnz .LBB119_2907
; %bb.2898:
	v_cvt_f32_i32_sdwa v4, sext(v3) dst_sel:DWORD dst_unused:UNUSED_PAD src0_sel:WORD_0
	s_mov_b32 s3, 0x47800000
                                        ; implicit-def: $vgpr5
	v_and_b32_e32 v6, 0x7fffffff, v4
	v_cmp_gt_u32_e32 vcc, s3, v6
	s_and_saveexec_b64 s[6:7], vcc
	s_xor_b64 s[6:7], exec, s[6:7]
	s_cbranch_execz .LBB119_2904
; %bb.2899:
	s_mov_b32 s3, 0x387fffff
	v_cmp_lt_u32_e32 vcc, s3, v6
                                        ; implicit-def: $vgpr5
	s_and_saveexec_b64 s[10:11], vcc
	s_xor_b64 s[10:11], exec, s[10:11]
; %bb.2900:
	v_bfe_u32 v5, v4, 21, 1
	s_mov_b32 s3, 0x80fffff
	v_add3_u32 v5, v4, v5, s3
	v_lshrrev_b32_e32 v5, 21, v5
; %bb.2901:
	s_andn2_saveexec_b64 s[10:11], s[10:11]
; %bb.2902:
	s_mov_b32 s3, 0x43000000
	v_add_f32_e64 v5, |v4|, s3
; %bb.2903:
	s_or_b64 exec, exec, s[10:11]
                                        ; implicit-def: $vgpr6
.LBB119_2904:
	s_andn2_saveexec_b64 s[6:7], s[6:7]
; %bb.2905:
	s_mov_b32 s3, 0x7f800000
	v_mov_b32_e32 v5, 0x7c
	v_mov_b32_e32 v7, 0x7f
	v_cmp_lt_u32_e32 vcc, s3, v6
	v_cndmask_b32_e32 v5, v5, v7, vcc
; %bb.2906:
	s_or_b64 exec, exec, s[6:7]
	v_lshrrev_b32_e32 v4, 24, v4
	s_movk_i32 s3, 0x80
	v_and_or_b32 v4, v4, s3, v5
	global_store_byte v[1:2], v4, off
.LBB119_2907:
	s_mov_b64 s[6:7], 0
	s_mov_b64 s[10:11], -1
.LBB119_2908:
	s_andn2_b64 vcc, exec, s[6:7]
	s_mov_b64 s[6:7], 0
	s_cbranch_vccnz .LBB119_2915
; %bb.2909:
	s_cmp_gt_i32 s22, 14
	s_mov_b64 s[16:17], -1
	s_cbranch_scc0 .LBB119_2913
; %bb.2910:
	s_cmp_eq_u32 s22, 15
	s_mov_b64 s[0:1], -1
	s_cbranch_scc0 .LBB119_2912
; %bb.2911:
	v_cvt_f32_i32_sdwa v4, sext(v3) dst_sel:DWORD dst_unused:UNUSED_PAD src0_sel:WORD_0
	s_movk_i32 s3, 0x7fff
	s_mov_b64 s[0:1], 0
	s_mov_b64 s[10:11], -1
	v_bfe_u32 v5, v4, 16, 1
	v_add3_u32 v4, v4, v5, s3
	global_store_short_d16_hi v[1:2], v4, off
.LBB119_2912:
	s_mov_b64 s[16:17], 0
.LBB119_2913:
	s_and_b64 vcc, exec, s[16:17]
	s_cbranch_vccz .LBB119_2915
; %bb.2914:
	s_cmp_lg_u32 s22, 11
	s_mov_b64 s[6:7], -1
	s_cselect_b64 s[0:1], -1, 0
.LBB119_2915:
	s_and_b64 vcc, exec, s[0:1]
	s_cbranch_vccnz .LBB119_3095
; %bb.2916:
	s_andn2_b64 vcc, exec, s[6:7]
	s_cbranch_vccnz .LBB119_2918
.LBB119_2917:
	v_cmp_ne_u16_e32 vcc, 0, v3
	v_cndmask_b32_e64 v4, 0, 1, vcc
	s_mov_b64 s[10:11], -1
	global_store_byte v[1:2], v4, off
.LBB119_2918:
	s_mov_b64 s[0:1], 0
	s_branch .LBB119_2920
.LBB119_2919:
	s_mov_b64 s[0:1], -1
	s_mov_b64 s[10:11], 0
.LBB119_2920:
	s_and_b64 vcc, exec, s[0:1]
	s_cbranch_vccz .LBB119_2959
; %bb.2921:
	s_cmp_lt_i32 s22, 5
	s_mov_b64 s[0:1], -1
	s_cbranch_scc1 .LBB119_2942
; %bb.2922:
	s_cmp_lt_i32 s22, 8
	s_cbranch_scc1 .LBB119_2932
; %bb.2923:
	s_cmp_lt_i32 s22, 9
	s_cbranch_scc1 .LBB119_2929
; %bb.2924:
	s_cmp_gt_i32 s22, 9
	s_cbranch_scc0 .LBB119_2926
; %bb.2925:
	v_bfe_i32 v4, v3, 0, 16
	v_cvt_f64_i32_e32 v[4:5], v4
	v_mov_b32_e32 v6, 0
	v_mov_b32_e32 v7, v6
	s_mov_b64 s[0:1], 0
	global_store_dwordx4 v[1:2], v[4:7], off
.LBB119_2926:
	s_andn2_b64 vcc, exec, s[0:1]
	s_cbranch_vccnz .LBB119_2928
; %bb.2927:
	v_cvt_f32_i32_sdwa v4, sext(v3) dst_sel:DWORD dst_unused:UNUSED_PAD src0_sel:WORD_0
	v_mov_b32_e32 v5, 0
	global_store_dwordx2 v[1:2], v[4:5], off
.LBB119_2928:
	s_mov_b64 s[0:1], 0
.LBB119_2929:
	s_andn2_b64 vcc, exec, s[0:1]
	s_cbranch_vccnz .LBB119_2931
; %bb.2930:
	v_cvt_f16_i16_e32 v4, v3
	global_store_dword v[1:2], v4, off
.LBB119_2931:
	s_mov_b64 s[0:1], 0
.LBB119_2932:
	s_andn2_b64 vcc, exec, s[0:1]
	s_cbranch_vccnz .LBB119_2941
; %bb.2933:
	s_cmp_lt_i32 s22, 6
	s_mov_b64 s[0:1], -1
	s_cbranch_scc1 .LBB119_2939
; %bb.2934:
	s_cmp_gt_i32 s22, 6
	s_cbranch_scc0 .LBB119_2936
; %bb.2935:
	v_bfe_i32 v4, v3, 0, 16
	v_cvt_f64_i32_e32 v[4:5], v4
	s_mov_b64 s[0:1], 0
	global_store_dwordx2 v[1:2], v[4:5], off
.LBB119_2936:
	s_andn2_b64 vcc, exec, s[0:1]
	s_cbranch_vccnz .LBB119_2938
; %bb.2937:
	v_cvt_f32_i32_sdwa v4, sext(v3) dst_sel:DWORD dst_unused:UNUSED_PAD src0_sel:WORD_0
	global_store_dword v[1:2], v4, off
.LBB119_2938:
	s_mov_b64 s[0:1], 0
.LBB119_2939:
	s_andn2_b64 vcc, exec, s[0:1]
	s_cbranch_vccnz .LBB119_2941
; %bb.2940:
	v_cvt_f16_i16_e32 v4, v3
	global_store_short v[1:2], v4, off
.LBB119_2941:
	s_mov_b64 s[0:1], 0
.LBB119_2942:
	s_andn2_b64 vcc, exec, s[0:1]
	s_cbranch_vccnz .LBB119_2958
; %bb.2943:
	s_cmp_lt_i32 s22, 2
	s_mov_b64 s[0:1], -1
	s_cbranch_scc1 .LBB119_2953
; %bb.2944:
	s_cmp_lt_i32 s22, 3
	s_cbranch_scc1 .LBB119_2950
; %bb.2945:
	s_cmp_gt_i32 s22, 3
	s_cbranch_scc0 .LBB119_2947
; %bb.2946:
	v_bfe_i32 v4, v3, 0, 16
	v_ashrrev_i32_e32 v5, 31, v4
	global_store_dwordx2 v[1:2], v[4:5], off
	s_mov_b64 s[0:1], 0
.LBB119_2947:
	s_andn2_b64 vcc, exec, s[0:1]
	s_cbranch_vccnz .LBB119_2949
; %bb.2948:
	v_bfe_i32 v4, v3, 0, 16
	global_store_dword v[1:2], v4, off
.LBB119_2949:
	s_mov_b64 s[0:1], 0
.LBB119_2950:
	s_andn2_b64 vcc, exec, s[0:1]
	s_cbranch_vccnz .LBB119_2952
; %bb.2951:
	global_store_short v[1:2], v3, off
.LBB119_2952:
	s_mov_b64 s[0:1], 0
.LBB119_2953:
	s_andn2_b64 vcc, exec, s[0:1]
	s_cbranch_vccnz .LBB119_2958
; %bb.2954:
	s_cmp_gt_i32 s22, 0
	s_mov_b64 s[0:1], -1
	s_cbranch_scc0 .LBB119_2956
; %bb.2955:
	global_store_byte v[1:2], v3, off
	s_mov_b64 s[0:1], 0
.LBB119_2956:
	s_andn2_b64 vcc, exec, s[0:1]
	s_cbranch_vccnz .LBB119_2958
; %bb.2957:
	global_store_byte v[1:2], v3, off
.LBB119_2958:
	s_mov_b64 s[10:11], -1
.LBB119_2959:
	s_andn2_b64 vcc, exec, s[10:11]
	s_cbranch_vccnz .LBB119_3036
; %bb.2960:
	v_mov_b32_e32 v1, s21
	s_waitcnt vmcnt(0)
	v_cmp_lt_i16_e32 vcc, s2, v13
	v_cndmask_b32_e32 v4, v1, v8, vcc
	v_mov_b32_e32 v1, s9
	v_add_co_u32_e32 v0, vcc, s8, v0
	s_cmp_lt_i32 s22, 11
	v_addc_co_u32_e32 v1, vcc, 0, v1, vcc
	s_cbranch_scc1 .LBB119_3081
; %bb.2961:
	s_mov_b64 s[6:7], -1
	s_mov_b64 s[2:3], 0
	s_cmp_gt_i32 s22, 25
	s_mov_b64 s[0:1], 0
	s_cbranch_scc0 .LBB119_2994
; %bb.2962:
	s_cmp_gt_i32 s22, 28
	s_cbranch_scc0 .LBB119_2978
; %bb.2963:
	s_cmp_gt_i32 s22, 43
	s_cbranch_scc0 .LBB119_2974
; %bb.2964:
	s_cmp_gt_i32 s22, 45
	s_cbranch_scc0 .LBB119_2968
; %bb.2965:
	s_cmp_eq_u32 s22, 46
	s_mov_b64 s[0:1], -1
	s_cbranch_scc0 .LBB119_2967
; %bb.2966:
	v_cvt_f32_i32_sdwa v2, sext(v4) dst_sel:DWORD dst_unused:UNUSED_PAD src0_sel:WORD_0
	s_movk_i32 s0, 0x7fff
	v_bfe_u32 v3, v2, 16, 1
	v_add3_u32 v2, v2, v3, s0
	v_lshrrev_b32_e32 v2, 16, v2
	global_store_dword v[0:1], v2, off
	s_mov_b64 s[0:1], 0
.LBB119_2967:
	s_mov_b64 s[6:7], 0
.LBB119_2968:
	s_and_b64 vcc, exec, s[6:7]
	s_cbranch_vccz .LBB119_2973
; %bb.2969:
	s_cmp_eq_u32 s22, 44
	s_mov_b64 s[0:1], -1
	s_cbranch_scc0 .LBB119_2973
; %bb.2970:
	v_cvt_f32_i32_sdwa v2, sext(v4) dst_sel:DWORD dst_unused:UNUSED_PAD src0_sel:WORD_0
	s_movk_i32 s0, 0xff
	v_mov_b32_e32 v5, 0xff
	v_bfe_u32 v3, v2, 23, 8
	v_cmp_ne_u32_e32 vcc, s0, v3
	s_and_saveexec_b64 s[6:7], vcc
; %bb.2971:
	s_mov_b32 s0, 0x3fffff
	v_lshrrev_b32_e32 v5, 23, v2
	v_and_b32_e32 v6, 0x400000, v2
	v_and_or_b32 v2, v2, s0, v3
	v_cmp_ne_u32_e32 vcc, 0, v6
	v_cmp_ne_u32_e64 s[0:1], 0, v2
	s_and_b64 s[0:1], vcc, s[0:1]
	v_cndmask_b32_e64 v2, 0, 1, s[0:1]
	v_add_u32_e32 v5, v5, v2
; %bb.2972:
	s_or_b64 exec, exec, s[6:7]
	s_mov_b64 s[0:1], 0
	global_store_byte v[0:1], v5, off
.LBB119_2973:
	s_mov_b64 s[6:7], 0
.LBB119_2974:
	s_and_b64 vcc, exec, s[6:7]
	s_cbranch_vccz .LBB119_2977
; %bb.2975:
	s_cmp_eq_u32 s22, 29
	s_mov_b64 s[0:1], -1
	s_cbranch_scc0 .LBB119_2977
; %bb.2976:
	v_bfe_i32 v2, v4, 0, 16
	v_ashrrev_i32_e32 v3, 31, v2
	global_store_dwordx2 v[0:1], v[2:3], off
	s_mov_b64 s[0:1], 0
.LBB119_2977:
	s_mov_b64 s[6:7], 0
.LBB119_2978:
	s_and_b64 vcc, exec, s[6:7]
	s_cbranch_vccz .LBB119_2993
; %bb.2979:
	s_cmp_lt_i32 s22, 27
	s_mov_b64 s[6:7], -1
	s_cbranch_scc1 .LBB119_2985
; %bb.2980:
	s_cmp_gt_i32 s22, 27
	s_cbranch_scc0 .LBB119_2982
; %bb.2981:
	v_bfe_i32 v2, v4, 0, 16
	global_store_dword v[0:1], v2, off
	s_mov_b64 s[6:7], 0
.LBB119_2982:
	s_andn2_b64 vcc, exec, s[6:7]
	s_cbranch_vccnz .LBB119_2984
; %bb.2983:
	global_store_short v[0:1], v4, off
.LBB119_2984:
	s_mov_b64 s[6:7], 0
.LBB119_2985:
	s_andn2_b64 vcc, exec, s[6:7]
	s_cbranch_vccnz .LBB119_2993
; %bb.2986:
	v_cvt_f32_i32_sdwa v2, sext(v4) dst_sel:DWORD dst_unused:UNUSED_PAD src0_sel:WORD_0
	s_mov_b32 s6, 0x43800000
	v_mov_b32_e32 v5, 0x80
	v_and_b32_e32 v3, 0x7fffffff, v2
	v_cmp_gt_u32_e32 vcc, s6, v3
	s_and_saveexec_b64 s[6:7], vcc
	s_cbranch_execz .LBB119_2992
; %bb.2987:
	s_mov_b32 s8, 0x3bffffff
	v_cmp_lt_u32_e32 vcc, s8, v3
	s_mov_b64 s[8:9], 0
                                        ; implicit-def: $vgpr3
	s_and_saveexec_b64 s[10:11], vcc
	s_xor_b64 s[10:11], exec, s[10:11]
	s_cbranch_execz .LBB119_3098
; %bb.2988:
	v_bfe_u32 v3, v2, 20, 1
	s_mov_b32 s16, 0x487ffff
	v_add3_u32 v3, v2, v3, s16
	s_mov_b64 s[8:9], exec
	v_lshrrev_b32_e32 v3, 20, v3
	s_andn2_saveexec_b64 s[10:11], s[10:11]
	s_cbranch_execnz .LBB119_3099
.LBB119_2989:
	s_or_b64 exec, exec, s[10:11]
	v_mov_b32_e32 v5, 0
	s_and_saveexec_b64 s[10:11], s[8:9]
.LBB119_2990:
	v_lshrrev_b32_e32 v2, 24, v2
	s_movk_i32 s8, 0x80
	v_and_or_b32 v5, v2, s8, v3
.LBB119_2991:
	s_or_b64 exec, exec, s[10:11]
.LBB119_2992:
	s_or_b64 exec, exec, s[6:7]
	global_store_byte v[0:1], v5, off
.LBB119_2993:
	s_mov_b64 s[6:7], 0
.LBB119_2994:
	s_and_b64 vcc, exec, s[6:7]
	s_cbranch_vccz .LBB119_3034
; %bb.2995:
	s_cmp_gt_i32 s22, 22
	s_mov_b64 s[2:3], -1
	s_cbranch_scc0 .LBB119_3027
; %bb.2996:
	s_cmp_lt_i32 s22, 24
	s_cbranch_scc1 .LBB119_3016
; %bb.2997:
	s_cmp_gt_i32 s22, 24
	s_cbranch_scc0 .LBB119_3005
; %bb.2998:
	v_cvt_f32_i32_sdwa v2, sext(v4) dst_sel:DWORD dst_unused:UNUSED_PAD src0_sel:WORD_0
	s_mov_b32 s2, 0x47800000
	v_mov_b32_e32 v5, 0x80
	v_and_b32_e32 v3, 0x7fffffff, v2
	v_cmp_gt_u32_e32 vcc, s2, v3
	s_and_saveexec_b64 s[2:3], vcc
	s_cbranch_execz .LBB119_3004
; %bb.2999:
	s_mov_b32 s6, 0x37ffffff
	v_cmp_lt_u32_e32 vcc, s6, v3
	s_mov_b64 s[6:7], 0
                                        ; implicit-def: $vgpr3
	s_and_saveexec_b64 s[8:9], vcc
	s_xor_b64 s[8:9], exec, s[8:9]
	s_cbranch_execz .LBB119_3101
; %bb.3000:
	v_bfe_u32 v3, v2, 21, 1
	s_mov_b32 s10, 0x88fffff
	v_add3_u32 v3, v2, v3, s10
	s_mov_b64 s[6:7], exec
	v_lshrrev_b32_e32 v3, 21, v3
	s_andn2_saveexec_b64 s[8:9], s[8:9]
	s_cbranch_execnz .LBB119_3102
.LBB119_3001:
	s_or_b64 exec, exec, s[8:9]
	v_mov_b32_e32 v5, 0
	s_and_saveexec_b64 s[8:9], s[6:7]
.LBB119_3002:
	v_lshrrev_b32_e32 v2, 24, v2
	s_movk_i32 s6, 0x80
	v_and_or_b32 v5, v2, s6, v3
.LBB119_3003:
	s_or_b64 exec, exec, s[8:9]
.LBB119_3004:
	s_or_b64 exec, exec, s[2:3]
	s_mov_b64 s[2:3], 0
	global_store_byte v[0:1], v5, off
.LBB119_3005:
	s_and_b64 vcc, exec, s[2:3]
	s_cbranch_vccz .LBB119_3015
; %bb.3006:
	v_cvt_f32_i32_sdwa v2, sext(v4) dst_sel:DWORD dst_unused:UNUSED_PAD src0_sel:WORD_0
	s_mov_b32 s2, 0x43f00000
                                        ; implicit-def: $vgpr3
	v_and_b32_e32 v5, 0x7fffffff, v2
	v_cmp_gt_u32_e32 vcc, s2, v5
	s_and_saveexec_b64 s[2:3], vcc
	s_xor_b64 s[2:3], exec, s[2:3]
	s_cbranch_execz .LBB119_3012
; %bb.3007:
	s_mov_b32 s6, 0x3c7fffff
	v_cmp_lt_u32_e32 vcc, s6, v5
                                        ; implicit-def: $vgpr3
	s_and_saveexec_b64 s[6:7], vcc
	s_xor_b64 s[6:7], exec, s[6:7]
; %bb.3008:
	v_bfe_u32 v3, v2, 20, 1
	s_mov_b32 s8, 0x407ffff
	v_add3_u32 v3, v2, v3, s8
	v_lshrrev_b32_e32 v5, 20, v3
	v_and_b32_e32 v3, 0xff00000, v3
	s_mov_b32 s8, 0x7f00000
	v_mov_b32_e32 v6, 0x7e
	v_cmp_ne_u32_e32 vcc, s8, v3
	v_cndmask_b32_e32 v3, v6, v5, vcc
; %bb.3009:
	s_andn2_saveexec_b64 s[6:7], s[6:7]
; %bb.3010:
	s_mov_b32 s8, 0x46800000
	v_add_f32_e64 v3, |v2|, s8
; %bb.3011:
	s_or_b64 exec, exec, s[6:7]
                                        ; implicit-def: $vgpr5
.LBB119_3012:
	s_andn2_saveexec_b64 s[2:3], s[2:3]
; %bb.3013:
	s_mov_b32 s6, 0x7f800000
	v_mov_b32_e32 v3, 0x7e
	v_mov_b32_e32 v6, 0x7f
	v_cmp_lt_u32_e32 vcc, s6, v5
	v_cndmask_b32_e32 v3, v3, v6, vcc
; %bb.3014:
	s_or_b64 exec, exec, s[2:3]
	v_lshrrev_b32_e32 v2, 24, v2
	s_movk_i32 s2, 0x80
	v_and_or_b32 v2, v2, s2, v3
	global_store_byte v[0:1], v2, off
.LBB119_3015:
	s_mov_b64 s[2:3], 0
.LBB119_3016:
	s_andn2_b64 vcc, exec, s[2:3]
	s_cbranch_vccnz .LBB119_3026
; %bb.3017:
	v_cvt_f32_i32_sdwa v2, sext(v4) dst_sel:DWORD dst_unused:UNUSED_PAD src0_sel:WORD_0
	s_mov_b32 s2, 0x47800000
                                        ; implicit-def: $vgpr3
	v_and_b32_e32 v5, 0x7fffffff, v2
	v_cmp_gt_u32_e32 vcc, s2, v5
	s_and_saveexec_b64 s[2:3], vcc
	s_xor_b64 s[2:3], exec, s[2:3]
	s_cbranch_execz .LBB119_3023
; %bb.3018:
	s_mov_b32 s6, 0x387fffff
	v_cmp_lt_u32_e32 vcc, s6, v5
                                        ; implicit-def: $vgpr3
	s_and_saveexec_b64 s[6:7], vcc
	s_xor_b64 s[6:7], exec, s[6:7]
; %bb.3019:
	v_bfe_u32 v3, v2, 21, 1
	s_mov_b32 s8, 0x80fffff
	v_add3_u32 v3, v2, v3, s8
	v_lshrrev_b32_e32 v3, 21, v3
; %bb.3020:
	s_andn2_saveexec_b64 s[6:7], s[6:7]
; %bb.3021:
	s_mov_b32 s8, 0x43000000
	v_add_f32_e64 v3, |v2|, s8
; %bb.3022:
	s_or_b64 exec, exec, s[6:7]
                                        ; implicit-def: $vgpr5
.LBB119_3023:
	s_andn2_saveexec_b64 s[2:3], s[2:3]
; %bb.3024:
	s_mov_b32 s6, 0x7f800000
	v_mov_b32_e32 v3, 0x7c
	v_mov_b32_e32 v6, 0x7f
	v_cmp_lt_u32_e32 vcc, s6, v5
	v_cndmask_b32_e32 v3, v3, v6, vcc
; %bb.3025:
	s_or_b64 exec, exec, s[2:3]
	v_lshrrev_b32_e32 v2, 24, v2
	s_movk_i32 s2, 0x80
	v_and_or_b32 v2, v2, s2, v3
	global_store_byte v[0:1], v2, off
.LBB119_3026:
	s_mov_b64 s[2:3], 0
.LBB119_3027:
	s_andn2_b64 vcc, exec, s[2:3]
	s_mov_b64 s[2:3], 0
	s_cbranch_vccnz .LBB119_3034
; %bb.3028:
	s_cmp_gt_i32 s22, 14
	s_mov_b64 s[6:7], -1
	s_cbranch_scc0 .LBB119_3032
; %bb.3029:
	s_cmp_eq_u32 s22, 15
	s_mov_b64 s[0:1], -1
	s_cbranch_scc0 .LBB119_3031
; %bb.3030:
	v_cvt_f32_i32_sdwa v2, sext(v4) dst_sel:DWORD dst_unused:UNUSED_PAD src0_sel:WORD_0
	s_movk_i32 s0, 0x7fff
	v_bfe_u32 v3, v2, 16, 1
	v_add3_u32 v2, v2, v3, s0
	global_store_short_d16_hi v[0:1], v2, off
	s_mov_b64 s[0:1], 0
.LBB119_3031:
	s_mov_b64 s[6:7], 0
.LBB119_3032:
	s_and_b64 vcc, exec, s[6:7]
	s_cbranch_vccz .LBB119_3034
; %bb.3033:
	s_cmp_lg_u32 s22, 11
	s_mov_b64 s[2:3], -1
	s_cselect_b64 s[0:1], -1, 0
.LBB119_3034:
	s_and_b64 vcc, exec, s[0:1]
	s_cbranch_vccnz .LBB119_3100
.LBB119_3035:
	s_mov_b64 s[0:1], 0
	s_branch .LBB119_3037
.LBB119_3036:
	s_mov_b64 s[0:1], 0
	s_mov_b64 s[2:3], 0
                                        ; implicit-def: $vgpr0_vgpr1
                                        ; implicit-def: $sgpr20
                                        ; implicit-def: $vgpr4
.LBB119_3037:
	s_and_b64 s[6:7], s[2:3], exec
	s_andn2_b64 s[2:3], s[12:13], exec
	s_and_b64 s[4:5], s[4:5], exec
	s_and_b64 s[0:1], s[0:1], exec
	s_or_b64 s[12:13], s[2:3], s[4:5]
.LBB119_3038:
	s_or_b64 exec, exec, s[14:15]
	s_and_saveexec_b64 s[2:3], s[12:13]
	s_cbranch_execz .LBB119_3041
; %bb.3039:
	; divergent unreachable
	s_or_b64 exec, exec, s[2:3]
	s_and_saveexec_b64 s[2:3], s[6:7]
	s_xor_b64 s[2:3], exec, s[2:3]
	s_cbranch_execnz .LBB119_3042
.LBB119_3040:
	s_or_b64 exec, exec, s[2:3]
	s_and_saveexec_b64 s[2:3], s[0:1]
	s_cbranch_execnz .LBB119_3043
	s_branch .LBB119_3080
.LBB119_3041:
	s_or_b64 exec, exec, s[2:3]
	s_and_saveexec_b64 s[2:3], s[6:7]
	s_xor_b64 s[2:3], exec, s[2:3]
	s_cbranch_execz .LBB119_3040
.LBB119_3042:
	s_waitcnt vmcnt(0)
	v_cmp_ne_u16_e32 vcc, 0, v4
	v_cndmask_b32_e64 v2, 0, 1, vcc
	global_store_byte v[0:1], v2, off
	s_or_b64 exec, exec, s[2:3]
	s_and_saveexec_b64 s[2:3], s[0:1]
	s_cbranch_execz .LBB119_3080
.LBB119_3043:
	s_sext_i32_i16 s2, s20
	s_cmp_lt_i32 s2, 5
	s_mov_b64 s[0:1], -1
	s_cbranch_scc1 .LBB119_3064
; %bb.3044:
	s_cmp_lt_i32 s2, 8
	s_cbranch_scc1 .LBB119_3054
; %bb.3045:
	s_cmp_lt_i32 s2, 9
	s_cbranch_scc1 .LBB119_3051
; %bb.3046:
	s_cmp_gt_i32 s2, 9
	s_cbranch_scc0 .LBB119_3048
; %bb.3047:
	s_waitcnt vmcnt(0)
	v_bfe_i32 v2, v4, 0, 16
	v_cvt_f64_i32_e32 v[5:6], v2
	v_mov_b32_e32 v7, 0
	v_mov_b32_e32 v8, v7
	s_mov_b64 s[0:1], 0
	global_store_dwordx4 v[0:1], v[5:8], off
.LBB119_3048:
	s_andn2_b64 vcc, exec, s[0:1]
	s_cbranch_vccnz .LBB119_3050
; %bb.3049:
	s_waitcnt vmcnt(0)
	v_cvt_f32_i32_sdwa v2, sext(v4) dst_sel:DWORD dst_unused:UNUSED_PAD src0_sel:WORD_0
	v_mov_b32_e32 v3, 0
	global_store_dwordx2 v[0:1], v[2:3], off
.LBB119_3050:
	s_mov_b64 s[0:1], 0
.LBB119_3051:
	s_andn2_b64 vcc, exec, s[0:1]
	s_cbranch_vccnz .LBB119_3053
; %bb.3052:
	s_waitcnt vmcnt(0)
	v_cvt_f16_i16_e32 v2, v4
	global_store_dword v[0:1], v2, off
.LBB119_3053:
	s_mov_b64 s[0:1], 0
.LBB119_3054:
	s_andn2_b64 vcc, exec, s[0:1]
	s_cbranch_vccnz .LBB119_3063
; %bb.3055:
	s_sext_i32_i16 s2, s20
	s_cmp_lt_i32 s2, 6
	s_mov_b64 s[0:1], -1
	s_cbranch_scc1 .LBB119_3061
; %bb.3056:
	s_cmp_gt_i32 s2, 6
	s_cbranch_scc0 .LBB119_3058
; %bb.3057:
	s_waitcnt vmcnt(0)
	v_bfe_i32 v2, v4, 0, 16
	v_cvt_f64_i32_e32 v[2:3], v2
	s_mov_b64 s[0:1], 0
	global_store_dwordx2 v[0:1], v[2:3], off
.LBB119_3058:
	s_andn2_b64 vcc, exec, s[0:1]
	s_cbranch_vccnz .LBB119_3060
; %bb.3059:
	s_waitcnt vmcnt(0)
	v_cvt_f32_i32_sdwa v2, sext(v4) dst_sel:DWORD dst_unused:UNUSED_PAD src0_sel:WORD_0
	global_store_dword v[0:1], v2, off
.LBB119_3060:
	s_mov_b64 s[0:1], 0
.LBB119_3061:
	s_andn2_b64 vcc, exec, s[0:1]
	s_cbranch_vccnz .LBB119_3063
; %bb.3062:
	s_waitcnt vmcnt(0)
	v_cvt_f16_i16_e32 v2, v4
	global_store_short v[0:1], v2, off
.LBB119_3063:
	s_mov_b64 s[0:1], 0
.LBB119_3064:
	s_andn2_b64 vcc, exec, s[0:1]
	s_cbranch_vccnz .LBB119_3080
; %bb.3065:
	s_sext_i32_i16 s2, s20
	s_cmp_lt_i32 s2, 2
	s_mov_b64 s[0:1], -1
	s_cbranch_scc1 .LBB119_3075
; %bb.3066:
	s_cmp_lt_i32 s2, 3
	s_cbranch_scc1 .LBB119_3072
; %bb.3067:
	s_cmp_gt_i32 s2, 3
	s_waitcnt vmcnt(0)
	v_bfe_i32 v2, v4, 0, 16
	s_cbranch_scc0 .LBB119_3069
; %bb.3068:
	v_ashrrev_i32_e32 v3, 31, v2
	global_store_dwordx2 v[0:1], v[2:3], off
	s_mov_b64 s[0:1], 0
.LBB119_3069:
	s_andn2_b64 vcc, exec, s[0:1]
	s_cbranch_vccnz .LBB119_3071
; %bb.3070:
	global_store_dword v[0:1], v2, off
.LBB119_3071:
	s_mov_b64 s[0:1], 0
.LBB119_3072:
	s_andn2_b64 vcc, exec, s[0:1]
	s_cbranch_vccnz .LBB119_3074
; %bb.3073:
	s_waitcnt vmcnt(0)
	global_store_short v[0:1], v4, off
.LBB119_3074:
	s_mov_b64 s[0:1], 0
.LBB119_3075:
	s_andn2_b64 vcc, exec, s[0:1]
	s_cbranch_vccnz .LBB119_3080
; %bb.3076:
	s_sext_i32_i16 s0, s20
	s_cmp_gt_i32 s0, 0
	s_mov_b64 s[0:1], -1
	s_cbranch_scc0 .LBB119_3078
; %bb.3077:
	s_waitcnt vmcnt(0)
	global_store_byte v[0:1], v4, off
	s_mov_b64 s[0:1], 0
.LBB119_3078:
	s_andn2_b64 vcc, exec, s[0:1]
	s_cbranch_vccnz .LBB119_3080
; %bb.3079:
	s_waitcnt vmcnt(0)
	global_store_byte v[0:1], v4, off
	s_endpgm
.LBB119_3080:
	s_endpgm
.LBB119_3081:
	s_mov_b64 s[2:3], 0
	s_mov_b64 s[0:1], -1
	s_branch .LBB119_3037
.LBB119_3082:
	s_trap 2
	s_or_b64 s[4:5], s[4:5], exec
	s_cbranch_execz .LBB119_2551
	s_branch .LBB119_2552
.LBB119_3083:
	s_andn2_saveexec_b64 s[18:19], s[18:19]
	s_cbranch_execz .LBB119_2631
.LBB119_3084:
	s_mov_b32 s22, 0x46000000
	v_add_f32_e64 v7, |v3|, s22
	v_and_b32_e32 v7, 0xff, v7
	v_cmp_ne_u32_e32 vcc, 0, v7
	s_andn2_b64 s[16:17], s[16:17], exec
	s_and_b64 s[22:23], vcc, exec
	s_or_b64 s[16:17], s[16:17], s[22:23]
	s_or_b64 exec, exec, s[18:19]
	v_mov_b32_e32 v9, 0
	s_and_saveexec_b64 s[18:19], s[16:17]
	s_cbranch_execnz .LBB119_2632
	s_branch .LBB119_2633
.LBB119_3085:
	s_trap 2
	s_or_b64 s[4:5], s[4:5], exec
	s_cbranch_execz .LBB119_2679
	s_branch .LBB119_2680
.LBB119_3086:
	s_andn2_saveexec_b64 s[16:17], s[16:17]
	s_cbranch_execz .LBB119_2644
.LBB119_3087:
	s_mov_b32 s18, 0x42800000
	v_add_f32_e64 v7, |v3|, s18
	v_and_b32_e32 v7, 0xff, v7
	v_cmp_ne_u32_e32 vcc, 0, v7
	s_andn2_b64 s[10:11], s[10:11], exec
	s_and_b64 s[18:19], vcc, exec
	s_or_b64 s[10:11], s[10:11], s[18:19]
	s_or_b64 exec, exec, s[16:17]
	v_mov_b32_e32 v9, 0
	s_and_saveexec_b64 s[16:17], s[10:11]
	s_cbranch_execnz .LBB119_2645
	s_branch .LBB119_2646
.LBB119_3088:
	s_andn2_saveexec_b64 s[18:19], s[18:19]
	s_cbranch_execz .LBB119_2750
.LBB119_3089:
	s_mov_b32 s3, 0x46000000
	v_add_f32_e64 v6, |v5|, s3
	v_and_b32_e32 v6, 0xff, v6
	v_cmp_ne_u32_e32 vcc, 0, v6
	s_andn2_b64 s[16:17], s[16:17], exec
	s_and_b64 s[24:25], vcc, exec
	s_or_b64 s[16:17], s[16:17], s[24:25]
	s_or_b64 exec, exec, s[18:19]
	v_mov_b32_e32 v7, 0
	s_and_saveexec_b64 s[18:19], s[16:17]
	s_cbranch_execnz .LBB119_2751
	s_branch .LBB119_2752
.LBB119_3090:
	s_trap 2
	s_or_b64 s[4:5], s[4:5], exec
	s_cbranch_execz .LBB119_2798
	s_branch .LBB119_2799
.LBB119_3091:
	s_andn2_saveexec_b64 s[16:17], s[16:17]
	s_cbranch_execz .LBB119_2763
.LBB119_3092:
	s_mov_b32 s3, 0x42800000
	v_add_f32_e64 v6, |v5|, s3
	v_and_b32_e32 v6, 0xff, v6
	v_cmp_ne_u32_e32 vcc, 0, v6
	s_andn2_b64 s[10:11], s[10:11], exec
	s_and_b64 s[18:19], vcc, exec
	s_or_b64 s[10:11], s[10:11], s[18:19]
	s_or_b64 exec, exec, s[16:17]
	v_mov_b32_e32 v7, 0
	s_and_saveexec_b64 s[16:17], s[10:11]
	s_cbranch_execnz .LBB119_2764
	s_branch .LBB119_2765
.LBB119_3093:
	s_andn2_saveexec_b64 s[18:19], s[18:19]
	s_cbranch_execz .LBB119_2869
.LBB119_3094:
	s_mov_b32 s3, 0x46000000
	v_add_f32_e64 v5, |v4|, s3
	v_and_b32_e32 v5, 0xff, v5
	v_cmp_ne_u32_e32 vcc, 0, v5
	s_andn2_b64 s[16:17], s[16:17], exec
	s_and_b64 s[24:25], vcc, exec
	s_or_b64 s[16:17], s[16:17], s[24:25]
	s_or_b64 exec, exec, s[18:19]
	v_mov_b32_e32 v6, 0
	s_and_saveexec_b64 s[18:19], s[16:17]
	s_cbranch_execnz .LBB119_2870
	s_branch .LBB119_2871
.LBB119_3095:
	s_trap 2
	s_or_b64 s[4:5], s[4:5], exec
	s_cbranch_execz .LBB119_2917
	s_branch .LBB119_2918
.LBB119_3096:
	s_andn2_saveexec_b64 s[16:17], s[16:17]
	s_cbranch_execz .LBB119_2882
.LBB119_3097:
	s_mov_b32 s3, 0x42800000
	v_add_f32_e64 v5, |v4|, s3
	v_and_b32_e32 v5, 0xff, v5
	v_cmp_ne_u32_e32 vcc, 0, v5
	s_andn2_b64 s[10:11], s[10:11], exec
	s_and_b64 s[18:19], vcc, exec
	s_or_b64 s[10:11], s[10:11], s[18:19]
	s_or_b64 exec, exec, s[16:17]
	v_mov_b32_e32 v6, 0
	s_and_saveexec_b64 s[16:17], s[10:11]
	s_cbranch_execnz .LBB119_2883
	s_branch .LBB119_2884
.LBB119_3098:
	s_andn2_saveexec_b64 s[10:11], s[10:11]
	s_cbranch_execz .LBB119_2989
.LBB119_3099:
	s_mov_b32 s16, 0x46000000
	v_add_f32_e64 v3, |v2|, s16
	v_and_b32_e32 v3, 0xff, v3
	v_cmp_ne_u32_e32 vcc, 0, v3
	s_andn2_b64 s[8:9], s[8:9], exec
	s_and_b64 s[16:17], vcc, exec
	s_or_b64 s[8:9], s[8:9], s[16:17]
	s_or_b64 exec, exec, s[10:11]
	v_mov_b32_e32 v5, 0
	s_and_saveexec_b64 s[10:11], s[8:9]
	s_cbranch_execnz .LBB119_2990
	s_branch .LBB119_2991
.LBB119_3100:
	s_mov_b64 s[2:3], 0
	s_or_b64 s[4:5], s[4:5], exec
	s_trap 2
	s_branch .LBB119_3035
.LBB119_3101:
	s_andn2_saveexec_b64 s[8:9], s[8:9]
	s_cbranch_execz .LBB119_3001
.LBB119_3102:
	s_mov_b32 s10, 0x42800000
	v_add_f32_e64 v3, |v2|, s10
	v_and_b32_e32 v3, 0xff, v3
	v_cmp_ne_u32_e32 vcc, 0, v3
	s_andn2_b64 s[6:7], s[6:7], exec
	s_and_b64 s[10:11], vcc, exec
	s_or_b64 s[6:7], s[6:7], s[10:11]
	s_or_b64 exec, exec, s[8:9]
	v_mov_b32_e32 v5, 0
	s_and_saveexec_b64 s[8:9], s[6:7]
	s_cbranch_execnz .LBB119_3002
	s_branch .LBB119_3003
	.section	.rodata,"a",@progbits
	.p2align	6, 0x0
	.amdhsa_kernel _ZN2at6native32elementwise_kernel_manual_unrollILi128ELi4EZNS0_15gpu_kernel_implINS0_13BinaryFunctorIsssZNS0_12_GLOBAL__N_121threshold_kernel_implIsEEvRNS_18TensorIteratorBaseET_S8_EUlssE_EEEEvS7_RKS8_EUlibE0_EEviT1_
		.amdhsa_group_segment_fixed_size 0
		.amdhsa_private_segment_fixed_size 0
		.amdhsa_kernarg_size 432
		.amdhsa_user_sgpr_count 6
		.amdhsa_user_sgpr_private_segment_buffer 1
		.amdhsa_user_sgpr_dispatch_ptr 0
		.amdhsa_user_sgpr_queue_ptr 0
		.amdhsa_user_sgpr_kernarg_segment_ptr 1
		.amdhsa_user_sgpr_dispatch_id 0
		.amdhsa_user_sgpr_flat_scratch_init 0
		.amdhsa_user_sgpr_private_segment_size 0
		.amdhsa_uses_dynamic_stack 0
		.amdhsa_system_sgpr_private_segment_wavefront_offset 0
		.amdhsa_system_sgpr_workgroup_id_x 1
		.amdhsa_system_sgpr_workgroup_id_y 0
		.amdhsa_system_sgpr_workgroup_id_z 0
		.amdhsa_system_sgpr_workgroup_info 0
		.amdhsa_system_vgpr_workitem_id 0
		.amdhsa_next_free_vgpr 23
		.amdhsa_next_free_sgpr 82
		.amdhsa_reserve_vcc 1
		.amdhsa_reserve_flat_scratch 0
		.amdhsa_float_round_mode_32 0
		.amdhsa_float_round_mode_16_64 0
		.amdhsa_float_denorm_mode_32 3
		.amdhsa_float_denorm_mode_16_64 3
		.amdhsa_dx10_clamp 1
		.amdhsa_ieee_mode 1
		.amdhsa_fp16_overflow 0
		.amdhsa_exception_fp_ieee_invalid_op 0
		.amdhsa_exception_fp_denorm_src 0
		.amdhsa_exception_fp_ieee_div_zero 0
		.amdhsa_exception_fp_ieee_overflow 0
		.amdhsa_exception_fp_ieee_underflow 0
		.amdhsa_exception_fp_ieee_inexact 0
		.amdhsa_exception_int_div_zero 0
	.end_amdhsa_kernel
	.section	.text._ZN2at6native32elementwise_kernel_manual_unrollILi128ELi4EZNS0_15gpu_kernel_implINS0_13BinaryFunctorIsssZNS0_12_GLOBAL__N_121threshold_kernel_implIsEEvRNS_18TensorIteratorBaseET_S8_EUlssE_EEEEvS7_RKS8_EUlibE0_EEviT1_,"axG",@progbits,_ZN2at6native32elementwise_kernel_manual_unrollILi128ELi4EZNS0_15gpu_kernel_implINS0_13BinaryFunctorIsssZNS0_12_GLOBAL__N_121threshold_kernel_implIsEEvRNS_18TensorIteratorBaseET_S8_EUlssE_EEEEvS7_RKS8_EUlibE0_EEviT1_,comdat
.Lfunc_end119:
	.size	_ZN2at6native32elementwise_kernel_manual_unrollILi128ELi4EZNS0_15gpu_kernel_implINS0_13BinaryFunctorIsssZNS0_12_GLOBAL__N_121threshold_kernel_implIsEEvRNS_18TensorIteratorBaseET_S8_EUlssE_EEEEvS7_RKS8_EUlibE0_EEviT1_, .Lfunc_end119-_ZN2at6native32elementwise_kernel_manual_unrollILi128ELi4EZNS0_15gpu_kernel_implINS0_13BinaryFunctorIsssZNS0_12_GLOBAL__N_121threshold_kernel_implIsEEvRNS_18TensorIteratorBaseET_S8_EUlssE_EEEEvS7_RKS8_EUlibE0_EEviT1_
                                        ; -- End function
	.set _ZN2at6native32elementwise_kernel_manual_unrollILi128ELi4EZNS0_15gpu_kernel_implINS0_13BinaryFunctorIsssZNS0_12_GLOBAL__N_121threshold_kernel_implIsEEvRNS_18TensorIteratorBaseET_S8_EUlssE_EEEEvS7_RKS8_EUlibE0_EEviT1_.num_vgpr, 23
	.set _ZN2at6native32elementwise_kernel_manual_unrollILi128ELi4EZNS0_15gpu_kernel_implINS0_13BinaryFunctorIsssZNS0_12_GLOBAL__N_121threshold_kernel_implIsEEvRNS_18TensorIteratorBaseET_S8_EUlssE_EEEEvS7_RKS8_EUlibE0_EEviT1_.num_agpr, 0
	.set _ZN2at6native32elementwise_kernel_manual_unrollILi128ELi4EZNS0_15gpu_kernel_implINS0_13BinaryFunctorIsssZNS0_12_GLOBAL__N_121threshold_kernel_implIsEEvRNS_18TensorIteratorBaseET_S8_EUlssE_EEEEvS7_RKS8_EUlibE0_EEviT1_.numbered_sgpr, 82
	.set _ZN2at6native32elementwise_kernel_manual_unrollILi128ELi4EZNS0_15gpu_kernel_implINS0_13BinaryFunctorIsssZNS0_12_GLOBAL__N_121threshold_kernel_implIsEEvRNS_18TensorIteratorBaseET_S8_EUlssE_EEEEvS7_RKS8_EUlibE0_EEviT1_.num_named_barrier, 0
	.set _ZN2at6native32elementwise_kernel_manual_unrollILi128ELi4EZNS0_15gpu_kernel_implINS0_13BinaryFunctorIsssZNS0_12_GLOBAL__N_121threshold_kernel_implIsEEvRNS_18TensorIteratorBaseET_S8_EUlssE_EEEEvS7_RKS8_EUlibE0_EEviT1_.private_seg_size, 0
	.set _ZN2at6native32elementwise_kernel_manual_unrollILi128ELi4EZNS0_15gpu_kernel_implINS0_13BinaryFunctorIsssZNS0_12_GLOBAL__N_121threshold_kernel_implIsEEvRNS_18TensorIteratorBaseET_S8_EUlssE_EEEEvS7_RKS8_EUlibE0_EEviT1_.uses_vcc, 1
	.set _ZN2at6native32elementwise_kernel_manual_unrollILi128ELi4EZNS0_15gpu_kernel_implINS0_13BinaryFunctorIsssZNS0_12_GLOBAL__N_121threshold_kernel_implIsEEvRNS_18TensorIteratorBaseET_S8_EUlssE_EEEEvS7_RKS8_EUlibE0_EEviT1_.uses_flat_scratch, 0
	.set _ZN2at6native32elementwise_kernel_manual_unrollILi128ELi4EZNS0_15gpu_kernel_implINS0_13BinaryFunctorIsssZNS0_12_GLOBAL__N_121threshold_kernel_implIsEEvRNS_18TensorIteratorBaseET_S8_EUlssE_EEEEvS7_RKS8_EUlibE0_EEviT1_.has_dyn_sized_stack, 0
	.set _ZN2at6native32elementwise_kernel_manual_unrollILi128ELi4EZNS0_15gpu_kernel_implINS0_13BinaryFunctorIsssZNS0_12_GLOBAL__N_121threshold_kernel_implIsEEvRNS_18TensorIteratorBaseET_S8_EUlssE_EEEEvS7_RKS8_EUlibE0_EEviT1_.has_recursion, 0
	.set _ZN2at6native32elementwise_kernel_manual_unrollILi128ELi4EZNS0_15gpu_kernel_implINS0_13BinaryFunctorIsssZNS0_12_GLOBAL__N_121threshold_kernel_implIsEEvRNS_18TensorIteratorBaseET_S8_EUlssE_EEEEvS7_RKS8_EUlibE0_EEviT1_.has_indirect_call, 0
	.section	.AMDGPU.csdata,"",@progbits
; Kernel info:
; codeLenInByte = 48280
; TotalNumSgprs: 86
; NumVgprs: 23
; ScratchSize: 0
; MemoryBound: 1
; FloatMode: 240
; IeeeMode: 1
; LDSByteSize: 0 bytes/workgroup (compile time only)
; SGPRBlocks: 10
; VGPRBlocks: 5
; NumSGPRsForWavesPerEU: 86
; NumVGPRsForWavesPerEU: 23
; Occupancy: 9
; WaveLimiterHint : 1
; COMPUTE_PGM_RSRC2:SCRATCH_EN: 0
; COMPUTE_PGM_RSRC2:USER_SGPR: 6
; COMPUTE_PGM_RSRC2:TRAP_HANDLER: 0
; COMPUTE_PGM_RSRC2:TGID_X_EN: 1
; COMPUTE_PGM_RSRC2:TGID_Y_EN: 0
; COMPUTE_PGM_RSRC2:TGID_Z_EN: 0
; COMPUTE_PGM_RSRC2:TIDIG_COMP_CNT: 0
	.section	.text._ZN2at6native29vectorized_elementwise_kernelILi16ENS0_13AUnaryFunctorIdddZNS0_12_GLOBAL__N_121threshold_kernel_implIdEEvRNS_18TensorIteratorBaseET_S7_EUlddE_EESt5arrayIPcLm2EEEEviT0_T1_,"axG",@progbits,_ZN2at6native29vectorized_elementwise_kernelILi16ENS0_13AUnaryFunctorIdddZNS0_12_GLOBAL__N_121threshold_kernel_implIdEEvRNS_18TensorIteratorBaseET_S7_EUlddE_EESt5arrayIPcLm2EEEEviT0_T1_,comdat
	.globl	_ZN2at6native29vectorized_elementwise_kernelILi16ENS0_13AUnaryFunctorIdddZNS0_12_GLOBAL__N_121threshold_kernel_implIdEEvRNS_18TensorIteratorBaseET_S7_EUlddE_EESt5arrayIPcLm2EEEEviT0_T1_ ; -- Begin function _ZN2at6native29vectorized_elementwise_kernelILi16ENS0_13AUnaryFunctorIdddZNS0_12_GLOBAL__N_121threshold_kernel_implIdEEvRNS_18TensorIteratorBaseET_S7_EUlddE_EESt5arrayIPcLm2EEEEviT0_T1_
	.p2align	8
	.type	_ZN2at6native29vectorized_elementwise_kernelILi16ENS0_13AUnaryFunctorIdddZNS0_12_GLOBAL__N_121threshold_kernel_implIdEEvRNS_18TensorIteratorBaseET_S7_EUlddE_EESt5arrayIPcLm2EEEEviT0_T1_,@function
_ZN2at6native29vectorized_elementwise_kernelILi16ENS0_13AUnaryFunctorIdddZNS0_12_GLOBAL__N_121threshold_kernel_implIdEEvRNS_18TensorIteratorBaseET_S7_EUlddE_EESt5arrayIPcLm2EEEEviT0_T1_: ; @_ZN2at6native29vectorized_elementwise_kernelILi16ENS0_13AUnaryFunctorIdddZNS0_12_GLOBAL__N_121threshold_kernel_implIdEEvRNS_18TensorIteratorBaseET_S7_EUlddE_EESt5arrayIPcLm2EEEEviT0_T1_
; %bb.0:
	s_load_dword s0, s[4:5], 0x0
	s_load_dwordx8 s[8:15], s[4:5], 0x8
	s_load_dwordx2 s[2:3], s[4:5], 0x28
	s_lshl_b32 s4, s6, 10
	s_waitcnt lgkmcnt(0)
	s_sub_i32 s16, s0, s4
	s_cmpk_gt_i32 s16, 0x3ff
	s_mov_b64 s[0:1], -1
	s_cbranch_scc0 .LBB120_2
; %bb.1:
	s_ashr_i32 s5, s4, 31
	s_lshl_b64 s[0:1], s[4:5], 3
	s_add_u32 s6, s2, s0
	s_addc_u32 s7, s3, s1
	v_lshlrev_b32_e32 v11, 5, v0
	global_load_dwordx4 v[1:4], v11, s[6:7]
	global_load_dwordx4 v[5:8], v11, s[6:7] offset:16
	v_mov_b32_e32 v10, s9
	v_mov_b32_e32 v9, s8
	v_cmp_nle_f64_e32 vcc, s[12:13], v[9:10]
	v_mov_b32_e32 v12, s11
	v_mov_b32_e32 v9, s10
	s_add_u32 s0, s14, s0
	s_addc_u32 s1, s15, s1
	s_waitcnt vmcnt(1)
	v_cndmask_b32_e32 v2, v12, v2, vcc
	v_cndmask_b32_e32 v1, v9, v1, vcc
	v_cndmask_b32_e32 v4, v12, v4, vcc
	v_cndmask_b32_e32 v3, v9, v3, vcc
	s_waitcnt vmcnt(0)
	v_cndmask_b32_e32 v6, v12, v6, vcc
	v_cndmask_b32_e32 v5, v9, v5, vcc
	;; [unrolled: 1-line block ×4, first 2 shown]
	global_store_dwordx4 v11, v[1:4], s[0:1]
	global_store_dwordx4 v11, v[5:8], s[0:1] offset:16
	s_mov_b64 s[0:1], 0
.LBB120_2:
	s_andn2_b64 vcc, exec, s[0:1]
	s_cbranch_vccnz .LBB120_16
; %bb.3:
	v_mov_b32_e32 v3, 0
	v_mov_b32_e32 v5, 0
	v_cmp_gt_i32_e32 vcc, s16, v0
	v_mov_b32_e32 v4, 0
	v_or_b32_e32 v1, s4, v0
	v_mov_b32_e32 v6, 0
	v_mov_b32_e32 v2, v0
	s_and_saveexec_b64 s[6:7], vcc
	s_cbranch_execz .LBB120_5
; %bb.4:
	v_mov_b32_e32 v2, 0
	v_lshlrev_b64 v[5:6], 3, v[1:2]
	v_mov_b32_e32 v2, s3
	v_add_co_u32_e64 v5, s[0:1], s2, v5
	v_addc_co_u32_e64 v6, s[0:1], v2, v6, s[0:1]
	global_load_dwordx2 v[5:6], v[5:6], off
	v_or_b32_e32 v2, 0x100, v0
.LBB120_5:
	s_or_b64 exec, exec, s[6:7]
	v_cmp_gt_i32_e64 s[0:1], s16, v2
	s_and_saveexec_b64 s[6:7], s[0:1]
	s_cbranch_execz .LBB120_7
; %bb.6:
	v_add_u32_e32 v3, s4, v2
	v_mov_b32_e32 v4, 0
	v_lshlrev_b64 v[3:4], 3, v[3:4]
	v_mov_b32_e32 v7, s3
	v_add_co_u32_e64 v3, s[0:1], s2, v3
	v_addc_co_u32_e64 v4, s[0:1], v7, v4, s[0:1]
	global_load_dwordx2 v[3:4], v[3:4], off
	v_add_u32_e32 v2, 0x100, v2
.LBB120_7:
	s_or_b64 exec, exec, s[6:7]
	v_mov_b32_e32 v7, 0
	v_mov_b32_e32 v9, 0
	;; [unrolled: 1-line block ×4, first 2 shown]
	v_cmp_gt_i32_e64 s[0:1], s16, v2
	s_and_saveexec_b64 s[6:7], s[0:1]
	s_cbranch_execz .LBB120_9
; %bb.8:
	v_add_u32_e32 v9, s4, v2
	v_mov_b32_e32 v10, 0
	v_lshlrev_b64 v[9:10], 3, v[9:10]
	v_mov_b32_e32 v11, s3
	v_add_co_u32_e64 v9, s[0:1], s2, v9
	v_addc_co_u32_e64 v10, s[0:1], v11, v10, s[0:1]
	global_load_dwordx2 v[9:10], v[9:10], off
	v_add_u32_e32 v2, 0x100, v2
.LBB120_9:
	s_or_b64 exec, exec, s[6:7]
	v_cmp_gt_i32_e64 s[0:1], s16, v2
	s_and_saveexec_b64 s[6:7], s[0:1]
	s_cbranch_execz .LBB120_11
; %bb.10:
	v_add_u32_e32 v7, s4, v2
	v_mov_b32_e32 v8, 0
	v_lshlrev_b64 v[7:8], 3, v[7:8]
	v_mov_b32_e32 v2, s3
	v_add_co_u32_e64 v7, s[0:1], s2, v7
	v_addc_co_u32_e64 v8, s[0:1], v2, v8, s[0:1]
	global_load_dwordx2 v[7:8], v[7:8], off
.LBB120_11:
	s_or_b64 exec, exec, s[6:7]
	v_mov_b32_e32 v12, s9
	v_mov_b32_e32 v11, s8
	v_cmp_nle_f64_e64 s[0:1], s[12:13], v[11:12]
	v_mov_b32_e32 v2, s10
	v_or_b32_e32 v15, 0x100, v0
	v_mov_b32_e32 v16, s11
	v_cmp_gt_i32_e64 s[2:3], s16, v15
	s_waitcnt vmcnt(0)
	v_cndmask_b32_e64 v5, v2, v5, s[0:1]
	v_cndmask_b32_e64 v3, v2, v3, s[0:1]
	v_cndmask_b32_e32 v13, 0, v5, vcc
	v_cndmask_b32_e64 v5, v16, v6, s[0:1]
	v_cndmask_b32_e64 v4, v16, v4, s[0:1]
	v_cndmask_b32_e64 v11, 0, v3, s[2:3]
	v_or_b32_e32 v3, 0x200, v0
	v_cndmask_b32_e32 v14, 0, v5, vcc
	v_cndmask_b32_e64 v12, 0, v4, s[2:3]
	v_cndmask_b32_e64 v4, v2, v9, s[0:1]
	;; [unrolled: 1-line block ×3, first 2 shown]
	v_cmp_gt_i32_e64 s[2:3], s16, v3
	v_or_b32_e32 v3, 0x300, v0
	v_cndmask_b32_e64 v6, 0, v5, s[2:3]
	v_cndmask_b32_e64 v5, 0, v4, s[2:3]
	;; [unrolled: 1-line block ×4, first 2 shown]
	v_cmp_gt_i32_e64 s[0:1], s16, v3
	v_cndmask_b32_e64 v4, 0, v4, s[0:1]
	v_cndmask_b32_e64 v3, 0, v2, s[0:1]
	s_and_saveexec_b64 s[0:1], vcc
	s_cbranch_execnz .LBB120_17
; %bb.12:
	s_or_b64 exec, exec, s[0:1]
	v_cmp_gt_i32_e32 vcc, s16, v0
	s_and_saveexec_b64 s[0:1], vcc
	s_cbranch_execnz .LBB120_18
.LBB120_13:
	s_or_b64 exec, exec, s[0:1]
	v_cmp_gt_i32_e32 vcc, s16, v0
	s_and_saveexec_b64 s[0:1], vcc
	s_cbranch_execnz .LBB120_19
.LBB120_14:
	s_or_b64 exec, exec, s[0:1]
	v_cmp_gt_i32_e32 vcc, s16, v0
	s_and_saveexec_b64 s[0:1], vcc
	s_cbranch_execz .LBB120_16
.LBB120_15:
	v_add_u32_e32 v0, s4, v0
	v_mov_b32_e32 v1, 0
	v_lshlrev_b64 v[0:1], 3, v[0:1]
	v_mov_b32_e32 v2, s15
	v_add_co_u32_e32 v0, vcc, s14, v0
	v_addc_co_u32_e32 v1, vcc, v2, v1, vcc
	global_store_dwordx2 v[0:1], v[3:4], off
.LBB120_16:
	s_endpgm
.LBB120_17:
	v_mov_b32_e32 v2, 0
	v_lshlrev_b64 v[0:1], 3, v[1:2]
	v_mov_b32_e32 v2, s15
	v_add_co_u32_e32 v0, vcc, s14, v0
	v_addc_co_u32_e32 v1, vcc, v2, v1, vcc
	global_store_dwordx2 v[0:1], v[13:14], off
	v_mov_b32_e32 v0, v15
	s_or_b64 exec, exec, s[0:1]
	v_cmp_gt_i32_e32 vcc, s16, v0
	s_and_saveexec_b64 s[0:1], vcc
	s_cbranch_execz .LBB120_13
.LBB120_18:
	v_add_u32_e32 v1, s4, v0
	v_mov_b32_e32 v2, 0
	v_lshlrev_b64 v[1:2], 3, v[1:2]
	v_mov_b32_e32 v7, s15
	v_add_co_u32_e32 v1, vcc, s14, v1
	v_addc_co_u32_e32 v2, vcc, v7, v2, vcc
	v_add_u32_e32 v0, 0x100, v0
	global_store_dwordx2 v[1:2], v[11:12], off
	s_or_b64 exec, exec, s[0:1]
	v_cmp_gt_i32_e32 vcc, s16, v0
	s_and_saveexec_b64 s[0:1], vcc
	s_cbranch_execz .LBB120_14
.LBB120_19:
	v_add_u32_e32 v1, s4, v0
	v_mov_b32_e32 v2, 0
	v_lshlrev_b64 v[1:2], 3, v[1:2]
	v_mov_b32_e32 v7, s15
	v_add_co_u32_e32 v1, vcc, s14, v1
	v_addc_co_u32_e32 v2, vcc, v7, v2, vcc
	v_add_u32_e32 v0, 0x100, v0
	global_store_dwordx2 v[1:2], v[5:6], off
	s_or_b64 exec, exec, s[0:1]
	v_cmp_gt_i32_e32 vcc, s16, v0
	s_and_saveexec_b64 s[0:1], vcc
	s_cbranch_execnz .LBB120_15
	s_branch .LBB120_16
	.section	.rodata,"a",@progbits
	.p2align	6, 0x0
	.amdhsa_kernel _ZN2at6native29vectorized_elementwise_kernelILi16ENS0_13AUnaryFunctorIdddZNS0_12_GLOBAL__N_121threshold_kernel_implIdEEvRNS_18TensorIteratorBaseET_S7_EUlddE_EESt5arrayIPcLm2EEEEviT0_T1_
		.amdhsa_group_segment_fixed_size 0
		.amdhsa_private_segment_fixed_size 0
		.amdhsa_kernarg_size 48
		.amdhsa_user_sgpr_count 6
		.amdhsa_user_sgpr_private_segment_buffer 1
		.amdhsa_user_sgpr_dispatch_ptr 0
		.amdhsa_user_sgpr_queue_ptr 0
		.amdhsa_user_sgpr_kernarg_segment_ptr 1
		.amdhsa_user_sgpr_dispatch_id 0
		.amdhsa_user_sgpr_flat_scratch_init 0
		.amdhsa_user_sgpr_private_segment_size 0
		.amdhsa_uses_dynamic_stack 0
		.amdhsa_system_sgpr_private_segment_wavefront_offset 0
		.amdhsa_system_sgpr_workgroup_id_x 1
		.amdhsa_system_sgpr_workgroup_id_y 0
		.amdhsa_system_sgpr_workgroup_id_z 0
		.amdhsa_system_sgpr_workgroup_info 0
		.amdhsa_system_vgpr_workitem_id 0
		.amdhsa_next_free_vgpr 17
		.amdhsa_next_free_sgpr 17
		.amdhsa_reserve_vcc 1
		.amdhsa_reserve_flat_scratch 0
		.amdhsa_float_round_mode_32 0
		.amdhsa_float_round_mode_16_64 0
		.amdhsa_float_denorm_mode_32 3
		.amdhsa_float_denorm_mode_16_64 3
		.amdhsa_dx10_clamp 1
		.amdhsa_ieee_mode 1
		.amdhsa_fp16_overflow 0
		.amdhsa_exception_fp_ieee_invalid_op 0
		.amdhsa_exception_fp_denorm_src 0
		.amdhsa_exception_fp_ieee_div_zero 0
		.amdhsa_exception_fp_ieee_overflow 0
		.amdhsa_exception_fp_ieee_underflow 0
		.amdhsa_exception_fp_ieee_inexact 0
		.amdhsa_exception_int_div_zero 0
	.end_amdhsa_kernel
	.section	.text._ZN2at6native29vectorized_elementwise_kernelILi16ENS0_13AUnaryFunctorIdddZNS0_12_GLOBAL__N_121threshold_kernel_implIdEEvRNS_18TensorIteratorBaseET_S7_EUlddE_EESt5arrayIPcLm2EEEEviT0_T1_,"axG",@progbits,_ZN2at6native29vectorized_elementwise_kernelILi16ENS0_13AUnaryFunctorIdddZNS0_12_GLOBAL__N_121threshold_kernel_implIdEEvRNS_18TensorIteratorBaseET_S7_EUlddE_EESt5arrayIPcLm2EEEEviT0_T1_,comdat
.Lfunc_end120:
	.size	_ZN2at6native29vectorized_elementwise_kernelILi16ENS0_13AUnaryFunctorIdddZNS0_12_GLOBAL__N_121threshold_kernel_implIdEEvRNS_18TensorIteratorBaseET_S7_EUlddE_EESt5arrayIPcLm2EEEEviT0_T1_, .Lfunc_end120-_ZN2at6native29vectorized_elementwise_kernelILi16ENS0_13AUnaryFunctorIdddZNS0_12_GLOBAL__N_121threshold_kernel_implIdEEvRNS_18TensorIteratorBaseET_S7_EUlddE_EESt5arrayIPcLm2EEEEviT0_T1_
                                        ; -- End function
	.set _ZN2at6native29vectorized_elementwise_kernelILi16ENS0_13AUnaryFunctorIdddZNS0_12_GLOBAL__N_121threshold_kernel_implIdEEvRNS_18TensorIteratorBaseET_S7_EUlddE_EESt5arrayIPcLm2EEEEviT0_T1_.num_vgpr, 17
	.set _ZN2at6native29vectorized_elementwise_kernelILi16ENS0_13AUnaryFunctorIdddZNS0_12_GLOBAL__N_121threshold_kernel_implIdEEvRNS_18TensorIteratorBaseET_S7_EUlddE_EESt5arrayIPcLm2EEEEviT0_T1_.num_agpr, 0
	.set _ZN2at6native29vectorized_elementwise_kernelILi16ENS0_13AUnaryFunctorIdddZNS0_12_GLOBAL__N_121threshold_kernel_implIdEEvRNS_18TensorIteratorBaseET_S7_EUlddE_EESt5arrayIPcLm2EEEEviT0_T1_.numbered_sgpr, 17
	.set _ZN2at6native29vectorized_elementwise_kernelILi16ENS0_13AUnaryFunctorIdddZNS0_12_GLOBAL__N_121threshold_kernel_implIdEEvRNS_18TensorIteratorBaseET_S7_EUlddE_EESt5arrayIPcLm2EEEEviT0_T1_.num_named_barrier, 0
	.set _ZN2at6native29vectorized_elementwise_kernelILi16ENS0_13AUnaryFunctorIdddZNS0_12_GLOBAL__N_121threshold_kernel_implIdEEvRNS_18TensorIteratorBaseET_S7_EUlddE_EESt5arrayIPcLm2EEEEviT0_T1_.private_seg_size, 0
	.set _ZN2at6native29vectorized_elementwise_kernelILi16ENS0_13AUnaryFunctorIdddZNS0_12_GLOBAL__N_121threshold_kernel_implIdEEvRNS_18TensorIteratorBaseET_S7_EUlddE_EESt5arrayIPcLm2EEEEviT0_T1_.uses_vcc, 1
	.set _ZN2at6native29vectorized_elementwise_kernelILi16ENS0_13AUnaryFunctorIdddZNS0_12_GLOBAL__N_121threshold_kernel_implIdEEvRNS_18TensorIteratorBaseET_S7_EUlddE_EESt5arrayIPcLm2EEEEviT0_T1_.uses_flat_scratch, 0
	.set _ZN2at6native29vectorized_elementwise_kernelILi16ENS0_13AUnaryFunctorIdddZNS0_12_GLOBAL__N_121threshold_kernel_implIdEEvRNS_18TensorIteratorBaseET_S7_EUlddE_EESt5arrayIPcLm2EEEEviT0_T1_.has_dyn_sized_stack, 0
	.set _ZN2at6native29vectorized_elementwise_kernelILi16ENS0_13AUnaryFunctorIdddZNS0_12_GLOBAL__N_121threshold_kernel_implIdEEvRNS_18TensorIteratorBaseET_S7_EUlddE_EESt5arrayIPcLm2EEEEviT0_T1_.has_recursion, 0
	.set _ZN2at6native29vectorized_elementwise_kernelILi16ENS0_13AUnaryFunctorIdddZNS0_12_GLOBAL__N_121threshold_kernel_implIdEEvRNS_18TensorIteratorBaseET_S7_EUlddE_EESt5arrayIPcLm2EEEEviT0_T1_.has_indirect_call, 0
	.section	.AMDGPU.csdata,"",@progbits
; Kernel info:
; codeLenInByte = 960
; TotalNumSgprs: 21
; NumVgprs: 17
; ScratchSize: 0
; MemoryBound: 0
; FloatMode: 240
; IeeeMode: 1
; LDSByteSize: 0 bytes/workgroup (compile time only)
; SGPRBlocks: 2
; VGPRBlocks: 4
; NumSGPRsForWavesPerEU: 21
; NumVGPRsForWavesPerEU: 17
; Occupancy: 10
; WaveLimiterHint : 0
; COMPUTE_PGM_RSRC2:SCRATCH_EN: 0
; COMPUTE_PGM_RSRC2:USER_SGPR: 6
; COMPUTE_PGM_RSRC2:TRAP_HANDLER: 0
; COMPUTE_PGM_RSRC2:TGID_X_EN: 1
; COMPUTE_PGM_RSRC2:TGID_Y_EN: 0
; COMPUTE_PGM_RSRC2:TGID_Z_EN: 0
; COMPUTE_PGM_RSRC2:TIDIG_COMP_CNT: 0
	.section	.text._ZN2at6native29vectorized_elementwise_kernelILi8ENS0_13AUnaryFunctorIdddZNS0_12_GLOBAL__N_121threshold_kernel_implIdEEvRNS_18TensorIteratorBaseET_S7_EUlddE_EESt5arrayIPcLm2EEEEviT0_T1_,"axG",@progbits,_ZN2at6native29vectorized_elementwise_kernelILi8ENS0_13AUnaryFunctorIdddZNS0_12_GLOBAL__N_121threshold_kernel_implIdEEvRNS_18TensorIteratorBaseET_S7_EUlddE_EESt5arrayIPcLm2EEEEviT0_T1_,comdat
	.globl	_ZN2at6native29vectorized_elementwise_kernelILi8ENS0_13AUnaryFunctorIdddZNS0_12_GLOBAL__N_121threshold_kernel_implIdEEvRNS_18TensorIteratorBaseET_S7_EUlddE_EESt5arrayIPcLm2EEEEviT0_T1_ ; -- Begin function _ZN2at6native29vectorized_elementwise_kernelILi8ENS0_13AUnaryFunctorIdddZNS0_12_GLOBAL__N_121threshold_kernel_implIdEEvRNS_18TensorIteratorBaseET_S7_EUlddE_EESt5arrayIPcLm2EEEEviT0_T1_
	.p2align	8
	.type	_ZN2at6native29vectorized_elementwise_kernelILi8ENS0_13AUnaryFunctorIdddZNS0_12_GLOBAL__N_121threshold_kernel_implIdEEvRNS_18TensorIteratorBaseET_S7_EUlddE_EESt5arrayIPcLm2EEEEviT0_T1_,@function
_ZN2at6native29vectorized_elementwise_kernelILi8ENS0_13AUnaryFunctorIdddZNS0_12_GLOBAL__N_121threshold_kernel_implIdEEvRNS_18TensorIteratorBaseET_S7_EUlddE_EESt5arrayIPcLm2EEEEviT0_T1_: ; @_ZN2at6native29vectorized_elementwise_kernelILi8ENS0_13AUnaryFunctorIdddZNS0_12_GLOBAL__N_121threshold_kernel_implIdEEvRNS_18TensorIteratorBaseET_S7_EUlddE_EESt5arrayIPcLm2EEEEviT0_T1_
; %bb.0:
	s_load_dword s0, s[4:5], 0x0
	s_load_dwordx8 s[8:15], s[4:5], 0x8
	s_load_dwordx2 s[2:3], s[4:5], 0x28
	s_lshl_b32 s4, s6, 10
	s_waitcnt lgkmcnt(0)
	s_sub_i32 s16, s0, s4
	s_cmpk_gt_i32 s16, 0x3ff
	s_mov_b64 s[0:1], -1
	s_cbranch_scc0 .LBB121_2
; %bb.1:
	s_ashr_i32 s5, s4, 31
	s_lshl_b64 s[0:1], s[4:5], 3
	s_add_u32 s6, s2, s0
	s_addc_u32 s7, s3, s1
	v_lshlrev_b32_e32 v11, 5, v0
	global_load_dwordx4 v[1:4], v11, s[6:7]
	global_load_dwordx4 v[5:8], v11, s[6:7] offset:16
	v_mov_b32_e32 v10, s9
	v_mov_b32_e32 v9, s8
	v_cmp_nle_f64_e32 vcc, s[12:13], v[9:10]
	v_mov_b32_e32 v12, s11
	v_mov_b32_e32 v9, s10
	s_add_u32 s0, s14, s0
	s_addc_u32 s1, s15, s1
	s_waitcnt vmcnt(1)
	v_cndmask_b32_e32 v2, v12, v2, vcc
	v_cndmask_b32_e32 v1, v9, v1, vcc
	;; [unrolled: 1-line block ×4, first 2 shown]
	s_waitcnt vmcnt(0)
	v_cndmask_b32_e32 v6, v12, v6, vcc
	v_cndmask_b32_e32 v5, v9, v5, vcc
	;; [unrolled: 1-line block ×4, first 2 shown]
	global_store_dwordx4 v11, v[1:4], s[0:1]
	global_store_dwordx4 v11, v[5:8], s[0:1] offset:16
	s_mov_b64 s[0:1], 0
.LBB121_2:
	s_andn2_b64 vcc, exec, s[0:1]
	s_cbranch_vccnz .LBB121_16
; %bb.3:
	v_mov_b32_e32 v3, 0
	v_mov_b32_e32 v5, 0
	v_cmp_gt_i32_e32 vcc, s16, v0
	v_mov_b32_e32 v4, 0
	v_or_b32_e32 v1, s4, v0
	v_mov_b32_e32 v6, 0
	v_mov_b32_e32 v2, v0
	s_and_saveexec_b64 s[6:7], vcc
	s_cbranch_execz .LBB121_5
; %bb.4:
	v_mov_b32_e32 v2, 0
	v_lshlrev_b64 v[5:6], 3, v[1:2]
	v_mov_b32_e32 v2, s3
	v_add_co_u32_e64 v5, s[0:1], s2, v5
	v_addc_co_u32_e64 v6, s[0:1], v2, v6, s[0:1]
	global_load_dwordx2 v[5:6], v[5:6], off
	v_or_b32_e32 v2, 0x100, v0
.LBB121_5:
	s_or_b64 exec, exec, s[6:7]
	v_cmp_gt_i32_e64 s[0:1], s16, v2
	s_and_saveexec_b64 s[6:7], s[0:1]
	s_cbranch_execz .LBB121_7
; %bb.6:
	v_add_u32_e32 v3, s4, v2
	v_mov_b32_e32 v4, 0
	v_lshlrev_b64 v[3:4], 3, v[3:4]
	v_mov_b32_e32 v7, s3
	v_add_co_u32_e64 v3, s[0:1], s2, v3
	v_addc_co_u32_e64 v4, s[0:1], v7, v4, s[0:1]
	global_load_dwordx2 v[3:4], v[3:4], off
	v_add_u32_e32 v2, 0x100, v2
.LBB121_7:
	s_or_b64 exec, exec, s[6:7]
	v_mov_b32_e32 v7, 0
	v_mov_b32_e32 v9, 0
	;; [unrolled: 1-line block ×4, first 2 shown]
	v_cmp_gt_i32_e64 s[0:1], s16, v2
	s_and_saveexec_b64 s[6:7], s[0:1]
	s_cbranch_execz .LBB121_9
; %bb.8:
	v_add_u32_e32 v9, s4, v2
	v_mov_b32_e32 v10, 0
	v_lshlrev_b64 v[9:10], 3, v[9:10]
	v_mov_b32_e32 v11, s3
	v_add_co_u32_e64 v9, s[0:1], s2, v9
	v_addc_co_u32_e64 v10, s[0:1], v11, v10, s[0:1]
	global_load_dwordx2 v[9:10], v[9:10], off
	v_add_u32_e32 v2, 0x100, v2
.LBB121_9:
	s_or_b64 exec, exec, s[6:7]
	v_cmp_gt_i32_e64 s[0:1], s16, v2
	s_and_saveexec_b64 s[6:7], s[0:1]
	s_cbranch_execz .LBB121_11
; %bb.10:
	v_add_u32_e32 v7, s4, v2
	v_mov_b32_e32 v8, 0
	v_lshlrev_b64 v[7:8], 3, v[7:8]
	v_mov_b32_e32 v2, s3
	v_add_co_u32_e64 v7, s[0:1], s2, v7
	v_addc_co_u32_e64 v8, s[0:1], v2, v8, s[0:1]
	global_load_dwordx2 v[7:8], v[7:8], off
.LBB121_11:
	s_or_b64 exec, exec, s[6:7]
	v_mov_b32_e32 v12, s9
	v_mov_b32_e32 v11, s8
	v_cmp_nle_f64_e64 s[0:1], s[12:13], v[11:12]
	v_mov_b32_e32 v2, s10
	v_or_b32_e32 v15, 0x100, v0
	v_mov_b32_e32 v16, s11
	v_cmp_gt_i32_e64 s[2:3], s16, v15
	s_waitcnt vmcnt(0)
	v_cndmask_b32_e64 v5, v2, v5, s[0:1]
	v_cndmask_b32_e64 v3, v2, v3, s[0:1]
	v_cndmask_b32_e32 v13, 0, v5, vcc
	v_cndmask_b32_e64 v5, v16, v6, s[0:1]
	v_cndmask_b32_e64 v4, v16, v4, s[0:1]
	;; [unrolled: 1-line block ×3, first 2 shown]
	v_or_b32_e32 v3, 0x200, v0
	v_cndmask_b32_e32 v14, 0, v5, vcc
	v_cndmask_b32_e64 v12, 0, v4, s[2:3]
	v_cndmask_b32_e64 v4, v2, v9, s[0:1]
	;; [unrolled: 1-line block ×3, first 2 shown]
	v_cmp_gt_i32_e64 s[2:3], s16, v3
	v_or_b32_e32 v3, 0x300, v0
	v_cndmask_b32_e64 v6, 0, v5, s[2:3]
	v_cndmask_b32_e64 v5, 0, v4, s[2:3]
	;; [unrolled: 1-line block ×4, first 2 shown]
	v_cmp_gt_i32_e64 s[0:1], s16, v3
	v_cndmask_b32_e64 v4, 0, v4, s[0:1]
	v_cndmask_b32_e64 v3, 0, v2, s[0:1]
	s_and_saveexec_b64 s[0:1], vcc
	s_cbranch_execnz .LBB121_17
; %bb.12:
	s_or_b64 exec, exec, s[0:1]
	v_cmp_gt_i32_e32 vcc, s16, v0
	s_and_saveexec_b64 s[0:1], vcc
	s_cbranch_execnz .LBB121_18
.LBB121_13:
	s_or_b64 exec, exec, s[0:1]
	v_cmp_gt_i32_e32 vcc, s16, v0
	s_and_saveexec_b64 s[0:1], vcc
	s_cbranch_execnz .LBB121_19
.LBB121_14:
	s_or_b64 exec, exec, s[0:1]
	v_cmp_gt_i32_e32 vcc, s16, v0
	s_and_saveexec_b64 s[0:1], vcc
	s_cbranch_execz .LBB121_16
.LBB121_15:
	v_add_u32_e32 v0, s4, v0
	v_mov_b32_e32 v1, 0
	v_lshlrev_b64 v[0:1], 3, v[0:1]
	v_mov_b32_e32 v2, s15
	v_add_co_u32_e32 v0, vcc, s14, v0
	v_addc_co_u32_e32 v1, vcc, v2, v1, vcc
	global_store_dwordx2 v[0:1], v[3:4], off
.LBB121_16:
	s_endpgm
.LBB121_17:
	v_mov_b32_e32 v2, 0
	v_lshlrev_b64 v[0:1], 3, v[1:2]
	v_mov_b32_e32 v2, s15
	v_add_co_u32_e32 v0, vcc, s14, v0
	v_addc_co_u32_e32 v1, vcc, v2, v1, vcc
	global_store_dwordx2 v[0:1], v[13:14], off
	v_mov_b32_e32 v0, v15
	s_or_b64 exec, exec, s[0:1]
	v_cmp_gt_i32_e32 vcc, s16, v0
	s_and_saveexec_b64 s[0:1], vcc
	s_cbranch_execz .LBB121_13
.LBB121_18:
	v_add_u32_e32 v1, s4, v0
	v_mov_b32_e32 v2, 0
	v_lshlrev_b64 v[1:2], 3, v[1:2]
	v_mov_b32_e32 v7, s15
	v_add_co_u32_e32 v1, vcc, s14, v1
	v_addc_co_u32_e32 v2, vcc, v7, v2, vcc
	v_add_u32_e32 v0, 0x100, v0
	global_store_dwordx2 v[1:2], v[11:12], off
	s_or_b64 exec, exec, s[0:1]
	v_cmp_gt_i32_e32 vcc, s16, v0
	s_and_saveexec_b64 s[0:1], vcc
	s_cbranch_execz .LBB121_14
.LBB121_19:
	v_add_u32_e32 v1, s4, v0
	v_mov_b32_e32 v2, 0
	v_lshlrev_b64 v[1:2], 3, v[1:2]
	v_mov_b32_e32 v7, s15
	v_add_co_u32_e32 v1, vcc, s14, v1
	v_addc_co_u32_e32 v2, vcc, v7, v2, vcc
	v_add_u32_e32 v0, 0x100, v0
	global_store_dwordx2 v[1:2], v[5:6], off
	s_or_b64 exec, exec, s[0:1]
	v_cmp_gt_i32_e32 vcc, s16, v0
	s_and_saveexec_b64 s[0:1], vcc
	s_cbranch_execnz .LBB121_15
	s_branch .LBB121_16
	.section	.rodata,"a",@progbits
	.p2align	6, 0x0
	.amdhsa_kernel _ZN2at6native29vectorized_elementwise_kernelILi8ENS0_13AUnaryFunctorIdddZNS0_12_GLOBAL__N_121threshold_kernel_implIdEEvRNS_18TensorIteratorBaseET_S7_EUlddE_EESt5arrayIPcLm2EEEEviT0_T1_
		.amdhsa_group_segment_fixed_size 0
		.amdhsa_private_segment_fixed_size 0
		.amdhsa_kernarg_size 48
		.amdhsa_user_sgpr_count 6
		.amdhsa_user_sgpr_private_segment_buffer 1
		.amdhsa_user_sgpr_dispatch_ptr 0
		.amdhsa_user_sgpr_queue_ptr 0
		.amdhsa_user_sgpr_kernarg_segment_ptr 1
		.amdhsa_user_sgpr_dispatch_id 0
		.amdhsa_user_sgpr_flat_scratch_init 0
		.amdhsa_user_sgpr_private_segment_size 0
		.amdhsa_uses_dynamic_stack 0
		.amdhsa_system_sgpr_private_segment_wavefront_offset 0
		.amdhsa_system_sgpr_workgroup_id_x 1
		.amdhsa_system_sgpr_workgroup_id_y 0
		.amdhsa_system_sgpr_workgroup_id_z 0
		.amdhsa_system_sgpr_workgroup_info 0
		.amdhsa_system_vgpr_workitem_id 0
		.amdhsa_next_free_vgpr 17
		.amdhsa_next_free_sgpr 17
		.amdhsa_reserve_vcc 1
		.amdhsa_reserve_flat_scratch 0
		.amdhsa_float_round_mode_32 0
		.amdhsa_float_round_mode_16_64 0
		.amdhsa_float_denorm_mode_32 3
		.amdhsa_float_denorm_mode_16_64 3
		.amdhsa_dx10_clamp 1
		.amdhsa_ieee_mode 1
		.amdhsa_fp16_overflow 0
		.amdhsa_exception_fp_ieee_invalid_op 0
		.amdhsa_exception_fp_denorm_src 0
		.amdhsa_exception_fp_ieee_div_zero 0
		.amdhsa_exception_fp_ieee_overflow 0
		.amdhsa_exception_fp_ieee_underflow 0
		.amdhsa_exception_fp_ieee_inexact 0
		.amdhsa_exception_int_div_zero 0
	.end_amdhsa_kernel
	.section	.text._ZN2at6native29vectorized_elementwise_kernelILi8ENS0_13AUnaryFunctorIdddZNS0_12_GLOBAL__N_121threshold_kernel_implIdEEvRNS_18TensorIteratorBaseET_S7_EUlddE_EESt5arrayIPcLm2EEEEviT0_T1_,"axG",@progbits,_ZN2at6native29vectorized_elementwise_kernelILi8ENS0_13AUnaryFunctorIdddZNS0_12_GLOBAL__N_121threshold_kernel_implIdEEvRNS_18TensorIteratorBaseET_S7_EUlddE_EESt5arrayIPcLm2EEEEviT0_T1_,comdat
.Lfunc_end121:
	.size	_ZN2at6native29vectorized_elementwise_kernelILi8ENS0_13AUnaryFunctorIdddZNS0_12_GLOBAL__N_121threshold_kernel_implIdEEvRNS_18TensorIteratorBaseET_S7_EUlddE_EESt5arrayIPcLm2EEEEviT0_T1_, .Lfunc_end121-_ZN2at6native29vectorized_elementwise_kernelILi8ENS0_13AUnaryFunctorIdddZNS0_12_GLOBAL__N_121threshold_kernel_implIdEEvRNS_18TensorIteratorBaseET_S7_EUlddE_EESt5arrayIPcLm2EEEEviT0_T1_
                                        ; -- End function
	.set _ZN2at6native29vectorized_elementwise_kernelILi8ENS0_13AUnaryFunctorIdddZNS0_12_GLOBAL__N_121threshold_kernel_implIdEEvRNS_18TensorIteratorBaseET_S7_EUlddE_EESt5arrayIPcLm2EEEEviT0_T1_.num_vgpr, 17
	.set _ZN2at6native29vectorized_elementwise_kernelILi8ENS0_13AUnaryFunctorIdddZNS0_12_GLOBAL__N_121threshold_kernel_implIdEEvRNS_18TensorIteratorBaseET_S7_EUlddE_EESt5arrayIPcLm2EEEEviT0_T1_.num_agpr, 0
	.set _ZN2at6native29vectorized_elementwise_kernelILi8ENS0_13AUnaryFunctorIdddZNS0_12_GLOBAL__N_121threshold_kernel_implIdEEvRNS_18TensorIteratorBaseET_S7_EUlddE_EESt5arrayIPcLm2EEEEviT0_T1_.numbered_sgpr, 17
	.set _ZN2at6native29vectorized_elementwise_kernelILi8ENS0_13AUnaryFunctorIdddZNS0_12_GLOBAL__N_121threshold_kernel_implIdEEvRNS_18TensorIteratorBaseET_S7_EUlddE_EESt5arrayIPcLm2EEEEviT0_T1_.num_named_barrier, 0
	.set _ZN2at6native29vectorized_elementwise_kernelILi8ENS0_13AUnaryFunctorIdddZNS0_12_GLOBAL__N_121threshold_kernel_implIdEEvRNS_18TensorIteratorBaseET_S7_EUlddE_EESt5arrayIPcLm2EEEEviT0_T1_.private_seg_size, 0
	.set _ZN2at6native29vectorized_elementwise_kernelILi8ENS0_13AUnaryFunctorIdddZNS0_12_GLOBAL__N_121threshold_kernel_implIdEEvRNS_18TensorIteratorBaseET_S7_EUlddE_EESt5arrayIPcLm2EEEEviT0_T1_.uses_vcc, 1
	.set _ZN2at6native29vectorized_elementwise_kernelILi8ENS0_13AUnaryFunctorIdddZNS0_12_GLOBAL__N_121threshold_kernel_implIdEEvRNS_18TensorIteratorBaseET_S7_EUlddE_EESt5arrayIPcLm2EEEEviT0_T1_.uses_flat_scratch, 0
	.set _ZN2at6native29vectorized_elementwise_kernelILi8ENS0_13AUnaryFunctorIdddZNS0_12_GLOBAL__N_121threshold_kernel_implIdEEvRNS_18TensorIteratorBaseET_S7_EUlddE_EESt5arrayIPcLm2EEEEviT0_T1_.has_dyn_sized_stack, 0
	.set _ZN2at6native29vectorized_elementwise_kernelILi8ENS0_13AUnaryFunctorIdddZNS0_12_GLOBAL__N_121threshold_kernel_implIdEEvRNS_18TensorIteratorBaseET_S7_EUlddE_EESt5arrayIPcLm2EEEEviT0_T1_.has_recursion, 0
	.set _ZN2at6native29vectorized_elementwise_kernelILi8ENS0_13AUnaryFunctorIdddZNS0_12_GLOBAL__N_121threshold_kernel_implIdEEvRNS_18TensorIteratorBaseET_S7_EUlddE_EESt5arrayIPcLm2EEEEviT0_T1_.has_indirect_call, 0
	.section	.AMDGPU.csdata,"",@progbits
; Kernel info:
; codeLenInByte = 960
; TotalNumSgprs: 21
; NumVgprs: 17
; ScratchSize: 0
; MemoryBound: 0
; FloatMode: 240
; IeeeMode: 1
; LDSByteSize: 0 bytes/workgroup (compile time only)
; SGPRBlocks: 2
; VGPRBlocks: 4
; NumSGPRsForWavesPerEU: 21
; NumVGPRsForWavesPerEU: 17
; Occupancy: 10
; WaveLimiterHint : 0
; COMPUTE_PGM_RSRC2:SCRATCH_EN: 0
; COMPUTE_PGM_RSRC2:USER_SGPR: 6
; COMPUTE_PGM_RSRC2:TRAP_HANDLER: 0
; COMPUTE_PGM_RSRC2:TGID_X_EN: 1
; COMPUTE_PGM_RSRC2:TGID_Y_EN: 0
; COMPUTE_PGM_RSRC2:TGID_Z_EN: 0
; COMPUTE_PGM_RSRC2:TIDIG_COMP_CNT: 0
	.section	.text._ZN2at6native29vectorized_elementwise_kernelILi4ENS0_13AUnaryFunctorIdddZNS0_12_GLOBAL__N_121threshold_kernel_implIdEEvRNS_18TensorIteratorBaseET_S7_EUlddE_EESt5arrayIPcLm2EEEEviT0_T1_,"axG",@progbits,_ZN2at6native29vectorized_elementwise_kernelILi4ENS0_13AUnaryFunctorIdddZNS0_12_GLOBAL__N_121threshold_kernel_implIdEEvRNS_18TensorIteratorBaseET_S7_EUlddE_EESt5arrayIPcLm2EEEEviT0_T1_,comdat
	.globl	_ZN2at6native29vectorized_elementwise_kernelILi4ENS0_13AUnaryFunctorIdddZNS0_12_GLOBAL__N_121threshold_kernel_implIdEEvRNS_18TensorIteratorBaseET_S7_EUlddE_EESt5arrayIPcLm2EEEEviT0_T1_ ; -- Begin function _ZN2at6native29vectorized_elementwise_kernelILi4ENS0_13AUnaryFunctorIdddZNS0_12_GLOBAL__N_121threshold_kernel_implIdEEvRNS_18TensorIteratorBaseET_S7_EUlddE_EESt5arrayIPcLm2EEEEviT0_T1_
	.p2align	8
	.type	_ZN2at6native29vectorized_elementwise_kernelILi4ENS0_13AUnaryFunctorIdddZNS0_12_GLOBAL__N_121threshold_kernel_implIdEEvRNS_18TensorIteratorBaseET_S7_EUlddE_EESt5arrayIPcLm2EEEEviT0_T1_,@function
_ZN2at6native29vectorized_elementwise_kernelILi4ENS0_13AUnaryFunctorIdddZNS0_12_GLOBAL__N_121threshold_kernel_implIdEEvRNS_18TensorIteratorBaseET_S7_EUlddE_EESt5arrayIPcLm2EEEEviT0_T1_: ; @_ZN2at6native29vectorized_elementwise_kernelILi4ENS0_13AUnaryFunctorIdddZNS0_12_GLOBAL__N_121threshold_kernel_implIdEEvRNS_18TensorIteratorBaseET_S7_EUlddE_EESt5arrayIPcLm2EEEEviT0_T1_
; %bb.0:
	s_load_dword s0, s[4:5], 0x0
	s_load_dwordx8 s[8:15], s[4:5], 0x8
	s_load_dwordx2 s[2:3], s[4:5], 0x28
	s_lshl_b32 s4, s6, 10
	s_waitcnt lgkmcnt(0)
	s_sub_i32 s16, s0, s4
	s_cmpk_gt_i32 s16, 0x3ff
	s_mov_b64 s[0:1], -1
	s_cbranch_scc0 .LBB122_2
; %bb.1:
	s_ashr_i32 s5, s4, 31
	s_lshl_b64 s[0:1], s[4:5], 3
	s_add_u32 s6, s2, s0
	s_addc_u32 s7, s3, s1
	v_lshlrev_b32_e32 v11, 5, v0
	global_load_dwordx4 v[1:4], v11, s[6:7]
	global_load_dwordx4 v[5:8], v11, s[6:7] offset:16
	v_mov_b32_e32 v10, s9
	v_mov_b32_e32 v9, s8
	v_cmp_nle_f64_e32 vcc, s[12:13], v[9:10]
	v_mov_b32_e32 v12, s11
	v_mov_b32_e32 v9, s10
	s_add_u32 s0, s14, s0
	s_addc_u32 s1, s15, s1
	s_waitcnt vmcnt(1)
	v_cndmask_b32_e32 v2, v12, v2, vcc
	v_cndmask_b32_e32 v1, v9, v1, vcc
	;; [unrolled: 1-line block ×4, first 2 shown]
	s_waitcnt vmcnt(0)
	v_cndmask_b32_e32 v6, v12, v6, vcc
	v_cndmask_b32_e32 v5, v9, v5, vcc
	;; [unrolled: 1-line block ×4, first 2 shown]
	global_store_dwordx4 v11, v[1:4], s[0:1]
	global_store_dwordx4 v11, v[5:8], s[0:1] offset:16
	s_mov_b64 s[0:1], 0
.LBB122_2:
	s_andn2_b64 vcc, exec, s[0:1]
	s_cbranch_vccnz .LBB122_16
; %bb.3:
	v_mov_b32_e32 v3, 0
	v_mov_b32_e32 v5, 0
	v_cmp_gt_i32_e32 vcc, s16, v0
	v_mov_b32_e32 v4, 0
	v_or_b32_e32 v1, s4, v0
	v_mov_b32_e32 v6, 0
	v_mov_b32_e32 v2, v0
	s_and_saveexec_b64 s[6:7], vcc
	s_cbranch_execz .LBB122_5
; %bb.4:
	v_mov_b32_e32 v2, 0
	v_lshlrev_b64 v[5:6], 3, v[1:2]
	v_mov_b32_e32 v2, s3
	v_add_co_u32_e64 v5, s[0:1], s2, v5
	v_addc_co_u32_e64 v6, s[0:1], v2, v6, s[0:1]
	global_load_dwordx2 v[5:6], v[5:6], off
	v_or_b32_e32 v2, 0x100, v0
.LBB122_5:
	s_or_b64 exec, exec, s[6:7]
	v_cmp_gt_i32_e64 s[0:1], s16, v2
	s_and_saveexec_b64 s[6:7], s[0:1]
	s_cbranch_execz .LBB122_7
; %bb.6:
	v_add_u32_e32 v3, s4, v2
	v_mov_b32_e32 v4, 0
	v_lshlrev_b64 v[3:4], 3, v[3:4]
	v_mov_b32_e32 v7, s3
	v_add_co_u32_e64 v3, s[0:1], s2, v3
	v_addc_co_u32_e64 v4, s[0:1], v7, v4, s[0:1]
	global_load_dwordx2 v[3:4], v[3:4], off
	v_add_u32_e32 v2, 0x100, v2
.LBB122_7:
	s_or_b64 exec, exec, s[6:7]
	v_mov_b32_e32 v7, 0
	v_mov_b32_e32 v9, 0
	;; [unrolled: 1-line block ×4, first 2 shown]
	v_cmp_gt_i32_e64 s[0:1], s16, v2
	s_and_saveexec_b64 s[6:7], s[0:1]
	s_cbranch_execz .LBB122_9
; %bb.8:
	v_add_u32_e32 v9, s4, v2
	v_mov_b32_e32 v10, 0
	v_lshlrev_b64 v[9:10], 3, v[9:10]
	v_mov_b32_e32 v11, s3
	v_add_co_u32_e64 v9, s[0:1], s2, v9
	v_addc_co_u32_e64 v10, s[0:1], v11, v10, s[0:1]
	global_load_dwordx2 v[9:10], v[9:10], off
	v_add_u32_e32 v2, 0x100, v2
.LBB122_9:
	s_or_b64 exec, exec, s[6:7]
	v_cmp_gt_i32_e64 s[0:1], s16, v2
	s_and_saveexec_b64 s[6:7], s[0:1]
	s_cbranch_execz .LBB122_11
; %bb.10:
	v_add_u32_e32 v7, s4, v2
	v_mov_b32_e32 v8, 0
	v_lshlrev_b64 v[7:8], 3, v[7:8]
	v_mov_b32_e32 v2, s3
	v_add_co_u32_e64 v7, s[0:1], s2, v7
	v_addc_co_u32_e64 v8, s[0:1], v2, v8, s[0:1]
	global_load_dwordx2 v[7:8], v[7:8], off
.LBB122_11:
	s_or_b64 exec, exec, s[6:7]
	v_mov_b32_e32 v12, s9
	v_mov_b32_e32 v11, s8
	v_cmp_nle_f64_e64 s[0:1], s[12:13], v[11:12]
	v_mov_b32_e32 v2, s10
	v_or_b32_e32 v15, 0x100, v0
	v_mov_b32_e32 v16, s11
	v_cmp_gt_i32_e64 s[2:3], s16, v15
	s_waitcnt vmcnt(0)
	v_cndmask_b32_e64 v5, v2, v5, s[0:1]
	v_cndmask_b32_e64 v3, v2, v3, s[0:1]
	v_cndmask_b32_e32 v13, 0, v5, vcc
	v_cndmask_b32_e64 v5, v16, v6, s[0:1]
	v_cndmask_b32_e64 v4, v16, v4, s[0:1]
	;; [unrolled: 1-line block ×3, first 2 shown]
	v_or_b32_e32 v3, 0x200, v0
	v_cndmask_b32_e32 v14, 0, v5, vcc
	v_cndmask_b32_e64 v12, 0, v4, s[2:3]
	v_cndmask_b32_e64 v4, v2, v9, s[0:1]
	;; [unrolled: 1-line block ×3, first 2 shown]
	v_cmp_gt_i32_e64 s[2:3], s16, v3
	v_or_b32_e32 v3, 0x300, v0
	v_cndmask_b32_e64 v6, 0, v5, s[2:3]
	v_cndmask_b32_e64 v5, 0, v4, s[2:3]
	;; [unrolled: 1-line block ×4, first 2 shown]
	v_cmp_gt_i32_e64 s[0:1], s16, v3
	v_cndmask_b32_e64 v4, 0, v4, s[0:1]
	v_cndmask_b32_e64 v3, 0, v2, s[0:1]
	s_and_saveexec_b64 s[0:1], vcc
	s_cbranch_execnz .LBB122_17
; %bb.12:
	s_or_b64 exec, exec, s[0:1]
	v_cmp_gt_i32_e32 vcc, s16, v0
	s_and_saveexec_b64 s[0:1], vcc
	s_cbranch_execnz .LBB122_18
.LBB122_13:
	s_or_b64 exec, exec, s[0:1]
	v_cmp_gt_i32_e32 vcc, s16, v0
	s_and_saveexec_b64 s[0:1], vcc
	s_cbranch_execnz .LBB122_19
.LBB122_14:
	s_or_b64 exec, exec, s[0:1]
	v_cmp_gt_i32_e32 vcc, s16, v0
	s_and_saveexec_b64 s[0:1], vcc
	s_cbranch_execz .LBB122_16
.LBB122_15:
	v_add_u32_e32 v0, s4, v0
	v_mov_b32_e32 v1, 0
	v_lshlrev_b64 v[0:1], 3, v[0:1]
	v_mov_b32_e32 v2, s15
	v_add_co_u32_e32 v0, vcc, s14, v0
	v_addc_co_u32_e32 v1, vcc, v2, v1, vcc
	global_store_dwordx2 v[0:1], v[3:4], off
.LBB122_16:
	s_endpgm
.LBB122_17:
	v_mov_b32_e32 v2, 0
	v_lshlrev_b64 v[0:1], 3, v[1:2]
	v_mov_b32_e32 v2, s15
	v_add_co_u32_e32 v0, vcc, s14, v0
	v_addc_co_u32_e32 v1, vcc, v2, v1, vcc
	global_store_dwordx2 v[0:1], v[13:14], off
	v_mov_b32_e32 v0, v15
	s_or_b64 exec, exec, s[0:1]
	v_cmp_gt_i32_e32 vcc, s16, v0
	s_and_saveexec_b64 s[0:1], vcc
	s_cbranch_execz .LBB122_13
.LBB122_18:
	v_add_u32_e32 v1, s4, v0
	v_mov_b32_e32 v2, 0
	v_lshlrev_b64 v[1:2], 3, v[1:2]
	v_mov_b32_e32 v7, s15
	v_add_co_u32_e32 v1, vcc, s14, v1
	v_addc_co_u32_e32 v2, vcc, v7, v2, vcc
	v_add_u32_e32 v0, 0x100, v0
	global_store_dwordx2 v[1:2], v[11:12], off
	s_or_b64 exec, exec, s[0:1]
	v_cmp_gt_i32_e32 vcc, s16, v0
	s_and_saveexec_b64 s[0:1], vcc
	s_cbranch_execz .LBB122_14
.LBB122_19:
	v_add_u32_e32 v1, s4, v0
	v_mov_b32_e32 v2, 0
	v_lshlrev_b64 v[1:2], 3, v[1:2]
	v_mov_b32_e32 v7, s15
	v_add_co_u32_e32 v1, vcc, s14, v1
	v_addc_co_u32_e32 v2, vcc, v7, v2, vcc
	v_add_u32_e32 v0, 0x100, v0
	global_store_dwordx2 v[1:2], v[5:6], off
	s_or_b64 exec, exec, s[0:1]
	v_cmp_gt_i32_e32 vcc, s16, v0
	s_and_saveexec_b64 s[0:1], vcc
	s_cbranch_execnz .LBB122_15
	s_branch .LBB122_16
	.section	.rodata,"a",@progbits
	.p2align	6, 0x0
	.amdhsa_kernel _ZN2at6native29vectorized_elementwise_kernelILi4ENS0_13AUnaryFunctorIdddZNS0_12_GLOBAL__N_121threshold_kernel_implIdEEvRNS_18TensorIteratorBaseET_S7_EUlddE_EESt5arrayIPcLm2EEEEviT0_T1_
		.amdhsa_group_segment_fixed_size 0
		.amdhsa_private_segment_fixed_size 0
		.amdhsa_kernarg_size 48
		.amdhsa_user_sgpr_count 6
		.amdhsa_user_sgpr_private_segment_buffer 1
		.amdhsa_user_sgpr_dispatch_ptr 0
		.amdhsa_user_sgpr_queue_ptr 0
		.amdhsa_user_sgpr_kernarg_segment_ptr 1
		.amdhsa_user_sgpr_dispatch_id 0
		.amdhsa_user_sgpr_flat_scratch_init 0
		.amdhsa_user_sgpr_private_segment_size 0
		.amdhsa_uses_dynamic_stack 0
		.amdhsa_system_sgpr_private_segment_wavefront_offset 0
		.amdhsa_system_sgpr_workgroup_id_x 1
		.amdhsa_system_sgpr_workgroup_id_y 0
		.amdhsa_system_sgpr_workgroup_id_z 0
		.amdhsa_system_sgpr_workgroup_info 0
		.amdhsa_system_vgpr_workitem_id 0
		.amdhsa_next_free_vgpr 17
		.amdhsa_next_free_sgpr 17
		.amdhsa_reserve_vcc 1
		.amdhsa_reserve_flat_scratch 0
		.amdhsa_float_round_mode_32 0
		.amdhsa_float_round_mode_16_64 0
		.amdhsa_float_denorm_mode_32 3
		.amdhsa_float_denorm_mode_16_64 3
		.amdhsa_dx10_clamp 1
		.amdhsa_ieee_mode 1
		.amdhsa_fp16_overflow 0
		.amdhsa_exception_fp_ieee_invalid_op 0
		.amdhsa_exception_fp_denorm_src 0
		.amdhsa_exception_fp_ieee_div_zero 0
		.amdhsa_exception_fp_ieee_overflow 0
		.amdhsa_exception_fp_ieee_underflow 0
		.amdhsa_exception_fp_ieee_inexact 0
		.amdhsa_exception_int_div_zero 0
	.end_amdhsa_kernel
	.section	.text._ZN2at6native29vectorized_elementwise_kernelILi4ENS0_13AUnaryFunctorIdddZNS0_12_GLOBAL__N_121threshold_kernel_implIdEEvRNS_18TensorIteratorBaseET_S7_EUlddE_EESt5arrayIPcLm2EEEEviT0_T1_,"axG",@progbits,_ZN2at6native29vectorized_elementwise_kernelILi4ENS0_13AUnaryFunctorIdddZNS0_12_GLOBAL__N_121threshold_kernel_implIdEEvRNS_18TensorIteratorBaseET_S7_EUlddE_EESt5arrayIPcLm2EEEEviT0_T1_,comdat
.Lfunc_end122:
	.size	_ZN2at6native29vectorized_elementwise_kernelILi4ENS0_13AUnaryFunctorIdddZNS0_12_GLOBAL__N_121threshold_kernel_implIdEEvRNS_18TensorIteratorBaseET_S7_EUlddE_EESt5arrayIPcLm2EEEEviT0_T1_, .Lfunc_end122-_ZN2at6native29vectorized_elementwise_kernelILi4ENS0_13AUnaryFunctorIdddZNS0_12_GLOBAL__N_121threshold_kernel_implIdEEvRNS_18TensorIteratorBaseET_S7_EUlddE_EESt5arrayIPcLm2EEEEviT0_T1_
                                        ; -- End function
	.set _ZN2at6native29vectorized_elementwise_kernelILi4ENS0_13AUnaryFunctorIdddZNS0_12_GLOBAL__N_121threshold_kernel_implIdEEvRNS_18TensorIteratorBaseET_S7_EUlddE_EESt5arrayIPcLm2EEEEviT0_T1_.num_vgpr, 17
	.set _ZN2at6native29vectorized_elementwise_kernelILi4ENS0_13AUnaryFunctorIdddZNS0_12_GLOBAL__N_121threshold_kernel_implIdEEvRNS_18TensorIteratorBaseET_S7_EUlddE_EESt5arrayIPcLm2EEEEviT0_T1_.num_agpr, 0
	.set _ZN2at6native29vectorized_elementwise_kernelILi4ENS0_13AUnaryFunctorIdddZNS0_12_GLOBAL__N_121threshold_kernel_implIdEEvRNS_18TensorIteratorBaseET_S7_EUlddE_EESt5arrayIPcLm2EEEEviT0_T1_.numbered_sgpr, 17
	.set _ZN2at6native29vectorized_elementwise_kernelILi4ENS0_13AUnaryFunctorIdddZNS0_12_GLOBAL__N_121threshold_kernel_implIdEEvRNS_18TensorIteratorBaseET_S7_EUlddE_EESt5arrayIPcLm2EEEEviT0_T1_.num_named_barrier, 0
	.set _ZN2at6native29vectorized_elementwise_kernelILi4ENS0_13AUnaryFunctorIdddZNS0_12_GLOBAL__N_121threshold_kernel_implIdEEvRNS_18TensorIteratorBaseET_S7_EUlddE_EESt5arrayIPcLm2EEEEviT0_T1_.private_seg_size, 0
	.set _ZN2at6native29vectorized_elementwise_kernelILi4ENS0_13AUnaryFunctorIdddZNS0_12_GLOBAL__N_121threshold_kernel_implIdEEvRNS_18TensorIteratorBaseET_S7_EUlddE_EESt5arrayIPcLm2EEEEviT0_T1_.uses_vcc, 1
	.set _ZN2at6native29vectorized_elementwise_kernelILi4ENS0_13AUnaryFunctorIdddZNS0_12_GLOBAL__N_121threshold_kernel_implIdEEvRNS_18TensorIteratorBaseET_S7_EUlddE_EESt5arrayIPcLm2EEEEviT0_T1_.uses_flat_scratch, 0
	.set _ZN2at6native29vectorized_elementwise_kernelILi4ENS0_13AUnaryFunctorIdddZNS0_12_GLOBAL__N_121threshold_kernel_implIdEEvRNS_18TensorIteratorBaseET_S7_EUlddE_EESt5arrayIPcLm2EEEEviT0_T1_.has_dyn_sized_stack, 0
	.set _ZN2at6native29vectorized_elementwise_kernelILi4ENS0_13AUnaryFunctorIdddZNS0_12_GLOBAL__N_121threshold_kernel_implIdEEvRNS_18TensorIteratorBaseET_S7_EUlddE_EESt5arrayIPcLm2EEEEviT0_T1_.has_recursion, 0
	.set _ZN2at6native29vectorized_elementwise_kernelILi4ENS0_13AUnaryFunctorIdddZNS0_12_GLOBAL__N_121threshold_kernel_implIdEEvRNS_18TensorIteratorBaseET_S7_EUlddE_EESt5arrayIPcLm2EEEEviT0_T1_.has_indirect_call, 0
	.section	.AMDGPU.csdata,"",@progbits
; Kernel info:
; codeLenInByte = 960
; TotalNumSgprs: 21
; NumVgprs: 17
; ScratchSize: 0
; MemoryBound: 0
; FloatMode: 240
; IeeeMode: 1
; LDSByteSize: 0 bytes/workgroup (compile time only)
; SGPRBlocks: 2
; VGPRBlocks: 4
; NumSGPRsForWavesPerEU: 21
; NumVGPRsForWavesPerEU: 17
; Occupancy: 10
; WaveLimiterHint : 0
; COMPUTE_PGM_RSRC2:SCRATCH_EN: 0
; COMPUTE_PGM_RSRC2:USER_SGPR: 6
; COMPUTE_PGM_RSRC2:TRAP_HANDLER: 0
; COMPUTE_PGM_RSRC2:TGID_X_EN: 1
; COMPUTE_PGM_RSRC2:TGID_Y_EN: 0
; COMPUTE_PGM_RSRC2:TGID_Z_EN: 0
; COMPUTE_PGM_RSRC2:TIDIG_COMP_CNT: 0
	.section	.text._ZN2at6native29vectorized_elementwise_kernelILi2ENS0_13AUnaryFunctorIdddZNS0_12_GLOBAL__N_121threshold_kernel_implIdEEvRNS_18TensorIteratorBaseET_S7_EUlddE_EESt5arrayIPcLm2EEEEviT0_T1_,"axG",@progbits,_ZN2at6native29vectorized_elementwise_kernelILi2ENS0_13AUnaryFunctorIdddZNS0_12_GLOBAL__N_121threshold_kernel_implIdEEvRNS_18TensorIteratorBaseET_S7_EUlddE_EESt5arrayIPcLm2EEEEviT0_T1_,comdat
	.globl	_ZN2at6native29vectorized_elementwise_kernelILi2ENS0_13AUnaryFunctorIdddZNS0_12_GLOBAL__N_121threshold_kernel_implIdEEvRNS_18TensorIteratorBaseET_S7_EUlddE_EESt5arrayIPcLm2EEEEviT0_T1_ ; -- Begin function _ZN2at6native29vectorized_elementwise_kernelILi2ENS0_13AUnaryFunctorIdddZNS0_12_GLOBAL__N_121threshold_kernel_implIdEEvRNS_18TensorIteratorBaseET_S7_EUlddE_EESt5arrayIPcLm2EEEEviT0_T1_
	.p2align	8
	.type	_ZN2at6native29vectorized_elementwise_kernelILi2ENS0_13AUnaryFunctorIdddZNS0_12_GLOBAL__N_121threshold_kernel_implIdEEvRNS_18TensorIteratorBaseET_S7_EUlddE_EESt5arrayIPcLm2EEEEviT0_T1_,@function
_ZN2at6native29vectorized_elementwise_kernelILi2ENS0_13AUnaryFunctorIdddZNS0_12_GLOBAL__N_121threshold_kernel_implIdEEvRNS_18TensorIteratorBaseET_S7_EUlddE_EESt5arrayIPcLm2EEEEviT0_T1_: ; @_ZN2at6native29vectorized_elementwise_kernelILi2ENS0_13AUnaryFunctorIdddZNS0_12_GLOBAL__N_121threshold_kernel_implIdEEvRNS_18TensorIteratorBaseET_S7_EUlddE_EESt5arrayIPcLm2EEEEviT0_T1_
; %bb.0:
	s_load_dword s0, s[4:5], 0x0
	s_load_dwordx8 s[8:15], s[4:5], 0x8
	s_load_dwordx2 s[2:3], s[4:5], 0x28
	s_lshl_b32 s4, s6, 10
	s_waitcnt lgkmcnt(0)
	s_sub_i32 s16, s0, s4
	s_cmpk_gt_i32 s16, 0x3ff
	s_mov_b64 s[0:1], -1
	s_cbranch_scc0 .LBB123_2
; %bb.1:
	s_ashr_i32 s5, s4, 31
	s_lshl_b64 s[0:1], s[4:5], 3
	s_add_u32 s6, s2, s0
	s_addc_u32 s7, s3, s1
	v_lshlrev_b32_e32 v11, 4, v0
	v_mov_b32_e32 v1, s7
	v_add_co_u32_e32 v5, vcc, s6, v11
	v_addc_co_u32_e32 v6, vcc, 0, v1, vcc
	v_add_co_u32_e32 v5, vcc, 0x1000, v5
	global_load_dwordx4 v[1:4], v11, s[6:7]
	v_addc_co_u32_e32 v6, vcc, 0, v6, vcc
	global_load_dwordx4 v[5:8], v[5:6], off
	v_mov_b32_e32 v10, s9
	v_mov_b32_e32 v9, s8
	s_add_u32 s6, s14, s0
	s_addc_u32 s7, s15, s1
	v_cmp_nle_f64_e64 s[0:1], s[12:13], v[9:10]
	v_mov_b32_e32 v14, s7
	v_add_co_u32_e32 v9, vcc, s6, v11
	v_mov_b32_e32 v12, s11
	v_mov_b32_e32 v13, s10
	v_addc_co_u32_e32 v10, vcc, 0, v14, vcc
	v_add_co_u32_e32 v9, vcc, 0x1000, v9
	v_addc_co_u32_e32 v10, vcc, 0, v10, vcc
	s_waitcnt vmcnt(1)
	v_cndmask_b32_e64 v2, v12, v2, s[0:1]
	v_cndmask_b32_e64 v1, v13, v1, s[0:1]
	;; [unrolled: 1-line block ×4, first 2 shown]
	global_store_dwordx4 v11, v[1:4], s[6:7]
	s_waitcnt vmcnt(1)
	v_cndmask_b32_e64 v2, v12, v6, s[0:1]
	v_cndmask_b32_e64 v1, v13, v5, s[0:1]
	;; [unrolled: 1-line block ×4, first 2 shown]
	global_store_dwordx4 v[9:10], v[1:4], off
	s_mov_b64 s[0:1], 0
.LBB123_2:
	s_andn2_b64 vcc, exec, s[0:1]
	s_cbranch_vccnz .LBB123_16
; %bb.3:
	v_mov_b32_e32 v3, 0
	v_mov_b32_e32 v5, 0
	v_cmp_gt_i32_e32 vcc, s16, v0
	v_mov_b32_e32 v4, 0
	v_or_b32_e32 v1, s4, v0
	v_mov_b32_e32 v6, 0
	v_mov_b32_e32 v2, v0
	s_and_saveexec_b64 s[6:7], vcc
	s_cbranch_execz .LBB123_5
; %bb.4:
	v_mov_b32_e32 v2, 0
	v_lshlrev_b64 v[5:6], 3, v[1:2]
	v_mov_b32_e32 v2, s3
	v_add_co_u32_e64 v5, s[0:1], s2, v5
	v_addc_co_u32_e64 v6, s[0:1], v2, v6, s[0:1]
	global_load_dwordx2 v[5:6], v[5:6], off
	v_or_b32_e32 v2, 0x100, v0
.LBB123_5:
	s_or_b64 exec, exec, s[6:7]
	v_cmp_gt_i32_e64 s[0:1], s16, v2
	s_and_saveexec_b64 s[6:7], s[0:1]
	s_cbranch_execz .LBB123_7
; %bb.6:
	v_add_u32_e32 v3, s4, v2
	v_mov_b32_e32 v4, 0
	v_lshlrev_b64 v[3:4], 3, v[3:4]
	v_mov_b32_e32 v7, s3
	v_add_co_u32_e64 v3, s[0:1], s2, v3
	v_addc_co_u32_e64 v4, s[0:1], v7, v4, s[0:1]
	global_load_dwordx2 v[3:4], v[3:4], off
	v_add_u32_e32 v2, 0x100, v2
.LBB123_7:
	s_or_b64 exec, exec, s[6:7]
	v_mov_b32_e32 v7, 0
	v_mov_b32_e32 v9, 0
	;; [unrolled: 1-line block ×4, first 2 shown]
	v_cmp_gt_i32_e64 s[0:1], s16, v2
	s_and_saveexec_b64 s[6:7], s[0:1]
	s_cbranch_execz .LBB123_9
; %bb.8:
	v_add_u32_e32 v9, s4, v2
	v_mov_b32_e32 v10, 0
	v_lshlrev_b64 v[9:10], 3, v[9:10]
	v_mov_b32_e32 v11, s3
	v_add_co_u32_e64 v9, s[0:1], s2, v9
	v_addc_co_u32_e64 v10, s[0:1], v11, v10, s[0:1]
	global_load_dwordx2 v[9:10], v[9:10], off
	v_add_u32_e32 v2, 0x100, v2
.LBB123_9:
	s_or_b64 exec, exec, s[6:7]
	v_cmp_gt_i32_e64 s[0:1], s16, v2
	s_and_saveexec_b64 s[6:7], s[0:1]
	s_cbranch_execz .LBB123_11
; %bb.10:
	v_add_u32_e32 v7, s4, v2
	v_mov_b32_e32 v8, 0
	v_lshlrev_b64 v[7:8], 3, v[7:8]
	v_mov_b32_e32 v2, s3
	v_add_co_u32_e64 v7, s[0:1], s2, v7
	v_addc_co_u32_e64 v8, s[0:1], v2, v8, s[0:1]
	global_load_dwordx2 v[7:8], v[7:8], off
.LBB123_11:
	s_or_b64 exec, exec, s[6:7]
	v_mov_b32_e32 v12, s9
	v_mov_b32_e32 v11, s8
	v_cmp_nle_f64_e64 s[0:1], s[12:13], v[11:12]
	v_mov_b32_e32 v2, s10
	v_or_b32_e32 v15, 0x100, v0
	v_mov_b32_e32 v16, s11
	v_cmp_gt_i32_e64 s[2:3], s16, v15
	s_waitcnt vmcnt(0)
	v_cndmask_b32_e64 v5, v2, v5, s[0:1]
	v_cndmask_b32_e64 v3, v2, v3, s[0:1]
	v_cndmask_b32_e32 v13, 0, v5, vcc
	v_cndmask_b32_e64 v5, v16, v6, s[0:1]
	v_cndmask_b32_e64 v4, v16, v4, s[0:1]
	;; [unrolled: 1-line block ×3, first 2 shown]
	v_or_b32_e32 v3, 0x200, v0
	v_cndmask_b32_e32 v14, 0, v5, vcc
	v_cndmask_b32_e64 v12, 0, v4, s[2:3]
	v_cndmask_b32_e64 v4, v2, v9, s[0:1]
	;; [unrolled: 1-line block ×3, first 2 shown]
	v_cmp_gt_i32_e64 s[2:3], s16, v3
	v_or_b32_e32 v3, 0x300, v0
	v_cndmask_b32_e64 v6, 0, v5, s[2:3]
	v_cndmask_b32_e64 v5, 0, v4, s[2:3]
	;; [unrolled: 1-line block ×4, first 2 shown]
	v_cmp_gt_i32_e64 s[0:1], s16, v3
	v_cndmask_b32_e64 v4, 0, v4, s[0:1]
	v_cndmask_b32_e64 v3, 0, v2, s[0:1]
	s_and_saveexec_b64 s[0:1], vcc
	s_cbranch_execnz .LBB123_17
; %bb.12:
	s_or_b64 exec, exec, s[0:1]
	v_cmp_gt_i32_e32 vcc, s16, v0
	s_and_saveexec_b64 s[0:1], vcc
	s_cbranch_execnz .LBB123_18
.LBB123_13:
	s_or_b64 exec, exec, s[0:1]
	v_cmp_gt_i32_e32 vcc, s16, v0
	s_and_saveexec_b64 s[0:1], vcc
	s_cbranch_execnz .LBB123_19
.LBB123_14:
	s_or_b64 exec, exec, s[0:1]
	v_cmp_gt_i32_e32 vcc, s16, v0
	s_and_saveexec_b64 s[0:1], vcc
	s_cbranch_execz .LBB123_16
.LBB123_15:
	v_add_u32_e32 v0, s4, v0
	v_mov_b32_e32 v1, 0
	v_lshlrev_b64 v[0:1], 3, v[0:1]
	v_mov_b32_e32 v2, s15
	v_add_co_u32_e32 v0, vcc, s14, v0
	v_addc_co_u32_e32 v1, vcc, v2, v1, vcc
	global_store_dwordx2 v[0:1], v[3:4], off
.LBB123_16:
	s_endpgm
.LBB123_17:
	v_mov_b32_e32 v2, 0
	v_lshlrev_b64 v[0:1], 3, v[1:2]
	v_mov_b32_e32 v2, s15
	v_add_co_u32_e32 v0, vcc, s14, v0
	v_addc_co_u32_e32 v1, vcc, v2, v1, vcc
	global_store_dwordx2 v[0:1], v[13:14], off
	v_mov_b32_e32 v0, v15
	s_or_b64 exec, exec, s[0:1]
	v_cmp_gt_i32_e32 vcc, s16, v0
	s_and_saveexec_b64 s[0:1], vcc
	s_cbranch_execz .LBB123_13
.LBB123_18:
	v_add_u32_e32 v1, s4, v0
	v_mov_b32_e32 v2, 0
	v_lshlrev_b64 v[1:2], 3, v[1:2]
	v_mov_b32_e32 v7, s15
	v_add_co_u32_e32 v1, vcc, s14, v1
	v_addc_co_u32_e32 v2, vcc, v7, v2, vcc
	v_add_u32_e32 v0, 0x100, v0
	global_store_dwordx2 v[1:2], v[11:12], off
	s_or_b64 exec, exec, s[0:1]
	v_cmp_gt_i32_e32 vcc, s16, v0
	s_and_saveexec_b64 s[0:1], vcc
	s_cbranch_execz .LBB123_14
.LBB123_19:
	v_add_u32_e32 v1, s4, v0
	v_mov_b32_e32 v2, 0
	v_lshlrev_b64 v[1:2], 3, v[1:2]
	v_mov_b32_e32 v7, s15
	v_add_co_u32_e32 v1, vcc, s14, v1
	v_addc_co_u32_e32 v2, vcc, v7, v2, vcc
	v_add_u32_e32 v0, 0x100, v0
	global_store_dwordx2 v[1:2], v[5:6], off
	s_or_b64 exec, exec, s[0:1]
	v_cmp_gt_i32_e32 vcc, s16, v0
	s_and_saveexec_b64 s[0:1], vcc
	s_cbranch_execnz .LBB123_15
	s_branch .LBB123_16
	.section	.rodata,"a",@progbits
	.p2align	6, 0x0
	.amdhsa_kernel _ZN2at6native29vectorized_elementwise_kernelILi2ENS0_13AUnaryFunctorIdddZNS0_12_GLOBAL__N_121threshold_kernel_implIdEEvRNS_18TensorIteratorBaseET_S7_EUlddE_EESt5arrayIPcLm2EEEEviT0_T1_
		.amdhsa_group_segment_fixed_size 0
		.amdhsa_private_segment_fixed_size 0
		.amdhsa_kernarg_size 48
		.amdhsa_user_sgpr_count 6
		.amdhsa_user_sgpr_private_segment_buffer 1
		.amdhsa_user_sgpr_dispatch_ptr 0
		.amdhsa_user_sgpr_queue_ptr 0
		.amdhsa_user_sgpr_kernarg_segment_ptr 1
		.amdhsa_user_sgpr_dispatch_id 0
		.amdhsa_user_sgpr_flat_scratch_init 0
		.amdhsa_user_sgpr_private_segment_size 0
		.amdhsa_uses_dynamic_stack 0
		.amdhsa_system_sgpr_private_segment_wavefront_offset 0
		.amdhsa_system_sgpr_workgroup_id_x 1
		.amdhsa_system_sgpr_workgroup_id_y 0
		.amdhsa_system_sgpr_workgroup_id_z 0
		.amdhsa_system_sgpr_workgroup_info 0
		.amdhsa_system_vgpr_workitem_id 0
		.amdhsa_next_free_vgpr 17
		.amdhsa_next_free_sgpr 17
		.amdhsa_reserve_vcc 1
		.amdhsa_reserve_flat_scratch 0
		.amdhsa_float_round_mode_32 0
		.amdhsa_float_round_mode_16_64 0
		.amdhsa_float_denorm_mode_32 3
		.amdhsa_float_denorm_mode_16_64 3
		.amdhsa_dx10_clamp 1
		.amdhsa_ieee_mode 1
		.amdhsa_fp16_overflow 0
		.amdhsa_exception_fp_ieee_invalid_op 0
		.amdhsa_exception_fp_denorm_src 0
		.amdhsa_exception_fp_ieee_div_zero 0
		.amdhsa_exception_fp_ieee_overflow 0
		.amdhsa_exception_fp_ieee_underflow 0
		.amdhsa_exception_fp_ieee_inexact 0
		.amdhsa_exception_int_div_zero 0
	.end_amdhsa_kernel
	.section	.text._ZN2at6native29vectorized_elementwise_kernelILi2ENS0_13AUnaryFunctorIdddZNS0_12_GLOBAL__N_121threshold_kernel_implIdEEvRNS_18TensorIteratorBaseET_S7_EUlddE_EESt5arrayIPcLm2EEEEviT0_T1_,"axG",@progbits,_ZN2at6native29vectorized_elementwise_kernelILi2ENS0_13AUnaryFunctorIdddZNS0_12_GLOBAL__N_121threshold_kernel_implIdEEvRNS_18TensorIteratorBaseET_S7_EUlddE_EESt5arrayIPcLm2EEEEviT0_T1_,comdat
.Lfunc_end123:
	.size	_ZN2at6native29vectorized_elementwise_kernelILi2ENS0_13AUnaryFunctorIdddZNS0_12_GLOBAL__N_121threshold_kernel_implIdEEvRNS_18TensorIteratorBaseET_S7_EUlddE_EESt5arrayIPcLm2EEEEviT0_T1_, .Lfunc_end123-_ZN2at6native29vectorized_elementwise_kernelILi2ENS0_13AUnaryFunctorIdddZNS0_12_GLOBAL__N_121threshold_kernel_implIdEEvRNS_18TensorIteratorBaseET_S7_EUlddE_EESt5arrayIPcLm2EEEEviT0_T1_
                                        ; -- End function
	.set _ZN2at6native29vectorized_elementwise_kernelILi2ENS0_13AUnaryFunctorIdddZNS0_12_GLOBAL__N_121threshold_kernel_implIdEEvRNS_18TensorIteratorBaseET_S7_EUlddE_EESt5arrayIPcLm2EEEEviT0_T1_.num_vgpr, 17
	.set _ZN2at6native29vectorized_elementwise_kernelILi2ENS0_13AUnaryFunctorIdddZNS0_12_GLOBAL__N_121threshold_kernel_implIdEEvRNS_18TensorIteratorBaseET_S7_EUlddE_EESt5arrayIPcLm2EEEEviT0_T1_.num_agpr, 0
	.set _ZN2at6native29vectorized_elementwise_kernelILi2ENS0_13AUnaryFunctorIdddZNS0_12_GLOBAL__N_121threshold_kernel_implIdEEvRNS_18TensorIteratorBaseET_S7_EUlddE_EESt5arrayIPcLm2EEEEviT0_T1_.numbered_sgpr, 17
	.set _ZN2at6native29vectorized_elementwise_kernelILi2ENS0_13AUnaryFunctorIdddZNS0_12_GLOBAL__N_121threshold_kernel_implIdEEvRNS_18TensorIteratorBaseET_S7_EUlddE_EESt5arrayIPcLm2EEEEviT0_T1_.num_named_barrier, 0
	.set _ZN2at6native29vectorized_elementwise_kernelILi2ENS0_13AUnaryFunctorIdddZNS0_12_GLOBAL__N_121threshold_kernel_implIdEEvRNS_18TensorIteratorBaseET_S7_EUlddE_EESt5arrayIPcLm2EEEEviT0_T1_.private_seg_size, 0
	.set _ZN2at6native29vectorized_elementwise_kernelILi2ENS0_13AUnaryFunctorIdddZNS0_12_GLOBAL__N_121threshold_kernel_implIdEEvRNS_18TensorIteratorBaseET_S7_EUlddE_EESt5arrayIPcLm2EEEEviT0_T1_.uses_vcc, 1
	.set _ZN2at6native29vectorized_elementwise_kernelILi2ENS0_13AUnaryFunctorIdddZNS0_12_GLOBAL__N_121threshold_kernel_implIdEEvRNS_18TensorIteratorBaseET_S7_EUlddE_EESt5arrayIPcLm2EEEEviT0_T1_.uses_flat_scratch, 0
	.set _ZN2at6native29vectorized_elementwise_kernelILi2ENS0_13AUnaryFunctorIdddZNS0_12_GLOBAL__N_121threshold_kernel_implIdEEvRNS_18TensorIteratorBaseET_S7_EUlddE_EESt5arrayIPcLm2EEEEviT0_T1_.has_dyn_sized_stack, 0
	.set _ZN2at6native29vectorized_elementwise_kernelILi2ENS0_13AUnaryFunctorIdddZNS0_12_GLOBAL__N_121threshold_kernel_implIdEEvRNS_18TensorIteratorBaseET_S7_EUlddE_EESt5arrayIPcLm2EEEEviT0_T1_.has_recursion, 0
	.set _ZN2at6native29vectorized_elementwise_kernelILi2ENS0_13AUnaryFunctorIdddZNS0_12_GLOBAL__N_121threshold_kernel_implIdEEvRNS_18TensorIteratorBaseET_S7_EUlddE_EESt5arrayIPcLm2EEEEviT0_T1_.has_indirect_call, 0
	.section	.AMDGPU.csdata,"",@progbits
; Kernel info:
; codeLenInByte = 1044
; TotalNumSgprs: 21
; NumVgprs: 17
; ScratchSize: 0
; MemoryBound: 0
; FloatMode: 240
; IeeeMode: 1
; LDSByteSize: 0 bytes/workgroup (compile time only)
; SGPRBlocks: 2
; VGPRBlocks: 4
; NumSGPRsForWavesPerEU: 21
; NumVGPRsForWavesPerEU: 17
; Occupancy: 10
; WaveLimiterHint : 1
; COMPUTE_PGM_RSRC2:SCRATCH_EN: 0
; COMPUTE_PGM_RSRC2:USER_SGPR: 6
; COMPUTE_PGM_RSRC2:TRAP_HANDLER: 0
; COMPUTE_PGM_RSRC2:TGID_X_EN: 1
; COMPUTE_PGM_RSRC2:TGID_Y_EN: 0
; COMPUTE_PGM_RSRC2:TGID_Z_EN: 0
; COMPUTE_PGM_RSRC2:TIDIG_COMP_CNT: 0
	.section	.text._ZN2at6native27unrolled_elementwise_kernelINS0_13AUnaryFunctorIdddZNS0_12_GLOBAL__N_121threshold_kernel_implIdEEvRNS_18TensorIteratorBaseET_S7_EUlddE_EESt5arrayIPcLm2EELi4E23TrivialOffsetCalculatorILi1EjESE_NS0_6memory15LoadWithoutCastENSF_16StoreWithoutCastEEEviS7_T0_T2_T3_T4_T5_,"axG",@progbits,_ZN2at6native27unrolled_elementwise_kernelINS0_13AUnaryFunctorIdddZNS0_12_GLOBAL__N_121threshold_kernel_implIdEEvRNS_18TensorIteratorBaseET_S7_EUlddE_EESt5arrayIPcLm2EELi4E23TrivialOffsetCalculatorILi1EjESE_NS0_6memory15LoadWithoutCastENSF_16StoreWithoutCastEEEviS7_T0_T2_T3_T4_T5_,comdat
	.globl	_ZN2at6native27unrolled_elementwise_kernelINS0_13AUnaryFunctorIdddZNS0_12_GLOBAL__N_121threshold_kernel_implIdEEvRNS_18TensorIteratorBaseET_S7_EUlddE_EESt5arrayIPcLm2EELi4E23TrivialOffsetCalculatorILi1EjESE_NS0_6memory15LoadWithoutCastENSF_16StoreWithoutCastEEEviS7_T0_T2_T3_T4_T5_ ; -- Begin function _ZN2at6native27unrolled_elementwise_kernelINS0_13AUnaryFunctorIdddZNS0_12_GLOBAL__N_121threshold_kernel_implIdEEvRNS_18TensorIteratorBaseET_S7_EUlddE_EESt5arrayIPcLm2EELi4E23TrivialOffsetCalculatorILi1EjESE_NS0_6memory15LoadWithoutCastENSF_16StoreWithoutCastEEEviS7_T0_T2_T3_T4_T5_
	.p2align	8
	.type	_ZN2at6native27unrolled_elementwise_kernelINS0_13AUnaryFunctorIdddZNS0_12_GLOBAL__N_121threshold_kernel_implIdEEvRNS_18TensorIteratorBaseET_S7_EUlddE_EESt5arrayIPcLm2EELi4E23TrivialOffsetCalculatorILi1EjESE_NS0_6memory15LoadWithoutCastENSF_16StoreWithoutCastEEEviS7_T0_T2_T3_T4_T5_,@function
_ZN2at6native27unrolled_elementwise_kernelINS0_13AUnaryFunctorIdddZNS0_12_GLOBAL__N_121threshold_kernel_implIdEEvRNS_18TensorIteratorBaseET_S7_EUlddE_EESt5arrayIPcLm2EELi4E23TrivialOffsetCalculatorILi1EjESE_NS0_6memory15LoadWithoutCastENSF_16StoreWithoutCastEEEviS7_T0_T2_T3_T4_T5_: ; @_ZN2at6native27unrolled_elementwise_kernelINS0_13AUnaryFunctorIdddZNS0_12_GLOBAL__N_121threshold_kernel_implIdEEvRNS_18TensorIteratorBaseET_S7_EUlddE_EESt5arrayIPcLm2EELi4E23TrivialOffsetCalculatorILi1EjESE_NS0_6memory15LoadWithoutCastENSF_16StoreWithoutCastEEEviS7_T0_T2_T3_T4_T5_
; %bb.0:
	s_load_dword s0, s[4:5], 0x0
	s_load_dwordx2 s[2:3], s[4:5], 0x28
	s_lshl_b32 s16, s6, 10
	v_mov_b32_e32 v3, 0
	v_mov_b32_e32 v5, 0
	s_waitcnt lgkmcnt(0)
	s_sub_i32 s17, s0, s16
	v_cmp_gt_i32_e32 vcc, s17, v0
	v_mov_b32_e32 v4, 0
	v_or_b32_e32 v1, s16, v0
	v_mov_b32_e32 v6, 0
	v_mov_b32_e32 v2, v0
	s_and_saveexec_b64 s[6:7], vcc
	s_cbranch_execz .LBB124_2
; %bb.1:
	v_mov_b32_e32 v2, 0
	v_lshlrev_b64 v[5:6], 3, v[1:2]
	v_mov_b32_e32 v2, s3
	v_add_co_u32_e64 v5, s[0:1], s2, v5
	v_addc_co_u32_e64 v6, s[0:1], v2, v6, s[0:1]
	global_load_dwordx2 v[5:6], v[5:6], off
	v_or_b32_e32 v2, 0x100, v0
.LBB124_2:
	s_or_b64 exec, exec, s[6:7]
	s_load_dwordx8 s[8:15], s[4:5], 0x8
	v_cmp_gt_i32_e64 s[0:1], s17, v2
	s_and_saveexec_b64 s[4:5], s[0:1]
	s_cbranch_execz .LBB124_4
; %bb.3:
	v_add_u32_e32 v3, s16, v2
	v_mov_b32_e32 v4, 0
	v_lshlrev_b64 v[3:4], 3, v[3:4]
	v_mov_b32_e32 v7, s3
	v_add_co_u32_e64 v3, s[0:1], s2, v3
	v_addc_co_u32_e64 v4, s[0:1], v7, v4, s[0:1]
	global_load_dwordx2 v[3:4], v[3:4], off
	v_add_u32_e32 v2, 0x100, v2
.LBB124_4:
	s_or_b64 exec, exec, s[4:5]
	v_mov_b32_e32 v7, 0
	v_mov_b32_e32 v9, 0
	;; [unrolled: 1-line block ×4, first 2 shown]
	v_cmp_gt_i32_e64 s[0:1], s17, v2
	s_and_saveexec_b64 s[4:5], s[0:1]
	s_cbranch_execz .LBB124_6
; %bb.5:
	v_add_u32_e32 v9, s16, v2
	v_mov_b32_e32 v10, 0
	v_lshlrev_b64 v[9:10], 3, v[9:10]
	v_mov_b32_e32 v11, s3
	v_add_co_u32_e64 v9, s[0:1], s2, v9
	v_addc_co_u32_e64 v10, s[0:1], v11, v10, s[0:1]
	global_load_dwordx2 v[9:10], v[9:10], off
	v_add_u32_e32 v2, 0x100, v2
.LBB124_6:
	s_or_b64 exec, exec, s[4:5]
	v_cmp_gt_i32_e64 s[0:1], s17, v2
	s_and_saveexec_b64 s[4:5], s[0:1]
	s_cbranch_execz .LBB124_8
; %bb.7:
	v_add_u32_e32 v7, s16, v2
	v_mov_b32_e32 v8, 0
	v_lshlrev_b64 v[7:8], 3, v[7:8]
	v_mov_b32_e32 v2, s3
	v_add_co_u32_e64 v7, s[0:1], s2, v7
	v_addc_co_u32_e64 v8, s[0:1], v2, v8, s[0:1]
	global_load_dwordx2 v[7:8], v[7:8], off
.LBB124_8:
	s_or_b64 exec, exec, s[4:5]
	s_waitcnt lgkmcnt(0)
	v_mov_b32_e32 v11, s8
	v_mov_b32_e32 v12, s9
	v_cmp_nle_f64_e64 s[0:1], s[12:13], v[11:12]
	v_mov_b32_e32 v2, s10
	v_or_b32_e32 v15, 0x100, v0
	v_mov_b32_e32 v16, s11
	v_cmp_gt_i32_e64 s[2:3], s17, v15
	s_waitcnt vmcnt(0)
	v_cndmask_b32_e64 v5, v2, v5, s[0:1]
	v_cndmask_b32_e64 v3, v2, v3, s[0:1]
	v_cndmask_b32_e32 v13, 0, v5, vcc
	v_cndmask_b32_e64 v5, v16, v6, s[0:1]
	v_cndmask_b32_e64 v4, v16, v4, s[0:1]
	;; [unrolled: 1-line block ×3, first 2 shown]
	v_or_b32_e32 v3, 0x200, v0
	v_cndmask_b32_e32 v14, 0, v5, vcc
	v_cndmask_b32_e64 v12, 0, v4, s[2:3]
	v_cndmask_b32_e64 v4, v2, v9, s[0:1]
	;; [unrolled: 1-line block ×3, first 2 shown]
	v_cmp_gt_i32_e64 s[2:3], s17, v3
	v_or_b32_e32 v3, 0x300, v0
	v_cndmask_b32_e64 v6, 0, v5, s[2:3]
	v_cndmask_b32_e64 v5, 0, v4, s[2:3]
	v_cndmask_b32_e64 v2, v2, v7, s[0:1]
	v_cndmask_b32_e64 v4, v16, v8, s[0:1]
	v_cmp_gt_i32_e64 s[0:1], s17, v3
	v_cndmask_b32_e64 v4, 0, v4, s[0:1]
	v_cndmask_b32_e64 v3, 0, v2, s[0:1]
	s_and_saveexec_b64 s[0:1], vcc
	s_cbranch_execnz .LBB124_13
; %bb.9:
	s_or_b64 exec, exec, s[0:1]
	v_cmp_gt_i32_e32 vcc, s17, v0
	s_and_saveexec_b64 s[0:1], vcc
	s_cbranch_execnz .LBB124_14
.LBB124_10:
	s_or_b64 exec, exec, s[0:1]
	v_cmp_gt_i32_e32 vcc, s17, v0
	s_and_saveexec_b64 s[0:1], vcc
	s_cbranch_execnz .LBB124_15
.LBB124_11:
	s_or_b64 exec, exec, s[0:1]
	v_cmp_gt_i32_e32 vcc, s17, v0
	s_and_saveexec_b64 s[0:1], vcc
	s_cbranch_execnz .LBB124_16
.LBB124_12:
	s_endpgm
.LBB124_13:
	v_mov_b32_e32 v2, 0
	v_lshlrev_b64 v[0:1], 3, v[1:2]
	v_mov_b32_e32 v2, s15
	v_add_co_u32_e32 v0, vcc, s14, v0
	v_addc_co_u32_e32 v1, vcc, v2, v1, vcc
	global_store_dwordx2 v[0:1], v[13:14], off
	v_mov_b32_e32 v0, v15
	s_or_b64 exec, exec, s[0:1]
	v_cmp_gt_i32_e32 vcc, s17, v0
	s_and_saveexec_b64 s[0:1], vcc
	s_cbranch_execz .LBB124_10
.LBB124_14:
	v_add_u32_e32 v2, 0x100, v0
	v_add_u32_e32 v0, s16, v0
	v_mov_b32_e32 v1, 0
	v_lshlrev_b64 v[0:1], 3, v[0:1]
	v_mov_b32_e32 v7, s15
	v_add_co_u32_e32 v0, vcc, s14, v0
	v_addc_co_u32_e32 v1, vcc, v7, v1, vcc
	global_store_dwordx2 v[0:1], v[11:12], off
	v_mov_b32_e32 v0, v2
	s_or_b64 exec, exec, s[0:1]
	v_cmp_gt_i32_e32 vcc, s17, v0
	s_and_saveexec_b64 s[0:1], vcc
	s_cbranch_execz .LBB124_11
.LBB124_15:
	v_add_u32_e32 v2, 0x100, v0
	v_add_u32_e32 v0, s16, v0
	v_mov_b32_e32 v1, 0
	v_lshlrev_b64 v[0:1], 3, v[0:1]
	v_mov_b32_e32 v7, s15
	v_add_co_u32_e32 v0, vcc, s14, v0
	v_addc_co_u32_e32 v1, vcc, v7, v1, vcc
	global_store_dwordx2 v[0:1], v[5:6], off
	v_mov_b32_e32 v0, v2
	s_or_b64 exec, exec, s[0:1]
	v_cmp_gt_i32_e32 vcc, s17, v0
	s_and_saveexec_b64 s[0:1], vcc
	s_cbranch_execz .LBB124_12
.LBB124_16:
	v_add_u32_e32 v0, s16, v0
	v_mov_b32_e32 v1, 0
	v_lshlrev_b64 v[0:1], 3, v[0:1]
	v_mov_b32_e32 v2, s15
	v_add_co_u32_e32 v0, vcc, s14, v0
	v_addc_co_u32_e32 v1, vcc, v2, v1, vcc
	global_store_dwordx2 v[0:1], v[3:4], off
	s_endpgm
	.section	.rodata,"a",@progbits
	.p2align	6, 0x0
	.amdhsa_kernel _ZN2at6native27unrolled_elementwise_kernelINS0_13AUnaryFunctorIdddZNS0_12_GLOBAL__N_121threshold_kernel_implIdEEvRNS_18TensorIteratorBaseET_S7_EUlddE_EESt5arrayIPcLm2EELi4E23TrivialOffsetCalculatorILi1EjESE_NS0_6memory15LoadWithoutCastENSF_16StoreWithoutCastEEEviS7_T0_T2_T3_T4_T5_
		.amdhsa_group_segment_fixed_size 0
		.amdhsa_private_segment_fixed_size 0
		.amdhsa_kernarg_size 52
		.amdhsa_user_sgpr_count 6
		.amdhsa_user_sgpr_private_segment_buffer 1
		.amdhsa_user_sgpr_dispatch_ptr 0
		.amdhsa_user_sgpr_queue_ptr 0
		.amdhsa_user_sgpr_kernarg_segment_ptr 1
		.amdhsa_user_sgpr_dispatch_id 0
		.amdhsa_user_sgpr_flat_scratch_init 0
		.amdhsa_user_sgpr_private_segment_size 0
		.amdhsa_uses_dynamic_stack 0
		.amdhsa_system_sgpr_private_segment_wavefront_offset 0
		.amdhsa_system_sgpr_workgroup_id_x 1
		.amdhsa_system_sgpr_workgroup_id_y 0
		.amdhsa_system_sgpr_workgroup_id_z 0
		.amdhsa_system_sgpr_workgroup_info 0
		.amdhsa_system_vgpr_workitem_id 0
		.amdhsa_next_free_vgpr 17
		.amdhsa_next_free_sgpr 18
		.amdhsa_reserve_vcc 1
		.amdhsa_reserve_flat_scratch 0
		.amdhsa_float_round_mode_32 0
		.amdhsa_float_round_mode_16_64 0
		.amdhsa_float_denorm_mode_32 3
		.amdhsa_float_denorm_mode_16_64 3
		.amdhsa_dx10_clamp 1
		.amdhsa_ieee_mode 1
		.amdhsa_fp16_overflow 0
		.amdhsa_exception_fp_ieee_invalid_op 0
		.amdhsa_exception_fp_denorm_src 0
		.amdhsa_exception_fp_ieee_div_zero 0
		.amdhsa_exception_fp_ieee_overflow 0
		.amdhsa_exception_fp_ieee_underflow 0
		.amdhsa_exception_fp_ieee_inexact 0
		.amdhsa_exception_int_div_zero 0
	.end_amdhsa_kernel
	.section	.text._ZN2at6native27unrolled_elementwise_kernelINS0_13AUnaryFunctorIdddZNS0_12_GLOBAL__N_121threshold_kernel_implIdEEvRNS_18TensorIteratorBaseET_S7_EUlddE_EESt5arrayIPcLm2EELi4E23TrivialOffsetCalculatorILi1EjESE_NS0_6memory15LoadWithoutCastENSF_16StoreWithoutCastEEEviS7_T0_T2_T3_T4_T5_,"axG",@progbits,_ZN2at6native27unrolled_elementwise_kernelINS0_13AUnaryFunctorIdddZNS0_12_GLOBAL__N_121threshold_kernel_implIdEEvRNS_18TensorIteratorBaseET_S7_EUlddE_EESt5arrayIPcLm2EELi4E23TrivialOffsetCalculatorILi1EjESE_NS0_6memory15LoadWithoutCastENSF_16StoreWithoutCastEEEviS7_T0_T2_T3_T4_T5_,comdat
.Lfunc_end124:
	.size	_ZN2at6native27unrolled_elementwise_kernelINS0_13AUnaryFunctorIdddZNS0_12_GLOBAL__N_121threshold_kernel_implIdEEvRNS_18TensorIteratorBaseET_S7_EUlddE_EESt5arrayIPcLm2EELi4E23TrivialOffsetCalculatorILi1EjESE_NS0_6memory15LoadWithoutCastENSF_16StoreWithoutCastEEEviS7_T0_T2_T3_T4_T5_, .Lfunc_end124-_ZN2at6native27unrolled_elementwise_kernelINS0_13AUnaryFunctorIdddZNS0_12_GLOBAL__N_121threshold_kernel_implIdEEvRNS_18TensorIteratorBaseET_S7_EUlddE_EESt5arrayIPcLm2EELi4E23TrivialOffsetCalculatorILi1EjESE_NS0_6memory15LoadWithoutCastENSF_16StoreWithoutCastEEEviS7_T0_T2_T3_T4_T5_
                                        ; -- End function
	.set _ZN2at6native27unrolled_elementwise_kernelINS0_13AUnaryFunctorIdddZNS0_12_GLOBAL__N_121threshold_kernel_implIdEEvRNS_18TensorIteratorBaseET_S7_EUlddE_EESt5arrayIPcLm2EELi4E23TrivialOffsetCalculatorILi1EjESE_NS0_6memory15LoadWithoutCastENSF_16StoreWithoutCastEEEviS7_T0_T2_T3_T4_T5_.num_vgpr, 17
	.set _ZN2at6native27unrolled_elementwise_kernelINS0_13AUnaryFunctorIdddZNS0_12_GLOBAL__N_121threshold_kernel_implIdEEvRNS_18TensorIteratorBaseET_S7_EUlddE_EESt5arrayIPcLm2EELi4E23TrivialOffsetCalculatorILi1EjESE_NS0_6memory15LoadWithoutCastENSF_16StoreWithoutCastEEEviS7_T0_T2_T3_T4_T5_.num_agpr, 0
	.set _ZN2at6native27unrolled_elementwise_kernelINS0_13AUnaryFunctorIdddZNS0_12_GLOBAL__N_121threshold_kernel_implIdEEvRNS_18TensorIteratorBaseET_S7_EUlddE_EESt5arrayIPcLm2EELi4E23TrivialOffsetCalculatorILi1EjESE_NS0_6memory15LoadWithoutCastENSF_16StoreWithoutCastEEEviS7_T0_T2_T3_T4_T5_.numbered_sgpr, 18
	.set _ZN2at6native27unrolled_elementwise_kernelINS0_13AUnaryFunctorIdddZNS0_12_GLOBAL__N_121threshold_kernel_implIdEEvRNS_18TensorIteratorBaseET_S7_EUlddE_EESt5arrayIPcLm2EELi4E23TrivialOffsetCalculatorILi1EjESE_NS0_6memory15LoadWithoutCastENSF_16StoreWithoutCastEEEviS7_T0_T2_T3_T4_T5_.num_named_barrier, 0
	.set _ZN2at6native27unrolled_elementwise_kernelINS0_13AUnaryFunctorIdddZNS0_12_GLOBAL__N_121threshold_kernel_implIdEEvRNS_18TensorIteratorBaseET_S7_EUlddE_EESt5arrayIPcLm2EELi4E23TrivialOffsetCalculatorILi1EjESE_NS0_6memory15LoadWithoutCastENSF_16StoreWithoutCastEEEviS7_T0_T2_T3_T4_T5_.private_seg_size, 0
	.set _ZN2at6native27unrolled_elementwise_kernelINS0_13AUnaryFunctorIdddZNS0_12_GLOBAL__N_121threshold_kernel_implIdEEvRNS_18TensorIteratorBaseET_S7_EUlddE_EESt5arrayIPcLm2EELi4E23TrivialOffsetCalculatorILi1EjESE_NS0_6memory15LoadWithoutCastENSF_16StoreWithoutCastEEEviS7_T0_T2_T3_T4_T5_.uses_vcc, 1
	.set _ZN2at6native27unrolled_elementwise_kernelINS0_13AUnaryFunctorIdddZNS0_12_GLOBAL__N_121threshold_kernel_implIdEEvRNS_18TensorIteratorBaseET_S7_EUlddE_EESt5arrayIPcLm2EELi4E23TrivialOffsetCalculatorILi1EjESE_NS0_6memory15LoadWithoutCastENSF_16StoreWithoutCastEEEviS7_T0_T2_T3_T4_T5_.uses_flat_scratch, 0
	.set _ZN2at6native27unrolled_elementwise_kernelINS0_13AUnaryFunctorIdddZNS0_12_GLOBAL__N_121threshold_kernel_implIdEEvRNS_18TensorIteratorBaseET_S7_EUlddE_EESt5arrayIPcLm2EELi4E23TrivialOffsetCalculatorILi1EjESE_NS0_6memory15LoadWithoutCastENSF_16StoreWithoutCastEEEviS7_T0_T2_T3_T4_T5_.has_dyn_sized_stack, 0
	.set _ZN2at6native27unrolled_elementwise_kernelINS0_13AUnaryFunctorIdddZNS0_12_GLOBAL__N_121threshold_kernel_implIdEEvRNS_18TensorIteratorBaseET_S7_EUlddE_EESt5arrayIPcLm2EELi4E23TrivialOffsetCalculatorILi1EjESE_NS0_6memory15LoadWithoutCastENSF_16StoreWithoutCastEEEviS7_T0_T2_T3_T4_T5_.has_recursion, 0
	.set _ZN2at6native27unrolled_elementwise_kernelINS0_13AUnaryFunctorIdddZNS0_12_GLOBAL__N_121threshold_kernel_implIdEEvRNS_18TensorIteratorBaseET_S7_EUlddE_EESt5arrayIPcLm2EELi4E23TrivialOffsetCalculatorILi1EjESE_NS0_6memory15LoadWithoutCastENSF_16StoreWithoutCastEEEviS7_T0_T2_T3_T4_T5_.has_indirect_call, 0
	.section	.AMDGPU.csdata,"",@progbits
; Kernel info:
; codeLenInByte = 828
; TotalNumSgprs: 22
; NumVgprs: 17
; ScratchSize: 0
; MemoryBound: 0
; FloatMode: 240
; IeeeMode: 1
; LDSByteSize: 0 bytes/workgroup (compile time only)
; SGPRBlocks: 2
; VGPRBlocks: 4
; NumSGPRsForWavesPerEU: 22
; NumVGPRsForWavesPerEU: 17
; Occupancy: 10
; WaveLimiterHint : 0
; COMPUTE_PGM_RSRC2:SCRATCH_EN: 0
; COMPUTE_PGM_RSRC2:USER_SGPR: 6
; COMPUTE_PGM_RSRC2:TRAP_HANDLER: 0
; COMPUTE_PGM_RSRC2:TGID_X_EN: 1
; COMPUTE_PGM_RSRC2:TGID_Y_EN: 0
; COMPUTE_PGM_RSRC2:TGID_Z_EN: 0
; COMPUTE_PGM_RSRC2:TIDIG_COMP_CNT: 0
	.section	.text._ZN2at6native32elementwise_kernel_manual_unrollILi128ELi4EZNS0_22gpu_kernel_impl_nocastINS0_13AUnaryFunctorIdddZNS0_12_GLOBAL__N_121threshold_kernel_implIdEEvRNS_18TensorIteratorBaseET_S8_EUlddE_EEEEvS7_RKS8_EUlibE_EEviT1_,"axG",@progbits,_ZN2at6native32elementwise_kernel_manual_unrollILi128ELi4EZNS0_22gpu_kernel_impl_nocastINS0_13AUnaryFunctorIdddZNS0_12_GLOBAL__N_121threshold_kernel_implIdEEvRNS_18TensorIteratorBaseET_S8_EUlddE_EEEEvS7_RKS8_EUlibE_EEviT1_,comdat
	.globl	_ZN2at6native32elementwise_kernel_manual_unrollILi128ELi4EZNS0_22gpu_kernel_impl_nocastINS0_13AUnaryFunctorIdddZNS0_12_GLOBAL__N_121threshold_kernel_implIdEEvRNS_18TensorIteratorBaseET_S8_EUlddE_EEEEvS7_RKS8_EUlibE_EEviT1_ ; -- Begin function _ZN2at6native32elementwise_kernel_manual_unrollILi128ELi4EZNS0_22gpu_kernel_impl_nocastINS0_13AUnaryFunctorIdddZNS0_12_GLOBAL__N_121threshold_kernel_implIdEEvRNS_18TensorIteratorBaseET_S8_EUlddE_EEEEvS7_RKS8_EUlibE_EEviT1_
	.p2align	8
	.type	_ZN2at6native32elementwise_kernel_manual_unrollILi128ELi4EZNS0_22gpu_kernel_impl_nocastINS0_13AUnaryFunctorIdddZNS0_12_GLOBAL__N_121threshold_kernel_implIdEEvRNS_18TensorIteratorBaseET_S8_EUlddE_EEEEvS7_RKS8_EUlibE_EEviT1_,@function
_ZN2at6native32elementwise_kernel_manual_unrollILi128ELi4EZNS0_22gpu_kernel_impl_nocastINS0_13AUnaryFunctorIdddZNS0_12_GLOBAL__N_121threshold_kernel_implIdEEvRNS_18TensorIteratorBaseET_S8_EUlddE_EEEEvS7_RKS8_EUlibE_EEviT1_: ; @_ZN2at6native32elementwise_kernel_manual_unrollILi128ELi4EZNS0_22gpu_kernel_impl_nocastINS0_13AUnaryFunctorIdddZNS0_12_GLOBAL__N_121threshold_kernel_implIdEEvRNS_18TensorIteratorBaseET_S8_EUlddE_EEEEvS7_RKS8_EUlibE_EEviT1_
; %bb.0:
	s_load_dword s59, s[4:5], 0x0
	s_load_dword s33, s[4:5], 0x8
	s_add_u32 s34, s4, 8
	s_addc_u32 s35, s5, 0
	v_lshl_or_b32 v7, s6, 9, v0
	v_or_b32_e32 v13, 0x180, v7
	s_waitcnt lgkmcnt(0)
	s_add_i32 s58, s33, -1
	s_cmp_gt_u32 s58, 1
	v_cmp_le_i32_e32 vcc, s59, v13
	s_cselect_b64 s[2:3], -1, 0
	s_and_saveexec_b64 s[0:1], vcc
	s_xor_b64 s[44:45], exec, s[0:1]
	s_cbranch_execz .LBB125_7
; %bb.1:
	s_load_dwordx8 s[4:11], s[34:35], 0x148
	s_load_dwordx2 s[0:1], s[34:35], 0x168
	s_cmp_lg_u32 s33, 0
	s_cselect_b64 s[50:51], -1, 0
	s_add_u32 s48, s34, 0xc4
	s_waitcnt lgkmcnt(0)
	v_mov_b32_e32 v0, s8
	v_mov_b32_e32 v1, s9
	v_cmp_nle_f64_e64 s[0:1], s[0:1], v[0:1]
	s_load_dwordx4 s[36:39], s[34:35], 0x4
	s_load_dwordx2 s[8:9], s[34:35], 0x14
	s_load_dwordx4 s[28:31], s[34:35], 0xc4
	s_addc_u32 s49, s35, 0
	s_min_u32 s60, s58, 15
	s_cmp_gt_u32 s33, 1
	s_cselect_b64 s[46:47], -1, 0
	v_cmp_gt_i32_e32 vcc, s59, v7
	s_and_saveexec_b64 s[52:53], vcc
	s_cbranch_execz .LBB125_14
; %bb.2:
	s_andn2_b64 vcc, exec, s[2:3]
	s_cbranch_vccnz .LBB125_21
; %bb.3:
	s_andn2_b64 vcc, exec, s[50:51]
	s_cbranch_vccnz .LBB125_73
; %bb.4:
	s_add_i32 s62, s60, 1
	s_cmp_eq_u32 s58, 2
	s_cbranch_scc1 .LBB125_75
; %bb.5:
	s_and_b32 s61, s62, 28
	v_mov_b32_e32 v2, 0
	s_mov_b32 s63, 0
	s_mov_b64 s[54:55], s[34:35]
	s_mov_b64 s[56:57], s[48:49]
	v_mov_b32_e32 v0, 0
	v_mov_b32_e32 v1, v7
.LBB125_6:                              ; =>This Inner Loop Header: Depth=1
	s_load_dwordx8 s[20:27], s[54:55], 0x4
	s_load_dwordx4 s[40:43], s[54:55], 0x24
	s_load_dwordx8 s[12:19], s[56:57], 0x0
	s_add_u32 s54, s54, 48
	s_addc_u32 s55, s55, 0
	s_waitcnt lgkmcnt(0)
	v_mul_hi_u32 v3, s21, v1
	s_add_i32 s63, s63, 4
	s_add_u32 s56, s56, 32
	s_addc_u32 s57, s57, 0
	v_add_u32_e32 v3, v1, v3
	v_lshrrev_b32_e32 v3, s22, v3
	v_mul_lo_u32 v4, v3, s20
	v_mul_hi_u32 v5, s24, v3
	s_cmp_lg_u32 s61, s63
	v_sub_u32_e32 v1, v1, v4
	v_add_u32_e32 v4, v3, v5
	v_mul_lo_u32 v5, v1, s12
	v_mul_lo_u32 v6, v1, s13
	v_lshrrev_b32_e32 v1, s25, v4
	v_mul_lo_u32 v4, v1, s23
	v_mul_hi_u32 v8, s27, v1
	v_sub_u32_e32 v3, v3, v4
	v_add_u32_e32 v4, v1, v8
	v_lshrrev_b32_e32 v4, s40, v4
	v_mul_hi_u32 v9, s42, v4
	v_mul_lo_u32 v10, v4, s26
	v_mul_lo_u32 v8, v3, s14
	;; [unrolled: 1-line block ×3, first 2 shown]
	v_sub_u32_e32 v10, v1, v10
	v_add_u32_e32 v1, v4, v9
	v_lshrrev_b32_e32 v1, s43, v1
	v_mul_lo_u32 v9, v1, s41
	v_mul_lo_u32 v11, v10, s16
	;; [unrolled: 1-line block ×3, first 2 shown]
	v_add3_u32 v0, v5, v0, v8
	v_sub_u32_e32 v4, v4, v9
	v_mul_lo_u32 v9, v4, s18
	v_mul_lo_u32 v4, v4, s19
	v_add3_u32 v2, v6, v2, v3
	v_add3_u32 v0, v11, v0, v9
	;; [unrolled: 1-line block ×3, first 2 shown]
	s_cbranch_scc1 .LBB125_6
	s_branch .LBB125_76
.LBB125_7:
	s_andn2_saveexec_b64 s[0:1], s[44:45]
	s_cbranch_execz .LBB125_101
.LBB125_8:
	v_cndmask_b32_e64 v0, 0, 1, s[2:3]
	v_cmp_ne_u32_e64 s[0:1], 1, v0
	s_andn2_b64 vcc, exec, s[2:3]
	s_cbranch_vccnz .LBB125_20
; %bb.9:
	s_cmp_lg_u32 s33, 0
	s_mov_b32 s26, 0
	s_cbranch_scc0 .LBB125_23
; %bb.10:
	s_min_u32 s27, s58, 15
	s_add_i32 s27, s27, 1
	s_cmp_eq_u32 s58, 2
	s_cbranch_scc1 .LBB125_24
; %bb.11:
	s_and_b32 s26, s27, 28
	s_add_u32 s2, s34, 0xc4
	s_addc_u32 s3, s35, 0
	v_mov_b32_e32 v2, 0
	s_waitcnt lgkmcnt(0)
	s_mov_b32 s28, 0
	s_mov_b64 s[24:25], s[34:35]
	v_mov_b32_e32 v0, 0
	v_mov_b32_e32 v1, v7
.LBB125_12:                             ; =>This Inner Loop Header: Depth=1
	s_load_dwordx8 s[12:19], s[24:25], 0x4
	s_load_dwordx4 s[20:23], s[24:25], 0x24
	s_load_dwordx8 s[4:11], s[2:3], 0x0
	s_add_u32 s24, s24, 48
	s_addc_u32 s25, s25, 0
	s_waitcnt lgkmcnt(0)
	v_mul_hi_u32 v3, s13, v1
	s_add_i32 s28, s28, 4
	s_add_u32 s2, s2, 32
	s_addc_u32 s3, s3, 0
	v_add_u32_e32 v3, v1, v3
	v_lshrrev_b32_e32 v3, s14, v3
	v_mul_lo_u32 v4, v3, s12
	v_mul_hi_u32 v5, s16, v3
	s_cmp_lg_u32 s26, s28
	v_sub_u32_e32 v1, v1, v4
	v_add_u32_e32 v4, v3, v5
	v_mul_lo_u32 v5, v1, s4
	v_mul_lo_u32 v6, v1, s5
	v_lshrrev_b32_e32 v1, s17, v4
	v_mul_lo_u32 v4, v1, s15
	v_mul_hi_u32 v8, s19, v1
	v_sub_u32_e32 v3, v3, v4
	v_add_u32_e32 v4, v1, v8
	v_lshrrev_b32_e32 v4, s20, v4
	v_mul_hi_u32 v9, s22, v4
	v_mul_lo_u32 v10, v4, s18
	v_mul_lo_u32 v8, v3, s6
	;; [unrolled: 1-line block ×3, first 2 shown]
	v_sub_u32_e32 v10, v1, v10
	v_add_u32_e32 v1, v4, v9
	v_lshrrev_b32_e32 v1, s23, v1
	v_mul_lo_u32 v9, v1, s21
	v_mul_lo_u32 v11, v10, s8
	;; [unrolled: 1-line block ×3, first 2 shown]
	v_add3_u32 v0, v5, v0, v8
	v_sub_u32_e32 v4, v4, v9
	v_mul_lo_u32 v9, v4, s10
	v_mul_lo_u32 v4, v4, s11
	v_add3_u32 v2, v6, v2, v3
	v_add3_u32 v0, v11, v0, v9
	;; [unrolled: 1-line block ×3, first 2 shown]
	s_cbranch_scc1 .LBB125_12
; %bb.13:
	s_and_b32 s6, s27, 3
	s_cmp_eq_u32 s6, 0
	s_cbranch_scc0 .LBB125_25
	s_branch .LBB125_27
.LBB125_14:
	s_or_b64 exec, exec, s[52:53]
	v_cmp_gt_i32_e32 vcc, s59, v7
	s_and_saveexec_b64 s[52:53], vcc
	s_cbranch_execz .LBB125_83
.LBB125_15:
	s_andn2_b64 vcc, exec, s[2:3]
	s_cbranch_vccnz .LBB125_22
; %bb.16:
	s_andn2_b64 vcc, exec, s[50:51]
	s_cbranch_vccnz .LBB125_74
; %bb.17:
	s_add_i32 s62, s60, 1
	s_cmp_eq_u32 s58, 2
	s_cbranch_scc1 .LBB125_91
; %bb.18:
	s_and_b32 s61, s62, 28
	v_mov_b32_e32 v2, 0
	s_mov_b32 s63, 0
	s_mov_b64 s[54:55], s[34:35]
	s_mov_b64 s[56:57], s[48:49]
	v_mov_b32_e32 v0, 0
	v_mov_b32_e32 v1, v7
.LBB125_19:                             ; =>This Inner Loop Header: Depth=1
	s_load_dwordx8 s[20:27], s[54:55], 0x4
	s_load_dwordx4 s[40:43], s[54:55], 0x24
	s_load_dwordx8 s[12:19], s[56:57], 0x0
	s_add_u32 s54, s54, 48
	s_addc_u32 s55, s55, 0
	s_waitcnt lgkmcnt(0)
	v_mul_hi_u32 v3, s21, v1
	s_add_i32 s63, s63, 4
	s_add_u32 s56, s56, 32
	s_addc_u32 s57, s57, 0
	v_add_u32_e32 v3, v1, v3
	v_lshrrev_b32_e32 v3, s22, v3
	v_mul_lo_u32 v4, v3, s20
	v_mul_hi_u32 v5, s24, v3
	s_cmp_eq_u32 s61, s63
	v_sub_u32_e32 v1, v1, v4
	v_add_u32_e32 v4, v3, v5
	v_mul_lo_u32 v5, v1, s12
	v_mul_lo_u32 v6, v1, s13
	v_lshrrev_b32_e32 v1, s25, v4
	v_mul_lo_u32 v4, v1, s23
	v_mul_hi_u32 v8, s27, v1
	v_sub_u32_e32 v3, v3, v4
	v_add_u32_e32 v4, v1, v8
	v_lshrrev_b32_e32 v4, s40, v4
	v_mul_hi_u32 v9, s42, v4
	v_mul_lo_u32 v10, v4, s26
	v_mul_lo_u32 v8, v3, s14
	;; [unrolled: 1-line block ×3, first 2 shown]
	v_sub_u32_e32 v10, v1, v10
	v_add_u32_e32 v1, v4, v9
	v_lshrrev_b32_e32 v1, s43, v1
	v_mul_lo_u32 v9, v1, s41
	v_mul_lo_u32 v11, v10, s16
	;; [unrolled: 1-line block ×3, first 2 shown]
	v_add3_u32 v0, v5, v0, v8
	v_sub_u32_e32 v4, v4, v9
	v_mul_lo_u32 v9, v4, s18
	v_mul_lo_u32 v4, v4, s19
	v_add3_u32 v2, v6, v2, v3
	v_add3_u32 v0, v11, v0, v9
	;; [unrolled: 1-line block ×3, first 2 shown]
	s_cbranch_scc0 .LBB125_19
	s_branch .LBB125_92
.LBB125_20:
                                        ; implicit-def: $vgpr0
                                        ; implicit-def: $vgpr2
	s_branch .LBB125_28
.LBB125_21:
                                        ; implicit-def: $vgpr0
                                        ; implicit-def: $vgpr2
	s_branch .LBB125_80
.LBB125_22:
                                        ; implicit-def: $vgpr0
                                        ; implicit-def: $vgpr2
	s_branch .LBB125_96
.LBB125_23:
	v_mov_b32_e32 v0, 0
	v_mov_b32_e32 v2, 0
	s_branch .LBB125_27
.LBB125_24:
	v_mov_b32_e32 v0, 0
	v_mov_b32_e32 v2, 0
	v_mov_b32_e32 v1, v7
	s_and_b32 s6, s27, 3
	s_cmp_eq_u32 s6, 0
	s_cbranch_scc1 .LBB125_27
.LBB125_25:
	s_lshl_b32 s2, s26, 3
	s_add_u32 s2, s34, s2
	s_addc_u32 s3, s35, 0
	s_add_u32 s2, s2, 0xc4
	s_addc_u32 s3, s3, 0
	s_mul_i32 s4, s26, 12
	s_add_u32 s4, s34, s4
	s_addc_u32 s5, s35, 0
.LBB125_26:                             ; =>This Inner Loop Header: Depth=1
	s_waitcnt lgkmcnt(0)
	s_load_dwordx2 s[8:9], s[4:5], 0x4
	s_load_dword s7, s[4:5], 0xc
	s_load_dwordx2 s[10:11], s[2:3], 0x0
	s_add_u32 s4, s4, 12
	s_addc_u32 s5, s5, 0
	s_waitcnt lgkmcnt(0)
	v_mul_hi_u32 v4, s9, v1
	s_add_u32 s2, s2, 8
	s_addc_u32 s3, s3, 0
	s_add_i32 s6, s6, -1
	v_add_u32_e32 v4, v1, v4
	v_lshrrev_b32_e32 v4, s7, v4
	v_mul_lo_u32 v5, v4, s8
	s_cmp_lg_u32 s6, 0
	v_sub_u32_e32 v5, v1, v5
	v_mad_u64_u32 v[0:1], s[8:9], v5, s10, v[0:1]
	v_mad_u64_u32 v[2:3], s[8:9], v5, s11, v[2:3]
	v_mov_b32_e32 v1, v4
	s_cbranch_scc1 .LBB125_26
.LBB125_27:
	s_cbranch_execnz .LBB125_30
.LBB125_28:
	s_load_dwordx4 s[4:7], s[34:35], 0x4
	s_load_dwordx2 s[2:3], s[34:35], 0xc4
	s_cmp_lt_u32 s33, 2
	s_waitcnt lgkmcnt(0)
	v_mul_hi_u32 v0, s5, v7
	v_add_u32_e32 v0, v7, v0
	v_lshrrev_b32_e32 v1, s6, v0
	v_mul_lo_u32 v0, v1, s4
	v_sub_u32_e32 v2, v7, v0
	v_mul_lo_u32 v0, v2, s2
	v_mul_lo_u32 v2, v2, s3
	s_cbranch_scc1 .LBB125_30
; %bb.29:
	s_load_dwordx4 s[4:7], s[34:35], 0x10
	s_load_dwordx2 s[2:3], s[34:35], 0xcc
	s_waitcnt lgkmcnt(0)
	v_mul_hi_u32 v3, s5, v1
	v_add_u32_e32 v3, v1, v3
	v_lshrrev_b32_e32 v3, s6, v3
	v_mul_lo_u32 v3, v3, s4
	v_sub_u32_e32 v3, v1, v3
	v_mad_u64_u32 v[0:1], s[4:5], v3, s2, v[0:1]
	v_mad_u64_u32 v[2:3], s[2:3], v3, s3, v[2:3]
.LBB125_30:
	s_and_b64 vcc, exec, s[0:1]
	v_add_u32_e32 v1, 0x80, v7
	s_cbranch_vccnz .LBB125_36
; %bb.31:
	s_cmp_lg_u32 s33, 0
	s_mov_b32 s26, 0
	s_cbranch_scc0 .LBB125_37
; %bb.32:
	s_min_u32 s27, s58, 15
	s_add_i32 s27, s27, 1
	s_cmp_eq_u32 s58, 2
	s_cbranch_scc1 .LBB125_38
; %bb.33:
	s_and_b32 s26, s27, 28
	s_add_u32 s2, s34, 0xc4
	s_addc_u32 s3, s35, 0
	v_mov_b32_e32 v5, 0
	s_waitcnt lgkmcnt(0)
	s_mov_b32 s28, 0
	s_mov_b64 s[24:25], s[34:35]
	v_mov_b32_e32 v3, 0
	v_mov_b32_e32 v4, v1
.LBB125_34:                             ; =>This Inner Loop Header: Depth=1
	s_load_dwordx8 s[12:19], s[24:25], 0x4
	s_load_dwordx4 s[20:23], s[24:25], 0x24
	s_load_dwordx8 s[4:11], s[2:3], 0x0
	s_add_u32 s24, s24, 48
	s_addc_u32 s25, s25, 0
	s_waitcnt lgkmcnt(0)
	v_mul_hi_u32 v6, s13, v4
	s_add_i32 s28, s28, 4
	s_add_u32 s2, s2, 32
	s_addc_u32 s3, s3, 0
	v_add_u32_e32 v6, v4, v6
	v_lshrrev_b32_e32 v6, s14, v6
	v_mul_lo_u32 v8, v6, s12
	v_mul_hi_u32 v9, s16, v6
	s_cmp_lg_u32 s26, s28
	v_sub_u32_e32 v4, v4, v8
	v_add_u32_e32 v8, v6, v9
	v_mul_lo_u32 v9, v4, s4
	v_mul_lo_u32 v10, v4, s5
	v_lshrrev_b32_e32 v4, s17, v8
	v_mul_lo_u32 v8, v4, s15
	v_mul_hi_u32 v11, s19, v4
	v_sub_u32_e32 v6, v6, v8
	v_add_u32_e32 v8, v4, v11
	v_lshrrev_b32_e32 v8, s20, v8
	v_mul_hi_u32 v12, s22, v8
	v_mul_lo_u32 v14, v8, s18
	v_mul_lo_u32 v11, v6, s6
	;; [unrolled: 1-line block ×3, first 2 shown]
	v_sub_u32_e32 v14, v4, v14
	v_add_u32_e32 v4, v8, v12
	v_lshrrev_b32_e32 v4, s23, v4
	v_mul_lo_u32 v12, v4, s21
	v_mul_lo_u32 v15, v14, s8
	;; [unrolled: 1-line block ×3, first 2 shown]
	v_add3_u32 v3, v9, v3, v11
	v_sub_u32_e32 v8, v8, v12
	v_mul_lo_u32 v12, v8, s10
	v_mul_lo_u32 v8, v8, s11
	v_add3_u32 v5, v10, v5, v6
	v_add3_u32 v3, v15, v3, v12
	;; [unrolled: 1-line block ×3, first 2 shown]
	s_cbranch_scc1 .LBB125_34
; %bb.35:
	s_and_b32 s6, s27, 3
	s_cmp_eq_u32 s6, 0
	s_cbranch_scc0 .LBB125_39
	s_branch .LBB125_41
.LBB125_36:
                                        ; implicit-def: $vgpr3
                                        ; implicit-def: $vgpr5
	s_branch .LBB125_42
.LBB125_37:
	v_mov_b32_e32 v3, 0
	v_mov_b32_e32 v5, 0
	s_branch .LBB125_41
.LBB125_38:
	v_mov_b32_e32 v3, 0
	v_mov_b32_e32 v5, 0
	;; [unrolled: 1-line block ×3, first 2 shown]
	s_and_b32 s6, s27, 3
	s_cmp_eq_u32 s6, 0
	s_cbranch_scc1 .LBB125_41
.LBB125_39:
	s_lshl_b32 s2, s26, 3
	s_add_u32 s2, s34, s2
	s_addc_u32 s3, s35, 0
	s_add_u32 s2, s2, 0xc4
	s_addc_u32 s3, s3, 0
	s_mul_i32 s4, s26, 12
	s_add_u32 s4, s34, s4
	s_addc_u32 s5, s35, 0
.LBB125_40:                             ; =>This Inner Loop Header: Depth=1
	s_waitcnt lgkmcnt(0)
	s_load_dwordx2 s[8:9], s[4:5], 0x4
	s_load_dword s7, s[4:5], 0xc
	s_load_dwordx2 s[10:11], s[2:3], 0x0
	s_add_u32 s4, s4, 12
	s_addc_u32 s5, s5, 0
	s_waitcnt lgkmcnt(0)
	v_mul_hi_u32 v8, s9, v4
	s_add_u32 s2, s2, 8
	s_addc_u32 s3, s3, 0
	s_add_i32 s6, s6, -1
	v_add_u32_e32 v8, v4, v8
	v_lshrrev_b32_e32 v8, s7, v8
	v_mul_lo_u32 v9, v8, s8
	s_cmp_lg_u32 s6, 0
	v_sub_u32_e32 v9, v4, v9
	v_mad_u64_u32 v[3:4], s[8:9], v9, s10, v[3:4]
	v_mad_u64_u32 v[5:6], s[8:9], v9, s11, v[5:6]
	v_mov_b32_e32 v4, v8
	s_cbranch_scc1 .LBB125_40
.LBB125_41:
	s_cbranch_execnz .LBB125_44
.LBB125_42:
	s_load_dwordx4 s[4:7], s[34:35], 0x4
	s_load_dwordx2 s[2:3], s[34:35], 0xc4
	s_cmp_lt_u32 s33, 2
	s_waitcnt lgkmcnt(0)
	v_mul_hi_u32 v3, s5, v1
	v_add_u32_e32 v3, v1, v3
	v_lshrrev_b32_e32 v4, s6, v3
	v_mul_lo_u32 v3, v4, s4
	v_sub_u32_e32 v1, v1, v3
	v_mul_lo_u32 v3, v1, s2
	v_mul_lo_u32 v5, v1, s3
	s_cbranch_scc1 .LBB125_44
; %bb.43:
	s_load_dwordx4 s[4:7], s[34:35], 0x10
	s_load_dwordx2 s[2:3], s[34:35], 0xcc
	s_waitcnt lgkmcnt(0)
	v_mul_hi_u32 v1, s5, v4
	v_add_u32_e32 v1, v4, v1
	v_lshrrev_b32_e32 v1, s6, v1
	v_mul_lo_u32 v1, v1, s4
	v_sub_u32_e32 v1, v4, v1
	v_mad_u64_u32 v[3:4], s[4:5], v1, s2, v[3:4]
	v_mad_u64_u32 v[5:6], s[2:3], v1, s3, v[5:6]
.LBB125_44:
	s_and_b64 vcc, exec, s[0:1]
	v_add_u32_e32 v1, 0x100, v7
	s_cbranch_vccnz .LBB125_50
; %bb.45:
	s_cmp_lg_u32 s33, 0
	s_mov_b32 s26, 0
	s_cbranch_scc0 .LBB125_51
; %bb.46:
	s_min_u32 s27, s58, 15
	s_add_i32 s27, s27, 1
	s_cmp_eq_u32 s58, 2
	s_cbranch_scc1 .LBB125_52
; %bb.47:
	s_and_b32 s26, s27, 28
	s_add_u32 s2, s34, 0xc4
	s_addc_u32 s3, s35, 0
	v_mov_b32_e32 v8, 0
	s_waitcnt lgkmcnt(0)
	s_mov_b32 s28, 0
	s_mov_b64 s[24:25], s[34:35]
	v_mov_b32_e32 v6, 0
	v_mov_b32_e32 v4, v1
.LBB125_48:                             ; =>This Inner Loop Header: Depth=1
	s_load_dwordx8 s[12:19], s[24:25], 0x4
	s_load_dwordx4 s[20:23], s[24:25], 0x24
	s_load_dwordx8 s[4:11], s[2:3], 0x0
	s_add_u32 s24, s24, 48
	s_addc_u32 s25, s25, 0
	s_waitcnt lgkmcnt(0)
	v_mul_hi_u32 v7, s13, v4
	s_add_i32 s28, s28, 4
	s_add_u32 s2, s2, 32
	s_addc_u32 s3, s3, 0
	v_add_u32_e32 v7, v4, v7
	v_lshrrev_b32_e32 v7, s14, v7
	v_mul_lo_u32 v9, v7, s12
	v_mul_hi_u32 v10, s16, v7
	s_cmp_lg_u32 s26, s28
	v_sub_u32_e32 v4, v4, v9
	v_add_u32_e32 v9, v7, v10
	v_mul_lo_u32 v10, v4, s4
	v_mul_lo_u32 v11, v4, s5
	v_lshrrev_b32_e32 v4, s17, v9
	v_mul_lo_u32 v9, v4, s15
	v_mul_hi_u32 v12, s19, v4
	v_sub_u32_e32 v7, v7, v9
	v_add_u32_e32 v9, v4, v12
	v_lshrrev_b32_e32 v9, s20, v9
	v_mul_hi_u32 v14, s22, v9
	v_mul_lo_u32 v15, v9, s18
	v_mul_lo_u32 v12, v7, s6
	;; [unrolled: 1-line block ×3, first 2 shown]
	v_sub_u32_e32 v15, v4, v15
	v_add_u32_e32 v4, v9, v14
	v_lshrrev_b32_e32 v4, s23, v4
	v_mul_lo_u32 v14, v4, s21
	v_mul_lo_u32 v16, v15, s8
	;; [unrolled: 1-line block ×3, first 2 shown]
	v_add3_u32 v6, v10, v6, v12
	v_sub_u32_e32 v9, v9, v14
	v_mul_lo_u32 v14, v9, s10
	v_mul_lo_u32 v9, v9, s11
	v_add3_u32 v7, v11, v8, v7
	v_add3_u32 v6, v16, v6, v14
	;; [unrolled: 1-line block ×3, first 2 shown]
	s_cbranch_scc1 .LBB125_48
; %bb.49:
	s_and_b32 s6, s27, 3
	s_cmp_eq_u32 s6, 0
	s_cbranch_scc0 .LBB125_53
	s_branch .LBB125_55
.LBB125_50:
                                        ; implicit-def: $vgpr6
                                        ; implicit-def: $vgpr8
	s_branch .LBB125_56
.LBB125_51:
	v_mov_b32_e32 v6, 0
	v_mov_b32_e32 v8, 0
	s_branch .LBB125_55
.LBB125_52:
	v_mov_b32_e32 v6, 0
	v_mov_b32_e32 v8, 0
	;; [unrolled: 1-line block ×3, first 2 shown]
	s_and_b32 s6, s27, 3
	s_cmp_eq_u32 s6, 0
	s_cbranch_scc1 .LBB125_55
.LBB125_53:
	s_lshl_b32 s2, s26, 3
	s_add_u32 s2, s34, s2
	s_addc_u32 s3, s35, 0
	s_add_u32 s2, s2, 0xc4
	s_addc_u32 s3, s3, 0
	s_mul_i32 s4, s26, 12
	s_add_u32 s4, s34, s4
	s_addc_u32 s5, s35, 0
.LBB125_54:                             ; =>This Inner Loop Header: Depth=1
	s_waitcnt lgkmcnt(0)
	s_load_dwordx2 s[8:9], s[4:5], 0x4
	s_load_dword s7, s[4:5], 0xc
	s_load_dwordx2 s[10:11], s[2:3], 0x0
	s_add_u32 s4, s4, 12
	s_addc_u32 s5, s5, 0
	s_waitcnt lgkmcnt(0)
	v_mul_hi_u32 v7, s9, v4
	s_add_u32 s2, s2, 8
	s_addc_u32 s3, s3, 0
	s_add_i32 s6, s6, -1
	v_add_u32_e32 v7, v4, v7
	v_lshrrev_b32_e32 v10, s7, v7
	v_mul_lo_u32 v7, v10, s8
	s_cmp_lg_u32 s6, 0
	v_sub_u32_e32 v4, v4, v7
	v_mad_u64_u32 v[6:7], s[8:9], v4, s10, v[6:7]
	v_mad_u64_u32 v[8:9], s[8:9], v4, s11, v[8:9]
	v_mov_b32_e32 v4, v10
	s_cbranch_scc1 .LBB125_54
.LBB125_55:
	s_cbranch_execnz .LBB125_58
.LBB125_56:
	s_load_dwordx4 s[4:7], s[34:35], 0x4
	s_load_dwordx2 s[2:3], s[34:35], 0xc4
	s_cmp_lt_u32 s33, 2
	s_waitcnt lgkmcnt(0)
	v_mul_hi_u32 v4, s5, v1
	v_add_u32_e32 v4, v1, v4
	v_lshrrev_b32_e32 v4, s6, v4
	v_mul_lo_u32 v6, v4, s4
	v_sub_u32_e32 v1, v1, v6
	v_mul_lo_u32 v6, v1, s2
	v_mul_lo_u32 v8, v1, s3
	s_cbranch_scc1 .LBB125_58
; %bb.57:
	s_load_dwordx4 s[4:7], s[34:35], 0x10
	s_load_dwordx2 s[2:3], s[34:35], 0xcc
	s_waitcnt lgkmcnt(0)
	v_mul_hi_u32 v1, s5, v4
	v_add_u32_e32 v1, v4, v1
	v_lshrrev_b32_e32 v1, s6, v1
	v_mul_lo_u32 v1, v1, s4
	v_sub_u32_e32 v1, v4, v1
	v_mad_u64_u32 v[6:7], s[4:5], v1, s2, v[6:7]
	v_mad_u64_u32 v[8:9], s[2:3], v1, s3, v[8:9]
.LBB125_58:
	s_and_b64 vcc, exec, s[0:1]
	s_cbranch_vccnz .LBB125_64
; %bb.59:
	s_cmp_lg_u32 s33, 0
	s_mov_b32 s24, 0
	s_cbranch_scc0 .LBB125_65
; %bb.60:
	s_min_u32 s25, s58, 15
	s_add_i32 s25, s25, 1
	s_cmp_eq_u32 s58, 2
	s_cbranch_scc1 .LBB125_66
; %bb.61:
	s_and_b32 s24, s25, 28
	s_add_u32 s20, s34, 0xc4
	s_addc_u32 s21, s35, 0
	v_mov_b32_e32 v11, 0
	s_mov_b32 s26, 0
	s_mov_b64 s[22:23], s[34:35]
	v_mov_b32_e32 v9, 0
	v_mov_b32_e32 v1, v13
.LBB125_62:                             ; =>This Inner Loop Header: Depth=1
	s_waitcnt lgkmcnt(0)
	s_load_dwordx8 s[8:15], s[22:23], 0x4
	s_load_dwordx4 s[16:19], s[22:23], 0x24
	s_load_dwordx8 s[0:7], s[20:21], 0x0
	s_add_u32 s22, s22, 48
	s_addc_u32 s23, s23, 0
	s_waitcnt lgkmcnt(0)
	v_mul_hi_u32 v4, s9, v1
	s_add_i32 s26, s26, 4
	s_add_u32 s20, s20, 32
	s_addc_u32 s21, s21, 0
	v_add_u32_e32 v4, v1, v4
	v_lshrrev_b32_e32 v4, s10, v4
	v_mul_lo_u32 v7, v4, s8
	v_mul_hi_u32 v10, s12, v4
	s_cmp_lg_u32 s24, s26
	v_sub_u32_e32 v1, v1, v7
	v_add_u32_e32 v7, v4, v10
	v_mul_lo_u32 v10, v1, s0
	v_mul_lo_u32 v12, v1, s1
	v_lshrrev_b32_e32 v1, s13, v7
	v_mul_lo_u32 v7, v1, s11
	v_mul_hi_u32 v14, s15, v1
	v_sub_u32_e32 v4, v4, v7
	v_add_u32_e32 v7, v1, v14
	v_lshrrev_b32_e32 v7, s16, v7
	v_mul_hi_u32 v15, s18, v7
	v_mul_lo_u32 v16, v7, s14
	v_mul_lo_u32 v14, v4, s2
	;; [unrolled: 1-line block ×3, first 2 shown]
	v_sub_u32_e32 v16, v1, v16
	v_add_u32_e32 v1, v7, v15
	v_lshrrev_b32_e32 v1, s19, v1
	v_mul_lo_u32 v15, v1, s17
	v_mul_lo_u32 v17, v16, s4
	;; [unrolled: 1-line block ×3, first 2 shown]
	v_add3_u32 v9, v10, v9, v14
	v_sub_u32_e32 v7, v7, v15
	v_mul_lo_u32 v15, v7, s6
	v_mul_lo_u32 v7, v7, s7
	v_add3_u32 v4, v12, v11, v4
	v_add3_u32 v9, v17, v9, v15
	;; [unrolled: 1-line block ×3, first 2 shown]
	s_cbranch_scc1 .LBB125_62
; %bb.63:
	s_and_b32 s4, s25, 3
	s_cmp_eq_u32 s4, 0
	s_cbranch_scc0 .LBB125_67
	s_branch .LBB125_69
.LBB125_64:
                                        ; implicit-def: $vgpr9
                                        ; implicit-def: $vgpr11
	s_branch .LBB125_70
.LBB125_65:
	v_mov_b32_e32 v9, 0
	v_mov_b32_e32 v11, 0
	s_branch .LBB125_69
.LBB125_66:
	v_mov_b32_e32 v9, 0
	v_mov_b32_e32 v11, 0
	;; [unrolled: 1-line block ×3, first 2 shown]
	s_and_b32 s4, s25, 3
	s_cmp_eq_u32 s4, 0
	s_cbranch_scc1 .LBB125_69
.LBB125_67:
	s_lshl_b32 s0, s24, 3
	s_add_u32 s0, s34, s0
	s_addc_u32 s1, s35, 0
	s_add_u32 s0, s0, 0xc4
	s_addc_u32 s1, s1, 0
	s_mul_i32 s2, s24, 12
	s_add_u32 s2, s34, s2
	s_addc_u32 s3, s35, 0
.LBB125_68:                             ; =>This Inner Loop Header: Depth=1
	s_load_dwordx2 s[6:7], s[2:3], 0x4
	s_load_dword s5, s[2:3], 0xc
	s_waitcnt lgkmcnt(0)
	s_load_dwordx2 s[8:9], s[0:1], 0x0
	s_add_u32 s2, s2, 12
	s_addc_u32 s3, s3, 0
	v_mul_hi_u32 v4, s7, v1
	s_add_u32 s0, s0, 8
	s_addc_u32 s1, s1, 0
	s_add_i32 s4, s4, -1
	v_add_u32_e32 v4, v1, v4
	v_lshrrev_b32_e32 v4, s5, v4
	v_mul_lo_u32 v7, v4, s6
	s_cmp_lg_u32 s4, 0
	v_sub_u32_e32 v1, v1, v7
	s_waitcnt lgkmcnt(0)
	v_mad_u64_u32 v[9:10], s[6:7], v1, s8, v[9:10]
	v_mad_u64_u32 v[11:12], s[6:7], v1, s9, v[11:12]
	v_mov_b32_e32 v1, v4
	s_cbranch_scc1 .LBB125_68
.LBB125_69:
	s_cbranch_execnz .LBB125_72
.LBB125_70:
	s_load_dwordx4 s[0:3], s[34:35], 0x4
	s_load_dwordx2 s[4:5], s[34:35], 0xc4
	s_cmp_lt_u32 s33, 2
	s_waitcnt lgkmcnt(0)
	v_mul_hi_u32 v1, s1, v13
	v_add_u32_e32 v1, v13, v1
	v_lshrrev_b32_e32 v1, s2, v1
	v_mul_lo_u32 v4, v1, s0
	v_sub_u32_e32 v4, v13, v4
	v_mul_lo_u32 v9, v4, s4
	v_mul_lo_u32 v11, v4, s5
	s_cbranch_scc1 .LBB125_72
; %bb.71:
	s_load_dwordx4 s[0:3], s[34:35], 0x10
	s_load_dwordx2 s[4:5], s[34:35], 0xcc
	s_waitcnt lgkmcnt(0)
	v_mul_hi_u32 v4, s1, v1
	v_add_u32_e32 v4, v1, v4
	v_lshrrev_b32_e32 v4, s2, v4
	v_mul_lo_u32 v4, v4, s0
	v_sub_u32_e32 v1, v1, v4
	v_mad_u64_u32 v[9:10], s[0:1], v1, s4, v[9:10]
	v_mad_u64_u32 v[11:12], s[0:1], v1, s5, v[11:12]
.LBB125_72:
	s_load_dwordx8 s[0:7], s[34:35], 0x148
	s_waitcnt lgkmcnt(0)
	global_load_dwordx2 v[12:13], v2, s[2:3]
	global_load_dwordx2 v[14:15], v5, s[2:3]
	;; [unrolled: 1-line block ×4, first 2 shown]
	s_load_dwordx2 s[2:3], s[34:35], 0x168
	v_mov_b32_e32 v1, s4
	v_mov_b32_e32 v2, s5
	;; [unrolled: 1-line block ×4, first 2 shown]
	s_waitcnt lgkmcnt(0)
	v_cmp_nle_f64_e32 vcc, s[2:3], v[1:2]
	s_waitcnt vmcnt(3)
	v_cndmask_b32_e32 v2, v10, v13, vcc
	v_cndmask_b32_e32 v1, v20, v12, vcc
	s_waitcnt vmcnt(2)
	v_cndmask_b32_e32 v5, v10, v15, vcc
	v_cndmask_b32_e32 v4, v20, v14, vcc
	;; [unrolled: 3-line block ×4, first 2 shown]
	global_store_dwordx2 v0, v[1:2], s[0:1]
	global_store_dwordx2 v3, v[4:5], s[0:1]
	;; [unrolled: 1-line block ×4, first 2 shown]
	s_endpgm
.LBB125_73:
	v_mov_b32_e32 v0, 0
	v_mov_b32_e32 v2, 0
	s_branch .LBB125_79
.LBB125_74:
	v_mov_b32_e32 v0, 0
	v_mov_b32_e32 v2, 0
	s_branch .LBB125_95
.LBB125_75:
	s_mov_b32 s61, 0
	v_mov_b32_e32 v0, 0
	v_mov_b32_e32 v2, 0
	;; [unrolled: 1-line block ×3, first 2 shown]
.LBB125_76:
	s_and_b32 s16, s62, 3
	s_cmp_eq_u32 s16, 0
	s_cbranch_scc1 .LBB125_79
; %bb.77:
	s_lshl_b32 s12, s61, 3
	s_add_u32 s12, s34, s12
	s_addc_u32 s13, s35, 0
	s_add_u32 s12, s12, 0xc4
	s_addc_u32 s13, s13, 0
	s_mul_i32 s14, s61, 12
	s_add_u32 s14, s34, s14
	s_addc_u32 s15, s35, 0
.LBB125_78:                             ; =>This Inner Loop Header: Depth=1
	s_load_dwordx2 s[18:19], s[14:15], 0x4
	s_load_dword s17, s[14:15], 0xc
	s_load_dwordx2 s[20:21], s[12:13], 0x0
	s_add_u32 s14, s14, 12
	s_addc_u32 s15, s15, 0
	s_waitcnt lgkmcnt(0)
	v_mul_hi_u32 v3, s19, v1
	s_add_u32 s12, s12, 8
	s_addc_u32 s13, s13, 0
	s_add_i32 s16, s16, -1
	v_add_u32_e32 v3, v1, v3
	v_lshrrev_b32_e32 v4, s17, v3
	v_mul_lo_u32 v3, v4, s18
	s_cmp_lg_u32 s16, 0
	v_sub_u32_e32 v3, v1, v3
	v_mad_u64_u32 v[0:1], s[18:19], v3, s20, v[0:1]
	v_mad_u64_u32 v[2:3], s[18:19], v3, s21, v[2:3]
	v_mov_b32_e32 v1, v4
	s_cbranch_scc1 .LBB125_78
.LBB125_79:
	s_cbranch_execnz .LBB125_82
.LBB125_80:
	s_waitcnt lgkmcnt(0)
	v_mul_hi_u32 v0, s37, v7
	s_andn2_b64 vcc, exec, s[46:47]
	v_add_u32_e32 v0, v7, v0
	v_lshrrev_b32_e32 v1, s38, v0
	v_mul_lo_u32 v0, v1, s36
	v_sub_u32_e32 v2, v7, v0
	v_mul_lo_u32 v0, v2, s28
	v_mul_lo_u32 v2, v2, s29
	s_cbranch_vccnz .LBB125_82
; %bb.81:
	v_mul_hi_u32 v3, s8, v1
	v_add_u32_e32 v3, v1, v3
	v_lshrrev_b32_e32 v3, s9, v3
	v_mul_lo_u32 v3, v3, s39
	v_sub_u32_e32 v3, v1, v3
	v_mad_u64_u32 v[0:1], s[12:13], v3, s30, v[0:1]
	v_mad_u64_u32 v[2:3], s[12:13], v3, s31, v[2:3]
.LBB125_82:
	global_load_dwordx2 v[1:2], v2, s[6:7]
	v_mov_b32_e32 v3, s11
	v_mov_b32_e32 v4, s10
	v_add_u32_e32 v7, 0x80, v7
	s_waitcnt vmcnt(0)
	v_cndmask_b32_e64 v2, v3, v2, s[0:1]
	v_cndmask_b32_e64 v1, v4, v1, s[0:1]
	global_store_dwordx2 v0, v[1:2], s[4:5]
	s_or_b64 exec, exec, s[52:53]
	v_cmp_gt_i32_e32 vcc, s59, v7
	s_and_saveexec_b64 s[52:53], vcc
	s_cbranch_execnz .LBB125_15
.LBB125_83:
	s_or_b64 exec, exec, s[52:53]
	v_cmp_gt_i32_e32 vcc, s59, v7
	s_and_saveexec_b64 s[52:53], vcc
	s_cbranch_execz .LBB125_99
.LBB125_84:
	s_andn2_b64 vcc, exec, s[2:3]
	s_cbranch_vccnz .LBB125_89
; %bb.85:
	s_andn2_b64 vcc, exec, s[50:51]
	s_cbranch_vccnz .LBB125_90
; %bb.86:
	s_add_i32 s62, s60, 1
	s_cmp_eq_u32 s58, 2
	s_cbranch_scc1 .LBB125_102
; %bb.87:
	s_and_b32 s61, s62, 28
	v_mov_b32_e32 v2, 0
	s_mov_b32 s63, 0
	s_mov_b64 s[54:55], s[34:35]
	s_mov_b64 s[56:57], s[48:49]
	v_mov_b32_e32 v0, 0
	v_mov_b32_e32 v1, v7
.LBB125_88:                             ; =>This Inner Loop Header: Depth=1
	s_load_dwordx8 s[20:27], s[54:55], 0x4
	s_load_dwordx4 s[40:43], s[54:55], 0x24
	s_load_dwordx8 s[12:19], s[56:57], 0x0
	s_add_u32 s54, s54, 48
	s_addc_u32 s55, s55, 0
	s_waitcnt lgkmcnt(0)
	v_mul_hi_u32 v3, s21, v1
	s_add_i32 s63, s63, 4
	s_add_u32 s56, s56, 32
	s_addc_u32 s57, s57, 0
	v_add_u32_e32 v3, v1, v3
	v_lshrrev_b32_e32 v3, s22, v3
	v_mul_lo_u32 v4, v3, s20
	v_mul_hi_u32 v5, s24, v3
	s_cmp_eq_u32 s61, s63
	v_sub_u32_e32 v1, v1, v4
	v_add_u32_e32 v4, v3, v5
	v_mul_lo_u32 v5, v1, s12
	v_mul_lo_u32 v6, v1, s13
	v_lshrrev_b32_e32 v1, s25, v4
	v_mul_lo_u32 v4, v1, s23
	v_mul_hi_u32 v8, s27, v1
	v_sub_u32_e32 v3, v3, v4
	v_add_u32_e32 v4, v1, v8
	v_lshrrev_b32_e32 v4, s40, v4
	v_mul_hi_u32 v9, s42, v4
	v_mul_lo_u32 v10, v4, s26
	v_mul_lo_u32 v8, v3, s14
	;; [unrolled: 1-line block ×3, first 2 shown]
	v_sub_u32_e32 v10, v1, v10
	v_add_u32_e32 v1, v4, v9
	v_lshrrev_b32_e32 v1, s43, v1
	v_mul_lo_u32 v9, v1, s41
	v_mul_lo_u32 v11, v10, s16
	;; [unrolled: 1-line block ×3, first 2 shown]
	v_add3_u32 v0, v5, v0, v8
	v_sub_u32_e32 v4, v4, v9
	v_mul_lo_u32 v9, v4, s18
	v_mul_lo_u32 v4, v4, s19
	v_add3_u32 v2, v6, v2, v3
	v_add3_u32 v0, v11, v0, v9
	v_add3_u32 v2, v10, v2, v4
	s_cbranch_scc0 .LBB125_88
	s_branch .LBB125_103
.LBB125_89:
                                        ; implicit-def: $vgpr0
                                        ; implicit-def: $vgpr2
	s_branch .LBB125_107
.LBB125_90:
	v_mov_b32_e32 v0, 0
	v_mov_b32_e32 v2, 0
	s_branch .LBB125_106
.LBB125_91:
	s_mov_b32 s61, 0
	v_mov_b32_e32 v0, 0
	v_mov_b32_e32 v2, 0
	;; [unrolled: 1-line block ×3, first 2 shown]
.LBB125_92:
	s_and_b32 s16, s62, 3
	s_cmp_eq_u32 s16, 0
	s_cbranch_scc1 .LBB125_95
; %bb.93:
	s_lshl_b32 s12, s61, 3
	s_add_u32 s12, s34, s12
	s_addc_u32 s13, s35, 0
	s_add_u32 s12, s12, 0xc4
	s_addc_u32 s13, s13, 0
	s_mul_i32 s14, s61, 12
	s_add_u32 s14, s34, s14
	s_addc_u32 s15, s35, 0
.LBB125_94:                             ; =>This Inner Loop Header: Depth=1
	s_load_dwordx2 s[18:19], s[14:15], 0x4
	s_load_dword s17, s[14:15], 0xc
	s_load_dwordx2 s[20:21], s[12:13], 0x0
	s_add_u32 s14, s14, 12
	s_addc_u32 s15, s15, 0
	s_waitcnt lgkmcnt(0)
	v_mul_hi_u32 v3, s19, v1
	s_add_u32 s12, s12, 8
	s_addc_u32 s13, s13, 0
	s_add_i32 s16, s16, -1
	v_add_u32_e32 v3, v1, v3
	v_lshrrev_b32_e32 v4, s17, v3
	v_mul_lo_u32 v3, v4, s18
	s_cmp_lg_u32 s16, 0
	v_sub_u32_e32 v3, v1, v3
	v_mad_u64_u32 v[0:1], s[18:19], v3, s20, v[0:1]
	v_mad_u64_u32 v[2:3], s[18:19], v3, s21, v[2:3]
	v_mov_b32_e32 v1, v4
	s_cbranch_scc1 .LBB125_94
.LBB125_95:
	s_cbranch_execnz .LBB125_98
.LBB125_96:
	s_waitcnt lgkmcnt(0)
	v_mul_hi_u32 v0, s37, v7
	s_andn2_b64 vcc, exec, s[46:47]
	v_add_u32_e32 v0, v7, v0
	v_lshrrev_b32_e32 v1, s38, v0
	v_mul_lo_u32 v0, v1, s36
	v_sub_u32_e32 v2, v7, v0
	v_mul_lo_u32 v0, v2, s28
	v_mul_lo_u32 v2, v2, s29
	s_cbranch_vccnz .LBB125_98
; %bb.97:
	v_mul_hi_u32 v3, s8, v1
	v_add_u32_e32 v3, v1, v3
	v_lshrrev_b32_e32 v3, s9, v3
	v_mul_lo_u32 v3, v3, s39
	v_sub_u32_e32 v3, v1, v3
	v_mad_u64_u32 v[0:1], s[12:13], v3, s30, v[0:1]
	v_mad_u64_u32 v[2:3], s[12:13], v3, s31, v[2:3]
.LBB125_98:
	global_load_dwordx2 v[1:2], v2, s[6:7]
	v_mov_b32_e32 v3, s11
	v_mov_b32_e32 v4, s10
	v_add_u32_e32 v7, 0x80, v7
	s_waitcnt vmcnt(0)
	v_cndmask_b32_e64 v2, v3, v2, s[0:1]
	v_cndmask_b32_e64 v1, v4, v1, s[0:1]
	global_store_dwordx2 v0, v[1:2], s[4:5]
	s_or_b64 exec, exec, s[52:53]
	v_cmp_gt_i32_e32 vcc, s59, v7
	s_and_saveexec_b64 s[52:53], vcc
	s_cbranch_execnz .LBB125_84
.LBB125_99:
	s_or_b64 exec, exec, s[52:53]
	v_cmp_gt_i32_e32 vcc, s59, v7
	s_and_saveexec_b64 s[52:53], vcc
	s_cbranch_execnz .LBB125_110
.LBB125_100:
	s_or_b64 exec, exec, s[52:53]
                                        ; implicit-def: $vgpr13
                                        ; implicit-def: $vgpr7
	s_andn2_saveexec_b64 s[0:1], s[44:45]
	s_cbranch_execnz .LBB125_8
.LBB125_101:
	s_endpgm
.LBB125_102:
	s_mov_b32 s61, 0
	v_mov_b32_e32 v0, 0
	v_mov_b32_e32 v2, 0
	;; [unrolled: 1-line block ×3, first 2 shown]
.LBB125_103:
	s_and_b32 s16, s62, 3
	s_cmp_eq_u32 s16, 0
	s_cbranch_scc1 .LBB125_106
; %bb.104:
	s_lshl_b32 s12, s61, 3
	s_add_u32 s12, s34, s12
	s_addc_u32 s13, s35, 0
	s_add_u32 s12, s12, 0xc4
	s_addc_u32 s13, s13, 0
	s_mul_i32 s14, s61, 12
	s_add_u32 s14, s34, s14
	s_addc_u32 s15, s35, 0
.LBB125_105:                            ; =>This Inner Loop Header: Depth=1
	s_load_dwordx2 s[18:19], s[14:15], 0x4
	s_load_dword s17, s[14:15], 0xc
	s_load_dwordx2 s[20:21], s[12:13], 0x0
	s_add_u32 s14, s14, 12
	s_addc_u32 s15, s15, 0
	s_waitcnt lgkmcnt(0)
	v_mul_hi_u32 v3, s19, v1
	s_add_u32 s12, s12, 8
	s_addc_u32 s13, s13, 0
	s_add_i32 s16, s16, -1
	v_add_u32_e32 v3, v1, v3
	v_lshrrev_b32_e32 v4, s17, v3
	v_mul_lo_u32 v3, v4, s18
	s_cmp_lg_u32 s16, 0
	v_sub_u32_e32 v3, v1, v3
	v_mad_u64_u32 v[0:1], s[18:19], v3, s20, v[0:1]
	v_mad_u64_u32 v[2:3], s[18:19], v3, s21, v[2:3]
	v_mov_b32_e32 v1, v4
	s_cbranch_scc1 .LBB125_105
.LBB125_106:
	s_cbranch_execnz .LBB125_109
.LBB125_107:
	s_waitcnt lgkmcnt(0)
	v_mul_hi_u32 v0, s37, v7
	s_andn2_b64 vcc, exec, s[46:47]
	v_add_u32_e32 v0, v7, v0
	v_lshrrev_b32_e32 v1, s38, v0
	v_mul_lo_u32 v0, v1, s36
	v_sub_u32_e32 v2, v7, v0
	v_mul_lo_u32 v0, v2, s28
	v_mul_lo_u32 v2, v2, s29
	s_cbranch_vccnz .LBB125_109
; %bb.108:
	v_mul_hi_u32 v3, s8, v1
	v_add_u32_e32 v3, v1, v3
	v_lshrrev_b32_e32 v3, s9, v3
	v_mul_lo_u32 v3, v3, s39
	v_sub_u32_e32 v3, v1, v3
	v_mad_u64_u32 v[0:1], s[12:13], v3, s30, v[0:1]
	v_mad_u64_u32 v[2:3], s[12:13], v3, s31, v[2:3]
.LBB125_109:
	global_load_dwordx2 v[1:2], v2, s[6:7]
	v_mov_b32_e32 v3, s11
	v_mov_b32_e32 v4, s10
	v_add_u32_e32 v7, 0x80, v7
	s_waitcnt vmcnt(0)
	v_cndmask_b32_e64 v2, v3, v2, s[0:1]
	v_cndmask_b32_e64 v1, v4, v1, s[0:1]
	global_store_dwordx2 v0, v[1:2], s[4:5]
	s_or_b64 exec, exec, s[52:53]
	v_cmp_gt_i32_e32 vcc, s59, v7
	s_and_saveexec_b64 s[52:53], vcc
	s_cbranch_execz .LBB125_100
.LBB125_110:
	s_andn2_b64 vcc, exec, s[2:3]
	s_cbranch_vccnz .LBB125_115
; %bb.111:
	s_andn2_b64 vcc, exec, s[50:51]
	s_cbranch_vccnz .LBB125_116
; %bb.112:
	s_add_i32 s60, s60, 1
	s_cmp_eq_u32 s58, 2
	s_cbranch_scc1 .LBB125_117
; %bb.113:
	s_and_b32 s54, s60, 28
	v_mov_b32_e32 v2, 0
	s_mov_b32 s55, 0
	s_mov_b64 s[50:51], s[34:35]
	v_mov_b32_e32 v0, 0
	v_mov_b32_e32 v1, v7
.LBB125_114:                            ; =>This Inner Loop Header: Depth=1
	s_load_dwordx8 s[20:27], s[50:51], 0x4
	s_load_dwordx4 s[40:43], s[50:51], 0x24
	s_load_dwordx8 s[12:19], s[48:49], 0x0
	s_add_u32 s50, s50, 48
	s_addc_u32 s51, s51, 0
	s_waitcnt lgkmcnt(0)
	v_mul_hi_u32 v3, s21, v1
	s_add_i32 s55, s55, 4
	s_add_u32 s48, s48, 32
	s_addc_u32 s49, s49, 0
	v_add_u32_e32 v3, v1, v3
	v_lshrrev_b32_e32 v3, s22, v3
	v_mul_lo_u32 v4, v3, s20
	v_mul_hi_u32 v5, s24, v3
	s_cmp_eq_u32 s54, s55
	v_sub_u32_e32 v1, v1, v4
	v_add_u32_e32 v4, v3, v5
	v_mul_lo_u32 v5, v1, s12
	v_mul_lo_u32 v6, v1, s13
	v_lshrrev_b32_e32 v1, s25, v4
	v_mul_lo_u32 v4, v1, s23
	v_mul_hi_u32 v8, s27, v1
	v_sub_u32_e32 v3, v3, v4
	v_add_u32_e32 v4, v1, v8
	v_lshrrev_b32_e32 v4, s40, v4
	v_mul_hi_u32 v9, s42, v4
	v_mul_lo_u32 v10, v4, s26
	v_mul_lo_u32 v8, v3, s14
	;; [unrolled: 1-line block ×3, first 2 shown]
	v_sub_u32_e32 v10, v1, v10
	v_add_u32_e32 v1, v4, v9
	v_lshrrev_b32_e32 v1, s43, v1
	v_mul_lo_u32 v9, v1, s41
	v_mul_lo_u32 v11, v10, s16
	;; [unrolled: 1-line block ×3, first 2 shown]
	v_add3_u32 v0, v5, v0, v8
	v_sub_u32_e32 v4, v4, v9
	v_mul_lo_u32 v9, v4, s18
	v_mul_lo_u32 v4, v4, s19
	v_add3_u32 v2, v6, v2, v3
	v_add3_u32 v0, v11, v0, v9
	v_add3_u32 v2, v10, v2, v4
	s_cbranch_scc0 .LBB125_114
	s_branch .LBB125_118
.LBB125_115:
                                        ; implicit-def: $vgpr0
                                        ; implicit-def: $vgpr2
	s_branch .LBB125_122
.LBB125_116:
	v_mov_b32_e32 v0, 0
	v_mov_b32_e32 v2, 0
	s_branch .LBB125_121
.LBB125_117:
	s_mov_b32 s54, 0
	v_mov_b32_e32 v0, 0
	v_mov_b32_e32 v2, 0
	v_mov_b32_e32 v1, v7
.LBB125_118:
	s_and_b32 s16, s60, 3
	s_cmp_eq_u32 s16, 0
	s_cbranch_scc1 .LBB125_121
; %bb.119:
	s_lshl_b32 s12, s54, 3
	s_add_u32 s12, s34, s12
	s_addc_u32 s13, s35, 0
	s_add_u32 s12, s12, 0xc4
	s_addc_u32 s13, s13, 0
	s_mul_i32 s14, s54, 12
	s_add_u32 s14, s34, s14
	s_addc_u32 s15, s35, 0
.LBB125_120:                            ; =>This Inner Loop Header: Depth=1
	s_load_dwordx2 s[18:19], s[14:15], 0x4
	s_load_dword s17, s[14:15], 0xc
	s_load_dwordx2 s[20:21], s[12:13], 0x0
	s_add_u32 s14, s14, 12
	s_addc_u32 s15, s15, 0
	s_waitcnt lgkmcnt(0)
	v_mul_hi_u32 v3, s19, v1
	s_add_u32 s12, s12, 8
	s_addc_u32 s13, s13, 0
	s_add_i32 s16, s16, -1
	v_add_u32_e32 v3, v1, v3
	v_lshrrev_b32_e32 v4, s17, v3
	v_mul_lo_u32 v3, v4, s18
	s_cmp_lg_u32 s16, 0
	v_sub_u32_e32 v3, v1, v3
	v_mad_u64_u32 v[0:1], s[18:19], v3, s20, v[0:1]
	v_mad_u64_u32 v[2:3], s[18:19], v3, s21, v[2:3]
	v_mov_b32_e32 v1, v4
	s_cbranch_scc1 .LBB125_120
.LBB125_121:
	s_cbranch_execnz .LBB125_124
.LBB125_122:
	s_waitcnt lgkmcnt(0)
	v_mul_hi_u32 v0, s37, v7
	s_andn2_b64 vcc, exec, s[46:47]
	v_add_u32_e32 v0, v7, v0
	v_lshrrev_b32_e32 v1, s38, v0
	v_mul_lo_u32 v0, v1, s36
	v_sub_u32_e32 v2, v7, v0
	v_mul_lo_u32 v0, v2, s28
	v_mul_lo_u32 v2, v2, s29
	s_cbranch_vccnz .LBB125_124
; %bb.123:
	v_mul_hi_u32 v3, s8, v1
	v_add_u32_e32 v3, v1, v3
	v_lshrrev_b32_e32 v3, s9, v3
	v_mul_lo_u32 v3, v3, s39
	v_sub_u32_e32 v3, v1, v3
	v_mad_u64_u32 v[0:1], s[8:9], v3, s30, v[0:1]
	v_mad_u64_u32 v[2:3], s[8:9], v3, s31, v[2:3]
.LBB125_124:
	global_load_dwordx2 v[1:2], v2, s[6:7]
	v_mov_b32_e32 v3, s11
	v_mov_b32_e32 v4, s10
	s_waitcnt vmcnt(0)
	v_cndmask_b32_e64 v2, v3, v2, s[0:1]
	v_cndmask_b32_e64 v1, v4, v1, s[0:1]
	global_store_dwordx2 v0, v[1:2], s[4:5]
	s_or_b64 exec, exec, s[52:53]
                                        ; implicit-def: $vgpr13
                                        ; implicit-def: $vgpr7
	s_andn2_saveexec_b64 s[0:1], s[44:45]
	s_cbranch_execz .LBB125_101
	s_branch .LBB125_8
	.section	.rodata,"a",@progbits
	.p2align	6, 0x0
	.amdhsa_kernel _ZN2at6native32elementwise_kernel_manual_unrollILi128ELi4EZNS0_22gpu_kernel_impl_nocastINS0_13AUnaryFunctorIdddZNS0_12_GLOBAL__N_121threshold_kernel_implIdEEvRNS_18TensorIteratorBaseET_S8_EUlddE_EEEEvS7_RKS8_EUlibE_EEviT1_
		.amdhsa_group_segment_fixed_size 0
		.amdhsa_private_segment_fixed_size 0
		.amdhsa_kernarg_size 376
		.amdhsa_user_sgpr_count 6
		.amdhsa_user_sgpr_private_segment_buffer 1
		.amdhsa_user_sgpr_dispatch_ptr 0
		.amdhsa_user_sgpr_queue_ptr 0
		.amdhsa_user_sgpr_kernarg_segment_ptr 1
		.amdhsa_user_sgpr_dispatch_id 0
		.amdhsa_user_sgpr_flat_scratch_init 0
		.amdhsa_user_sgpr_private_segment_size 0
		.amdhsa_uses_dynamic_stack 0
		.amdhsa_system_sgpr_private_segment_wavefront_offset 0
		.amdhsa_system_sgpr_workgroup_id_x 1
		.amdhsa_system_sgpr_workgroup_id_y 0
		.amdhsa_system_sgpr_workgroup_id_z 0
		.amdhsa_system_sgpr_workgroup_info 0
		.amdhsa_system_vgpr_workitem_id 0
		.amdhsa_next_free_vgpr 21
		.amdhsa_next_free_sgpr 64
		.amdhsa_reserve_vcc 1
		.amdhsa_reserve_flat_scratch 0
		.amdhsa_float_round_mode_32 0
		.amdhsa_float_round_mode_16_64 0
		.amdhsa_float_denorm_mode_32 3
		.amdhsa_float_denorm_mode_16_64 3
		.amdhsa_dx10_clamp 1
		.amdhsa_ieee_mode 1
		.amdhsa_fp16_overflow 0
		.amdhsa_exception_fp_ieee_invalid_op 0
		.amdhsa_exception_fp_denorm_src 0
		.amdhsa_exception_fp_ieee_div_zero 0
		.amdhsa_exception_fp_ieee_overflow 0
		.amdhsa_exception_fp_ieee_underflow 0
		.amdhsa_exception_fp_ieee_inexact 0
		.amdhsa_exception_int_div_zero 0
	.end_amdhsa_kernel
	.section	.text._ZN2at6native32elementwise_kernel_manual_unrollILi128ELi4EZNS0_22gpu_kernel_impl_nocastINS0_13AUnaryFunctorIdddZNS0_12_GLOBAL__N_121threshold_kernel_implIdEEvRNS_18TensorIteratorBaseET_S8_EUlddE_EEEEvS7_RKS8_EUlibE_EEviT1_,"axG",@progbits,_ZN2at6native32elementwise_kernel_manual_unrollILi128ELi4EZNS0_22gpu_kernel_impl_nocastINS0_13AUnaryFunctorIdddZNS0_12_GLOBAL__N_121threshold_kernel_implIdEEvRNS_18TensorIteratorBaseET_S8_EUlddE_EEEEvS7_RKS8_EUlibE_EEviT1_,comdat
.Lfunc_end125:
	.size	_ZN2at6native32elementwise_kernel_manual_unrollILi128ELi4EZNS0_22gpu_kernel_impl_nocastINS0_13AUnaryFunctorIdddZNS0_12_GLOBAL__N_121threshold_kernel_implIdEEvRNS_18TensorIteratorBaseET_S8_EUlddE_EEEEvS7_RKS8_EUlibE_EEviT1_, .Lfunc_end125-_ZN2at6native32elementwise_kernel_manual_unrollILi128ELi4EZNS0_22gpu_kernel_impl_nocastINS0_13AUnaryFunctorIdddZNS0_12_GLOBAL__N_121threshold_kernel_implIdEEvRNS_18TensorIteratorBaseET_S8_EUlddE_EEEEvS7_RKS8_EUlibE_EEviT1_
                                        ; -- End function
	.set _ZN2at6native32elementwise_kernel_manual_unrollILi128ELi4EZNS0_22gpu_kernel_impl_nocastINS0_13AUnaryFunctorIdddZNS0_12_GLOBAL__N_121threshold_kernel_implIdEEvRNS_18TensorIteratorBaseET_S8_EUlddE_EEEEvS7_RKS8_EUlibE_EEviT1_.num_vgpr, 21
	.set _ZN2at6native32elementwise_kernel_manual_unrollILi128ELi4EZNS0_22gpu_kernel_impl_nocastINS0_13AUnaryFunctorIdddZNS0_12_GLOBAL__N_121threshold_kernel_implIdEEvRNS_18TensorIteratorBaseET_S8_EUlddE_EEEEvS7_RKS8_EUlibE_EEviT1_.num_agpr, 0
	.set _ZN2at6native32elementwise_kernel_manual_unrollILi128ELi4EZNS0_22gpu_kernel_impl_nocastINS0_13AUnaryFunctorIdddZNS0_12_GLOBAL__N_121threshold_kernel_implIdEEvRNS_18TensorIteratorBaseET_S8_EUlddE_EEEEvS7_RKS8_EUlibE_EEviT1_.numbered_sgpr, 64
	.set _ZN2at6native32elementwise_kernel_manual_unrollILi128ELi4EZNS0_22gpu_kernel_impl_nocastINS0_13AUnaryFunctorIdddZNS0_12_GLOBAL__N_121threshold_kernel_implIdEEvRNS_18TensorIteratorBaseET_S8_EUlddE_EEEEvS7_RKS8_EUlibE_EEviT1_.num_named_barrier, 0
	.set _ZN2at6native32elementwise_kernel_manual_unrollILi128ELi4EZNS0_22gpu_kernel_impl_nocastINS0_13AUnaryFunctorIdddZNS0_12_GLOBAL__N_121threshold_kernel_implIdEEvRNS_18TensorIteratorBaseET_S8_EUlddE_EEEEvS7_RKS8_EUlibE_EEviT1_.private_seg_size, 0
	.set _ZN2at6native32elementwise_kernel_manual_unrollILi128ELi4EZNS0_22gpu_kernel_impl_nocastINS0_13AUnaryFunctorIdddZNS0_12_GLOBAL__N_121threshold_kernel_implIdEEvRNS_18TensorIteratorBaseET_S8_EUlddE_EEEEvS7_RKS8_EUlibE_EEviT1_.uses_vcc, 1
	.set _ZN2at6native32elementwise_kernel_manual_unrollILi128ELi4EZNS0_22gpu_kernel_impl_nocastINS0_13AUnaryFunctorIdddZNS0_12_GLOBAL__N_121threshold_kernel_implIdEEvRNS_18TensorIteratorBaseET_S8_EUlddE_EEEEvS7_RKS8_EUlibE_EEviT1_.uses_flat_scratch, 0
	.set _ZN2at6native32elementwise_kernel_manual_unrollILi128ELi4EZNS0_22gpu_kernel_impl_nocastINS0_13AUnaryFunctorIdddZNS0_12_GLOBAL__N_121threshold_kernel_implIdEEvRNS_18TensorIteratorBaseET_S8_EUlddE_EEEEvS7_RKS8_EUlibE_EEviT1_.has_dyn_sized_stack, 0
	.set _ZN2at6native32elementwise_kernel_manual_unrollILi128ELi4EZNS0_22gpu_kernel_impl_nocastINS0_13AUnaryFunctorIdddZNS0_12_GLOBAL__N_121threshold_kernel_implIdEEvRNS_18TensorIteratorBaseET_S8_EUlddE_EEEEvS7_RKS8_EUlibE_EEviT1_.has_recursion, 0
	.set _ZN2at6native32elementwise_kernel_manual_unrollILi128ELi4EZNS0_22gpu_kernel_impl_nocastINS0_13AUnaryFunctorIdddZNS0_12_GLOBAL__N_121threshold_kernel_implIdEEvRNS_18TensorIteratorBaseET_S8_EUlddE_EEEEvS7_RKS8_EUlibE_EEviT1_.has_indirect_call, 0
	.section	.AMDGPU.csdata,"",@progbits
; Kernel info:
; codeLenInByte = 5868
; TotalNumSgprs: 68
; NumVgprs: 21
; ScratchSize: 0
; MemoryBound: 0
; FloatMode: 240
; IeeeMode: 1
; LDSByteSize: 0 bytes/workgroup (compile time only)
; SGPRBlocks: 8
; VGPRBlocks: 5
; NumSGPRsForWavesPerEU: 68
; NumVGPRsForWavesPerEU: 21
; Occupancy: 10
; WaveLimiterHint : 1
; COMPUTE_PGM_RSRC2:SCRATCH_EN: 0
; COMPUTE_PGM_RSRC2:USER_SGPR: 6
; COMPUTE_PGM_RSRC2:TRAP_HANDLER: 0
; COMPUTE_PGM_RSRC2:TGID_X_EN: 1
; COMPUTE_PGM_RSRC2:TGID_Y_EN: 0
; COMPUTE_PGM_RSRC2:TGID_Z_EN: 0
; COMPUTE_PGM_RSRC2:TIDIG_COMP_CNT: 0
	.section	.text._ZN2at6native32elementwise_kernel_manual_unrollILi128ELi4EZNS0_15gpu_kernel_implINS0_13AUnaryFunctorIdddZNS0_12_GLOBAL__N_121threshold_kernel_implIdEEvRNS_18TensorIteratorBaseET_S8_EUlddE_EEEEvS7_RKS8_EUlibE_EEviT1_,"axG",@progbits,_ZN2at6native32elementwise_kernel_manual_unrollILi128ELi4EZNS0_15gpu_kernel_implINS0_13AUnaryFunctorIdddZNS0_12_GLOBAL__N_121threshold_kernel_implIdEEvRNS_18TensorIteratorBaseET_S8_EUlddE_EEEEvS7_RKS8_EUlibE_EEviT1_,comdat
	.globl	_ZN2at6native32elementwise_kernel_manual_unrollILi128ELi4EZNS0_15gpu_kernel_implINS0_13AUnaryFunctorIdddZNS0_12_GLOBAL__N_121threshold_kernel_implIdEEvRNS_18TensorIteratorBaseET_S8_EUlddE_EEEEvS7_RKS8_EUlibE_EEviT1_ ; -- Begin function _ZN2at6native32elementwise_kernel_manual_unrollILi128ELi4EZNS0_15gpu_kernel_implINS0_13AUnaryFunctorIdddZNS0_12_GLOBAL__N_121threshold_kernel_implIdEEvRNS_18TensorIteratorBaseET_S8_EUlddE_EEEEvS7_RKS8_EUlibE_EEviT1_
	.p2align	8
	.type	_ZN2at6native32elementwise_kernel_manual_unrollILi128ELi4EZNS0_15gpu_kernel_implINS0_13AUnaryFunctorIdddZNS0_12_GLOBAL__N_121threshold_kernel_implIdEEvRNS_18TensorIteratorBaseET_S8_EUlddE_EEEEvS7_RKS8_EUlibE_EEviT1_,@function
_ZN2at6native32elementwise_kernel_manual_unrollILi128ELi4EZNS0_15gpu_kernel_implINS0_13AUnaryFunctorIdddZNS0_12_GLOBAL__N_121threshold_kernel_implIdEEvRNS_18TensorIteratorBaseET_S8_EUlddE_EEEEvS7_RKS8_EUlibE_EEviT1_: ; @_ZN2at6native32elementwise_kernel_manual_unrollILi128ELi4EZNS0_15gpu_kernel_implINS0_13AUnaryFunctorIdddZNS0_12_GLOBAL__N_121threshold_kernel_implIdEEvRNS_18TensorIteratorBaseET_S8_EUlddE_EEEEvS7_RKS8_EUlibE_EEviT1_
; %bb.0:
	s_load_dwordx2 s[18:19], s[4:5], 0x30
	s_load_dword s33, s[4:5], 0x38
	s_load_dword s46, s[4:5], 0x0
	s_load_dwordx4 s[8:11], s[4:5], 0x8
	s_load_dwordx2 s[16:17], s[4:5], 0x18
	s_load_dwordx4 s[12:15], s[4:5], 0x20
	v_lshl_or_b32 v10, s6, 9, v0
	v_or_b32_e32 v0, 0x180, v10
	s_waitcnt lgkmcnt(0)
	s_bfe_u32 s50, s33, 0x80008
	v_cmp_le_i32_e32 vcc, s46, v0
	s_mov_b64 s[4:5], 0
	s_mov_b64 s[20:21], 0
	s_and_saveexec_b64 s[0:1], vcc
	s_xor_b64 s[6:7], exec, s[0:1]
	s_cbranch_execz .LBB126_1027
; %bb.1:
	v_mov_b32_e32 v0, s12
	v_mov_b32_e32 v1, s13
	v_cmp_nle_f64_e64 s[0:1], s[18:19], v[0:1]
	v_cmp_gt_i32_e32 vcc, s46, v10
	s_mov_b64 s[2:3], -1
	s_mov_b64 s[28:29], 0
	s_mov_b64 s[22:23], 0
	s_and_saveexec_b64 s[24:25], vcc
	s_cbranch_execz .LBB126_252
; %bb.2:
	v_mul_lo_u32 v0, v10, s17
	v_mov_b32_e32 v1, s11
	s_and_b32 s30, 0xffff, s50
	s_cmp_lt_i32 s30, 11
	v_ashrrev_i32_e32 v2, 31, v0
	v_add_co_u32_e32 v0, vcc, s10, v0
	v_addc_co_u32_e32 v1, vcc, v1, v2, vcc
	s_cbranch_scc1 .LBB126_9
; %bb.3:
	s_cmp_gt_i32 s30, 25
	s_cbranch_scc0 .LBB126_18
; %bb.4:
	s_cmp_gt_i32 s30, 28
	s_cbranch_scc0 .LBB126_22
	;; [unrolled: 3-line block ×4, first 2 shown]
; %bb.7:
	s_cmp_eq_u32 s30, 46
	s_cbranch_scc0 .LBB126_28
; %bb.8:
	global_load_dword v2, v[0:1], off
	s_waitcnt vmcnt(0)
	v_lshlrev_b32_e32 v2, 16, v2
	v_cvt_f64_f32_e32 v[2:3], v2
	s_branch .LBB126_30
.LBB126_9:
                                        ; implicit-def: $vgpr2_vgpr3
	s_mov_b64 s[2:3], 0
	s_cbranch_execnz .LBB126_203
.LBB126_10:
	s_andn2_b64 vcc, exec, s[2:3]
	s_cbranch_vccnz .LBB126_250
.LBB126_11:
	v_mul_lo_u32 v4, v10, s16
	v_mov_b32_e32 v0, s15
	s_waitcnt vmcnt(0)
	v_cndmask_b32_e64 v1, v0, v3, s[0:1]
	v_mov_b32_e32 v0, s14
	v_cndmask_b32_e64 v0, v0, v2, s[0:1]
	v_ashrrev_i32_e32 v2, 31, v4
	v_mov_b32_e32 v3, s9
	s_and_b32 s34, s33, 0xff
	v_add_co_u32_e32 v4, vcc, s8, v4
	s_cmp_lt_i32 s34, 11
	v_addc_co_u32_e32 v5, vcc, v3, v2, vcc
	s_cbranch_scc1 .LBB126_19
; %bb.12:
	s_and_b32 s35, 0xffff, s34
	s_cmp_gt_i32 s35, 25
	s_cbranch_scc0 .LBB126_23
; %bb.13:
	s_cmp_gt_i32 s35, 28
	s_cbranch_scc0 .LBB126_25
; %bb.14:
	;; [unrolled: 3-line block ×4, first 2 shown]
	s_mov_b64 s[26:27], 0
	s_mov_b64 s[2:3], -1
	s_cmp_eq_u32 s35, 46
	s_mov_b64 s[20:21], 0
	s_cbranch_scc0 .LBB126_34
; %bb.17:
	v_cvt_f32_f64_e32 v2, v[0:1]
	s_movk_i32 s2, 0x7fff
	v_mov_b32_e32 v3, 0x7fc0
	s_mov_b64 s[20:21], -1
	v_bfe_u32 v6, v2, 16, 1
	v_cmp_o_f32_e32 vcc, v2, v2
	v_add3_u32 v2, v2, v6, s2
	v_cndmask_b32_sdwa v2, v3, v2, vcc dst_sel:DWORD dst_unused:UNUSED_PAD src0_sel:DWORD src1_sel:WORD_1
	global_store_dword v[4:5], v2, off
	s_mov_b64 s[2:3], 0
	s_branch .LBB126_34
.LBB126_18:
	s_mov_b64 s[2:3], 0
                                        ; implicit-def: $vgpr2_vgpr3
	s_cbranch_execnz .LBB126_170
	s_branch .LBB126_202
.LBB126_19:
	s_mov_b64 s[2:3], 0
	s_mov_b64 s[20:21], 0
	s_cbranch_execnz .LBB126_103
.LBB126_20:
	s_andn2_b64 vcc, exec, s[20:21]
	s_cbranch_vccnz .LBB126_141
.LBB126_21:
	v_add_u32_e32 v10, 0x80, v10
	s_mov_b64 s[26:27], -1
	s_branch .LBB126_251
.LBB126_22:
	s_mov_b64 s[20:21], -1
	s_mov_b64 s[2:3], 0
                                        ; implicit-def: $vgpr2_vgpr3
	s_branch .LBB126_149
.LBB126_23:
	s_mov_b64 s[26:27], -1
	s_mov_b64 s[2:3], 0
	s_mov_b64 s[20:21], 0
	s_branch .LBB126_61
.LBB126_24:
	s_mov_b64 s[20:21], -1
	s_mov_b64 s[2:3], 0
                                        ; implicit-def: $vgpr2_vgpr3
	s_branch .LBB126_144
.LBB126_25:
	s_mov_b64 s[26:27], -1
	s_mov_b64 s[2:3], 0
	s_mov_b64 s[20:21], 0
	s_branch .LBB126_44
.LBB126_26:
	s_mov_b64 s[20:21], -1
	s_branch .LBB126_29
.LBB126_27:
	s_mov_b64 s[26:27], -1
	s_mov_b64 s[2:3], 0
	s_mov_b64 s[20:21], 0
	s_branch .LBB126_40
.LBB126_28:
	s_mov_b64 s[22:23], -1
.LBB126_29:
	s_mov_b64 s[2:3], 0
                                        ; implicit-def: $vgpr2_vgpr3
.LBB126_30:
	s_and_b64 vcc, exec, s[20:21]
	s_cbranch_vccz .LBB126_143
; %bb.31:
	s_cmp_eq_u32 s30, 44
	s_cbranch_scc0 .LBB126_142
; %bb.32:
	global_load_ubyte v4, v[0:1], off
	s_movk_i32 s20, 0xff
	v_bfrev_b32_e32 v5, 4
	v_mov_b32_e32 v6, 0x7ff80000
	v_bfrev_b32_e32 v7, 28
	s_mov_b64 s[2:3], -1
	s_mov_b64 s[22:23], 0
	s_waitcnt vmcnt(0)
	v_lshlrev_b32_e32 v2, 23, v4
	v_cvt_f64_f32_e32 v[2:3], v2
	v_cmp_ne_u32_e32 vcc, s20, v4
	v_cndmask_b32_e32 v2, v5, v2, vcc
	v_cndmask_b32_e32 v3, v6, v3, vcc
	v_cmp_ne_u32_e32 vcc, 0, v4
	v_cndmask_b32_e32 v3, v7, v3, vcc
	v_cndmask_b32_e32 v2, 0, v2, vcc
	s_branch .LBB126_143
.LBB126_33:
	s_mov_b64 s[26:27], -1
	s_mov_b64 s[2:3], 0
	s_mov_b64 s[20:21], 0
.LBB126_34:
	s_and_b64 vcc, exec, s[26:27]
	s_cbranch_vccz .LBB126_39
; %bb.35:
	s_cmp_eq_u32 s35, 44
	s_mov_b64 s[2:3], -1
	s_cbranch_scc0 .LBB126_39
; %bb.36:
	v_cvt_f32_f64_e32 v2, v[0:1]
	s_movk_i32 s2, 0xff
	v_mov_b32_e32 v6, 0xff
	v_bfe_u32 v3, v2, 23, 8
	v_cmp_ne_u32_e32 vcc, s2, v3
	s_and_saveexec_b64 s[20:21], vcc
; %bb.37:
	s_mov_b32 s2, 0x3fffff
	v_lshrrev_b32_e32 v6, 23, v2
	v_and_b32_e32 v7, 0x400000, v2
	v_and_or_b32 v2, v2, s2, v3
	v_cmp_ne_u32_e32 vcc, 0, v7
	v_cmp_ne_u32_e64 s[2:3], 0, v2
	s_and_b64 s[2:3], vcc, s[2:3]
	v_cndmask_b32_e64 v2, 0, 1, s[2:3]
	v_add_u32_e32 v6, v6, v2
; %bb.38:
	s_or_b64 exec, exec, s[20:21]
	s_mov_b64 s[20:21], -1
	s_mov_b64 s[2:3], 0
	global_store_byte v[4:5], v6, off
.LBB126_39:
	s_mov_b64 s[26:27], 0
.LBB126_40:
	s_and_b64 vcc, exec, s[26:27]
	s_cbranch_vccz .LBB126_43
; %bb.41:
	s_cmp_eq_u32 s35, 29
	s_mov_b64 s[2:3], -1
	s_cbranch_scc0 .LBB126_43
; %bb.42:
	v_trunc_f64_e32 v[2:3], v[0:1]
	s_movk_i32 s2, 0xffe0
	s_mov_b64 s[20:21], -1
	s_mov_b64 s[26:27], 0
	v_ldexp_f64 v[6:7], v[2:3], s2
	s_mov_b32 s2, 0
	s_mov_b32 s3, 0xc1f00000
	v_floor_f64_e32 v[6:7], v[6:7]
	v_fma_f64 v[2:3], v[6:7], s[2:3], v[2:3]
	v_cvt_u32_f64_e32 v7, v[6:7]
	s_mov_b64 s[2:3], 0
	v_cvt_u32_f64_e32 v6, v[2:3]
	global_store_dwordx2 v[4:5], v[6:7], off
	s_branch .LBB126_44
.LBB126_43:
	s_mov_b64 s[26:27], 0
.LBB126_44:
	s_and_b64 vcc, exec, s[26:27]
	s_cbranch_vccz .LBB126_60
; %bb.45:
	s_cmp_lt_i32 s35, 27
	s_mov_b64 s[20:21], -1
	s_cbranch_scc1 .LBB126_51
; %bb.46:
	v_cvt_u32_f64_e32 v2, v[0:1]
	s_cmp_gt_i32 s35, 27
	s_cbranch_scc0 .LBB126_48
; %bb.47:
	s_mov_b64 s[20:21], 0
	global_store_dword v[4:5], v2, off
.LBB126_48:
	s_andn2_b64 vcc, exec, s[20:21]
	s_cbranch_vccnz .LBB126_50
; %bb.49:
	global_store_short v[4:5], v2, off
.LBB126_50:
	s_mov_b64 s[20:21], 0
.LBB126_51:
	s_andn2_b64 vcc, exec, s[20:21]
	s_cbranch_vccnz .LBB126_59
; %bb.52:
	v_cvt_f32_f64_e32 v2, v[0:1]
	s_mov_b32 s20, 0x43800000
	v_mov_b32_e32 v6, 0x80
	v_and_b32_e32 v3, 0x7fffffff, v2
	v_cmp_gt_u32_e32 vcc, s20, v3
	s_and_saveexec_b64 s[20:21], vcc
	s_cbranch_execz .LBB126_58
; %bb.53:
	s_mov_b32 s26, 0x3bffffff
	v_cmp_lt_u32_e32 vcc, s26, v3
	s_mov_b64 s[26:27], 0
                                        ; implicit-def: $vgpr3
	s_and_saveexec_b64 s[30:31], vcc
	s_xor_b64 s[30:31], exec, s[30:31]
	s_cbranch_execz .LBB126_279
; %bb.54:
	v_bfe_u32 v3, v2, 20, 1
	s_mov_b32 s36, 0x487ffff
	v_add3_u32 v3, v2, v3, s36
	s_mov_b64 s[26:27], exec
	v_lshrrev_b32_e32 v3, 20, v3
	s_andn2_saveexec_b64 s[30:31], s[30:31]
	s_cbranch_execnz .LBB126_280
.LBB126_55:
	s_or_b64 exec, exec, s[30:31]
	v_mov_b32_e32 v6, 0
	s_and_saveexec_b64 s[30:31], s[26:27]
.LBB126_56:
	v_lshrrev_b32_e32 v2, 24, v2
	s_movk_i32 s26, 0x80
	v_and_or_b32 v6, v2, s26, v3
.LBB126_57:
	s_or_b64 exec, exec, s[30:31]
.LBB126_58:
	s_or_b64 exec, exec, s[20:21]
	global_store_byte v[4:5], v6, off
.LBB126_59:
	s_mov_b64 s[20:21], -1
.LBB126_60:
	s_mov_b64 s[26:27], 0
.LBB126_61:
	s_and_b64 vcc, exec, s[26:27]
	s_cbranch_vccz .LBB126_102
; %bb.62:
	s_cmp_gt_i32 s35, 22
	s_mov_b64 s[26:27], -1
	s_cbranch_scc0 .LBB126_94
; %bb.63:
	s_cmp_lt_i32 s35, 24
	s_mov_b64 s[20:21], -1
	s_cbranch_scc1 .LBB126_83
; %bb.64:
	s_cmp_gt_i32 s35, 24
	s_cbranch_scc0 .LBB126_72
; %bb.65:
	v_cvt_f32_f64_e32 v2, v[0:1]
	s_mov_b32 s20, 0x47800000
	v_mov_b32_e32 v6, 0x80
	v_and_b32_e32 v3, 0x7fffffff, v2
	v_cmp_gt_u32_e32 vcc, s20, v3
	s_and_saveexec_b64 s[20:21], vcc
	s_cbranch_execz .LBB126_71
; %bb.66:
	s_mov_b32 s26, 0x37ffffff
	v_cmp_lt_u32_e32 vcc, s26, v3
	s_mov_b64 s[26:27], 0
                                        ; implicit-def: $vgpr3
	s_and_saveexec_b64 s[30:31], vcc
	s_xor_b64 s[30:31], exec, s[30:31]
	s_cbranch_execz .LBB126_283
; %bb.67:
	v_bfe_u32 v3, v2, 21, 1
	s_mov_b32 s36, 0x88fffff
	v_add3_u32 v3, v2, v3, s36
	s_mov_b64 s[26:27], exec
	v_lshrrev_b32_e32 v3, 21, v3
	s_andn2_saveexec_b64 s[30:31], s[30:31]
	s_cbranch_execnz .LBB126_284
.LBB126_68:
	s_or_b64 exec, exec, s[30:31]
	v_mov_b32_e32 v6, 0
	s_and_saveexec_b64 s[30:31], s[26:27]
.LBB126_69:
	v_lshrrev_b32_e32 v2, 24, v2
	s_movk_i32 s26, 0x80
	v_and_or_b32 v6, v2, s26, v3
.LBB126_70:
	s_or_b64 exec, exec, s[30:31]
.LBB126_71:
	s_or_b64 exec, exec, s[20:21]
	s_mov_b64 s[20:21], 0
	global_store_byte v[4:5], v6, off
.LBB126_72:
	s_and_b64 vcc, exec, s[20:21]
	s_cbranch_vccz .LBB126_82
; %bb.73:
	v_cvt_f32_f64_e32 v2, v[0:1]
	s_mov_b32 s20, 0x43f00000
                                        ; implicit-def: $vgpr3
	v_and_b32_e32 v6, 0x7fffffff, v2
	v_cmp_gt_u32_e32 vcc, s20, v6
	s_and_saveexec_b64 s[20:21], vcc
	s_xor_b64 s[20:21], exec, s[20:21]
	s_cbranch_execz .LBB126_79
; %bb.74:
	s_mov_b32 s26, 0x3c7fffff
	v_cmp_lt_u32_e32 vcc, s26, v6
                                        ; implicit-def: $vgpr3
	s_and_saveexec_b64 s[26:27], vcc
	s_xor_b64 s[26:27], exec, s[26:27]
; %bb.75:
	v_bfe_u32 v3, v2, 20, 1
	s_mov_b32 s30, 0x407ffff
	v_add3_u32 v3, v2, v3, s30
	v_lshrrev_b32_e32 v6, 20, v3
	v_and_b32_e32 v3, 0xff00000, v3
	s_mov_b32 s30, 0x7f00000
	v_mov_b32_e32 v7, 0x7e
	v_cmp_ne_u32_e32 vcc, s30, v3
	v_cndmask_b32_e32 v3, v7, v6, vcc
; %bb.76:
	s_andn2_saveexec_b64 s[26:27], s[26:27]
; %bb.77:
	s_mov_b32 s30, 0x46800000
	v_add_f32_e64 v3, |v2|, s30
; %bb.78:
	s_or_b64 exec, exec, s[26:27]
                                        ; implicit-def: $vgpr6
.LBB126_79:
	s_andn2_saveexec_b64 s[20:21], s[20:21]
; %bb.80:
	s_mov_b32 s26, 0x7f800000
	v_mov_b32_e32 v3, 0x7e
	v_mov_b32_e32 v7, 0x7f
	v_cmp_lt_u32_e32 vcc, s26, v6
	v_cndmask_b32_e32 v3, v3, v7, vcc
; %bb.81:
	s_or_b64 exec, exec, s[20:21]
	v_lshrrev_b32_e32 v2, 24, v2
	s_movk_i32 s20, 0x80
	v_and_or_b32 v2, v2, s20, v3
	global_store_byte v[4:5], v2, off
.LBB126_82:
	s_mov_b64 s[20:21], 0
.LBB126_83:
	s_andn2_b64 vcc, exec, s[20:21]
	s_cbranch_vccnz .LBB126_93
; %bb.84:
	v_cvt_f32_f64_e32 v2, v[0:1]
	s_mov_b32 s20, 0x47800000
                                        ; implicit-def: $vgpr3
	v_and_b32_e32 v6, 0x7fffffff, v2
	v_cmp_gt_u32_e32 vcc, s20, v6
	s_and_saveexec_b64 s[20:21], vcc
	s_xor_b64 s[20:21], exec, s[20:21]
	s_cbranch_execz .LBB126_90
; %bb.85:
	s_mov_b32 s26, 0x387fffff
	v_cmp_lt_u32_e32 vcc, s26, v6
                                        ; implicit-def: $vgpr3
	s_and_saveexec_b64 s[26:27], vcc
	s_xor_b64 s[26:27], exec, s[26:27]
; %bb.86:
	v_bfe_u32 v3, v2, 21, 1
	s_mov_b32 s30, 0x80fffff
	v_add3_u32 v3, v2, v3, s30
	v_lshrrev_b32_e32 v3, 21, v3
; %bb.87:
	s_andn2_saveexec_b64 s[26:27], s[26:27]
; %bb.88:
	s_mov_b32 s30, 0x43000000
	v_add_f32_e64 v3, |v2|, s30
; %bb.89:
	s_or_b64 exec, exec, s[26:27]
                                        ; implicit-def: $vgpr6
.LBB126_90:
	s_andn2_saveexec_b64 s[20:21], s[20:21]
; %bb.91:
	s_mov_b32 s26, 0x7f800000
	v_mov_b32_e32 v3, 0x7c
	v_mov_b32_e32 v7, 0x7f
	v_cmp_lt_u32_e32 vcc, s26, v6
	v_cndmask_b32_e32 v3, v3, v7, vcc
; %bb.92:
	s_or_b64 exec, exec, s[20:21]
	v_lshrrev_b32_e32 v2, 24, v2
	s_movk_i32 s20, 0x80
	v_and_or_b32 v2, v2, s20, v3
	global_store_byte v[4:5], v2, off
.LBB126_93:
	s_mov_b64 s[26:27], 0
	s_mov_b64 s[20:21], -1
.LBB126_94:
	s_andn2_b64 vcc, exec, s[26:27]
	s_cbranch_vccnz .LBB126_102
; %bb.95:
	s_cmp_gt_i32 s35, 14
	s_mov_b64 s[26:27], -1
	s_cbranch_scc0 .LBB126_99
; %bb.96:
	s_cmp_eq_u32 s35, 15
	s_mov_b64 s[2:3], -1
	s_cbranch_scc0 .LBB126_98
; %bb.97:
	v_cvt_f32_f64_e32 v2, v[0:1]
	s_movk_i32 s2, 0x7fff
	v_mov_b32_e32 v3, 0x7fc0
	s_mov_b64 s[20:21], -1
	v_bfe_u32 v6, v2, 16, 1
	v_cmp_o_f32_e32 vcc, v2, v2
	v_add3_u32 v2, v2, v6, s2
	v_cndmask_b32_sdwa v2, v3, v2, vcc dst_sel:DWORD dst_unused:UNUSED_PAD src0_sel:DWORD src1_sel:WORD_1
	global_store_short v[4:5], v2, off
	s_mov_b64 s[2:3], 0
.LBB126_98:
	s_mov_b64 s[26:27], 0
.LBB126_99:
	s_and_b64 vcc, exec, s[26:27]
	s_cbranch_vccz .LBB126_102
; %bb.100:
	s_cmp_eq_u32 s35, 11
	s_mov_b64 s[2:3], -1
	s_cbranch_scc0 .LBB126_102
; %bb.101:
	v_cmp_neq_f64_e32 vcc, 0, v[0:1]
	s_mov_b64 s[2:3], 0
	s_mov_b64 s[20:21], -1
	v_cndmask_b32_e64 v2, 0, 1, vcc
	global_store_byte v[4:5], v2, off
.LBB126_102:
	s_branch .LBB126_20
.LBB126_103:
	s_and_b32 s26, 0xffff, s34
	s_cmp_lt_i32 s26, 5
	s_mov_b64 s[20:21], -1
	s_cbranch_scc1 .LBB126_124
; %bb.104:
	s_cmp_lt_i32 s26, 8
	s_cbranch_scc1 .LBB126_114
; %bb.105:
	s_cmp_lt_i32 s26, 9
	s_cbranch_scc1 .LBB126_111
; %bb.106:
	s_cmp_gt_i32 s26, 9
	s_cbranch_scc0 .LBB126_108
; %bb.107:
	v_mov_b32_e32 v2, 0
	v_mov_b32_e32 v3, v2
	global_store_dwordx4 v[4:5], v[0:3], off
	s_mov_b64 s[20:21], 0
.LBB126_108:
	s_andn2_b64 vcc, exec, s[20:21]
	s_cbranch_vccnz .LBB126_110
; %bb.109:
	v_cvt_f32_f64_e32 v2, v[0:1]
	v_mov_b32_e32 v3, 0
	global_store_dwordx2 v[4:5], v[2:3], off
.LBB126_110:
	s_mov_b64 s[20:21], 0
.LBB126_111:
	s_andn2_b64 vcc, exec, s[20:21]
	s_cbranch_vccnz .LBB126_113
; %bb.112:
	s_movk_i32 s20, 0x1ff
	v_and_or_b32 v2, v1, s20, v0
	v_cmp_ne_u32_e32 vcc, 0, v2
	v_cndmask_b32_e64 v2, 0, 1, vcc
	v_lshrrev_b32_e32 v3, 8, v1
	s_movk_i32 s20, 0xffe
	v_bfe_u32 v6, v1, 20, 11
	v_and_or_b32 v2, v3, s20, v2
	v_sub_u32_e32 v7, 0x3f1, v6
	v_or_b32_e32 v3, 0x1000, v2
	v_med3_i32 v7, v7, 0, 13
	v_lshrrev_b32_e32 v8, v7, v3
	v_lshlrev_b32_e32 v7, v7, v8
	v_cmp_ne_u32_e32 vcc, v7, v3
	v_cndmask_b32_e64 v3, 0, 1, vcc
	v_add_u32_e32 v6, 0xfffffc10, v6
	v_or_b32_e32 v3, v8, v3
	v_lshl_or_b32 v7, v6, 12, v2
	v_cmp_gt_i32_e32 vcc, 1, v6
	v_cndmask_b32_e32 v3, v7, v3, vcc
	v_and_b32_e32 v7, 7, v3
	v_cmp_lt_i32_e32 vcc, 5, v7
	v_cndmask_b32_e64 v8, 0, 1, vcc
	v_cmp_eq_u32_e32 vcc, 3, v7
	v_cndmask_b32_e64 v7, 0, 1, vcc
	v_or_b32_e32 v7, v7, v8
	v_lshrrev_b32_e32 v3, 2, v3
	v_add_u32_e32 v3, v3, v7
	v_mov_b32_e32 v7, 0x7c00
	v_cmp_gt_i32_e32 vcc, 31, v6
	v_cndmask_b32_e32 v3, v7, v3, vcc
	v_mov_b32_e32 v8, 0x7e00
	v_cmp_ne_u32_e32 vcc, 0, v2
	s_movk_i32 s20, 0x40f
	v_cndmask_b32_e32 v2, v7, v8, vcc
	v_cmp_eq_u32_e32 vcc, s20, v6
	v_cndmask_b32_e32 v2, v3, v2, vcc
	v_lshrrev_b32_e32 v3, 16, v1
	s_mov_b32 s20, 0x8000
	v_and_or_b32 v2, v3, s20, v2
	v_and_b32_e32 v2, 0xffff, v2
	global_store_dword v[4:5], v2, off
.LBB126_113:
	s_mov_b64 s[20:21], 0
.LBB126_114:
	s_andn2_b64 vcc, exec, s[20:21]
	s_cbranch_vccnz .LBB126_123
; %bb.115:
	s_cmp_lt_i32 s26, 6
	s_mov_b64 s[20:21], -1
	s_cbranch_scc1 .LBB126_121
; %bb.116:
	s_cmp_gt_i32 s26, 6
	s_cbranch_scc0 .LBB126_118
; %bb.117:
	global_store_dwordx2 v[4:5], v[0:1], off
	s_mov_b64 s[20:21], 0
.LBB126_118:
	s_andn2_b64 vcc, exec, s[20:21]
	s_cbranch_vccnz .LBB126_120
; %bb.119:
	v_cvt_f32_f64_e32 v2, v[0:1]
	global_store_dword v[4:5], v2, off
.LBB126_120:
	s_mov_b64 s[20:21], 0
.LBB126_121:
	s_andn2_b64 vcc, exec, s[20:21]
	s_cbranch_vccnz .LBB126_123
; %bb.122:
	s_movk_i32 s20, 0x1ff
	v_and_or_b32 v2, v1, s20, v0
	v_cmp_ne_u32_e32 vcc, 0, v2
	v_cndmask_b32_e64 v2, 0, 1, vcc
	v_lshrrev_b32_e32 v3, 8, v1
	s_movk_i32 s20, 0xffe
	v_bfe_u32 v6, v1, 20, 11
	v_and_or_b32 v2, v3, s20, v2
	v_sub_u32_e32 v7, 0x3f1, v6
	v_or_b32_e32 v3, 0x1000, v2
	v_med3_i32 v7, v7, 0, 13
	v_lshrrev_b32_e32 v8, v7, v3
	v_lshlrev_b32_e32 v7, v7, v8
	v_cmp_ne_u32_e32 vcc, v7, v3
	v_cndmask_b32_e64 v3, 0, 1, vcc
	v_add_u32_e32 v6, 0xfffffc10, v6
	v_or_b32_e32 v3, v8, v3
	v_lshl_or_b32 v7, v6, 12, v2
	v_cmp_gt_i32_e32 vcc, 1, v6
	v_cndmask_b32_e32 v3, v7, v3, vcc
	v_and_b32_e32 v7, 7, v3
	v_cmp_lt_i32_e32 vcc, 5, v7
	v_cndmask_b32_e64 v8, 0, 1, vcc
	v_cmp_eq_u32_e32 vcc, 3, v7
	v_cndmask_b32_e64 v7, 0, 1, vcc
	v_or_b32_e32 v7, v7, v8
	v_lshrrev_b32_e32 v3, 2, v3
	v_add_u32_e32 v3, v3, v7
	v_mov_b32_e32 v7, 0x7c00
	v_cmp_gt_i32_e32 vcc, 31, v6
	v_cndmask_b32_e32 v3, v7, v3, vcc
	v_mov_b32_e32 v8, 0x7e00
	v_cmp_ne_u32_e32 vcc, 0, v2
	s_movk_i32 s20, 0x40f
	v_cndmask_b32_e32 v2, v7, v8, vcc
	v_cmp_eq_u32_e32 vcc, s20, v6
	v_cndmask_b32_e32 v2, v3, v2, vcc
	v_lshrrev_b32_e32 v3, 16, v1
	s_mov_b32 s20, 0x8000
	v_and_or_b32 v2, v3, s20, v2
	global_store_short v[4:5], v2, off
.LBB126_123:
	s_mov_b64 s[20:21], 0
.LBB126_124:
	s_andn2_b64 vcc, exec, s[20:21]
	s_cbranch_vccnz .LBB126_140
; %bb.125:
	s_cmp_lt_i32 s26, 2
	s_mov_b64 s[20:21], -1
	s_cbranch_scc1 .LBB126_135
; %bb.126:
	s_cmp_lt_i32 s26, 3
	s_cbranch_scc1 .LBB126_132
; %bb.127:
	s_cmp_gt_i32 s26, 3
	s_cbranch_scc0 .LBB126_129
; %bb.128:
	v_trunc_f64_e32 v[2:3], v[0:1]
	s_movk_i32 s20, 0xffe0
	v_ldexp_f64 v[6:7], v[2:3], s20
	s_mov_b32 s20, 0
	s_mov_b32 s21, 0xc1f00000
	v_floor_f64_e32 v[6:7], v[6:7]
	v_fma_f64 v[2:3], v[6:7], s[20:21], v[2:3]
	v_cvt_i32_f64_e32 v7, v[6:7]
	s_mov_b64 s[20:21], 0
	v_cvt_u32_f64_e32 v6, v[2:3]
	global_store_dwordx2 v[4:5], v[6:7], off
.LBB126_129:
	s_andn2_b64 vcc, exec, s[20:21]
	s_cbranch_vccnz .LBB126_131
; %bb.130:
	v_cvt_i32_f64_e32 v2, v[0:1]
	global_store_dword v[4:5], v2, off
.LBB126_131:
	s_mov_b64 s[20:21], 0
.LBB126_132:
	s_andn2_b64 vcc, exec, s[20:21]
	s_cbranch_vccnz .LBB126_134
; %bb.133:
	v_cvt_i32_f64_e32 v2, v[0:1]
	global_store_short v[4:5], v2, off
.LBB126_134:
	s_mov_b64 s[20:21], 0
.LBB126_135:
	s_andn2_b64 vcc, exec, s[20:21]
	s_cbranch_vccnz .LBB126_140
; %bb.136:
	s_cmp_gt_i32 s26, 0
	s_mov_b64 s[20:21], -1
	s_cbranch_scc0 .LBB126_138
; %bb.137:
	v_cvt_i32_f64_e32 v2, v[0:1]
	s_mov_b64 s[20:21], 0
	global_store_byte v[4:5], v2, off
.LBB126_138:
	s_andn2_b64 vcc, exec, s[20:21]
	s_cbranch_vccnz .LBB126_140
; %bb.139:
	v_trunc_f64_e32 v[0:1], v[0:1]
	s_movk_i32 s20, 0xffe0
	v_ldexp_f64 v[2:3], v[0:1], s20
	s_mov_b32 s20, 0
	s_mov_b32 s21, 0xc1f00000
	v_floor_f64_e32 v[2:3], v[2:3]
	v_fma_f64 v[0:1], v[2:3], s[20:21], v[0:1]
	v_cvt_u32_f64_e32 v0, v[0:1]
	global_store_byte v[4:5], v0, off
.LBB126_140:
	s_branch .LBB126_21
.LBB126_141:
	s_mov_b64 s[26:27], 0
                                        ; implicit-def: $vgpr10
	s_branch .LBB126_251
.LBB126_142:
	s_mov_b64 s[22:23], -1
                                        ; implicit-def: $vgpr2_vgpr3
.LBB126_143:
	s_mov_b64 s[20:21], 0
.LBB126_144:
	s_and_b64 vcc, exec, s[20:21]
	s_cbranch_vccz .LBB126_148
; %bb.145:
	s_cmp_eq_u32 s30, 29
	s_cbranch_scc0 .LBB126_147
; %bb.146:
	global_load_dwordx2 v[2:3], v[0:1], off
	s_mov_b64 s[2:3], -1
	s_mov_b64 s[22:23], 0
	s_mov_b64 s[20:21], 0
	s_waitcnt vmcnt(0)
	v_cvt_f64_u32_e32 v[3:4], v3
	v_cvt_f64_u32_e32 v[5:6], v2
	v_ldexp_f64 v[3:4], v[3:4], 32
	v_add_f64 v[2:3], v[3:4], v[5:6]
	s_branch .LBB126_149
.LBB126_147:
	s_mov_b64 s[22:23], -1
                                        ; implicit-def: $vgpr2_vgpr3
.LBB126_148:
	s_mov_b64 s[20:21], 0
.LBB126_149:
	s_and_b64 vcc, exec, s[20:21]
	s_cbranch_vccz .LBB126_169
; %bb.150:
	s_cmp_lt_i32 s30, 27
	s_cbranch_scc1 .LBB126_153
; %bb.151:
	s_cmp_gt_i32 s30, 27
	s_cbranch_scc0 .LBB126_154
; %bb.152:
	global_load_dword v2, v[0:1], off
	s_mov_b64 s[2:3], 0
	s_waitcnt vmcnt(0)
	v_cvt_f64_u32_e32 v[2:3], v2
	s_branch .LBB126_155
.LBB126_153:
	s_mov_b64 s[2:3], -1
                                        ; implicit-def: $vgpr2_vgpr3
	s_branch .LBB126_158
.LBB126_154:
	s_mov_b64 s[2:3], -1
                                        ; implicit-def: $vgpr2_vgpr3
.LBB126_155:
	s_andn2_b64 vcc, exec, s[2:3]
	s_cbranch_vccnz .LBB126_157
; %bb.156:
	global_load_ushort v2, v[0:1], off
	s_waitcnt vmcnt(0)
	v_cvt_f64_u32_e32 v[2:3], v2
.LBB126_157:
	s_mov_b64 s[2:3], 0
.LBB126_158:
	s_andn2_b64 vcc, exec, s[2:3]
	s_cbranch_vccnz .LBB126_168
; %bb.159:
	global_load_ubyte v4, v[0:1], off
	s_movk_i32 s2, 0x7f
	s_waitcnt vmcnt(0)
	v_cmp_lt_i16_e32 vcc, s2, v4
	s_mov_b64 s[2:3], 0
	s_and_saveexec_b64 s[20:21], vcc
	s_xor_b64 s[20:21], exec, s[20:21]
	s_cbranch_execz .LBB126_163
; %bb.160:
	s_movk_i32 s2, 0x80
	v_cmp_eq_u16_e32 vcc, s2, v4
	s_mov_b64 s[2:3], -1
	s_and_saveexec_b64 s[26:27], vcc
; %bb.161:
	s_xor_b64 s[2:3], exec, -1
; %bb.162:
	s_or_b64 exec, exec, s[26:27]
	s_and_b64 s[2:3], s[2:3], exec
.LBB126_163:
	s_or_saveexec_b64 s[20:21], s[20:21]
	v_bfrev_b32_e32 v2, 4
	v_mov_b32_e32 v3, 0x7ff80000
	s_xor_b64 exec, exec, s[20:21]
; %bb.164:
	v_cmp_ne_u16_e32 vcc, 0, v4
	v_mov_b32_e32 v2, 0
	s_andn2_b64 s[2:3], s[2:3], exec
	s_and_b64 s[26:27], vcc, exec
	v_mov_b32_e32 v3, 0
	s_or_b64 s[2:3], s[2:3], s[26:27]
; %bb.165:
	s_or_b64 exec, exec, s[20:21]
	s_and_saveexec_b64 s[20:21], s[2:3]
	s_cbranch_execz .LBB126_167
; %bb.166:
	v_and_b32_e32 v3, 0xffff, v4
	v_lshlrev_b32_e32 v2, 24, v4
	v_and_b32_e32 v4, 7, v3
	v_ffbh_u32_e32 v6, v4
	v_min_u32_e32 v6, 32, v6
	v_subrev_u32_e32 v7, 28, v6
	v_bfe_u32 v5, v3, 3, 4
	v_lshlrev_b32_e32 v3, v7, v3
	v_sub_u32_e32 v6, 29, v6
	v_and_b32_e32 v3, 7, v3
	v_cmp_eq_u32_e32 vcc, 0, v5
	v_cndmask_b32_e32 v5, v5, v6, vcc
	v_cndmask_b32_e32 v3, v4, v3, vcc
	v_mov_b32_e32 v4, 0x3b800000
	v_lshlrev_b32_e32 v3, 20, v3
	v_and_b32_e32 v2, 0x80000000, v2
	v_lshl_add_u32 v4, v5, 23, v4
	v_or3_b32 v2, v2, v4, v3
	v_cvt_f64_f32_e32 v[2:3], v2
.LBB126_167:
	s_or_b64 exec, exec, s[20:21]
.LBB126_168:
	s_mov_b64 s[2:3], -1
.LBB126_169:
	s_branch .LBB126_202
.LBB126_170:
	s_cmp_gt_i32 s30, 22
	s_cbranch_scc0 .LBB126_182
; %bb.171:
	s_cmp_lt_i32 s30, 24
	s_cbranch_scc1 .LBB126_183
; %bb.172:
	s_cmp_gt_i32 s30, 24
	s_cbranch_scc0 .LBB126_184
; %bb.173:
	global_load_ubyte v4, v[0:1], off
	s_movk_i32 s2, 0x7f
	s_waitcnt vmcnt(0)
	v_cmp_lt_i16_e32 vcc, s2, v4
	s_mov_b64 s[2:3], 0
	s_and_saveexec_b64 s[20:21], vcc
	s_xor_b64 s[20:21], exec, s[20:21]
	s_cbranch_execz .LBB126_177
; %bb.174:
	s_movk_i32 s2, 0x80
	v_cmp_eq_u16_e32 vcc, s2, v4
	s_mov_b64 s[2:3], -1
	s_and_saveexec_b64 s[26:27], vcc
; %bb.175:
	s_xor_b64 s[2:3], exec, -1
; %bb.176:
	s_or_b64 exec, exec, s[26:27]
	s_and_b64 s[2:3], s[2:3], exec
.LBB126_177:
	s_or_saveexec_b64 s[20:21], s[20:21]
	v_bfrev_b32_e32 v2, 4
	v_mov_b32_e32 v3, 0x7ff80000
	s_xor_b64 exec, exec, s[20:21]
; %bb.178:
	v_cmp_ne_u16_e32 vcc, 0, v4
	v_mov_b32_e32 v2, 0
	s_andn2_b64 s[2:3], s[2:3], exec
	s_and_b64 s[26:27], vcc, exec
	v_mov_b32_e32 v3, 0
	s_or_b64 s[2:3], s[2:3], s[26:27]
; %bb.179:
	s_or_b64 exec, exec, s[20:21]
	s_and_saveexec_b64 s[20:21], s[2:3]
	s_cbranch_execz .LBB126_181
; %bb.180:
	v_and_b32_e32 v3, 0xffff, v4
	v_lshlrev_b32_e32 v2, 24, v4
	v_and_b32_e32 v4, 3, v3
	v_ffbh_u32_e32 v6, v4
	v_min_u32_e32 v6, 32, v6
	v_subrev_u32_e32 v7, 29, v6
	v_bfe_u32 v5, v3, 2, 5
	v_lshlrev_b32_e32 v3, v7, v3
	v_sub_u32_e32 v6, 30, v6
	v_and_b32_e32 v3, 3, v3
	v_cmp_eq_u32_e32 vcc, 0, v5
	v_cndmask_b32_e32 v5, v5, v6, vcc
	v_cndmask_b32_e32 v3, v4, v3, vcc
	v_mov_b32_e32 v4, 0x37800000
	v_lshlrev_b32_e32 v3, 21, v3
	v_and_b32_e32 v2, 0x80000000, v2
	v_lshl_add_u32 v4, v5, 23, v4
	v_or3_b32 v2, v2, v4, v3
	v_cvt_f64_f32_e32 v[2:3], v2
.LBB126_181:
	s_or_b64 exec, exec, s[20:21]
	s_mov_b64 s[2:3], 0
	s_branch .LBB126_185
.LBB126_182:
	s_mov_b64 s[20:21], -1
                                        ; implicit-def: $vgpr2_vgpr3
	s_branch .LBB126_191
.LBB126_183:
	s_mov_b64 s[2:3], -1
                                        ; implicit-def: $vgpr2_vgpr3
	s_branch .LBB126_188
.LBB126_184:
	s_mov_b64 s[2:3], -1
                                        ; implicit-def: $vgpr2_vgpr3
.LBB126_185:
	s_and_b64 vcc, exec, s[2:3]
	s_cbranch_vccz .LBB126_187
; %bb.186:
	global_load_ubyte v2, v[0:1], off
	s_mov_b32 s2, 0x7f800000
	s_waitcnt vmcnt(0)
	v_lshlrev_b32_e32 v2, 24, v2
	v_and_b32_e32 v3, 0x7f000000, v2
	v_ffbh_u32_e32 v4, v3
	v_min_u32_e32 v4, 32, v4
	v_sub_u32_e64 v4, v4, 4 clamp
	v_lshlrev_b32_e32 v6, v4, v3
	v_lshlrev_b32_e32 v4, 23, v4
	v_lshrrev_b32_e32 v6, 4, v6
	v_add_u32_e32 v5, 0x1000000, v3
	v_sub_u32_e32 v4, v6, v4
	v_ashrrev_i32_e32 v5, 8, v5
	v_add_u32_e32 v4, 0x3c000000, v4
	v_and_or_b32 v4, v5, s2, v4
	v_cmp_ne_u32_e32 vcc, 0, v3
	v_cndmask_b32_e32 v3, 0, v4, vcc
	s_brev_b32 s2, 1
	v_and_or_b32 v2, v2, s2, v3
	v_cvt_f64_f32_e32 v[2:3], v2
.LBB126_187:
	s_mov_b64 s[2:3], 0
.LBB126_188:
	s_andn2_b64 vcc, exec, s[2:3]
	s_cbranch_vccnz .LBB126_190
; %bb.189:
	global_load_ubyte v2, v[0:1], off
	s_movk_i32 s2, 0x7f00
	s_brev_b32 s3, 16
	s_waitcnt vmcnt(0)
	v_lshlrev_b16_e32 v3, 8, v2
	v_lshlrev_b32_e32 v2, 25, v2
	v_lshrrev_b32_e32 v4, 4, v2
	v_and_or_b32 v5, v3, s2, 0.5
	v_or_b32_e32 v4, 0x70000000, v4
	v_add_f32_e32 v5, -0.5, v5
	v_mul_f32_e32 v4, 0x7800000, v4
	v_cmp_gt_u32_e32 vcc, s3, v2
	v_bfe_i32 v3, v3, 0, 16
	v_cndmask_b32_e32 v2, v4, v5, vcc
	s_brev_b32 s2, 1
	v_and_or_b32 v2, v3, s2, v2
	v_cvt_f64_f32_e32 v[2:3], v2
.LBB126_190:
	s_mov_b64 s[20:21], 0
	s_mov_b64 s[2:3], -1
.LBB126_191:
	s_andn2_b64 vcc, exec, s[20:21]
	s_cbranch_vccnz .LBB126_202
; %bb.192:
	s_cmp_gt_i32 s30, 14
	s_cbranch_scc0 .LBB126_195
; %bb.193:
	s_cmp_eq_u32 s30, 15
	s_cbranch_scc0 .LBB126_196
; %bb.194:
	global_load_ushort v2, v[0:1], off
	s_mov_b64 s[2:3], -1
	s_mov_b64 s[22:23], 0
	s_waitcnt vmcnt(0)
	v_lshlrev_b32_e32 v2, 16, v2
	v_cvt_f64_f32_e32 v[2:3], v2
	s_branch .LBB126_197
.LBB126_195:
	s_mov_b64 s[20:21], -1
                                        ; implicit-def: $vgpr2_vgpr3
	s_branch .LBB126_198
.LBB126_196:
	s_mov_b64 s[22:23], -1
                                        ; implicit-def: $vgpr2_vgpr3
.LBB126_197:
	s_mov_b64 s[20:21], 0
.LBB126_198:
	s_and_b64 vcc, exec, s[20:21]
	s_cbranch_vccz .LBB126_202
; %bb.199:
	s_cmp_eq_u32 s30, 11
	s_cbranch_scc0 .LBB126_201
; %bb.200:
	global_load_ubyte v3, v[0:1], off
	v_mov_b32_e32 v4, 0x3ff00000
	v_mov_b32_e32 v2, 0
	s_mov_b64 s[2:3], -1
	s_mov_b64 s[22:23], 0
	s_waitcnt vmcnt(0)
	v_cmp_ne_u16_e32 vcc, 0, v3
	v_cndmask_b32_e32 v3, 0, v4, vcc
	s_branch .LBB126_202
.LBB126_201:
	s_mov_b64 s[22:23], -1
                                        ; implicit-def: $vgpr2_vgpr3
.LBB126_202:
	s_branch .LBB126_10
.LBB126_203:
	s_cmp_lt_i32 s30, 5
	s_cbranch_scc1 .LBB126_208
; %bb.204:
	s_cmp_lt_i32 s30, 8
	s_cbranch_scc1 .LBB126_209
; %bb.205:
	;; [unrolled: 3-line block ×3, first 2 shown]
	s_cmp_gt_i32 s30, 9
	s_cbranch_scc0 .LBB126_211
; %bb.207:
	global_load_dwordx2 v[2:3], v[0:1], off
	s_mov_b64 s[2:3], 0
	s_branch .LBB126_212
.LBB126_208:
                                        ; implicit-def: $vgpr2_vgpr3
	s_branch .LBB126_230
.LBB126_209:
	s_mov_b64 s[2:3], -1
                                        ; implicit-def: $vgpr2_vgpr3
	s_branch .LBB126_218
.LBB126_210:
	s_mov_b64 s[2:3], -1
                                        ; implicit-def: $vgpr2_vgpr3
	s_branch .LBB126_215
.LBB126_211:
	s_mov_b64 s[2:3], -1
                                        ; implicit-def: $vgpr2_vgpr3
.LBB126_212:
	s_andn2_b64 vcc, exec, s[2:3]
	s_cbranch_vccnz .LBB126_214
; %bb.213:
	global_load_dword v2, v[0:1], off
	s_waitcnt vmcnt(0)
	v_cvt_f64_f32_e32 v[2:3], v2
.LBB126_214:
	s_mov_b64 s[2:3], 0
.LBB126_215:
	s_andn2_b64 vcc, exec, s[2:3]
	s_cbranch_vccnz .LBB126_217
; %bb.216:
	global_load_dword v2, v[0:1], off
	s_waitcnt vmcnt(0)
	v_cvt_f32_f16_e32 v2, v2
	v_cvt_f64_f32_e32 v[2:3], v2
.LBB126_217:
	s_mov_b64 s[2:3], 0
.LBB126_218:
	s_andn2_b64 vcc, exec, s[2:3]
	s_cbranch_vccnz .LBB126_229
; %bb.219:
	s_cmp_lt_i32 s30, 6
	s_cbranch_scc1 .LBB126_222
; %bb.220:
	s_cmp_gt_i32 s30, 6
	s_cbranch_scc0 .LBB126_223
; %bb.221:
	global_load_dwordx2 v[2:3], v[0:1], off
	s_mov_b64 s[2:3], 0
	s_branch .LBB126_224
.LBB126_222:
	s_mov_b64 s[2:3], -1
                                        ; implicit-def: $vgpr2_vgpr3
	s_branch .LBB126_227
.LBB126_223:
	s_mov_b64 s[2:3], -1
                                        ; implicit-def: $vgpr2_vgpr3
.LBB126_224:
	s_andn2_b64 vcc, exec, s[2:3]
	s_cbranch_vccnz .LBB126_226
; %bb.225:
	global_load_dword v2, v[0:1], off
	s_waitcnt vmcnt(0)
	v_cvt_f64_f32_e32 v[2:3], v2
.LBB126_226:
	s_mov_b64 s[2:3], 0
.LBB126_227:
	s_andn2_b64 vcc, exec, s[2:3]
	s_cbranch_vccnz .LBB126_229
; %bb.228:
	global_load_ushort v2, v[0:1], off
	s_waitcnt vmcnt(0)
	v_cvt_f32_f16_e32 v2, v2
	v_cvt_f64_f32_e32 v[2:3], v2
.LBB126_229:
	s_cbranch_execnz .LBB126_249
.LBB126_230:
	s_cmp_lt_i32 s30, 2
	s_cbranch_scc1 .LBB126_234
; %bb.231:
	s_cmp_lt_i32 s30, 3
	s_cbranch_scc1 .LBB126_235
; %bb.232:
	s_cmp_gt_i32 s30, 3
	s_cbranch_scc0 .LBB126_236
; %bb.233:
	global_load_dwordx2 v[2:3], v[0:1], off
	s_mov_b64 s[2:3], 0
	s_waitcnt vmcnt(0)
	v_cvt_f64_i32_e32 v[3:4], v3
	v_cvt_f64_u32_e32 v[5:6], v2
	v_ldexp_f64 v[3:4], v[3:4], 32
	v_add_f64 v[2:3], v[3:4], v[5:6]
	s_branch .LBB126_237
.LBB126_234:
	s_mov_b64 s[2:3], -1
                                        ; implicit-def: $vgpr2_vgpr3
	s_branch .LBB126_243
.LBB126_235:
	s_mov_b64 s[2:3], -1
                                        ; implicit-def: $vgpr2_vgpr3
	s_branch .LBB126_240
.LBB126_236:
	s_mov_b64 s[2:3], -1
                                        ; implicit-def: $vgpr2_vgpr3
.LBB126_237:
	s_andn2_b64 vcc, exec, s[2:3]
	s_cbranch_vccnz .LBB126_239
; %bb.238:
	global_load_dword v2, v[0:1], off
	s_waitcnt vmcnt(0)
	v_cvt_f64_i32_e32 v[2:3], v2
.LBB126_239:
	s_mov_b64 s[2:3], 0
.LBB126_240:
	s_andn2_b64 vcc, exec, s[2:3]
	s_cbranch_vccnz .LBB126_242
; %bb.241:
	global_load_sshort v2, v[0:1], off
	s_waitcnt vmcnt(0)
	v_cvt_f64_i32_e32 v[2:3], v2
.LBB126_242:
	s_mov_b64 s[2:3], 0
.LBB126_243:
	s_andn2_b64 vcc, exec, s[2:3]
	s_cbranch_vccnz .LBB126_249
; %bb.244:
	s_cmp_gt_i32 s30, 0
	s_cbranch_scc0 .LBB126_246
; %bb.245:
	global_load_sbyte v2, v[0:1], off
	s_mov_b64 s[2:3], 0
	s_waitcnt vmcnt(0)
	v_cvt_f64_i32_e32 v[2:3], v2
	s_branch .LBB126_247
.LBB126_246:
	s_mov_b64 s[2:3], -1
                                        ; implicit-def: $vgpr2_vgpr3
.LBB126_247:
	s_andn2_b64 vcc, exec, s[2:3]
	s_cbranch_vccnz .LBB126_249
; %bb.248:
	global_load_ubyte v0, v[0:1], off
	s_waitcnt vmcnt(0)
	v_cvt_f64_u32_e32 v[2:3], v0
.LBB126_249:
	s_branch .LBB126_11
.LBB126_250:
	s_mov_b64 s[2:3], 0
                                        ; implicit-def: $vgpr10
	s_mov_b64 s[26:27], 0
.LBB126_251:
	s_and_b64 s[20:21], s[2:3], exec
	s_and_b64 s[22:23], s[22:23], exec
	s_orn2_b64 s[2:3], s[26:27], exec
.LBB126_252:
	s_or_b64 exec, exec, s[24:25]
	s_mov_b64 s[34:35], 0
	s_mov_b64 s[30:31], 0
                                        ; implicit-def: $vgpr0_vgpr1
                                        ; implicit-def: $vgpr2_vgpr3
	s_and_saveexec_b64 s[24:25], s[2:3]
	s_cbranch_execz .LBB126_261
; %bb.253:
	v_cmp_gt_i32_e32 vcc, s46, v10
	s_mov_b64 s[2:3], -1
	s_mov_b64 s[26:27], s[22:23]
	s_mov_b64 s[28:29], s[20:21]
	s_and_saveexec_b64 s[30:31], vcc
	s_cbranch_execz .LBB126_513
; %bb.254:
	v_mul_lo_u32 v0, v10, s17
	v_mov_b32_e32 v1, s11
	s_and_b32 s36, 0xffff, s50
	s_cmp_lt_i32 s36, 11
	s_waitcnt vmcnt(0)
	v_ashrrev_i32_e32 v2, 31, v0
	v_add_co_u32_e32 v0, vcc, s10, v0
	v_addc_co_u32_e32 v1, vcc, v1, v2, vcc
	s_cbranch_scc1 .LBB126_264
; %bb.255:
	s_cmp_gt_i32 s36, 25
	s_cbranch_scc0 .LBB126_273
; %bb.256:
	s_cmp_gt_i32 s36, 28
	s_cbranch_scc0 .LBB126_275
	;; [unrolled: 3-line block ×4, first 2 shown]
; %bb.259:
	s_cmp_eq_u32 s36, 46
	s_mov_b64 s[28:29], 0
	s_cbranch_scc0 .LBB126_285
; %bb.260:
	global_load_dword v2, v[0:1], off
	s_mov_b64 s[26:27], 0
	s_waitcnt vmcnt(0)
	v_lshlrev_b32_e32 v2, 16, v2
	v_cvt_f64_f32_e32 v[2:3], v2
	s_branch .LBB126_286
.LBB126_261:
	s_or_b64 exec, exec, s[24:25]
	s_mov_b64 s[2:3], 0
	s_and_saveexec_b64 s[24:25], s[22:23]
	s_cbranch_execnz .LBB126_859
.LBB126_262:
	s_or_b64 exec, exec, s[24:25]
	s_and_saveexec_b64 s[22:23], s[28:29]
	s_xor_b64 s[22:23], exec, s[22:23]
	s_cbranch_execz .LBB126_860
.LBB126_263:
	global_load_ubyte v3, v[0:1], off
	v_mov_b32_e32 v4, 0x3ff00000
	s_waitcnt vmcnt(1)
	v_mov_b32_e32 v2, 0
	s_or_b64 s[30:31], s[30:31], exec
	s_waitcnt vmcnt(0)
	v_cmp_ne_u16_e32 vcc, 0, v3
	v_cndmask_b32_e32 v3, 0, v4, vcc
	s_or_b64 exec, exec, s[22:23]
	s_and_saveexec_b64 s[22:23], s[34:35]
	s_cbranch_execz .LBB126_906
	s_branch .LBB126_861
.LBB126_264:
	s_mov_b64 s[2:3], 0
                                        ; implicit-def: $vgpr2_vgpr3
	s_mov_b64 s[26:27], s[22:23]
	s_cbranch_execnz .LBB126_463
.LBB126_265:
	s_andn2_b64 vcc, exec, s[2:3]
	s_cbranch_vccnz .LBB126_511
.LBB126_266:
	v_mul_lo_u32 v4, v10, s16
	v_mov_b32_e32 v0, s15
	s_waitcnt vmcnt(0)
	v_cndmask_b32_e64 v1, v0, v3, s[0:1]
	v_mov_b32_e32 v0, s14
	v_cndmask_b32_e64 v0, v0, v2, s[0:1]
	v_ashrrev_i32_e32 v2, 31, v4
	v_mov_b32_e32 v3, s9
	s_and_b32 s38, s33, 0xff
	v_add_co_u32_e32 v4, vcc, s8, v4
	s_cmp_lt_i32 s38, 11
	v_addc_co_u32_e32 v5, vcc, v3, v2, vcc
	s_cbranch_scc1 .LBB126_274
; %bb.267:
	s_and_b32 s39, 0xffff, s38
	s_cmp_gt_i32 s39, 25
	s_cbranch_scc0 .LBB126_276
; %bb.268:
	s_cmp_gt_i32 s39, 28
	s_cbranch_scc0 .LBB126_278
; %bb.269:
	;; [unrolled: 3-line block ×4, first 2 shown]
	s_mov_b64 s[34:35], 0
	s_mov_b64 s[2:3], -1
	s_cmp_eq_u32 s39, 46
	s_mov_b64 s[28:29], 0
	s_cbranch_scc0 .LBB126_290
; %bb.272:
	v_cvt_f32_f64_e32 v2, v[0:1]
	s_movk_i32 s2, 0x7fff
	v_mov_b32_e32 v3, 0x7fc0
	s_mov_b64 s[28:29], -1
	v_bfe_u32 v6, v2, 16, 1
	v_cmp_o_f32_e32 vcc, v2, v2
	v_add3_u32 v2, v2, v6, s2
	v_cndmask_b32_sdwa v2, v3, v2, vcc dst_sel:DWORD dst_unused:UNUSED_PAD src0_sel:DWORD src1_sel:WORD_1
	global_store_dword v[4:5], v2, off
	s_mov_b64 s[2:3], 0
	s_branch .LBB126_290
.LBB126_273:
	s_mov_b64 s[28:29], -1
	s_mov_b64 s[2:3], 0
	s_mov_b64 s[26:27], s[22:23]
                                        ; implicit-def: $vgpr2_vgpr3
	s_branch .LBB126_429
.LBB126_274:
	s_mov_b64 s[34:35], -1
	s_mov_b64 s[28:29], 0
	s_mov_b64 s[2:3], s[20:21]
	s_branch .LBB126_359
.LBB126_275:
	s_mov_b64 s[28:29], -1
	s_mov_b64 s[2:3], 0
	s_mov_b64 s[26:27], s[22:23]
                                        ; implicit-def: $vgpr2_vgpr3
	s_branch .LBB126_408
.LBB126_276:
	s_mov_b64 s[34:35], -1
	s_mov_b64 s[28:29], 0
	s_mov_b64 s[2:3], s[20:21]
	s_branch .LBB126_317
.LBB126_277:
	s_mov_b64 s[28:29], -1
	s_mov_b64 s[2:3], 0
	s_mov_b64 s[26:27], s[22:23]
                                        ; implicit-def: $vgpr2_vgpr3
	s_branch .LBB126_403
.LBB126_278:
	s_mov_b64 s[34:35], -1
	s_mov_b64 s[28:29], 0
	s_mov_b64 s[2:3], s[20:21]
	s_branch .LBB126_300
.LBB126_279:
	s_andn2_saveexec_b64 s[30:31], s[30:31]
	s_cbranch_execz .LBB126_55
.LBB126_280:
	s_mov_b32 s36, 0x46000000
	v_add_f32_e64 v3, |v2|, s36
	v_and_b32_e32 v3, 0xff, v3
	v_cmp_ne_u32_e32 vcc, 0, v3
	s_andn2_b64 s[26:27], s[26:27], exec
	s_and_b64 s[36:37], vcc, exec
	s_or_b64 s[26:27], s[26:27], s[36:37]
	s_or_b64 exec, exec, s[30:31]
	v_mov_b32_e32 v6, 0
	s_and_saveexec_b64 s[30:31], s[26:27]
	s_cbranch_execnz .LBB126_56
	s_branch .LBB126_57
.LBB126_281:
	s_mov_b64 s[28:29], -1
	s_mov_b64 s[2:3], 0
	s_mov_b64 s[26:27], s[22:23]
                                        ; implicit-def: $vgpr2_vgpr3
	s_branch .LBB126_286
.LBB126_282:
	s_mov_b64 s[34:35], -1
	s_mov_b64 s[28:29], 0
	s_mov_b64 s[2:3], s[20:21]
	s_branch .LBB126_296
.LBB126_283:
	s_andn2_saveexec_b64 s[30:31], s[30:31]
	s_cbranch_execz .LBB126_68
.LBB126_284:
	s_mov_b32 s36, 0x42800000
	v_add_f32_e64 v3, |v2|, s36
	v_and_b32_e32 v3, 0xff, v3
	v_cmp_ne_u32_e32 vcc, 0, v3
	s_andn2_b64 s[26:27], s[26:27], exec
	s_and_b64 s[36:37], vcc, exec
	s_or_b64 s[26:27], s[26:27], s[36:37]
	s_or_b64 exec, exec, s[30:31]
	v_mov_b32_e32 v6, 0
	s_and_saveexec_b64 s[30:31], s[26:27]
	s_cbranch_execnz .LBB126_69
	s_branch .LBB126_70
.LBB126_285:
	s_mov_b64 s[26:27], -1
                                        ; implicit-def: $vgpr2_vgpr3
	s_mov_b64 s[2:3], 0
.LBB126_286:
	s_and_b64 vcc, exec, s[28:29]
	s_cbranch_vccz .LBB126_402
; %bb.287:
	s_cmp_eq_u32 s36, 44
	s_cbranch_scc0 .LBB126_401
; %bb.288:
	global_load_ubyte v4, v[0:1], off
	s_movk_i32 s26, 0xff
	v_bfrev_b32_e32 v5, 4
	v_mov_b32_e32 v6, 0x7ff80000
	v_bfrev_b32_e32 v7, 28
	s_mov_b64 s[2:3], -1
	s_waitcnt vmcnt(0)
	v_lshlrev_b32_e32 v2, 23, v4
	v_cvt_f64_f32_e32 v[2:3], v2
	v_cmp_ne_u32_e32 vcc, s26, v4
	s_mov_b64 s[26:27], 0
	v_cndmask_b32_e32 v2, v5, v2, vcc
	v_cndmask_b32_e32 v3, v6, v3, vcc
	v_cmp_ne_u32_e32 vcc, 0, v4
	v_cndmask_b32_e32 v3, v7, v3, vcc
	v_cndmask_b32_e32 v2, 0, v2, vcc
	s_branch .LBB126_402
.LBB126_289:
	s_mov_b64 s[34:35], -1
	s_mov_b64 s[28:29], 0
	s_mov_b64 s[2:3], s[20:21]
.LBB126_290:
	s_and_b64 vcc, exec, s[34:35]
	s_cbranch_vccz .LBB126_295
; %bb.291:
	s_cmp_eq_u32 s39, 44
	s_mov_b64 s[2:3], -1
	s_cbranch_scc0 .LBB126_295
; %bb.292:
	v_cvt_f32_f64_e32 v2, v[0:1]
	s_movk_i32 s2, 0xff
	v_mov_b32_e32 v6, 0xff
	v_bfe_u32 v3, v2, 23, 8
	v_cmp_ne_u32_e32 vcc, s2, v3
	s_and_saveexec_b64 s[28:29], vcc
; %bb.293:
	s_mov_b32 s2, 0x3fffff
	v_lshrrev_b32_e32 v6, 23, v2
	v_and_b32_e32 v7, 0x400000, v2
	v_and_or_b32 v2, v2, s2, v3
	v_cmp_ne_u32_e32 vcc, 0, v7
	v_cmp_ne_u32_e64 s[2:3], 0, v2
	s_and_b64 s[2:3], vcc, s[2:3]
	v_cndmask_b32_e64 v2, 0, 1, s[2:3]
	v_add_u32_e32 v6, v6, v2
; %bb.294:
	s_or_b64 exec, exec, s[28:29]
	s_mov_b64 s[28:29], -1
	s_mov_b64 s[2:3], 0
	global_store_byte v[4:5], v6, off
.LBB126_295:
	s_mov_b64 s[34:35], 0
.LBB126_296:
	s_and_b64 vcc, exec, s[34:35]
	s_cbranch_vccz .LBB126_299
; %bb.297:
	s_cmp_eq_u32 s39, 29
	s_mov_b64 s[2:3], -1
	s_cbranch_scc0 .LBB126_299
; %bb.298:
	v_trunc_f64_e32 v[2:3], v[0:1]
	s_movk_i32 s2, 0xffe0
	s_mov_b64 s[28:29], -1
	s_mov_b64 s[34:35], 0
	v_ldexp_f64 v[6:7], v[2:3], s2
	s_mov_b32 s2, 0
	s_mov_b32 s3, 0xc1f00000
	v_floor_f64_e32 v[6:7], v[6:7]
	v_fma_f64 v[2:3], v[6:7], s[2:3], v[2:3]
	v_cvt_u32_f64_e32 v7, v[6:7]
	s_mov_b64 s[2:3], 0
	v_cvt_u32_f64_e32 v6, v[2:3]
	global_store_dwordx2 v[4:5], v[6:7], off
	s_branch .LBB126_300
.LBB126_299:
	s_mov_b64 s[34:35], 0
.LBB126_300:
	s_and_b64 vcc, exec, s[34:35]
	s_cbranch_vccz .LBB126_316
; %bb.301:
	s_cmp_lt_i32 s39, 27
	s_mov_b64 s[28:29], -1
	s_cbranch_scc1 .LBB126_307
; %bb.302:
	v_cvt_u32_f64_e32 v2, v[0:1]
	s_cmp_gt_i32 s39, 27
	s_cbranch_scc0 .LBB126_304
; %bb.303:
	s_mov_b64 s[28:29], 0
	global_store_dword v[4:5], v2, off
.LBB126_304:
	s_andn2_b64 vcc, exec, s[28:29]
	s_cbranch_vccnz .LBB126_306
; %bb.305:
	global_store_short v[4:5], v2, off
.LBB126_306:
	s_mov_b64 s[28:29], 0
.LBB126_307:
	s_andn2_b64 vcc, exec, s[28:29]
	s_cbranch_vccnz .LBB126_315
; %bb.308:
	v_cvt_f32_f64_e32 v2, v[0:1]
	s_mov_b32 s28, 0x43800000
	v_mov_b32_e32 v6, 0x80
	v_and_b32_e32 v3, 0x7fffffff, v2
	v_cmp_gt_u32_e32 vcc, s28, v3
	s_and_saveexec_b64 s[28:29], vcc
	s_cbranch_execz .LBB126_314
; %bb.309:
	s_mov_b32 s34, 0x3bffffff
	v_cmp_lt_u32_e32 vcc, s34, v3
	s_mov_b64 s[34:35], 0
                                        ; implicit-def: $vgpr3
	s_and_saveexec_b64 s[36:37], vcc
	s_xor_b64 s[36:37], exec, s[36:37]
	s_cbranch_execz .LBB126_526
; %bb.310:
	v_bfe_u32 v3, v2, 20, 1
	s_mov_b32 s40, 0x487ffff
	v_add3_u32 v3, v2, v3, s40
	s_mov_b64 s[34:35], exec
	v_lshrrev_b32_e32 v3, 20, v3
	s_andn2_saveexec_b64 s[36:37], s[36:37]
	s_cbranch_execnz .LBB126_527
.LBB126_311:
	s_or_b64 exec, exec, s[36:37]
	v_mov_b32_e32 v6, 0
	s_and_saveexec_b64 s[36:37], s[34:35]
.LBB126_312:
	v_lshrrev_b32_e32 v2, 24, v2
	s_movk_i32 s34, 0x80
	v_and_or_b32 v6, v2, s34, v3
.LBB126_313:
	s_or_b64 exec, exec, s[36:37]
.LBB126_314:
	s_or_b64 exec, exec, s[28:29]
	global_store_byte v[4:5], v6, off
.LBB126_315:
	s_mov_b64 s[28:29], -1
.LBB126_316:
	s_mov_b64 s[34:35], 0
.LBB126_317:
	s_and_b64 vcc, exec, s[34:35]
	s_cbranch_vccz .LBB126_358
; %bb.318:
	s_cmp_gt_i32 s39, 22
	s_mov_b64 s[34:35], -1
	s_cbranch_scc0 .LBB126_350
; %bb.319:
	s_cmp_lt_i32 s39, 24
	s_mov_b64 s[28:29], -1
	s_cbranch_scc1 .LBB126_339
; %bb.320:
	s_cmp_gt_i32 s39, 24
	s_cbranch_scc0 .LBB126_328
; %bb.321:
	v_cvt_f32_f64_e32 v2, v[0:1]
	s_mov_b32 s28, 0x47800000
	v_mov_b32_e32 v6, 0x80
	v_and_b32_e32 v3, 0x7fffffff, v2
	v_cmp_gt_u32_e32 vcc, s28, v3
	s_and_saveexec_b64 s[28:29], vcc
	s_cbranch_execz .LBB126_327
; %bb.322:
	s_mov_b32 s34, 0x37ffffff
	v_cmp_lt_u32_e32 vcc, s34, v3
	s_mov_b64 s[34:35], 0
                                        ; implicit-def: $vgpr3
	s_and_saveexec_b64 s[36:37], vcc
	s_xor_b64 s[36:37], exec, s[36:37]
	s_cbranch_execz .LBB126_529
; %bb.323:
	v_bfe_u32 v3, v2, 21, 1
	s_mov_b32 s40, 0x88fffff
	v_add3_u32 v3, v2, v3, s40
	s_mov_b64 s[34:35], exec
	v_lshrrev_b32_e32 v3, 21, v3
	s_andn2_saveexec_b64 s[36:37], s[36:37]
	s_cbranch_execnz .LBB126_530
.LBB126_324:
	s_or_b64 exec, exec, s[36:37]
	v_mov_b32_e32 v6, 0
	s_and_saveexec_b64 s[36:37], s[34:35]
.LBB126_325:
	v_lshrrev_b32_e32 v2, 24, v2
	s_movk_i32 s34, 0x80
	v_and_or_b32 v6, v2, s34, v3
.LBB126_326:
	s_or_b64 exec, exec, s[36:37]
.LBB126_327:
	s_or_b64 exec, exec, s[28:29]
	s_mov_b64 s[28:29], 0
	global_store_byte v[4:5], v6, off
.LBB126_328:
	s_and_b64 vcc, exec, s[28:29]
	s_cbranch_vccz .LBB126_338
; %bb.329:
	v_cvt_f32_f64_e32 v2, v[0:1]
	s_mov_b32 s28, 0x43f00000
                                        ; implicit-def: $vgpr3
	v_and_b32_e32 v6, 0x7fffffff, v2
	v_cmp_gt_u32_e32 vcc, s28, v6
	s_and_saveexec_b64 s[28:29], vcc
	s_xor_b64 s[28:29], exec, s[28:29]
	s_cbranch_execz .LBB126_335
; %bb.330:
	s_mov_b32 s34, 0x3c7fffff
	v_cmp_lt_u32_e32 vcc, s34, v6
                                        ; implicit-def: $vgpr3
	s_and_saveexec_b64 s[34:35], vcc
	s_xor_b64 s[34:35], exec, s[34:35]
; %bb.331:
	v_bfe_u32 v3, v2, 20, 1
	s_mov_b32 s36, 0x407ffff
	v_add3_u32 v3, v2, v3, s36
	v_lshrrev_b32_e32 v6, 20, v3
	v_and_b32_e32 v3, 0xff00000, v3
	s_mov_b32 s36, 0x7f00000
	v_mov_b32_e32 v7, 0x7e
	v_cmp_ne_u32_e32 vcc, s36, v3
	v_cndmask_b32_e32 v3, v7, v6, vcc
; %bb.332:
	s_andn2_saveexec_b64 s[34:35], s[34:35]
; %bb.333:
	s_mov_b32 s36, 0x46800000
	v_add_f32_e64 v3, |v2|, s36
; %bb.334:
	s_or_b64 exec, exec, s[34:35]
                                        ; implicit-def: $vgpr6
.LBB126_335:
	s_andn2_saveexec_b64 s[28:29], s[28:29]
; %bb.336:
	s_mov_b32 s34, 0x7f800000
	v_mov_b32_e32 v3, 0x7e
	v_mov_b32_e32 v7, 0x7f
	v_cmp_lt_u32_e32 vcc, s34, v6
	v_cndmask_b32_e32 v3, v3, v7, vcc
; %bb.337:
	s_or_b64 exec, exec, s[28:29]
	v_lshrrev_b32_e32 v2, 24, v2
	s_movk_i32 s28, 0x80
	v_and_or_b32 v2, v2, s28, v3
	global_store_byte v[4:5], v2, off
.LBB126_338:
	s_mov_b64 s[28:29], 0
.LBB126_339:
	s_andn2_b64 vcc, exec, s[28:29]
	s_cbranch_vccnz .LBB126_349
; %bb.340:
	v_cvt_f32_f64_e32 v2, v[0:1]
	s_mov_b32 s28, 0x47800000
                                        ; implicit-def: $vgpr3
	v_and_b32_e32 v6, 0x7fffffff, v2
	v_cmp_gt_u32_e32 vcc, s28, v6
	s_and_saveexec_b64 s[28:29], vcc
	s_xor_b64 s[28:29], exec, s[28:29]
	s_cbranch_execz .LBB126_346
; %bb.341:
	s_mov_b32 s34, 0x387fffff
	v_cmp_lt_u32_e32 vcc, s34, v6
                                        ; implicit-def: $vgpr3
	s_and_saveexec_b64 s[34:35], vcc
	s_xor_b64 s[34:35], exec, s[34:35]
; %bb.342:
	v_bfe_u32 v3, v2, 21, 1
	s_mov_b32 s36, 0x80fffff
	v_add3_u32 v3, v2, v3, s36
	v_lshrrev_b32_e32 v3, 21, v3
; %bb.343:
	s_andn2_saveexec_b64 s[34:35], s[34:35]
; %bb.344:
	s_mov_b32 s36, 0x43000000
	v_add_f32_e64 v3, |v2|, s36
; %bb.345:
	s_or_b64 exec, exec, s[34:35]
                                        ; implicit-def: $vgpr6
.LBB126_346:
	s_andn2_saveexec_b64 s[28:29], s[28:29]
; %bb.347:
	s_mov_b32 s34, 0x7f800000
	v_mov_b32_e32 v3, 0x7c
	v_mov_b32_e32 v7, 0x7f
	v_cmp_lt_u32_e32 vcc, s34, v6
	v_cndmask_b32_e32 v3, v3, v7, vcc
; %bb.348:
	s_or_b64 exec, exec, s[28:29]
	v_lshrrev_b32_e32 v2, 24, v2
	s_movk_i32 s28, 0x80
	v_and_or_b32 v2, v2, s28, v3
	global_store_byte v[4:5], v2, off
.LBB126_349:
	s_mov_b64 s[34:35], 0
	s_mov_b64 s[28:29], -1
.LBB126_350:
	s_andn2_b64 vcc, exec, s[34:35]
	s_cbranch_vccnz .LBB126_358
; %bb.351:
	s_cmp_gt_i32 s39, 14
	s_mov_b64 s[34:35], -1
	s_cbranch_scc0 .LBB126_355
; %bb.352:
	s_cmp_eq_u32 s39, 15
	s_mov_b64 s[2:3], -1
	s_cbranch_scc0 .LBB126_354
; %bb.353:
	v_cvt_f32_f64_e32 v2, v[0:1]
	s_movk_i32 s2, 0x7fff
	v_mov_b32_e32 v3, 0x7fc0
	s_mov_b64 s[28:29], -1
	v_bfe_u32 v6, v2, 16, 1
	v_cmp_o_f32_e32 vcc, v2, v2
	v_add3_u32 v2, v2, v6, s2
	v_cndmask_b32_sdwa v2, v3, v2, vcc dst_sel:DWORD dst_unused:UNUSED_PAD src0_sel:DWORD src1_sel:WORD_1
	global_store_short v[4:5], v2, off
	s_mov_b64 s[2:3], 0
.LBB126_354:
	s_mov_b64 s[34:35], 0
.LBB126_355:
	s_and_b64 vcc, exec, s[34:35]
	s_cbranch_vccz .LBB126_358
; %bb.356:
	s_cmp_eq_u32 s39, 11
	s_mov_b64 s[2:3], -1
	s_cbranch_scc0 .LBB126_358
; %bb.357:
	v_cmp_neq_f64_e32 vcc, 0, v[0:1]
	s_mov_b64 s[2:3], 0
	s_mov_b64 s[28:29], -1
	v_cndmask_b32_e64 v2, 0, 1, vcc
	global_store_byte v[4:5], v2, off
.LBB126_358:
	s_mov_b64 s[34:35], 0
.LBB126_359:
	s_and_b64 vcc, exec, s[34:35]
	s_cbranch_vccz .LBB126_398
; %bb.360:
	s_and_b32 s34, 0xffff, s38
	s_cmp_lt_i32 s34, 5
	s_mov_b64 s[28:29], -1
	s_cbranch_scc1 .LBB126_381
; %bb.361:
	s_cmp_lt_i32 s34, 8
	s_cbranch_scc1 .LBB126_371
; %bb.362:
	s_cmp_lt_i32 s34, 9
	s_cbranch_scc1 .LBB126_368
; %bb.363:
	s_cmp_gt_i32 s34, 9
	s_cbranch_scc0 .LBB126_365
; %bb.364:
	v_mov_b32_e32 v2, 0
	v_mov_b32_e32 v3, v2
	s_mov_b64 s[28:29], 0
	global_store_dwordx4 v[4:5], v[0:3], off
.LBB126_365:
	s_andn2_b64 vcc, exec, s[28:29]
	s_cbranch_vccnz .LBB126_367
; %bb.366:
	v_cvt_f32_f64_e32 v2, v[0:1]
	v_mov_b32_e32 v3, 0
	global_store_dwordx2 v[4:5], v[2:3], off
.LBB126_367:
	s_mov_b64 s[28:29], 0
.LBB126_368:
	s_andn2_b64 vcc, exec, s[28:29]
	s_cbranch_vccnz .LBB126_370
; %bb.369:
	s_movk_i32 s28, 0x1ff
	v_and_or_b32 v2, v1, s28, v0
	v_cmp_ne_u32_e32 vcc, 0, v2
	v_cndmask_b32_e64 v2, 0, 1, vcc
	v_lshrrev_b32_e32 v3, 8, v1
	s_movk_i32 s28, 0xffe
	v_bfe_u32 v6, v1, 20, 11
	v_and_or_b32 v2, v3, s28, v2
	v_sub_u32_e32 v7, 0x3f1, v6
	v_or_b32_e32 v3, 0x1000, v2
	v_med3_i32 v7, v7, 0, 13
	v_lshrrev_b32_e32 v8, v7, v3
	v_lshlrev_b32_e32 v7, v7, v8
	v_cmp_ne_u32_e32 vcc, v7, v3
	v_cndmask_b32_e64 v3, 0, 1, vcc
	v_add_u32_e32 v6, 0xfffffc10, v6
	v_or_b32_e32 v3, v8, v3
	v_lshl_or_b32 v7, v6, 12, v2
	v_cmp_gt_i32_e32 vcc, 1, v6
	v_cndmask_b32_e32 v3, v7, v3, vcc
	v_and_b32_e32 v7, 7, v3
	v_cmp_lt_i32_e32 vcc, 5, v7
	v_cndmask_b32_e64 v8, 0, 1, vcc
	v_cmp_eq_u32_e32 vcc, 3, v7
	v_cndmask_b32_e64 v7, 0, 1, vcc
	v_or_b32_e32 v7, v7, v8
	v_lshrrev_b32_e32 v3, 2, v3
	v_add_u32_e32 v3, v3, v7
	v_mov_b32_e32 v7, 0x7c00
	v_cmp_gt_i32_e32 vcc, 31, v6
	v_cndmask_b32_e32 v3, v7, v3, vcc
	v_mov_b32_e32 v8, 0x7e00
	v_cmp_ne_u32_e32 vcc, 0, v2
	s_movk_i32 s28, 0x40f
	v_cndmask_b32_e32 v2, v7, v8, vcc
	v_cmp_eq_u32_e32 vcc, s28, v6
	v_cndmask_b32_e32 v2, v3, v2, vcc
	v_lshrrev_b32_e32 v3, 16, v1
	s_mov_b32 s28, 0x8000
	v_and_or_b32 v2, v3, s28, v2
	v_and_b32_e32 v2, 0xffff, v2
	global_store_dword v[4:5], v2, off
.LBB126_370:
	s_mov_b64 s[28:29], 0
.LBB126_371:
	s_andn2_b64 vcc, exec, s[28:29]
	s_cbranch_vccnz .LBB126_380
; %bb.372:
	s_cmp_lt_i32 s34, 6
	s_mov_b64 s[28:29], -1
	s_cbranch_scc1 .LBB126_378
; %bb.373:
	s_cmp_gt_i32 s34, 6
	s_cbranch_scc0 .LBB126_375
; %bb.374:
	s_mov_b64 s[28:29], 0
	global_store_dwordx2 v[4:5], v[0:1], off
.LBB126_375:
	s_andn2_b64 vcc, exec, s[28:29]
	s_cbranch_vccnz .LBB126_377
; %bb.376:
	v_cvt_f32_f64_e32 v2, v[0:1]
	global_store_dword v[4:5], v2, off
.LBB126_377:
	s_mov_b64 s[28:29], 0
.LBB126_378:
	s_andn2_b64 vcc, exec, s[28:29]
	s_cbranch_vccnz .LBB126_380
; %bb.379:
	s_movk_i32 s28, 0x1ff
	v_and_or_b32 v2, v1, s28, v0
	v_cmp_ne_u32_e32 vcc, 0, v2
	v_cndmask_b32_e64 v2, 0, 1, vcc
	v_lshrrev_b32_e32 v3, 8, v1
	s_movk_i32 s28, 0xffe
	v_bfe_u32 v6, v1, 20, 11
	v_and_or_b32 v2, v3, s28, v2
	v_sub_u32_e32 v7, 0x3f1, v6
	v_or_b32_e32 v3, 0x1000, v2
	v_med3_i32 v7, v7, 0, 13
	v_lshrrev_b32_e32 v8, v7, v3
	v_lshlrev_b32_e32 v7, v7, v8
	v_cmp_ne_u32_e32 vcc, v7, v3
	v_cndmask_b32_e64 v3, 0, 1, vcc
	v_add_u32_e32 v6, 0xfffffc10, v6
	v_or_b32_e32 v3, v8, v3
	v_lshl_or_b32 v7, v6, 12, v2
	v_cmp_gt_i32_e32 vcc, 1, v6
	v_cndmask_b32_e32 v3, v7, v3, vcc
	v_and_b32_e32 v7, 7, v3
	v_cmp_lt_i32_e32 vcc, 5, v7
	v_cndmask_b32_e64 v8, 0, 1, vcc
	v_cmp_eq_u32_e32 vcc, 3, v7
	v_cndmask_b32_e64 v7, 0, 1, vcc
	v_or_b32_e32 v7, v7, v8
	v_lshrrev_b32_e32 v3, 2, v3
	v_add_u32_e32 v3, v3, v7
	v_mov_b32_e32 v7, 0x7c00
	v_cmp_gt_i32_e32 vcc, 31, v6
	v_cndmask_b32_e32 v3, v7, v3, vcc
	v_mov_b32_e32 v8, 0x7e00
	v_cmp_ne_u32_e32 vcc, 0, v2
	s_movk_i32 s28, 0x40f
	v_cndmask_b32_e32 v2, v7, v8, vcc
	v_cmp_eq_u32_e32 vcc, s28, v6
	v_cndmask_b32_e32 v2, v3, v2, vcc
	v_lshrrev_b32_e32 v3, 16, v1
	s_mov_b32 s28, 0x8000
	v_and_or_b32 v2, v3, s28, v2
	global_store_short v[4:5], v2, off
.LBB126_380:
	s_mov_b64 s[28:29], 0
.LBB126_381:
	s_andn2_b64 vcc, exec, s[28:29]
	s_cbranch_vccnz .LBB126_397
; %bb.382:
	s_cmp_lt_i32 s34, 2
	s_mov_b64 s[28:29], -1
	s_cbranch_scc1 .LBB126_392
; %bb.383:
	s_cmp_lt_i32 s34, 3
	s_cbranch_scc1 .LBB126_389
; %bb.384:
	s_cmp_gt_i32 s34, 3
	s_cbranch_scc0 .LBB126_386
; %bb.385:
	v_trunc_f64_e32 v[2:3], v[0:1]
	s_movk_i32 s28, 0xffe0
	v_ldexp_f64 v[6:7], v[2:3], s28
	s_mov_b32 s28, 0
	s_mov_b32 s29, 0xc1f00000
	v_floor_f64_e32 v[6:7], v[6:7]
	v_fma_f64 v[2:3], v[6:7], s[28:29], v[2:3]
	v_cvt_i32_f64_e32 v7, v[6:7]
	s_mov_b64 s[28:29], 0
	v_cvt_u32_f64_e32 v6, v[2:3]
	global_store_dwordx2 v[4:5], v[6:7], off
.LBB126_386:
	s_andn2_b64 vcc, exec, s[28:29]
	s_cbranch_vccnz .LBB126_388
; %bb.387:
	v_cvt_i32_f64_e32 v2, v[0:1]
	global_store_dword v[4:5], v2, off
.LBB126_388:
	s_mov_b64 s[28:29], 0
.LBB126_389:
	s_andn2_b64 vcc, exec, s[28:29]
	s_cbranch_vccnz .LBB126_391
; %bb.390:
	v_cvt_i32_f64_e32 v2, v[0:1]
	global_store_short v[4:5], v2, off
.LBB126_391:
	s_mov_b64 s[28:29], 0
.LBB126_392:
	s_andn2_b64 vcc, exec, s[28:29]
	s_cbranch_vccnz .LBB126_397
; %bb.393:
	s_cmp_gt_i32 s34, 0
	s_mov_b64 s[28:29], -1
	s_cbranch_scc0 .LBB126_395
; %bb.394:
	v_cvt_i32_f64_e32 v2, v[0:1]
	s_mov_b64 s[28:29], 0
	global_store_byte v[4:5], v2, off
.LBB126_395:
	s_andn2_b64 vcc, exec, s[28:29]
	s_cbranch_vccnz .LBB126_397
; %bb.396:
	v_trunc_f64_e32 v[0:1], v[0:1]
	s_movk_i32 s28, 0xffe0
	v_ldexp_f64 v[2:3], v[0:1], s28
	s_mov_b32 s28, 0
	s_mov_b32 s29, 0xc1f00000
	v_floor_f64_e32 v[2:3], v[2:3]
	v_fma_f64 v[0:1], v[2:3], s[28:29], v[0:1]
	v_cvt_u32_f64_e32 v0, v[0:1]
	global_store_byte v[4:5], v0, off
.LBB126_397:
	s_mov_b64 s[28:29], -1
.LBB126_398:
	s_andn2_b64 vcc, exec, s[28:29]
	s_cbranch_vccnz .LBB126_400
; %bb.399:
	v_add_u32_e32 v10, 0x80, v10
	s_mov_b64 s[34:35], -1
	s_branch .LBB126_512
.LBB126_400:
	s_mov_b64 s[34:35], 0
                                        ; implicit-def: $vgpr10
	s_branch .LBB126_512
.LBB126_401:
	s_mov_b64 s[26:27], -1
                                        ; implicit-def: $vgpr2_vgpr3
.LBB126_402:
	s_mov_b64 s[28:29], 0
.LBB126_403:
	s_and_b64 vcc, exec, s[28:29]
	s_cbranch_vccz .LBB126_407
; %bb.404:
	s_cmp_eq_u32 s36, 29
	s_cbranch_scc0 .LBB126_406
; %bb.405:
	global_load_dwordx2 v[2:3], v[0:1], off
	s_mov_b64 s[2:3], -1
	s_mov_b64 s[26:27], 0
	s_mov_b64 s[28:29], 0
	s_waitcnt vmcnt(0)
	v_cvt_f64_u32_e32 v[3:4], v3
	v_cvt_f64_u32_e32 v[5:6], v2
	v_ldexp_f64 v[3:4], v[3:4], 32
	v_add_f64 v[2:3], v[3:4], v[5:6]
	s_branch .LBB126_408
.LBB126_406:
	s_mov_b64 s[26:27], -1
                                        ; implicit-def: $vgpr2_vgpr3
.LBB126_407:
	s_mov_b64 s[28:29], 0
.LBB126_408:
	s_and_b64 vcc, exec, s[28:29]
	s_cbranch_vccz .LBB126_428
; %bb.409:
	s_cmp_lt_i32 s36, 27
	s_cbranch_scc1 .LBB126_412
; %bb.410:
	s_cmp_gt_i32 s36, 27
	s_cbranch_scc0 .LBB126_413
; %bb.411:
	global_load_dword v2, v[0:1], off
	s_mov_b64 s[2:3], 0
	s_waitcnt vmcnt(0)
	v_cvt_f64_u32_e32 v[2:3], v2
	s_branch .LBB126_414
.LBB126_412:
	s_mov_b64 s[2:3], -1
                                        ; implicit-def: $vgpr2_vgpr3
	s_branch .LBB126_417
.LBB126_413:
	s_mov_b64 s[2:3], -1
                                        ; implicit-def: $vgpr2_vgpr3
.LBB126_414:
	s_andn2_b64 vcc, exec, s[2:3]
	s_cbranch_vccnz .LBB126_416
; %bb.415:
	global_load_ushort v2, v[0:1], off
	s_waitcnt vmcnt(0)
	v_cvt_f64_u32_e32 v[2:3], v2
.LBB126_416:
	s_mov_b64 s[2:3], 0
.LBB126_417:
	s_andn2_b64 vcc, exec, s[2:3]
	s_cbranch_vccnz .LBB126_427
; %bb.418:
	global_load_ubyte v4, v[0:1], off
	s_movk_i32 s2, 0x7f
	s_waitcnt vmcnt(0)
	v_cmp_lt_i16_e32 vcc, s2, v4
	s_mov_b64 s[2:3], 0
	s_and_saveexec_b64 s[28:29], vcc
	s_xor_b64 s[28:29], exec, s[28:29]
	s_cbranch_execz .LBB126_422
; %bb.419:
	s_movk_i32 s2, 0x80
	v_cmp_eq_u16_e32 vcc, s2, v4
	s_mov_b64 s[2:3], -1
	s_and_saveexec_b64 s[34:35], vcc
; %bb.420:
	s_xor_b64 s[2:3], exec, -1
; %bb.421:
	s_or_b64 exec, exec, s[34:35]
	s_and_b64 s[2:3], s[2:3], exec
.LBB126_422:
	s_or_saveexec_b64 s[28:29], s[28:29]
	v_bfrev_b32_e32 v2, 4
	v_mov_b32_e32 v3, 0x7ff80000
	s_xor_b64 exec, exec, s[28:29]
; %bb.423:
	v_cmp_ne_u16_e32 vcc, 0, v4
	v_mov_b32_e32 v2, 0
	s_andn2_b64 s[2:3], s[2:3], exec
	s_and_b64 s[34:35], vcc, exec
	v_mov_b32_e32 v3, 0
	s_or_b64 s[2:3], s[2:3], s[34:35]
; %bb.424:
	s_or_b64 exec, exec, s[28:29]
	s_and_saveexec_b64 s[28:29], s[2:3]
	s_cbranch_execz .LBB126_426
; %bb.425:
	v_and_b32_e32 v3, 0xffff, v4
	v_lshlrev_b32_e32 v2, 24, v4
	v_and_b32_e32 v4, 7, v3
	v_ffbh_u32_e32 v6, v4
	v_min_u32_e32 v6, 32, v6
	v_subrev_u32_e32 v7, 28, v6
	v_bfe_u32 v5, v3, 3, 4
	v_lshlrev_b32_e32 v3, v7, v3
	v_sub_u32_e32 v6, 29, v6
	v_and_b32_e32 v3, 7, v3
	v_cmp_eq_u32_e32 vcc, 0, v5
	v_cndmask_b32_e32 v5, v5, v6, vcc
	v_cndmask_b32_e32 v3, v4, v3, vcc
	v_mov_b32_e32 v4, 0x3b800000
	v_lshlrev_b32_e32 v3, 20, v3
	v_and_b32_e32 v2, 0x80000000, v2
	v_lshl_add_u32 v4, v5, 23, v4
	v_or3_b32 v2, v2, v4, v3
	v_cvt_f64_f32_e32 v[2:3], v2
.LBB126_426:
	s_or_b64 exec, exec, s[28:29]
.LBB126_427:
	s_mov_b64 s[2:3], -1
.LBB126_428:
	s_mov_b64 s[28:29], 0
.LBB126_429:
	s_and_b64 vcc, exec, s[28:29]
	s_cbranch_vccz .LBB126_462
; %bb.430:
	s_cmp_gt_i32 s36, 22
	s_cbranch_scc0 .LBB126_442
; %bb.431:
	s_cmp_lt_i32 s36, 24
	s_cbranch_scc1 .LBB126_443
; %bb.432:
	s_cmp_gt_i32 s36, 24
	s_cbranch_scc0 .LBB126_444
; %bb.433:
	global_load_ubyte v4, v[0:1], off
	s_movk_i32 s2, 0x7f
	s_waitcnt vmcnt(0)
	v_cmp_lt_i16_e32 vcc, s2, v4
	s_mov_b64 s[2:3], 0
	s_and_saveexec_b64 s[28:29], vcc
	s_xor_b64 s[28:29], exec, s[28:29]
	s_cbranch_execz .LBB126_437
; %bb.434:
	s_movk_i32 s2, 0x80
	v_cmp_eq_u16_e32 vcc, s2, v4
	s_mov_b64 s[2:3], -1
	s_and_saveexec_b64 s[34:35], vcc
; %bb.435:
	s_xor_b64 s[2:3], exec, -1
; %bb.436:
	s_or_b64 exec, exec, s[34:35]
	s_and_b64 s[2:3], s[2:3], exec
.LBB126_437:
	s_or_saveexec_b64 s[28:29], s[28:29]
	v_bfrev_b32_e32 v2, 4
	v_mov_b32_e32 v3, 0x7ff80000
	s_xor_b64 exec, exec, s[28:29]
; %bb.438:
	v_cmp_ne_u16_e32 vcc, 0, v4
	v_mov_b32_e32 v2, 0
	s_andn2_b64 s[2:3], s[2:3], exec
	s_and_b64 s[34:35], vcc, exec
	v_mov_b32_e32 v3, 0
	s_or_b64 s[2:3], s[2:3], s[34:35]
; %bb.439:
	s_or_b64 exec, exec, s[28:29]
	s_and_saveexec_b64 s[28:29], s[2:3]
	s_cbranch_execz .LBB126_441
; %bb.440:
	v_and_b32_e32 v3, 0xffff, v4
	v_lshlrev_b32_e32 v2, 24, v4
	v_and_b32_e32 v4, 3, v3
	v_ffbh_u32_e32 v6, v4
	v_min_u32_e32 v6, 32, v6
	v_subrev_u32_e32 v7, 29, v6
	v_bfe_u32 v5, v3, 2, 5
	v_lshlrev_b32_e32 v3, v7, v3
	v_sub_u32_e32 v6, 30, v6
	v_and_b32_e32 v3, 3, v3
	v_cmp_eq_u32_e32 vcc, 0, v5
	v_cndmask_b32_e32 v5, v5, v6, vcc
	v_cndmask_b32_e32 v3, v4, v3, vcc
	v_mov_b32_e32 v4, 0x37800000
	v_lshlrev_b32_e32 v3, 21, v3
	v_and_b32_e32 v2, 0x80000000, v2
	v_lshl_add_u32 v4, v5, 23, v4
	v_or3_b32 v2, v2, v4, v3
	v_cvt_f64_f32_e32 v[2:3], v2
.LBB126_441:
	s_or_b64 exec, exec, s[28:29]
	s_mov_b64 s[2:3], 0
	s_branch .LBB126_445
.LBB126_442:
	s_mov_b64 s[28:29], -1
                                        ; implicit-def: $vgpr2_vgpr3
	s_branch .LBB126_451
.LBB126_443:
	s_mov_b64 s[2:3], -1
                                        ; implicit-def: $vgpr2_vgpr3
	s_branch .LBB126_448
.LBB126_444:
	s_mov_b64 s[2:3], -1
                                        ; implicit-def: $vgpr2_vgpr3
.LBB126_445:
	s_and_b64 vcc, exec, s[2:3]
	s_cbranch_vccz .LBB126_447
; %bb.446:
	global_load_ubyte v2, v[0:1], off
	s_mov_b32 s2, 0x7f800000
	s_waitcnt vmcnt(0)
	v_lshlrev_b32_e32 v2, 24, v2
	v_and_b32_e32 v3, 0x7f000000, v2
	v_ffbh_u32_e32 v4, v3
	v_min_u32_e32 v4, 32, v4
	v_sub_u32_e64 v4, v4, 4 clamp
	v_lshlrev_b32_e32 v6, v4, v3
	v_lshlrev_b32_e32 v4, 23, v4
	v_lshrrev_b32_e32 v6, 4, v6
	v_add_u32_e32 v5, 0x1000000, v3
	v_sub_u32_e32 v4, v6, v4
	v_ashrrev_i32_e32 v5, 8, v5
	v_add_u32_e32 v4, 0x3c000000, v4
	v_and_or_b32 v4, v5, s2, v4
	v_cmp_ne_u32_e32 vcc, 0, v3
	v_cndmask_b32_e32 v3, 0, v4, vcc
	s_brev_b32 s2, 1
	v_and_or_b32 v2, v2, s2, v3
	v_cvt_f64_f32_e32 v[2:3], v2
.LBB126_447:
	s_mov_b64 s[2:3], 0
.LBB126_448:
	s_andn2_b64 vcc, exec, s[2:3]
	s_cbranch_vccnz .LBB126_450
; %bb.449:
	global_load_ubyte v2, v[0:1], off
	s_movk_i32 s2, 0x7f00
	s_brev_b32 s3, 16
	s_waitcnt vmcnt(0)
	v_lshlrev_b16_e32 v3, 8, v2
	v_lshlrev_b32_e32 v2, 25, v2
	v_lshrrev_b32_e32 v4, 4, v2
	v_and_or_b32 v5, v3, s2, 0.5
	v_or_b32_e32 v4, 0x70000000, v4
	v_add_f32_e32 v5, -0.5, v5
	v_mul_f32_e32 v4, 0x7800000, v4
	v_cmp_gt_u32_e32 vcc, s3, v2
	v_bfe_i32 v3, v3, 0, 16
	v_cndmask_b32_e32 v2, v4, v5, vcc
	s_brev_b32 s2, 1
	v_and_or_b32 v2, v3, s2, v2
	v_cvt_f64_f32_e32 v[2:3], v2
.LBB126_450:
	s_mov_b64 s[28:29], 0
	s_mov_b64 s[2:3], -1
.LBB126_451:
	s_andn2_b64 vcc, exec, s[28:29]
	s_cbranch_vccnz .LBB126_462
; %bb.452:
	s_cmp_gt_i32 s36, 14
	s_cbranch_scc0 .LBB126_455
; %bb.453:
	s_cmp_eq_u32 s36, 15
	s_cbranch_scc0 .LBB126_456
; %bb.454:
	global_load_ushort v2, v[0:1], off
	s_mov_b64 s[2:3], -1
	s_mov_b64 s[26:27], 0
	s_waitcnt vmcnt(0)
	v_lshlrev_b32_e32 v2, 16, v2
	v_cvt_f64_f32_e32 v[2:3], v2
	s_branch .LBB126_457
.LBB126_455:
	s_mov_b64 s[28:29], -1
                                        ; implicit-def: $vgpr2_vgpr3
	s_branch .LBB126_458
.LBB126_456:
	s_mov_b64 s[26:27], -1
                                        ; implicit-def: $vgpr2_vgpr3
.LBB126_457:
	s_mov_b64 s[28:29], 0
.LBB126_458:
	s_and_b64 vcc, exec, s[28:29]
	s_cbranch_vccz .LBB126_462
; %bb.459:
	s_cmp_eq_u32 s36, 11
	s_cbranch_scc0 .LBB126_461
; %bb.460:
	global_load_ubyte v3, v[0:1], off
	v_mov_b32_e32 v4, 0x3ff00000
	v_mov_b32_e32 v2, 0
	s_mov_b64 s[2:3], -1
	s_mov_b64 s[26:27], 0
	s_waitcnt vmcnt(0)
	v_cmp_ne_u16_e32 vcc, 0, v3
	v_cndmask_b32_e32 v3, 0, v4, vcc
	s_branch .LBB126_462
.LBB126_461:
	s_mov_b64 s[26:27], -1
                                        ; implicit-def: $vgpr2_vgpr3
.LBB126_462:
	s_branch .LBB126_265
.LBB126_463:
	s_cmp_lt_i32 s36, 5
	s_cbranch_scc1 .LBB126_468
; %bb.464:
	s_cmp_lt_i32 s36, 8
	s_cbranch_scc1 .LBB126_469
; %bb.465:
	;; [unrolled: 3-line block ×3, first 2 shown]
	s_cmp_gt_i32 s36, 9
	s_cbranch_scc0 .LBB126_471
; %bb.467:
	global_load_dwordx2 v[2:3], v[0:1], off
	s_mov_b64 s[2:3], 0
	s_branch .LBB126_472
.LBB126_468:
	s_mov_b64 s[2:3], -1
                                        ; implicit-def: $vgpr2_vgpr3
	s_branch .LBB126_490
.LBB126_469:
	s_mov_b64 s[2:3], -1
                                        ; implicit-def: $vgpr2_vgpr3
	s_branch .LBB126_478
.LBB126_470:
	s_mov_b64 s[2:3], -1
                                        ; implicit-def: $vgpr2_vgpr3
	s_branch .LBB126_475
.LBB126_471:
	s_mov_b64 s[2:3], -1
                                        ; implicit-def: $vgpr2_vgpr3
.LBB126_472:
	s_andn2_b64 vcc, exec, s[2:3]
	s_cbranch_vccnz .LBB126_474
; %bb.473:
	global_load_dword v2, v[0:1], off
	s_waitcnt vmcnt(0)
	v_cvt_f64_f32_e32 v[2:3], v2
.LBB126_474:
	s_mov_b64 s[2:3], 0
.LBB126_475:
	s_andn2_b64 vcc, exec, s[2:3]
	s_cbranch_vccnz .LBB126_477
; %bb.476:
	global_load_dword v2, v[0:1], off
	s_waitcnt vmcnt(0)
	v_cvt_f32_f16_e32 v2, v2
	v_cvt_f64_f32_e32 v[2:3], v2
.LBB126_477:
	s_mov_b64 s[2:3], 0
.LBB126_478:
	s_andn2_b64 vcc, exec, s[2:3]
	s_cbranch_vccnz .LBB126_489
; %bb.479:
	s_cmp_lt_i32 s36, 6
	s_cbranch_scc1 .LBB126_482
; %bb.480:
	s_cmp_gt_i32 s36, 6
	s_cbranch_scc0 .LBB126_483
; %bb.481:
	global_load_dwordx2 v[2:3], v[0:1], off
	s_mov_b64 s[2:3], 0
	s_branch .LBB126_484
.LBB126_482:
	s_mov_b64 s[2:3], -1
                                        ; implicit-def: $vgpr2_vgpr3
	s_branch .LBB126_487
.LBB126_483:
	s_mov_b64 s[2:3], -1
                                        ; implicit-def: $vgpr2_vgpr3
.LBB126_484:
	s_andn2_b64 vcc, exec, s[2:3]
	s_cbranch_vccnz .LBB126_486
; %bb.485:
	global_load_dword v2, v[0:1], off
	s_waitcnt vmcnt(0)
	v_cvt_f64_f32_e32 v[2:3], v2
.LBB126_486:
	s_mov_b64 s[2:3], 0
.LBB126_487:
	s_andn2_b64 vcc, exec, s[2:3]
	s_cbranch_vccnz .LBB126_489
; %bb.488:
	global_load_ushort v2, v[0:1], off
	s_waitcnt vmcnt(0)
	v_cvt_f32_f16_e32 v2, v2
	v_cvt_f64_f32_e32 v[2:3], v2
.LBB126_489:
	s_mov_b64 s[2:3], 0
.LBB126_490:
	s_andn2_b64 vcc, exec, s[2:3]
	s_cbranch_vccnz .LBB126_510
; %bb.491:
	s_cmp_lt_i32 s36, 2
	s_cbranch_scc1 .LBB126_495
; %bb.492:
	s_cmp_lt_i32 s36, 3
	s_cbranch_scc1 .LBB126_496
; %bb.493:
	s_cmp_gt_i32 s36, 3
	s_cbranch_scc0 .LBB126_497
; %bb.494:
	global_load_dwordx2 v[2:3], v[0:1], off
	s_mov_b64 s[2:3], 0
	s_waitcnt vmcnt(0)
	v_cvt_f64_i32_e32 v[3:4], v3
	v_cvt_f64_u32_e32 v[5:6], v2
	v_ldexp_f64 v[3:4], v[3:4], 32
	v_add_f64 v[2:3], v[3:4], v[5:6]
	s_branch .LBB126_498
.LBB126_495:
	s_mov_b64 s[2:3], -1
                                        ; implicit-def: $vgpr2_vgpr3
	s_branch .LBB126_504
.LBB126_496:
	s_mov_b64 s[2:3], -1
                                        ; implicit-def: $vgpr2_vgpr3
	s_branch .LBB126_501
.LBB126_497:
	s_mov_b64 s[2:3], -1
                                        ; implicit-def: $vgpr2_vgpr3
.LBB126_498:
	s_andn2_b64 vcc, exec, s[2:3]
	s_cbranch_vccnz .LBB126_500
; %bb.499:
	global_load_dword v2, v[0:1], off
	s_waitcnt vmcnt(0)
	v_cvt_f64_i32_e32 v[2:3], v2
.LBB126_500:
	s_mov_b64 s[2:3], 0
.LBB126_501:
	s_andn2_b64 vcc, exec, s[2:3]
	s_cbranch_vccnz .LBB126_503
; %bb.502:
	global_load_sshort v2, v[0:1], off
	s_waitcnt vmcnt(0)
	v_cvt_f64_i32_e32 v[2:3], v2
.LBB126_503:
	s_mov_b64 s[2:3], 0
.LBB126_504:
	s_andn2_b64 vcc, exec, s[2:3]
	s_cbranch_vccnz .LBB126_510
; %bb.505:
	s_cmp_gt_i32 s36, 0
	s_cbranch_scc0 .LBB126_507
; %bb.506:
	global_load_sbyte v2, v[0:1], off
	s_mov_b64 s[2:3], 0
	s_waitcnt vmcnt(0)
	v_cvt_f64_i32_e32 v[2:3], v2
	s_branch .LBB126_508
.LBB126_507:
	s_mov_b64 s[2:3], -1
                                        ; implicit-def: $vgpr2_vgpr3
.LBB126_508:
	s_andn2_b64 vcc, exec, s[2:3]
	s_cbranch_vccnz .LBB126_510
; %bb.509:
	global_load_ubyte v0, v[0:1], off
	s_waitcnt vmcnt(0)
	v_cvt_f64_u32_e32 v[2:3], v0
.LBB126_510:
	s_branch .LBB126_266
.LBB126_511:
	s_mov_b64 s[34:35], 0
                                        ; implicit-def: $vgpr10
	s_mov_b64 s[2:3], s[20:21]
.LBB126_512:
	s_andn2_b64 s[28:29], s[20:21], exec
	s_and_b64 s[2:3], s[2:3], exec
	s_or_b64 s[28:29], s[28:29], s[2:3]
	s_andn2_b64 s[2:3], s[22:23], exec
	s_and_b64 s[26:27], s[26:27], exec
	s_or_b64 s[26:27], s[2:3], s[26:27]
	s_orn2_b64 s[2:3], s[34:35], exec
.LBB126_513:
	s_or_b64 exec, exec, s[30:31]
	s_mov_b64 s[36:37], 0
	s_mov_b64 s[34:35], 0
	;; [unrolled: 1-line block ×3, first 2 shown]
                                        ; implicit-def: $vgpr0_vgpr1
                                        ; implicit-def: $vgpr2_vgpr3
	s_and_saveexec_b64 s[30:31], s[2:3]
	s_cbranch_execz .LBB126_858
; %bb.514:
	v_cmp_gt_i32_e32 vcc, s46, v10
	s_mov_b64 s[42:43], -1
	s_mov_b64 s[2:3], s[26:27]
	s_mov_b64 s[38:39], s[28:29]
	s_and_saveexec_b64 s[34:35], vcc
	s_cbranch_execz .LBB126_772
; %bb.515:
	v_mul_lo_u32 v0, v10, s17
	v_mov_b32_e32 v1, s11
	s_and_b32 s42, 0xffff, s50
	s_cmp_lt_i32 s42, 11
	s_waitcnt vmcnt(0)
	v_ashrrev_i32_e32 v2, 31, v0
	v_add_co_u32_e32 v0, vcc, s10, v0
	v_addc_co_u32_e32 v1, vcc, v1, v2, vcc
	s_cbranch_scc1 .LBB126_522
; %bb.516:
	s_cmp_gt_i32 s42, 25
	s_cbranch_scc0 .LBB126_523
; %bb.517:
	s_cmp_gt_i32 s42, 28
	s_cbranch_scc0 .LBB126_524
	;; [unrolled: 3-line block ×4, first 2 shown]
; %bb.520:
	s_cmp_eq_u32 s42, 46
	s_mov_b64 s[38:39], 0
	s_cbranch_scc0 .LBB126_531
; %bb.521:
	global_load_dword v2, v[0:1], off
	s_mov_b64 s[2:3], -1
	s_waitcnt vmcnt(0)
	v_lshlrev_b32_e32 v2, 16, v2
	v_cvt_f64_f32_e32 v[2:3], v2
	s_branch .LBB126_532
.LBB126_522:
	s_mov_b64 s[38:39], -1
	s_mov_b64 s[2:3], 0
                                        ; implicit-def: $vgpr2_vgpr3
	s_mov_b64 s[36:37], s[26:27]
	s_branch .LBB126_597
.LBB126_523:
	s_mov_b64 s[38:39], -1
	s_mov_b64 s[2:3], 0
	s_mov_b64 s[36:37], s[26:27]
                                        ; implicit-def: $vgpr2_vgpr3
	s_branch .LBB126_563
.LBB126_524:
	s_mov_b64 s[38:39], -1
	s_mov_b64 s[2:3], 0
	s_mov_b64 s[36:37], s[26:27]
                                        ; implicit-def: $vgpr2_vgpr3
	s_branch .LBB126_542
.LBB126_525:
	s_mov_b64 s[38:39], -1
	s_mov_b64 s[2:3], 0
	s_mov_b64 s[36:37], s[26:27]
                                        ; implicit-def: $vgpr2_vgpr3
	s_branch .LBB126_537
.LBB126_526:
	s_andn2_saveexec_b64 s[36:37], s[36:37]
	s_cbranch_execz .LBB126_311
.LBB126_527:
	s_mov_b32 s40, 0x46000000
	v_add_f32_e64 v3, |v2|, s40
	v_and_b32_e32 v3, 0xff, v3
	v_cmp_ne_u32_e32 vcc, 0, v3
	s_andn2_b64 s[34:35], s[34:35], exec
	s_and_b64 s[40:41], vcc, exec
	s_or_b64 s[34:35], s[34:35], s[40:41]
	s_or_b64 exec, exec, s[36:37]
	v_mov_b32_e32 v6, 0
	s_and_saveexec_b64 s[36:37], s[34:35]
	s_cbranch_execnz .LBB126_312
	s_branch .LBB126_313
.LBB126_528:
	s_mov_b64 s[38:39], -1
	s_mov_b64 s[2:3], 0
	s_mov_b64 s[36:37], s[26:27]
                                        ; implicit-def: $vgpr2_vgpr3
	s_branch .LBB126_532
.LBB126_529:
	s_andn2_saveexec_b64 s[36:37], s[36:37]
	s_cbranch_execz .LBB126_324
.LBB126_530:
	s_mov_b32 s40, 0x42800000
	v_add_f32_e64 v3, |v2|, s40
	v_and_b32_e32 v3, 0xff, v3
	v_cmp_ne_u32_e32 vcc, 0, v3
	s_andn2_b64 s[34:35], s[34:35], exec
	s_and_b64 s[40:41], vcc, exec
	s_or_b64 s[34:35], s[34:35], s[40:41]
	s_or_b64 exec, exec, s[36:37]
	v_mov_b32_e32 v6, 0
	s_and_saveexec_b64 s[36:37], s[34:35]
	s_cbranch_execnz .LBB126_325
	s_branch .LBB126_326
.LBB126_531:
	s_mov_b64 s[36:37], -1
                                        ; implicit-def: $vgpr2_vgpr3
	s_mov_b64 s[2:3], 0
.LBB126_532:
	s_and_b64 vcc, exec, s[38:39]
	s_cbranch_vccz .LBB126_536
; %bb.533:
	s_cmp_eq_u32 s42, 44
	s_cbranch_scc0 .LBB126_535
; %bb.534:
	global_load_ubyte v4, v[0:1], off
	s_movk_i32 s36, 0xff
	v_bfrev_b32_e32 v5, 4
	v_mov_b32_e32 v6, 0x7ff80000
	v_bfrev_b32_e32 v7, 28
	s_mov_b64 s[2:3], -1
	s_waitcnt vmcnt(0)
	v_lshlrev_b32_e32 v2, 23, v4
	v_cvt_f64_f32_e32 v[2:3], v2
	v_cmp_ne_u32_e32 vcc, s36, v4
	s_mov_b64 s[36:37], 0
	v_cndmask_b32_e32 v2, v5, v2, vcc
	v_cndmask_b32_e32 v3, v6, v3, vcc
	v_cmp_ne_u32_e32 vcc, 0, v4
	v_cndmask_b32_e32 v3, v7, v3, vcc
	v_cndmask_b32_e32 v2, 0, v2, vcc
	s_branch .LBB126_536
.LBB126_535:
	s_mov_b64 s[36:37], -1
                                        ; implicit-def: $vgpr2_vgpr3
.LBB126_536:
	s_mov_b64 s[38:39], 0
.LBB126_537:
	s_and_b64 vcc, exec, s[38:39]
	s_cbranch_vccz .LBB126_541
; %bb.538:
	s_cmp_eq_u32 s42, 29
	s_cbranch_scc0 .LBB126_540
; %bb.539:
	global_load_dwordx2 v[2:3], v[0:1], off
	s_mov_b64 s[2:3], -1
	s_mov_b64 s[36:37], 0
	s_mov_b64 s[38:39], 0
	s_waitcnt vmcnt(0)
	v_cvt_f64_u32_e32 v[3:4], v3
	v_cvt_f64_u32_e32 v[5:6], v2
	v_ldexp_f64 v[3:4], v[3:4], 32
	v_add_f64 v[2:3], v[3:4], v[5:6]
	s_branch .LBB126_542
.LBB126_540:
	s_mov_b64 s[36:37], -1
                                        ; implicit-def: $vgpr2_vgpr3
.LBB126_541:
	s_mov_b64 s[38:39], 0
.LBB126_542:
	s_and_b64 vcc, exec, s[38:39]
	s_cbranch_vccz .LBB126_562
; %bb.543:
	s_cmp_lt_i32 s42, 27
	s_cbranch_scc1 .LBB126_546
; %bb.544:
	s_cmp_gt_i32 s42, 27
	s_cbranch_scc0 .LBB126_547
; %bb.545:
	global_load_dword v2, v[0:1], off
	s_mov_b64 s[2:3], 0
	s_waitcnt vmcnt(0)
	v_cvt_f64_u32_e32 v[2:3], v2
	s_branch .LBB126_548
.LBB126_546:
	s_mov_b64 s[2:3], -1
                                        ; implicit-def: $vgpr2_vgpr3
	s_branch .LBB126_551
.LBB126_547:
	s_mov_b64 s[2:3], -1
                                        ; implicit-def: $vgpr2_vgpr3
.LBB126_548:
	s_andn2_b64 vcc, exec, s[2:3]
	s_cbranch_vccnz .LBB126_550
; %bb.549:
	global_load_ushort v2, v[0:1], off
	s_waitcnt vmcnt(0)
	v_cvt_f64_u32_e32 v[2:3], v2
.LBB126_550:
	s_mov_b64 s[2:3], 0
.LBB126_551:
	s_andn2_b64 vcc, exec, s[2:3]
	s_cbranch_vccnz .LBB126_561
; %bb.552:
	global_load_ubyte v4, v[0:1], off
	s_movk_i32 s2, 0x7f
	s_waitcnt vmcnt(0)
	v_cmp_lt_i16_e32 vcc, s2, v4
	s_mov_b64 s[2:3], 0
	s_and_saveexec_b64 s[38:39], vcc
	s_xor_b64 s[38:39], exec, s[38:39]
	s_cbranch_execz .LBB126_556
; %bb.553:
	s_movk_i32 s2, 0x80
	v_cmp_eq_u16_e32 vcc, s2, v4
	s_mov_b64 s[2:3], -1
	s_and_saveexec_b64 s[40:41], vcc
; %bb.554:
	s_xor_b64 s[2:3], exec, -1
; %bb.555:
	s_or_b64 exec, exec, s[40:41]
	s_and_b64 s[2:3], s[2:3], exec
.LBB126_556:
	s_or_saveexec_b64 s[38:39], s[38:39]
	v_bfrev_b32_e32 v2, 4
	v_mov_b32_e32 v3, 0x7ff80000
	s_xor_b64 exec, exec, s[38:39]
; %bb.557:
	v_cmp_ne_u16_e32 vcc, 0, v4
	v_mov_b32_e32 v2, 0
	s_andn2_b64 s[2:3], s[2:3], exec
	s_and_b64 s[40:41], vcc, exec
	v_mov_b32_e32 v3, 0
	s_or_b64 s[2:3], s[2:3], s[40:41]
; %bb.558:
	s_or_b64 exec, exec, s[38:39]
	s_and_saveexec_b64 s[38:39], s[2:3]
	s_cbranch_execz .LBB126_560
; %bb.559:
	v_and_b32_e32 v3, 0xffff, v4
	v_lshlrev_b32_e32 v2, 24, v4
	v_and_b32_e32 v4, 7, v3
	v_ffbh_u32_e32 v6, v4
	v_min_u32_e32 v6, 32, v6
	v_subrev_u32_e32 v7, 28, v6
	v_bfe_u32 v5, v3, 3, 4
	v_lshlrev_b32_e32 v3, v7, v3
	v_sub_u32_e32 v6, 29, v6
	v_and_b32_e32 v3, 7, v3
	v_cmp_eq_u32_e32 vcc, 0, v5
	v_cndmask_b32_e32 v5, v5, v6, vcc
	v_cndmask_b32_e32 v3, v4, v3, vcc
	v_mov_b32_e32 v4, 0x3b800000
	v_lshlrev_b32_e32 v3, 20, v3
	v_and_b32_e32 v2, 0x80000000, v2
	v_lshl_add_u32 v4, v5, 23, v4
	v_or3_b32 v2, v2, v4, v3
	v_cvt_f64_f32_e32 v[2:3], v2
.LBB126_560:
	s_or_b64 exec, exec, s[38:39]
.LBB126_561:
	s_mov_b64 s[2:3], -1
.LBB126_562:
	s_mov_b64 s[38:39], 0
.LBB126_563:
	s_and_b64 vcc, exec, s[38:39]
	s_cbranch_vccz .LBB126_596
; %bb.564:
	s_cmp_gt_i32 s42, 22
	s_cbranch_scc0 .LBB126_576
; %bb.565:
	s_cmp_lt_i32 s42, 24
	s_cbranch_scc1 .LBB126_577
; %bb.566:
	s_cmp_gt_i32 s42, 24
	s_cbranch_scc0 .LBB126_578
; %bb.567:
	global_load_ubyte v4, v[0:1], off
	s_movk_i32 s2, 0x7f
	s_waitcnt vmcnt(0)
	v_cmp_lt_i16_e32 vcc, s2, v4
	s_mov_b64 s[2:3], 0
	s_and_saveexec_b64 s[38:39], vcc
	s_xor_b64 s[38:39], exec, s[38:39]
	s_cbranch_execz .LBB126_571
; %bb.568:
	s_movk_i32 s2, 0x80
	v_cmp_eq_u16_e32 vcc, s2, v4
	s_mov_b64 s[2:3], -1
	s_and_saveexec_b64 s[40:41], vcc
; %bb.569:
	s_xor_b64 s[2:3], exec, -1
; %bb.570:
	s_or_b64 exec, exec, s[40:41]
	s_and_b64 s[2:3], s[2:3], exec
.LBB126_571:
	s_or_saveexec_b64 s[38:39], s[38:39]
	v_bfrev_b32_e32 v2, 4
	v_mov_b32_e32 v3, 0x7ff80000
	s_xor_b64 exec, exec, s[38:39]
; %bb.572:
	v_cmp_ne_u16_e32 vcc, 0, v4
	v_mov_b32_e32 v2, 0
	s_andn2_b64 s[2:3], s[2:3], exec
	s_and_b64 s[40:41], vcc, exec
	v_mov_b32_e32 v3, 0
	s_or_b64 s[2:3], s[2:3], s[40:41]
; %bb.573:
	s_or_b64 exec, exec, s[38:39]
	s_and_saveexec_b64 s[38:39], s[2:3]
	s_cbranch_execz .LBB126_575
; %bb.574:
	v_and_b32_e32 v3, 0xffff, v4
	v_lshlrev_b32_e32 v2, 24, v4
	v_and_b32_e32 v4, 3, v3
	v_ffbh_u32_e32 v6, v4
	v_min_u32_e32 v6, 32, v6
	v_subrev_u32_e32 v7, 29, v6
	v_bfe_u32 v5, v3, 2, 5
	v_lshlrev_b32_e32 v3, v7, v3
	v_sub_u32_e32 v6, 30, v6
	v_and_b32_e32 v3, 3, v3
	v_cmp_eq_u32_e32 vcc, 0, v5
	v_cndmask_b32_e32 v5, v5, v6, vcc
	v_cndmask_b32_e32 v3, v4, v3, vcc
	v_mov_b32_e32 v4, 0x37800000
	v_lshlrev_b32_e32 v3, 21, v3
	v_and_b32_e32 v2, 0x80000000, v2
	v_lshl_add_u32 v4, v5, 23, v4
	v_or3_b32 v2, v2, v4, v3
	v_cvt_f64_f32_e32 v[2:3], v2
.LBB126_575:
	s_or_b64 exec, exec, s[38:39]
	s_mov_b64 s[2:3], 0
	s_branch .LBB126_579
.LBB126_576:
	s_mov_b64 s[38:39], -1
                                        ; implicit-def: $vgpr2_vgpr3
	s_branch .LBB126_585
.LBB126_577:
	s_mov_b64 s[2:3], -1
                                        ; implicit-def: $vgpr2_vgpr3
	s_branch .LBB126_582
.LBB126_578:
	s_mov_b64 s[2:3], -1
                                        ; implicit-def: $vgpr2_vgpr3
.LBB126_579:
	s_and_b64 vcc, exec, s[2:3]
	s_cbranch_vccz .LBB126_581
; %bb.580:
	global_load_ubyte v2, v[0:1], off
	s_mov_b32 s2, 0x7f800000
	s_waitcnt vmcnt(0)
	v_lshlrev_b32_e32 v2, 24, v2
	v_and_b32_e32 v3, 0x7f000000, v2
	v_ffbh_u32_e32 v4, v3
	v_min_u32_e32 v4, 32, v4
	v_sub_u32_e64 v4, v4, 4 clamp
	v_lshlrev_b32_e32 v6, v4, v3
	v_lshlrev_b32_e32 v4, 23, v4
	v_lshrrev_b32_e32 v6, 4, v6
	v_add_u32_e32 v5, 0x1000000, v3
	v_sub_u32_e32 v4, v6, v4
	v_ashrrev_i32_e32 v5, 8, v5
	v_add_u32_e32 v4, 0x3c000000, v4
	v_and_or_b32 v4, v5, s2, v4
	v_cmp_ne_u32_e32 vcc, 0, v3
	v_cndmask_b32_e32 v3, 0, v4, vcc
	s_brev_b32 s2, 1
	v_and_or_b32 v2, v2, s2, v3
	v_cvt_f64_f32_e32 v[2:3], v2
.LBB126_581:
	s_mov_b64 s[2:3], 0
.LBB126_582:
	s_andn2_b64 vcc, exec, s[2:3]
	s_cbranch_vccnz .LBB126_584
; %bb.583:
	global_load_ubyte v2, v[0:1], off
	s_movk_i32 s2, 0x7f00
	s_brev_b32 s3, 16
	s_waitcnt vmcnt(0)
	v_lshlrev_b16_e32 v3, 8, v2
	v_lshlrev_b32_e32 v2, 25, v2
	v_lshrrev_b32_e32 v4, 4, v2
	v_and_or_b32 v5, v3, s2, 0.5
	v_or_b32_e32 v4, 0x70000000, v4
	v_add_f32_e32 v5, -0.5, v5
	v_mul_f32_e32 v4, 0x7800000, v4
	v_cmp_gt_u32_e32 vcc, s3, v2
	v_bfe_i32 v3, v3, 0, 16
	v_cndmask_b32_e32 v2, v4, v5, vcc
	s_brev_b32 s2, 1
	v_and_or_b32 v2, v3, s2, v2
	v_cvt_f64_f32_e32 v[2:3], v2
.LBB126_584:
	s_mov_b64 s[38:39], 0
	s_mov_b64 s[2:3], -1
.LBB126_585:
	s_andn2_b64 vcc, exec, s[38:39]
	s_cbranch_vccnz .LBB126_596
; %bb.586:
	s_cmp_gt_i32 s42, 14
	s_cbranch_scc0 .LBB126_589
; %bb.587:
	s_cmp_eq_u32 s42, 15
	s_cbranch_scc0 .LBB126_590
; %bb.588:
	global_load_ushort v2, v[0:1], off
	s_mov_b64 s[2:3], -1
	s_mov_b64 s[36:37], 0
	s_waitcnt vmcnt(0)
	v_lshlrev_b32_e32 v2, 16, v2
	v_cvt_f64_f32_e32 v[2:3], v2
	s_branch .LBB126_591
.LBB126_589:
	s_mov_b64 s[38:39], -1
                                        ; implicit-def: $vgpr2_vgpr3
	s_branch .LBB126_592
.LBB126_590:
	s_mov_b64 s[36:37], -1
                                        ; implicit-def: $vgpr2_vgpr3
.LBB126_591:
	s_mov_b64 s[38:39], 0
.LBB126_592:
	s_and_b64 vcc, exec, s[38:39]
	s_cbranch_vccz .LBB126_596
; %bb.593:
	s_cmp_eq_u32 s42, 11
	s_cbranch_scc0 .LBB126_595
; %bb.594:
	global_load_ubyte v3, v[0:1], off
	v_mov_b32_e32 v4, 0x3ff00000
	v_mov_b32_e32 v2, 0
	s_mov_b64 s[2:3], -1
	s_mov_b64 s[36:37], 0
	s_waitcnt vmcnt(0)
	v_cmp_ne_u16_e32 vcc, 0, v3
	v_cndmask_b32_e32 v3, 0, v4, vcc
	s_branch .LBB126_596
.LBB126_595:
	s_mov_b64 s[36:37], -1
                                        ; implicit-def: $vgpr2_vgpr3
.LBB126_596:
	s_mov_b64 s[38:39], 0
.LBB126_597:
	s_and_b64 vcc, exec, s[38:39]
	s_cbranch_vccz .LBB126_646
; %bb.598:
	s_cmp_lt_i32 s42, 5
	s_cbranch_scc1 .LBB126_603
; %bb.599:
	s_cmp_lt_i32 s42, 8
	s_cbranch_scc1 .LBB126_604
	;; [unrolled: 3-line block ×3, first 2 shown]
; %bb.601:
	s_cmp_gt_i32 s42, 9
	s_cbranch_scc0 .LBB126_606
; %bb.602:
	global_load_dwordx2 v[2:3], v[0:1], off
	s_mov_b64 s[2:3], 0
	s_branch .LBB126_607
.LBB126_603:
	s_mov_b64 s[2:3], -1
                                        ; implicit-def: $vgpr2_vgpr3
	s_branch .LBB126_625
.LBB126_604:
	s_mov_b64 s[2:3], -1
                                        ; implicit-def: $vgpr2_vgpr3
	s_branch .LBB126_613
.LBB126_605:
	s_mov_b64 s[2:3], -1
                                        ; implicit-def: $vgpr2_vgpr3
	s_branch .LBB126_610
.LBB126_606:
	s_mov_b64 s[2:3], -1
                                        ; implicit-def: $vgpr2_vgpr3
.LBB126_607:
	s_andn2_b64 vcc, exec, s[2:3]
	s_cbranch_vccnz .LBB126_609
; %bb.608:
	global_load_dword v2, v[0:1], off
	s_waitcnt vmcnt(0)
	v_cvt_f64_f32_e32 v[2:3], v2
.LBB126_609:
	s_mov_b64 s[2:3], 0
.LBB126_610:
	s_andn2_b64 vcc, exec, s[2:3]
	s_cbranch_vccnz .LBB126_612
; %bb.611:
	global_load_dword v2, v[0:1], off
	s_waitcnt vmcnt(0)
	v_cvt_f32_f16_e32 v2, v2
	v_cvt_f64_f32_e32 v[2:3], v2
.LBB126_612:
	s_mov_b64 s[2:3], 0
.LBB126_613:
	s_andn2_b64 vcc, exec, s[2:3]
	s_cbranch_vccnz .LBB126_624
; %bb.614:
	s_cmp_lt_i32 s42, 6
	s_cbranch_scc1 .LBB126_617
; %bb.615:
	s_cmp_gt_i32 s42, 6
	s_cbranch_scc0 .LBB126_618
; %bb.616:
	global_load_dwordx2 v[2:3], v[0:1], off
	s_mov_b64 s[2:3], 0
	s_branch .LBB126_619
.LBB126_617:
	s_mov_b64 s[2:3], -1
                                        ; implicit-def: $vgpr2_vgpr3
	s_branch .LBB126_622
.LBB126_618:
	s_mov_b64 s[2:3], -1
                                        ; implicit-def: $vgpr2_vgpr3
.LBB126_619:
	s_andn2_b64 vcc, exec, s[2:3]
	s_cbranch_vccnz .LBB126_621
; %bb.620:
	global_load_dword v2, v[0:1], off
	s_waitcnt vmcnt(0)
	v_cvt_f64_f32_e32 v[2:3], v2
.LBB126_621:
	s_mov_b64 s[2:3], 0
.LBB126_622:
	s_andn2_b64 vcc, exec, s[2:3]
	s_cbranch_vccnz .LBB126_624
; %bb.623:
	global_load_ushort v2, v[0:1], off
	s_waitcnt vmcnt(0)
	v_cvt_f32_f16_e32 v2, v2
	v_cvt_f64_f32_e32 v[2:3], v2
.LBB126_624:
	s_mov_b64 s[2:3], 0
.LBB126_625:
	s_andn2_b64 vcc, exec, s[2:3]
	s_cbranch_vccnz .LBB126_645
; %bb.626:
	s_cmp_lt_i32 s42, 2
	s_cbranch_scc1 .LBB126_630
; %bb.627:
	s_cmp_lt_i32 s42, 3
	s_cbranch_scc1 .LBB126_631
; %bb.628:
	s_cmp_gt_i32 s42, 3
	s_cbranch_scc0 .LBB126_632
; %bb.629:
	global_load_dwordx2 v[2:3], v[0:1], off
	s_mov_b64 s[2:3], 0
	s_waitcnt vmcnt(0)
	v_cvt_f64_i32_e32 v[3:4], v3
	v_cvt_f64_u32_e32 v[5:6], v2
	v_ldexp_f64 v[3:4], v[3:4], 32
	v_add_f64 v[2:3], v[3:4], v[5:6]
	s_branch .LBB126_633
.LBB126_630:
	s_mov_b64 s[2:3], -1
                                        ; implicit-def: $vgpr2_vgpr3
	s_branch .LBB126_639
.LBB126_631:
	s_mov_b64 s[2:3], -1
                                        ; implicit-def: $vgpr2_vgpr3
	s_branch .LBB126_636
.LBB126_632:
	s_mov_b64 s[2:3], -1
                                        ; implicit-def: $vgpr2_vgpr3
.LBB126_633:
	s_andn2_b64 vcc, exec, s[2:3]
	s_cbranch_vccnz .LBB126_635
; %bb.634:
	global_load_dword v2, v[0:1], off
	s_waitcnt vmcnt(0)
	v_cvt_f64_i32_e32 v[2:3], v2
.LBB126_635:
	s_mov_b64 s[2:3], 0
.LBB126_636:
	s_andn2_b64 vcc, exec, s[2:3]
	s_cbranch_vccnz .LBB126_638
; %bb.637:
	global_load_sshort v2, v[0:1], off
	s_waitcnt vmcnt(0)
	v_cvt_f64_i32_e32 v[2:3], v2
.LBB126_638:
	s_mov_b64 s[2:3], 0
.LBB126_639:
	s_andn2_b64 vcc, exec, s[2:3]
	s_cbranch_vccnz .LBB126_645
; %bb.640:
	s_cmp_gt_i32 s42, 0
	s_cbranch_scc0 .LBB126_642
; %bb.641:
	global_load_sbyte v2, v[0:1], off
	s_mov_b64 s[2:3], 0
	s_waitcnt vmcnt(0)
	v_cvt_f64_i32_e32 v[2:3], v2
	s_branch .LBB126_643
.LBB126_642:
	s_mov_b64 s[2:3], -1
                                        ; implicit-def: $vgpr2_vgpr3
.LBB126_643:
	s_andn2_b64 vcc, exec, s[2:3]
	s_cbranch_vccnz .LBB126_645
; %bb.644:
	global_load_ubyte v0, v[0:1], off
	s_waitcnt vmcnt(0)
	v_cvt_f64_u32_e32 v[2:3], v0
.LBB126_645:
	s_mov_b64 s[2:3], -1
.LBB126_646:
	s_andn2_b64 vcc, exec, s[2:3]
	s_cbranch_vccnz .LBB126_654
; %bb.647:
	v_mul_lo_u32 v4, v10, s16
	v_mov_b32_e32 v0, s15
	s_waitcnt vmcnt(0)
	v_cndmask_b32_e64 v1, v0, v3, s[0:1]
	v_mov_b32_e32 v0, s14
	v_cndmask_b32_e64 v0, v0, v2, s[0:1]
	v_ashrrev_i32_e32 v2, 31, v4
	v_mov_b32_e32 v3, s9
	s_and_b32 s44, s33, 0xff
	v_add_co_u32_e32 v4, vcc, s8, v4
	s_cmp_lt_i32 s44, 11
	v_addc_co_u32_e32 v5, vcc, v3, v2, vcc
	s_cbranch_scc1 .LBB126_655
; %bb.648:
	s_and_b32 s45, 0xffff, s44
	s_cmp_gt_i32 s45, 25
	s_cbranch_scc0 .LBB126_656
; %bb.649:
	s_cmp_gt_i32 s45, 28
	s_cbranch_scc0 .LBB126_657
; %bb.650:
	;; [unrolled: 3-line block ×4, first 2 shown]
	s_mov_b64 s[40:41], 0
	s_mov_b64 s[2:3], -1
	s_cmp_eq_u32 s45, 46
	s_mov_b64 s[38:39], 0
	s_cbranch_scc0 .LBB126_660
; %bb.653:
	v_cvt_f32_f64_e32 v2, v[0:1]
	s_movk_i32 s2, 0x7fff
	v_mov_b32_e32 v3, 0x7fc0
	s_mov_b64 s[38:39], -1
	v_bfe_u32 v6, v2, 16, 1
	v_cmp_o_f32_e32 vcc, v2, v2
	v_add3_u32 v2, v2, v6, s2
	v_cndmask_b32_sdwa v2, v3, v2, vcc dst_sel:DWORD dst_unused:UNUSED_PAD src0_sel:DWORD src1_sel:WORD_1
	global_store_dword v[4:5], v2, off
	s_mov_b64 s[2:3], 0
	s_branch .LBB126_660
.LBB126_654:
	s_mov_b64 s[40:41], 0
                                        ; implicit-def: $vgpr10
	s_mov_b64 s[2:3], s[28:29]
	s_branch .LBB126_771
.LBB126_655:
	s_mov_b64 s[40:41], -1
	s_mov_b64 s[38:39], 0
	s_mov_b64 s[2:3], s[28:29]
	s_branch .LBB126_729
.LBB126_656:
	s_mov_b64 s[40:41], -1
	s_mov_b64 s[38:39], 0
	s_mov_b64 s[2:3], s[28:29]
	s_branch .LBB126_687
.LBB126_657:
	s_mov_b64 s[40:41], -1
	s_mov_b64 s[38:39], 0
	s_mov_b64 s[2:3], s[28:29]
	s_branch .LBB126_670
.LBB126_658:
	s_mov_b64 s[40:41], -1
	s_mov_b64 s[38:39], 0
	s_mov_b64 s[2:3], s[28:29]
	s_branch .LBB126_666
.LBB126_659:
	s_mov_b64 s[40:41], -1
	s_mov_b64 s[38:39], 0
	s_mov_b64 s[2:3], s[28:29]
.LBB126_660:
	s_and_b64 vcc, exec, s[40:41]
	s_cbranch_vccz .LBB126_665
; %bb.661:
	s_cmp_eq_u32 s45, 44
	s_mov_b64 s[2:3], -1
	s_cbranch_scc0 .LBB126_665
; %bb.662:
	v_cvt_f32_f64_e32 v2, v[0:1]
	s_movk_i32 s2, 0xff
	v_mov_b32_e32 v6, 0xff
	v_bfe_u32 v3, v2, 23, 8
	v_cmp_ne_u32_e32 vcc, s2, v3
	s_and_saveexec_b64 s[38:39], vcc
; %bb.663:
	s_mov_b32 s2, 0x3fffff
	v_lshrrev_b32_e32 v6, 23, v2
	v_and_b32_e32 v7, 0x400000, v2
	v_and_or_b32 v2, v2, s2, v3
	v_cmp_ne_u32_e32 vcc, 0, v7
	v_cmp_ne_u32_e64 s[2:3], 0, v2
	s_and_b64 s[2:3], vcc, s[2:3]
	v_cndmask_b32_e64 v2, 0, 1, s[2:3]
	v_add_u32_e32 v6, v6, v2
; %bb.664:
	s_or_b64 exec, exec, s[38:39]
	s_mov_b64 s[38:39], -1
	s_mov_b64 s[2:3], 0
	global_store_byte v[4:5], v6, off
.LBB126_665:
	s_mov_b64 s[40:41], 0
.LBB126_666:
	s_and_b64 vcc, exec, s[40:41]
	s_cbranch_vccz .LBB126_669
; %bb.667:
	s_cmp_eq_u32 s45, 29
	s_mov_b64 s[2:3], -1
	s_cbranch_scc0 .LBB126_669
; %bb.668:
	v_trunc_f64_e32 v[2:3], v[0:1]
	s_movk_i32 s2, 0xffe0
	s_mov_b64 s[38:39], -1
	s_mov_b64 s[40:41], 0
	v_ldexp_f64 v[6:7], v[2:3], s2
	s_mov_b32 s2, 0
	s_mov_b32 s3, 0xc1f00000
	v_floor_f64_e32 v[6:7], v[6:7]
	v_fma_f64 v[2:3], v[6:7], s[2:3], v[2:3]
	v_cvt_u32_f64_e32 v7, v[6:7]
	s_mov_b64 s[2:3], 0
	v_cvt_u32_f64_e32 v6, v[2:3]
	global_store_dwordx2 v[4:5], v[6:7], off
	s_branch .LBB126_670
.LBB126_669:
	s_mov_b64 s[40:41], 0
.LBB126_670:
	s_and_b64 vcc, exec, s[40:41]
	s_cbranch_vccz .LBB126_686
; %bb.671:
	s_cmp_lt_i32 s45, 27
	s_mov_b64 s[38:39], -1
	s_cbranch_scc1 .LBB126_677
; %bb.672:
	v_cvt_u32_f64_e32 v2, v[0:1]
	s_cmp_gt_i32 s45, 27
	s_cbranch_scc0 .LBB126_674
; %bb.673:
	s_mov_b64 s[38:39], 0
	global_store_dword v[4:5], v2, off
.LBB126_674:
	s_andn2_b64 vcc, exec, s[38:39]
	s_cbranch_vccnz .LBB126_676
; %bb.675:
	global_store_short v[4:5], v2, off
.LBB126_676:
	s_mov_b64 s[38:39], 0
.LBB126_677:
	s_andn2_b64 vcc, exec, s[38:39]
	s_cbranch_vccnz .LBB126_685
; %bb.678:
	v_cvt_f32_f64_e32 v2, v[0:1]
	s_mov_b32 s38, 0x43800000
	v_mov_b32_e32 v6, 0x80
	v_and_b32_e32 v3, 0x7fffffff, v2
	v_cmp_gt_u32_e32 vcc, s38, v3
	s_and_saveexec_b64 s[38:39], vcc
	s_cbranch_execz .LBB126_684
; %bb.679:
	s_mov_b32 s40, 0x3bffffff
	v_cmp_lt_u32_e32 vcc, s40, v3
	s_mov_b64 s[40:41], 0
                                        ; implicit-def: $vgpr3
	s_and_saveexec_b64 s[42:43], vcc
	s_xor_b64 s[42:43], exec, s[42:43]
	s_cbranch_execz .LBB126_785
; %bb.680:
	v_bfe_u32 v3, v2, 20, 1
	s_mov_b32 s47, 0x487ffff
	v_add3_u32 v3, v2, v3, s47
	s_mov_b64 s[40:41], exec
	v_lshrrev_b32_e32 v3, 20, v3
	s_andn2_saveexec_b64 s[42:43], s[42:43]
	s_cbranch_execnz .LBB126_786
.LBB126_681:
	s_or_b64 exec, exec, s[42:43]
	v_mov_b32_e32 v6, 0
	s_and_saveexec_b64 s[42:43], s[40:41]
.LBB126_682:
	v_lshrrev_b32_e32 v2, 24, v2
	s_movk_i32 s40, 0x80
	v_and_or_b32 v6, v2, s40, v3
.LBB126_683:
	s_or_b64 exec, exec, s[42:43]
.LBB126_684:
	s_or_b64 exec, exec, s[38:39]
	global_store_byte v[4:5], v6, off
.LBB126_685:
	s_mov_b64 s[38:39], -1
.LBB126_686:
	s_mov_b64 s[40:41], 0
.LBB126_687:
	s_and_b64 vcc, exec, s[40:41]
	s_cbranch_vccz .LBB126_728
; %bb.688:
	s_cmp_gt_i32 s45, 22
	s_mov_b64 s[40:41], -1
	s_cbranch_scc0 .LBB126_720
; %bb.689:
	s_cmp_lt_i32 s45, 24
	s_mov_b64 s[38:39], -1
	s_cbranch_scc1 .LBB126_709
; %bb.690:
	s_cmp_gt_i32 s45, 24
	s_cbranch_scc0 .LBB126_698
; %bb.691:
	v_cvt_f32_f64_e32 v2, v[0:1]
	s_mov_b32 s38, 0x47800000
	v_mov_b32_e32 v6, 0x80
	v_and_b32_e32 v3, 0x7fffffff, v2
	v_cmp_gt_u32_e32 vcc, s38, v3
	s_and_saveexec_b64 s[38:39], vcc
	s_cbranch_execz .LBB126_697
; %bb.692:
	s_mov_b32 s40, 0x37ffffff
	v_cmp_lt_u32_e32 vcc, s40, v3
	s_mov_b64 s[40:41], 0
                                        ; implicit-def: $vgpr3
	s_and_saveexec_b64 s[42:43], vcc
	s_xor_b64 s[42:43], exec, s[42:43]
	s_cbranch_execz .LBB126_788
; %bb.693:
	v_bfe_u32 v3, v2, 21, 1
	s_mov_b32 s47, 0x88fffff
	v_add3_u32 v3, v2, v3, s47
	s_mov_b64 s[40:41], exec
	v_lshrrev_b32_e32 v3, 21, v3
	s_andn2_saveexec_b64 s[42:43], s[42:43]
	s_cbranch_execnz .LBB126_789
.LBB126_694:
	s_or_b64 exec, exec, s[42:43]
	v_mov_b32_e32 v6, 0
	s_and_saveexec_b64 s[42:43], s[40:41]
.LBB126_695:
	v_lshrrev_b32_e32 v2, 24, v2
	s_movk_i32 s40, 0x80
	v_and_or_b32 v6, v2, s40, v3
.LBB126_696:
	s_or_b64 exec, exec, s[42:43]
.LBB126_697:
	s_or_b64 exec, exec, s[38:39]
	s_mov_b64 s[38:39], 0
	global_store_byte v[4:5], v6, off
.LBB126_698:
	s_and_b64 vcc, exec, s[38:39]
	s_cbranch_vccz .LBB126_708
; %bb.699:
	v_cvt_f32_f64_e32 v2, v[0:1]
	s_mov_b32 s38, 0x43f00000
                                        ; implicit-def: $vgpr3
	v_and_b32_e32 v6, 0x7fffffff, v2
	v_cmp_gt_u32_e32 vcc, s38, v6
	s_and_saveexec_b64 s[38:39], vcc
	s_xor_b64 s[38:39], exec, s[38:39]
	s_cbranch_execz .LBB126_705
; %bb.700:
	s_mov_b32 s40, 0x3c7fffff
	v_cmp_lt_u32_e32 vcc, s40, v6
                                        ; implicit-def: $vgpr3
	s_and_saveexec_b64 s[40:41], vcc
	s_xor_b64 s[40:41], exec, s[40:41]
; %bb.701:
	v_bfe_u32 v3, v2, 20, 1
	s_mov_b32 s42, 0x407ffff
	v_add3_u32 v3, v2, v3, s42
	v_lshrrev_b32_e32 v6, 20, v3
	v_and_b32_e32 v3, 0xff00000, v3
	s_mov_b32 s42, 0x7f00000
	v_mov_b32_e32 v7, 0x7e
	v_cmp_ne_u32_e32 vcc, s42, v3
	v_cndmask_b32_e32 v3, v7, v6, vcc
; %bb.702:
	s_andn2_saveexec_b64 s[40:41], s[40:41]
; %bb.703:
	s_mov_b32 s42, 0x46800000
	v_add_f32_e64 v3, |v2|, s42
; %bb.704:
	s_or_b64 exec, exec, s[40:41]
                                        ; implicit-def: $vgpr6
.LBB126_705:
	s_andn2_saveexec_b64 s[38:39], s[38:39]
; %bb.706:
	s_mov_b32 s40, 0x7f800000
	v_mov_b32_e32 v3, 0x7e
	v_mov_b32_e32 v7, 0x7f
	v_cmp_lt_u32_e32 vcc, s40, v6
	v_cndmask_b32_e32 v3, v3, v7, vcc
; %bb.707:
	s_or_b64 exec, exec, s[38:39]
	v_lshrrev_b32_e32 v2, 24, v2
	s_movk_i32 s38, 0x80
	v_and_or_b32 v2, v2, s38, v3
	global_store_byte v[4:5], v2, off
.LBB126_708:
	s_mov_b64 s[38:39], 0
.LBB126_709:
	s_andn2_b64 vcc, exec, s[38:39]
	s_cbranch_vccnz .LBB126_719
; %bb.710:
	v_cvt_f32_f64_e32 v2, v[0:1]
	s_mov_b32 s38, 0x47800000
                                        ; implicit-def: $vgpr3
	v_and_b32_e32 v6, 0x7fffffff, v2
	v_cmp_gt_u32_e32 vcc, s38, v6
	s_and_saveexec_b64 s[38:39], vcc
	s_xor_b64 s[38:39], exec, s[38:39]
	s_cbranch_execz .LBB126_716
; %bb.711:
	s_mov_b32 s40, 0x387fffff
	v_cmp_lt_u32_e32 vcc, s40, v6
                                        ; implicit-def: $vgpr3
	s_and_saveexec_b64 s[40:41], vcc
	s_xor_b64 s[40:41], exec, s[40:41]
; %bb.712:
	v_bfe_u32 v3, v2, 21, 1
	s_mov_b32 s42, 0x80fffff
	v_add3_u32 v3, v2, v3, s42
	v_lshrrev_b32_e32 v3, 21, v3
; %bb.713:
	s_andn2_saveexec_b64 s[40:41], s[40:41]
; %bb.714:
	s_mov_b32 s42, 0x43000000
	v_add_f32_e64 v3, |v2|, s42
; %bb.715:
	s_or_b64 exec, exec, s[40:41]
                                        ; implicit-def: $vgpr6
.LBB126_716:
	s_andn2_saveexec_b64 s[38:39], s[38:39]
; %bb.717:
	s_mov_b32 s40, 0x7f800000
	v_mov_b32_e32 v3, 0x7c
	v_mov_b32_e32 v7, 0x7f
	v_cmp_lt_u32_e32 vcc, s40, v6
	v_cndmask_b32_e32 v3, v3, v7, vcc
; %bb.718:
	s_or_b64 exec, exec, s[38:39]
	v_lshrrev_b32_e32 v2, 24, v2
	s_movk_i32 s38, 0x80
	v_and_or_b32 v2, v2, s38, v3
	global_store_byte v[4:5], v2, off
.LBB126_719:
	s_mov_b64 s[40:41], 0
	s_mov_b64 s[38:39], -1
.LBB126_720:
	s_andn2_b64 vcc, exec, s[40:41]
	s_cbranch_vccnz .LBB126_728
; %bb.721:
	s_cmp_gt_i32 s45, 14
	s_mov_b64 s[40:41], -1
	s_cbranch_scc0 .LBB126_725
; %bb.722:
	s_cmp_eq_u32 s45, 15
	s_mov_b64 s[2:3], -1
	s_cbranch_scc0 .LBB126_724
; %bb.723:
	v_cvt_f32_f64_e32 v2, v[0:1]
	s_movk_i32 s2, 0x7fff
	v_mov_b32_e32 v3, 0x7fc0
	s_mov_b64 s[38:39], -1
	v_bfe_u32 v6, v2, 16, 1
	v_cmp_o_f32_e32 vcc, v2, v2
	v_add3_u32 v2, v2, v6, s2
	v_cndmask_b32_sdwa v2, v3, v2, vcc dst_sel:DWORD dst_unused:UNUSED_PAD src0_sel:DWORD src1_sel:WORD_1
	global_store_short v[4:5], v2, off
	s_mov_b64 s[2:3], 0
.LBB126_724:
	s_mov_b64 s[40:41], 0
.LBB126_725:
	s_and_b64 vcc, exec, s[40:41]
	s_cbranch_vccz .LBB126_728
; %bb.726:
	s_cmp_eq_u32 s45, 11
	s_mov_b64 s[2:3], -1
	s_cbranch_scc0 .LBB126_728
; %bb.727:
	v_cmp_neq_f64_e32 vcc, 0, v[0:1]
	s_mov_b64 s[2:3], 0
	s_mov_b64 s[38:39], -1
	v_cndmask_b32_e64 v2, 0, 1, vcc
	global_store_byte v[4:5], v2, off
.LBB126_728:
	s_mov_b64 s[40:41], 0
.LBB126_729:
	s_and_b64 vcc, exec, s[40:41]
	s_cbranch_vccz .LBB126_768
; %bb.730:
	s_and_b32 s40, 0xffff, s44
	s_cmp_lt_i32 s40, 5
	s_mov_b64 s[38:39], -1
	s_cbranch_scc1 .LBB126_751
; %bb.731:
	s_cmp_lt_i32 s40, 8
	s_cbranch_scc1 .LBB126_741
; %bb.732:
	s_cmp_lt_i32 s40, 9
	s_cbranch_scc1 .LBB126_738
; %bb.733:
	s_cmp_gt_i32 s40, 9
	s_cbranch_scc0 .LBB126_735
; %bb.734:
	v_mov_b32_e32 v2, 0
	v_mov_b32_e32 v3, v2
	s_mov_b64 s[38:39], 0
	global_store_dwordx4 v[4:5], v[0:3], off
.LBB126_735:
	s_andn2_b64 vcc, exec, s[38:39]
	s_cbranch_vccnz .LBB126_737
; %bb.736:
	v_cvt_f32_f64_e32 v2, v[0:1]
	v_mov_b32_e32 v3, 0
	global_store_dwordx2 v[4:5], v[2:3], off
.LBB126_737:
	s_mov_b64 s[38:39], 0
.LBB126_738:
	s_andn2_b64 vcc, exec, s[38:39]
	s_cbranch_vccnz .LBB126_740
; %bb.739:
	s_movk_i32 s38, 0x1ff
	v_and_or_b32 v2, v1, s38, v0
	v_cmp_ne_u32_e32 vcc, 0, v2
	v_cndmask_b32_e64 v2, 0, 1, vcc
	v_lshrrev_b32_e32 v3, 8, v1
	s_movk_i32 s38, 0xffe
	v_bfe_u32 v6, v1, 20, 11
	v_and_or_b32 v2, v3, s38, v2
	v_sub_u32_e32 v7, 0x3f1, v6
	v_or_b32_e32 v3, 0x1000, v2
	v_med3_i32 v7, v7, 0, 13
	v_lshrrev_b32_e32 v8, v7, v3
	v_lshlrev_b32_e32 v7, v7, v8
	v_cmp_ne_u32_e32 vcc, v7, v3
	v_cndmask_b32_e64 v3, 0, 1, vcc
	v_add_u32_e32 v6, 0xfffffc10, v6
	v_or_b32_e32 v3, v8, v3
	v_lshl_or_b32 v7, v6, 12, v2
	v_cmp_gt_i32_e32 vcc, 1, v6
	v_cndmask_b32_e32 v3, v7, v3, vcc
	v_and_b32_e32 v7, 7, v3
	v_cmp_lt_i32_e32 vcc, 5, v7
	v_cndmask_b32_e64 v8, 0, 1, vcc
	v_cmp_eq_u32_e32 vcc, 3, v7
	v_cndmask_b32_e64 v7, 0, 1, vcc
	v_or_b32_e32 v7, v7, v8
	v_lshrrev_b32_e32 v3, 2, v3
	v_add_u32_e32 v3, v3, v7
	v_mov_b32_e32 v7, 0x7c00
	v_cmp_gt_i32_e32 vcc, 31, v6
	v_cndmask_b32_e32 v3, v7, v3, vcc
	v_mov_b32_e32 v8, 0x7e00
	v_cmp_ne_u32_e32 vcc, 0, v2
	s_movk_i32 s38, 0x40f
	v_cndmask_b32_e32 v2, v7, v8, vcc
	v_cmp_eq_u32_e32 vcc, s38, v6
	v_cndmask_b32_e32 v2, v3, v2, vcc
	v_lshrrev_b32_e32 v3, 16, v1
	s_mov_b32 s38, 0x8000
	v_and_or_b32 v2, v3, s38, v2
	v_and_b32_e32 v2, 0xffff, v2
	global_store_dword v[4:5], v2, off
.LBB126_740:
	s_mov_b64 s[38:39], 0
.LBB126_741:
	s_andn2_b64 vcc, exec, s[38:39]
	s_cbranch_vccnz .LBB126_750
; %bb.742:
	s_cmp_lt_i32 s40, 6
	s_mov_b64 s[38:39], -1
	s_cbranch_scc1 .LBB126_748
; %bb.743:
	s_cmp_gt_i32 s40, 6
	s_cbranch_scc0 .LBB126_745
; %bb.744:
	s_mov_b64 s[38:39], 0
	global_store_dwordx2 v[4:5], v[0:1], off
.LBB126_745:
	s_andn2_b64 vcc, exec, s[38:39]
	s_cbranch_vccnz .LBB126_747
; %bb.746:
	v_cvt_f32_f64_e32 v2, v[0:1]
	global_store_dword v[4:5], v2, off
.LBB126_747:
	s_mov_b64 s[38:39], 0
.LBB126_748:
	s_andn2_b64 vcc, exec, s[38:39]
	s_cbranch_vccnz .LBB126_750
; %bb.749:
	s_movk_i32 s38, 0x1ff
	v_and_or_b32 v2, v1, s38, v0
	v_cmp_ne_u32_e32 vcc, 0, v2
	v_cndmask_b32_e64 v2, 0, 1, vcc
	v_lshrrev_b32_e32 v3, 8, v1
	s_movk_i32 s38, 0xffe
	v_bfe_u32 v6, v1, 20, 11
	v_and_or_b32 v2, v3, s38, v2
	v_sub_u32_e32 v7, 0x3f1, v6
	v_or_b32_e32 v3, 0x1000, v2
	v_med3_i32 v7, v7, 0, 13
	v_lshrrev_b32_e32 v8, v7, v3
	v_lshlrev_b32_e32 v7, v7, v8
	v_cmp_ne_u32_e32 vcc, v7, v3
	v_cndmask_b32_e64 v3, 0, 1, vcc
	v_add_u32_e32 v6, 0xfffffc10, v6
	v_or_b32_e32 v3, v8, v3
	v_lshl_or_b32 v7, v6, 12, v2
	v_cmp_gt_i32_e32 vcc, 1, v6
	v_cndmask_b32_e32 v3, v7, v3, vcc
	v_and_b32_e32 v7, 7, v3
	v_cmp_lt_i32_e32 vcc, 5, v7
	v_cndmask_b32_e64 v8, 0, 1, vcc
	v_cmp_eq_u32_e32 vcc, 3, v7
	v_cndmask_b32_e64 v7, 0, 1, vcc
	v_or_b32_e32 v7, v7, v8
	v_lshrrev_b32_e32 v3, 2, v3
	v_add_u32_e32 v3, v3, v7
	v_mov_b32_e32 v7, 0x7c00
	v_cmp_gt_i32_e32 vcc, 31, v6
	v_cndmask_b32_e32 v3, v7, v3, vcc
	v_mov_b32_e32 v8, 0x7e00
	v_cmp_ne_u32_e32 vcc, 0, v2
	s_movk_i32 s38, 0x40f
	v_cndmask_b32_e32 v2, v7, v8, vcc
	v_cmp_eq_u32_e32 vcc, s38, v6
	v_cndmask_b32_e32 v2, v3, v2, vcc
	v_lshrrev_b32_e32 v3, 16, v1
	s_mov_b32 s38, 0x8000
	v_and_or_b32 v2, v3, s38, v2
	global_store_short v[4:5], v2, off
.LBB126_750:
	s_mov_b64 s[38:39], 0
.LBB126_751:
	s_andn2_b64 vcc, exec, s[38:39]
	s_cbranch_vccnz .LBB126_767
; %bb.752:
	s_cmp_lt_i32 s40, 2
	s_mov_b64 s[38:39], -1
	s_cbranch_scc1 .LBB126_762
; %bb.753:
	s_cmp_lt_i32 s40, 3
	s_cbranch_scc1 .LBB126_759
; %bb.754:
	s_cmp_gt_i32 s40, 3
	s_cbranch_scc0 .LBB126_756
; %bb.755:
	v_trunc_f64_e32 v[2:3], v[0:1]
	s_movk_i32 s38, 0xffe0
	v_ldexp_f64 v[6:7], v[2:3], s38
	s_mov_b32 s38, 0
	s_mov_b32 s39, 0xc1f00000
	v_floor_f64_e32 v[6:7], v[6:7]
	v_fma_f64 v[2:3], v[6:7], s[38:39], v[2:3]
	v_cvt_i32_f64_e32 v7, v[6:7]
	s_mov_b64 s[38:39], 0
	v_cvt_u32_f64_e32 v6, v[2:3]
	global_store_dwordx2 v[4:5], v[6:7], off
.LBB126_756:
	s_andn2_b64 vcc, exec, s[38:39]
	s_cbranch_vccnz .LBB126_758
; %bb.757:
	v_cvt_i32_f64_e32 v2, v[0:1]
	global_store_dword v[4:5], v2, off
.LBB126_758:
	s_mov_b64 s[38:39], 0
.LBB126_759:
	s_andn2_b64 vcc, exec, s[38:39]
	s_cbranch_vccnz .LBB126_761
; %bb.760:
	v_cvt_i32_f64_e32 v2, v[0:1]
	global_store_short v[4:5], v2, off
.LBB126_761:
	s_mov_b64 s[38:39], 0
.LBB126_762:
	s_andn2_b64 vcc, exec, s[38:39]
	s_cbranch_vccnz .LBB126_767
; %bb.763:
	s_cmp_gt_i32 s40, 0
	s_mov_b64 s[38:39], -1
	s_cbranch_scc0 .LBB126_765
; %bb.764:
	v_cvt_i32_f64_e32 v2, v[0:1]
	s_mov_b64 s[38:39], 0
	global_store_byte v[4:5], v2, off
.LBB126_765:
	s_andn2_b64 vcc, exec, s[38:39]
	s_cbranch_vccnz .LBB126_767
; %bb.766:
	v_trunc_f64_e32 v[0:1], v[0:1]
	s_movk_i32 s38, 0xffe0
	v_ldexp_f64 v[2:3], v[0:1], s38
	s_mov_b32 s38, 0
	s_mov_b32 s39, 0xc1f00000
	v_floor_f64_e32 v[2:3], v[2:3]
	v_fma_f64 v[0:1], v[2:3], s[38:39], v[0:1]
	v_cvt_u32_f64_e32 v0, v[0:1]
	global_store_byte v[4:5], v0, off
.LBB126_767:
	s_mov_b64 s[38:39], -1
.LBB126_768:
	s_andn2_b64 vcc, exec, s[38:39]
	s_cbranch_vccnz .LBB126_770
; %bb.769:
	v_add_u32_e32 v10, 0x80, v10
	s_mov_b64 s[40:41], -1
	s_branch .LBB126_771
.LBB126_770:
	s_mov_b64 s[40:41], 0
                                        ; implicit-def: $vgpr10
.LBB126_771:
	s_andn2_b64 s[38:39], s[28:29], exec
	s_and_b64 s[2:3], s[2:3], exec
	s_or_b64 s[38:39], s[38:39], s[2:3]
	s_andn2_b64 s[2:3], s[26:27], exec
	s_and_b64 s[36:37], s[36:37], exec
	s_or_b64 s[2:3], s[2:3], s[36:37]
	s_orn2_b64 s[42:43], s[40:41], exec
.LBB126_772:
	s_or_b64 exec, exec, s[34:35]
	s_mov_b64 s[36:37], 0
	s_mov_b64 s[40:41], 0
	;; [unrolled: 1-line block ×3, first 2 shown]
                                        ; implicit-def: $vgpr0_vgpr1
                                        ; implicit-def: $vgpr2_vgpr3
	s_and_saveexec_b64 s[34:35], s[42:43]
	s_cbranch_execz .LBB126_857
; %bb.773:
	v_cmp_gt_i32_e32 vcc, s46, v10
	s_mov_b64 s[42:43], 0
	s_mov_b64 s[46:47], s[2:3]
	;; [unrolled: 1-line block ×3, first 2 shown]
                                        ; implicit-def: $vgpr0_vgpr1
                                        ; implicit-def: $vgpr2_vgpr3
	s_and_saveexec_b64 s[36:37], vcc
	s_cbranch_execz .LBB126_856
; %bb.774:
	v_mul_lo_u32 v0, v10, s17
	v_mov_b32_e32 v1, s11
	s_and_b32 s51, 0xffff, s50
	s_cmp_lt_i32 s51, 11
	s_waitcnt vmcnt(0)
	v_ashrrev_i32_e32 v2, 31, v0
	v_add_co_u32_e32 v0, vcc, s10, v0
	v_addc_co_u32_e32 v1, vcc, v1, v2, vcc
	s_cbranch_scc1 .LBB126_781
; %bb.775:
	s_cmp_gt_i32 s51, 25
	s_cbranch_scc0 .LBB126_782
; %bb.776:
	s_cmp_gt_i32 s51, 28
	s_cbranch_scc0 .LBB126_783
	;; [unrolled: 3-line block ×4, first 2 shown]
; %bb.779:
	s_cmp_eq_u32 s51, 46
	s_mov_b64 s[46:47], 0
	s_cbranch_scc0 .LBB126_790
; %bb.780:
	global_load_dword v2, v[0:1], off
	s_mov_b64 s[44:45], -1
	s_waitcnt vmcnt(0)
	v_lshlrev_b32_e32 v2, 16, v2
	v_cvt_f64_f32_e32 v[2:3], v2
	s_branch .LBB126_792
.LBB126_781:
	s_mov_b64 s[46:47], -1
                                        ; implicit-def: $vgpr2_vgpr3
	s_mov_b64 s[40:41], s[2:3]
	s_branch .LBB126_855
.LBB126_782:
	s_mov_b64 s[46:47], -1
	s_mov_b64 s[40:41], s[2:3]
                                        ; implicit-def: $vgpr2_vgpr3
	s_branch .LBB126_823
.LBB126_783:
	s_mov_b64 s[46:47], -1
	s_mov_b64 s[40:41], s[2:3]
                                        ; implicit-def: $vgpr2_vgpr3
	s_branch .LBB126_802
.LBB126_784:
	s_mov_b64 s[46:47], -1
	s_mov_b64 s[40:41], s[2:3]
                                        ; implicit-def: $vgpr2_vgpr3
	s_branch .LBB126_797
.LBB126_785:
	s_andn2_saveexec_b64 s[42:43], s[42:43]
	s_cbranch_execz .LBB126_681
.LBB126_786:
	s_mov_b32 s47, 0x46000000
	v_add_f32_e64 v3, |v2|, s47
	v_and_b32_e32 v3, 0xff, v3
	v_cmp_ne_u32_e32 vcc, 0, v3
	s_andn2_b64 s[40:41], s[40:41], exec
	s_and_b64 s[48:49], vcc, exec
	s_or_b64 s[40:41], s[40:41], s[48:49]
	s_or_b64 exec, exec, s[42:43]
	v_mov_b32_e32 v6, 0
	s_and_saveexec_b64 s[42:43], s[40:41]
	s_cbranch_execnz .LBB126_682
	s_branch .LBB126_683
.LBB126_787:
	s_mov_b64 s[46:47], -1
	s_mov_b64 s[40:41], s[2:3]
	s_branch .LBB126_791
.LBB126_788:
	s_andn2_saveexec_b64 s[42:43], s[42:43]
	s_cbranch_execz .LBB126_694
.LBB126_789:
	s_mov_b32 s47, 0x42800000
	v_add_f32_e64 v3, |v2|, s47
	v_and_b32_e32 v3, 0xff, v3
	v_cmp_ne_u32_e32 vcc, 0, v3
	s_andn2_b64 s[40:41], s[40:41], exec
	s_and_b64 s[48:49], vcc, exec
	s_or_b64 s[40:41], s[40:41], s[48:49]
	s_or_b64 exec, exec, s[42:43]
	v_mov_b32_e32 v6, 0
	s_and_saveexec_b64 s[42:43], s[40:41]
	s_cbranch_execnz .LBB126_695
	s_branch .LBB126_696
.LBB126_790:
	s_mov_b64 s[40:41], -1
.LBB126_791:
                                        ; implicit-def: $vgpr2_vgpr3
.LBB126_792:
	s_and_b64 vcc, exec, s[46:47]
	s_cbranch_vccz .LBB126_796
; %bb.793:
	s_cmp_eq_u32 s51, 44
	s_cbranch_scc0 .LBB126_795
; %bb.794:
	global_load_ubyte v4, v[0:1], off
	s_movk_i32 s44, 0xff
	v_bfrev_b32_e32 v5, 4
	v_mov_b32_e32 v6, 0x7ff80000
	v_bfrev_b32_e32 v7, 28
	s_mov_b64 s[40:41], 0
	s_waitcnt vmcnt(0)
	v_lshlrev_b32_e32 v2, 23, v4
	v_cvt_f64_f32_e32 v[2:3], v2
	v_cmp_ne_u32_e32 vcc, s44, v4
	s_mov_b64 s[44:45], -1
	v_cndmask_b32_e32 v2, v5, v2, vcc
	v_cndmask_b32_e32 v3, v6, v3, vcc
	v_cmp_ne_u32_e32 vcc, 0, v4
	v_cndmask_b32_e32 v3, v7, v3, vcc
	v_cndmask_b32_e32 v2, 0, v2, vcc
	s_branch .LBB126_796
.LBB126_795:
	s_mov_b64 s[40:41], -1
                                        ; implicit-def: $vgpr2_vgpr3
.LBB126_796:
	s_mov_b64 s[46:47], 0
.LBB126_797:
	s_and_b64 vcc, exec, s[46:47]
	s_cbranch_vccz .LBB126_801
; %bb.798:
	s_cmp_eq_u32 s51, 29
	s_cbranch_scc0 .LBB126_800
; %bb.799:
	global_load_dwordx2 v[2:3], v[0:1], off
	s_mov_b64 s[40:41], 0
	s_mov_b64 s[44:45], -1
	s_mov_b64 s[46:47], 0
	s_waitcnt vmcnt(0)
	v_cvt_f64_u32_e32 v[3:4], v3
	v_cvt_f64_u32_e32 v[5:6], v2
	v_ldexp_f64 v[3:4], v[3:4], 32
	v_add_f64 v[2:3], v[3:4], v[5:6]
	s_branch .LBB126_802
.LBB126_800:
	s_mov_b64 s[40:41], -1
                                        ; implicit-def: $vgpr2_vgpr3
.LBB126_801:
	s_mov_b64 s[46:47], 0
.LBB126_802:
	s_and_b64 vcc, exec, s[46:47]
	s_cbranch_vccz .LBB126_822
; %bb.803:
	s_cmp_lt_i32 s51, 27
	s_cbranch_scc1 .LBB126_806
; %bb.804:
	s_cmp_gt_i32 s51, 27
	s_cbranch_scc0 .LBB126_807
; %bb.805:
	global_load_dword v2, v[0:1], off
	s_mov_b64 s[44:45], 0
	s_waitcnt vmcnt(0)
	v_cvt_f64_u32_e32 v[2:3], v2
	s_branch .LBB126_808
.LBB126_806:
	s_mov_b64 s[44:45], -1
                                        ; implicit-def: $vgpr2_vgpr3
	s_branch .LBB126_811
.LBB126_807:
	s_mov_b64 s[44:45], -1
                                        ; implicit-def: $vgpr2_vgpr3
.LBB126_808:
	s_andn2_b64 vcc, exec, s[44:45]
	s_cbranch_vccnz .LBB126_810
; %bb.809:
	global_load_ushort v2, v[0:1], off
	s_waitcnt vmcnt(0)
	v_cvt_f64_u32_e32 v[2:3], v2
.LBB126_810:
	s_mov_b64 s[44:45], 0
.LBB126_811:
	s_andn2_b64 vcc, exec, s[44:45]
	s_cbranch_vccnz .LBB126_821
; %bb.812:
	global_load_ubyte v4, v[0:1], off
	s_movk_i32 s44, 0x7f
	s_waitcnt vmcnt(0)
	v_cmp_lt_i16_e32 vcc, s44, v4
	s_mov_b64 s[44:45], 0
	s_and_saveexec_b64 s[46:47], vcc
	s_xor_b64 s[46:47], exec, s[46:47]
	s_cbranch_execz .LBB126_816
; %bb.813:
	s_movk_i32 s44, 0x80
	v_cmp_eq_u16_e32 vcc, s44, v4
	s_mov_b64 s[44:45], -1
	s_and_saveexec_b64 s[48:49], vcc
; %bb.814:
	s_xor_b64 s[44:45], exec, -1
; %bb.815:
	s_or_b64 exec, exec, s[48:49]
	s_and_b64 s[44:45], s[44:45], exec
.LBB126_816:
	s_or_saveexec_b64 s[46:47], s[46:47]
	v_bfrev_b32_e32 v2, 4
	v_mov_b32_e32 v3, 0x7ff80000
	s_xor_b64 exec, exec, s[46:47]
; %bb.817:
	v_cmp_ne_u16_e32 vcc, 0, v4
	v_mov_b32_e32 v2, 0
	s_andn2_b64 s[44:45], s[44:45], exec
	s_and_b64 s[48:49], vcc, exec
	v_mov_b32_e32 v3, 0
	s_or_b64 s[44:45], s[44:45], s[48:49]
; %bb.818:
	s_or_b64 exec, exec, s[46:47]
	s_and_saveexec_b64 s[46:47], s[44:45]
	s_cbranch_execz .LBB126_820
; %bb.819:
	v_and_b32_e32 v3, 0xffff, v4
	v_lshlrev_b32_e32 v2, 24, v4
	v_and_b32_e32 v4, 7, v3
	v_ffbh_u32_e32 v6, v4
	v_min_u32_e32 v6, 32, v6
	v_subrev_u32_e32 v7, 28, v6
	v_bfe_u32 v5, v3, 3, 4
	v_lshlrev_b32_e32 v3, v7, v3
	v_sub_u32_e32 v6, 29, v6
	v_and_b32_e32 v3, 7, v3
	v_cmp_eq_u32_e32 vcc, 0, v5
	v_cndmask_b32_e32 v5, v5, v6, vcc
	v_cndmask_b32_e32 v3, v4, v3, vcc
	v_mov_b32_e32 v4, 0x3b800000
	v_lshlrev_b32_e32 v3, 20, v3
	v_and_b32_e32 v2, 0x80000000, v2
	v_lshl_add_u32 v4, v5, 23, v4
	v_or3_b32 v2, v2, v4, v3
	v_cvt_f64_f32_e32 v[2:3], v2
.LBB126_820:
	s_or_b64 exec, exec, s[46:47]
.LBB126_821:
	s_mov_b64 s[44:45], -1
.LBB126_822:
	s_mov_b64 s[46:47], 0
.LBB126_823:
	s_and_b64 vcc, exec, s[46:47]
	s_cbranch_vccz .LBB126_854
; %bb.824:
	s_cmp_gt_i32 s51, 22
	s_cbranch_scc0 .LBB126_836
; %bb.825:
	s_cmp_lt_i32 s51, 24
	s_cbranch_scc1 .LBB126_837
; %bb.826:
	s_cmp_gt_i32 s51, 24
	s_cbranch_scc0 .LBB126_838
; %bb.827:
	global_load_ubyte v4, v[0:1], off
	s_movk_i32 s42, 0x7f
	s_waitcnt vmcnt(0)
	v_cmp_lt_i16_e32 vcc, s42, v4
	s_mov_b64 s[42:43], 0
	s_and_saveexec_b64 s[44:45], vcc
	s_xor_b64 s[44:45], exec, s[44:45]
	s_cbranch_execz .LBB126_831
; %bb.828:
	s_movk_i32 s42, 0x80
	v_cmp_eq_u16_e32 vcc, s42, v4
	s_mov_b64 s[42:43], -1
	s_and_saveexec_b64 s[46:47], vcc
; %bb.829:
	s_xor_b64 s[42:43], exec, -1
; %bb.830:
	s_or_b64 exec, exec, s[46:47]
	s_and_b64 s[42:43], s[42:43], exec
.LBB126_831:
	s_or_saveexec_b64 s[44:45], s[44:45]
	v_bfrev_b32_e32 v2, 4
	v_mov_b32_e32 v3, 0x7ff80000
	s_xor_b64 exec, exec, s[44:45]
; %bb.832:
	v_cmp_ne_u16_e32 vcc, 0, v4
	v_mov_b32_e32 v2, 0
	s_andn2_b64 s[42:43], s[42:43], exec
	s_and_b64 s[46:47], vcc, exec
	v_mov_b32_e32 v3, 0
	s_or_b64 s[42:43], s[42:43], s[46:47]
; %bb.833:
	s_or_b64 exec, exec, s[44:45]
	s_and_saveexec_b64 s[44:45], s[42:43]
	s_cbranch_execz .LBB126_835
; %bb.834:
	v_and_b32_e32 v3, 0xffff, v4
	v_lshlrev_b32_e32 v2, 24, v4
	v_and_b32_e32 v4, 3, v3
	v_ffbh_u32_e32 v6, v4
	v_min_u32_e32 v6, 32, v6
	v_subrev_u32_e32 v7, 29, v6
	v_bfe_u32 v5, v3, 2, 5
	v_lshlrev_b32_e32 v3, v7, v3
	v_sub_u32_e32 v6, 30, v6
	v_and_b32_e32 v3, 3, v3
	v_cmp_eq_u32_e32 vcc, 0, v5
	v_cndmask_b32_e32 v5, v5, v6, vcc
	v_cndmask_b32_e32 v3, v4, v3, vcc
	v_mov_b32_e32 v4, 0x37800000
	v_lshlrev_b32_e32 v3, 21, v3
	v_and_b32_e32 v2, 0x80000000, v2
	v_lshl_add_u32 v4, v5, 23, v4
	v_or3_b32 v2, v2, v4, v3
	v_cvt_f64_f32_e32 v[2:3], v2
.LBB126_835:
	s_or_b64 exec, exec, s[44:45]
	s_mov_b64 s[42:43], 0
	s_branch .LBB126_839
.LBB126_836:
	s_mov_b64 s[42:43], -1
                                        ; implicit-def: $vgpr2_vgpr3
	s_branch .LBB126_845
.LBB126_837:
	s_mov_b64 s[42:43], -1
                                        ; implicit-def: $vgpr2_vgpr3
	s_branch .LBB126_842
.LBB126_838:
	s_mov_b64 s[42:43], -1
                                        ; implicit-def: $vgpr2_vgpr3
.LBB126_839:
	s_and_b64 vcc, exec, s[42:43]
	s_cbranch_vccz .LBB126_841
; %bb.840:
	global_load_ubyte v2, v[0:1], off
	s_mov_b32 s42, 0x7f800000
	s_waitcnt vmcnt(0)
	v_lshlrev_b32_e32 v2, 24, v2
	v_and_b32_e32 v3, 0x7f000000, v2
	v_ffbh_u32_e32 v4, v3
	v_min_u32_e32 v4, 32, v4
	v_sub_u32_e64 v4, v4, 4 clamp
	v_lshlrev_b32_e32 v6, v4, v3
	v_lshlrev_b32_e32 v4, 23, v4
	v_lshrrev_b32_e32 v6, 4, v6
	v_add_u32_e32 v5, 0x1000000, v3
	v_sub_u32_e32 v4, v6, v4
	v_ashrrev_i32_e32 v5, 8, v5
	v_add_u32_e32 v4, 0x3c000000, v4
	v_and_or_b32 v4, v5, s42, v4
	v_cmp_ne_u32_e32 vcc, 0, v3
	v_cndmask_b32_e32 v3, 0, v4, vcc
	s_brev_b32 s42, 1
	v_and_or_b32 v2, v2, s42, v3
	v_cvt_f64_f32_e32 v[2:3], v2
.LBB126_841:
	s_mov_b64 s[42:43], 0
.LBB126_842:
	s_andn2_b64 vcc, exec, s[42:43]
	s_cbranch_vccnz .LBB126_844
; %bb.843:
	global_load_ubyte v2, v[0:1], off
	s_movk_i32 s42, 0x7f00
	s_brev_b32 s43, 16
	s_waitcnt vmcnt(0)
	v_lshlrev_b16_e32 v3, 8, v2
	v_lshlrev_b32_e32 v2, 25, v2
	v_lshrrev_b32_e32 v4, 4, v2
	v_and_or_b32 v5, v3, s42, 0.5
	v_or_b32_e32 v4, 0x70000000, v4
	v_add_f32_e32 v5, -0.5, v5
	v_mul_f32_e32 v4, 0x7800000, v4
	v_cmp_gt_u32_e32 vcc, s43, v2
	v_bfe_i32 v3, v3, 0, 16
	v_cndmask_b32_e32 v2, v4, v5, vcc
	s_brev_b32 s42, 1
	v_and_or_b32 v2, v3, s42, v2
	v_cvt_f64_f32_e32 v[2:3], v2
.LBB126_844:
	s_mov_b64 s[42:43], 0
	s_mov_b64 s[44:45], -1
.LBB126_845:
	s_andn2_b64 vcc, exec, s[42:43]
	s_mov_b64 s[42:43], 0
	s_cbranch_vccnz .LBB126_854
; %bb.846:
	s_cmp_gt_i32 s51, 14
	s_cbranch_scc0 .LBB126_849
; %bb.847:
	s_cmp_eq_u32 s51, 15
	s_cbranch_scc0 .LBB126_850
; %bb.848:
	global_load_ushort v2, v[0:1], off
	s_mov_b64 s[40:41], 0
	s_mov_b64 s[44:45], -1
	s_waitcnt vmcnt(0)
	v_lshlrev_b32_e32 v2, 16, v2
	v_cvt_f64_f32_e32 v[2:3], v2
	s_branch .LBB126_851
.LBB126_849:
	s_mov_b64 s[46:47], -1
                                        ; implicit-def: $vgpr2_vgpr3
	s_branch .LBB126_852
.LBB126_850:
	s_mov_b64 s[40:41], -1
                                        ; implicit-def: $vgpr2_vgpr3
.LBB126_851:
	s_mov_b64 s[46:47], 0
.LBB126_852:
	s_and_b64 vcc, exec, s[46:47]
	s_cbranch_vccz .LBB126_854
; %bb.853:
	s_cmp_lg_u32 s51, 11
	s_cselect_b64 s[46:47], -1, 0
	s_andn2_b64 s[40:41], s[40:41], exec
	s_and_b64 s[46:47], s[46:47], exec
	s_mov_b64 s[42:43], -1
	s_or_b64 s[40:41], s[40:41], s[46:47]
.LBB126_854:
	s_mov_b64 s[46:47], 0
.LBB126_855:
	s_and_b64 s[48:49], s[46:47], exec
	s_andn2_b64 s[46:47], s[2:3], exec
	s_and_b64 s[40:41], s[40:41], exec
	s_and_b64 s[44:45], s[44:45], exec
	s_and_b64 s[42:43], s[42:43], exec
	s_or_b64 s[46:47], s[46:47], s[40:41]
.LBB126_856:
	s_or_b64 exec, exec, s[36:37]
	s_and_b64 s[36:37], s[42:43], exec
	s_andn2_b64 s[2:3], s[2:3], exec
	s_and_b64 s[42:43], s[46:47], exec
	s_and_b64 s[44:45], s[44:45], exec
	;; [unrolled: 1-line block ×3, first 2 shown]
	s_or_b64 s[2:3], s[2:3], s[42:43]
.LBB126_857:
	s_or_b64 exec, exec, s[34:35]
	s_andn2_b64 s[28:29], s[28:29], exec
	s_and_b64 s[34:35], s[38:39], exec
	s_andn2_b64 s[26:27], s[26:27], exec
	s_and_b64 s[2:3], s[2:3], exec
	s_or_b64 s[28:29], s[28:29], s[34:35]
	s_and_b64 s[38:39], s[44:45], exec
	s_and_b64 s[34:35], s[40:41], exec
	;; [unrolled: 1-line block ×3, first 2 shown]
	s_or_b64 s[26:27], s[26:27], s[2:3]
.LBB126_858:
	s_or_b64 exec, exec, s[30:31]
	s_andn2_b64 s[2:3], s[20:21], exec
	s_and_b64 s[20:21], s[28:29], exec
	s_or_b64 s[20:21], s[2:3], s[20:21]
	s_andn2_b64 s[2:3], s[22:23], exec
	s_and_b64 s[22:23], s[26:27], exec
	s_and_b64 s[30:31], s[38:39], exec
	;; [unrolled: 1-line block ×4, first 2 shown]
	s_or_b64 s[22:23], s[2:3], s[22:23]
	s_or_b64 exec, exec, s[24:25]
	s_mov_b64 s[2:3], 0
	s_and_saveexec_b64 s[24:25], s[22:23]
	s_cbranch_execz .LBB126_262
.LBB126_859:
	s_mov_b64 s[2:3], exec
	s_andn2_b64 s[28:29], s[28:29], exec
	s_trap 2
	s_or_b64 exec, exec, s[24:25]
	s_and_saveexec_b64 s[22:23], s[28:29]
	s_xor_b64 s[22:23], exec, s[22:23]
	s_cbranch_execnz .LBB126_263
.LBB126_860:
	s_or_b64 exec, exec, s[22:23]
	s_and_saveexec_b64 s[22:23], s[34:35]
	s_cbranch_execz .LBB126_906
.LBB126_861:
	s_sext_i32_i16 s24, s50
	s_cmp_lt_i32 s24, 5
	s_cbranch_scc1 .LBB126_866
; %bb.862:
	s_cmp_lt_i32 s24, 8
	s_cbranch_scc1 .LBB126_867
; %bb.863:
	;; [unrolled: 3-line block ×3, first 2 shown]
	s_cmp_gt_i32 s24, 9
	s_cbranch_scc0 .LBB126_869
; %bb.865:
	global_load_dwordx2 v[2:3], v[0:1], off
	s_mov_b64 s[24:25], 0
	s_branch .LBB126_870
.LBB126_866:
                                        ; implicit-def: $vgpr2_vgpr3
	s_branch .LBB126_887
.LBB126_867:
                                        ; implicit-def: $vgpr2_vgpr3
	s_branch .LBB126_876
.LBB126_868:
	s_mov_b64 s[24:25], -1
                                        ; implicit-def: $vgpr2_vgpr3
	s_branch .LBB126_873
.LBB126_869:
	s_mov_b64 s[24:25], -1
                                        ; implicit-def: $vgpr2_vgpr3
.LBB126_870:
	s_andn2_b64 vcc, exec, s[24:25]
	s_cbranch_vccnz .LBB126_872
; %bb.871:
	global_load_dword v2, v[0:1], off
	s_waitcnt vmcnt(0)
	v_cvt_f64_f32_e32 v[2:3], v2
.LBB126_872:
	s_mov_b64 s[24:25], 0
.LBB126_873:
	s_andn2_b64 vcc, exec, s[24:25]
	s_cbranch_vccnz .LBB126_875
; %bb.874:
	global_load_dword v2, v[0:1], off
	s_waitcnt vmcnt(0)
	v_cvt_f32_f16_e32 v2, v2
	v_cvt_f64_f32_e32 v[2:3], v2
.LBB126_875:
	s_cbranch_execnz .LBB126_886
.LBB126_876:
	s_sext_i32_i16 s24, s50
	s_cmp_lt_i32 s24, 6
	s_cbranch_scc1 .LBB126_879
; %bb.877:
	s_cmp_gt_i32 s24, 6
	s_cbranch_scc0 .LBB126_880
; %bb.878:
	global_load_dwordx2 v[2:3], v[0:1], off
	s_mov_b64 s[24:25], 0
	s_branch .LBB126_881
.LBB126_879:
	s_mov_b64 s[24:25], -1
                                        ; implicit-def: $vgpr2_vgpr3
	s_branch .LBB126_884
.LBB126_880:
	s_mov_b64 s[24:25], -1
                                        ; implicit-def: $vgpr2_vgpr3
.LBB126_881:
	s_andn2_b64 vcc, exec, s[24:25]
	s_cbranch_vccnz .LBB126_883
; %bb.882:
	global_load_dword v2, v[0:1], off
	s_waitcnt vmcnt(0)
	v_cvt_f64_f32_e32 v[2:3], v2
.LBB126_883:
	s_mov_b64 s[24:25], 0
.LBB126_884:
	s_andn2_b64 vcc, exec, s[24:25]
	s_cbranch_vccnz .LBB126_886
; %bb.885:
	global_load_ushort v2, v[0:1], off
	s_waitcnt vmcnt(0)
	v_cvt_f32_f16_e32 v2, v2
	v_cvt_f64_f32_e32 v[2:3], v2
.LBB126_886:
	s_cbranch_execnz .LBB126_905
.LBB126_887:
	s_sext_i32_i16 s24, s50
	s_cmp_lt_i32 s24, 2
	s_cbranch_scc1 .LBB126_891
; %bb.888:
	s_cmp_lt_i32 s24, 3
	s_cbranch_scc1 .LBB126_892
; %bb.889:
	s_cmp_gt_i32 s24, 3
	s_cbranch_scc0 .LBB126_893
; %bb.890:
	global_load_dwordx2 v[2:3], v[0:1], off
	s_mov_b64 s[24:25], 0
	s_waitcnt vmcnt(0)
	v_cvt_f64_i32_e32 v[3:4], v3
	v_cvt_f64_u32_e32 v[5:6], v2
	v_ldexp_f64 v[3:4], v[3:4], 32
	v_add_f64 v[2:3], v[3:4], v[5:6]
	s_branch .LBB126_894
.LBB126_891:
                                        ; implicit-def: $vgpr2_vgpr3
	s_branch .LBB126_900
.LBB126_892:
	s_mov_b64 s[24:25], -1
                                        ; implicit-def: $vgpr2_vgpr3
	s_branch .LBB126_897
.LBB126_893:
	s_mov_b64 s[24:25], -1
                                        ; implicit-def: $vgpr2_vgpr3
.LBB126_894:
	s_andn2_b64 vcc, exec, s[24:25]
	s_cbranch_vccnz .LBB126_896
; %bb.895:
	global_load_dword v2, v[0:1], off
	s_waitcnt vmcnt(0)
	v_cvt_f64_i32_e32 v[2:3], v2
.LBB126_896:
	s_mov_b64 s[24:25], 0
.LBB126_897:
	s_andn2_b64 vcc, exec, s[24:25]
	s_cbranch_vccnz .LBB126_899
; %bb.898:
	global_load_sshort v2, v[0:1], off
	s_waitcnt vmcnt(0)
	v_cvt_f64_i32_e32 v[2:3], v2
.LBB126_899:
	s_cbranch_execnz .LBB126_905
.LBB126_900:
	s_sext_i32_i16 s24, s50
	s_cmp_gt_i32 s24, 0
	s_cbranch_scc0 .LBB126_902
; %bb.901:
	global_load_sbyte v2, v[0:1], off
	s_mov_b64 s[24:25], 0
	s_waitcnt vmcnt(0)
	v_cvt_f64_i32_e32 v[2:3], v2
	s_branch .LBB126_903
.LBB126_902:
	s_mov_b64 s[24:25], -1
                                        ; implicit-def: $vgpr2_vgpr3
.LBB126_903:
	s_andn2_b64 vcc, exec, s[24:25]
	s_cbranch_vccnz .LBB126_905
; %bb.904:
	global_load_ubyte v0, v[0:1], off
	s_waitcnt vmcnt(0)
	v_cvt_f64_u32_e32 v[2:3], v0
.LBB126_905:
	s_or_b64 s[30:31], s[30:31], exec
.LBB126_906:
	s_or_b64 exec, exec, s[22:23]
	s_mov_b64 s[26:27], 0
	s_mov_b64 s[24:25], 0
                                        ; implicit-def: $sgpr34
                                        ; implicit-def: $vgpr4_vgpr5
                                        ; implicit-def: $vgpr0_vgpr1
	s_and_saveexec_b64 s[22:23], s[30:31]
	s_cbranch_execz .LBB126_914
; %bb.907:
	v_mul_lo_u32 v4, v10, s16
	v_mov_b32_e32 v0, s15
	s_waitcnt vmcnt(0)
	v_cndmask_b32_e64 v1, v0, v3, s[0:1]
	v_mov_b32_e32 v0, s14
	v_cndmask_b32_e64 v0, v0, v2, s[0:1]
	v_ashrrev_i32_e32 v2, 31, v4
	v_mov_b32_e32 v3, s9
	s_and_b32 s34, s33, 0xff
	v_add_co_u32_e32 v4, vcc, s8, v4
	s_cmp_lt_i32 s34, 11
	v_addc_co_u32_e32 v5, vcc, v3, v2, vcc
	s_cbranch_scc1 .LBB126_917
; %bb.908:
	s_and_b32 s35, 0xffff, s34
	s_mov_b64 s[26:27], -1
	s_cmp_gt_i32 s35, 25
	s_mov_b64 s[0:1], s[20:21]
	s_cbranch_scc0 .LBB126_945
; %bb.909:
	s_mov_b64 s[24:25], -1
	s_cmp_gt_i32 s35, 28
	s_mov_b64 s[0:1], s[20:21]
	s_cbranch_scc0 .LBB126_929
; %bb.910:
	s_cmp_gt_i32 s35, 43
	s_mov_b64 s[0:1], s[20:21]
	s_cbranch_scc0 .LBB126_925
; %bb.911:
	;; [unrolled: 4-line block ×3, first 2 shown]
	s_cmp_eq_u32 s35, 46
	s_mov_b64 s[0:1], -1
	s_cbranch_scc0 .LBB126_918
; %bb.913:
	v_cvt_f32_f64_e32 v2, v[0:1]
	s_movk_i32 s0, 0x7fff
	v_mov_b32_e32 v3, 0x7fc0
	s_mov_b64 s[24:25], 0
	v_bfe_u32 v6, v2, 16, 1
	v_cmp_o_f32_e32 vcc, v2, v2
	v_add3_u32 v2, v2, v6, s0
	v_cndmask_b32_sdwa v2, v3, v2, vcc dst_sel:DWORD dst_unused:UNUSED_PAD src0_sel:DWORD src1_sel:WORD_1
	global_store_dword v[4:5], v2, off
	s_mov_b64 s[0:1], 0
	s_branch .LBB126_919
.LBB126_914:
	s_or_b64 exec, exec, s[22:23]
	s_and_saveexec_b64 s[0:1], s[20:21]
	s_cbranch_execnz .LBB126_987
.LBB126_915:
	s_or_b64 exec, exec, s[0:1]
	s_and_saveexec_b64 s[0:1], s[26:27]
	s_xor_b64 s[0:1], exec, s[0:1]
	s_cbranch_execz .LBB126_988
.LBB126_916:
	v_cmp_neq_f64_e32 vcc, 0, v[0:1]
	s_waitcnt vmcnt(0)
	v_cndmask_b32_e64 v2, 0, 1, vcc
	global_store_byte v[4:5], v2, off
	s_or_b64 exec, exec, s[0:1]
	s_and_saveexec_b64 s[0:1], s[24:25]
	s_xor_b64 s[0:1], exec, s[0:1]
	s_cbranch_execz .LBB126_1026
	s_branch .LBB126_989
.LBB126_917:
	s_mov_b64 s[24:25], -1
	s_mov_b64 s[0:1], s[20:21]
	s_branch .LBB126_986
.LBB126_918:
	s_mov_b64 s[24:25], 0
.LBB126_919:
	s_and_b64 vcc, exec, s[24:25]
	s_cbranch_vccz .LBB126_924
; %bb.920:
	s_cmp_eq_u32 s35, 44
	s_mov_b64 s[0:1], -1
	s_cbranch_scc0 .LBB126_924
; %bb.921:
	v_cvt_f32_f64_e32 v2, v[0:1]
	s_movk_i32 s0, 0xff
	v_mov_b32_e32 v6, 0xff
	v_bfe_u32 v3, v2, 23, 8
	v_cmp_ne_u32_e32 vcc, s0, v3
	s_and_saveexec_b64 s[24:25], vcc
; %bb.922:
	s_mov_b32 s0, 0x3fffff
	v_lshrrev_b32_e32 v6, 23, v2
	v_and_b32_e32 v7, 0x400000, v2
	v_and_or_b32 v2, v2, s0, v3
	v_cmp_ne_u32_e32 vcc, 0, v7
	v_cmp_ne_u32_e64 s[0:1], 0, v2
	s_and_b64 s[0:1], vcc, s[0:1]
	v_cndmask_b32_e64 v2, 0, 1, s[0:1]
	v_add_u32_e32 v6, v6, v2
; %bb.923:
	s_or_b64 exec, exec, s[24:25]
	s_mov_b64 s[0:1], 0
	global_store_byte v[4:5], v6, off
.LBB126_924:
	s_mov_b64 s[24:25], 0
.LBB126_925:
	s_and_b64 vcc, exec, s[24:25]
	s_cbranch_vccz .LBB126_928
; %bb.926:
	s_cmp_eq_u32 s35, 29
	s_mov_b64 s[0:1], -1
	s_cbranch_scc0 .LBB126_928
; %bb.927:
	v_trunc_f64_e32 v[2:3], v[0:1]
	s_movk_i32 s0, 0xffe0
	s_mov_b64 s[24:25], 0
	v_ldexp_f64 v[6:7], v[2:3], s0
	s_mov_b32 s0, 0
	s_mov_b32 s1, 0xc1f00000
	v_floor_f64_e32 v[6:7], v[6:7]
	v_fma_f64 v[2:3], v[6:7], s[0:1], v[2:3]
	v_cvt_u32_f64_e32 v7, v[6:7]
	s_mov_b64 s[0:1], 0
	v_cvt_u32_f64_e32 v6, v[2:3]
	global_store_dwordx2 v[4:5], v[6:7], off
	s_branch .LBB126_929
.LBB126_928:
	s_mov_b64 s[24:25], 0
.LBB126_929:
	s_and_b64 vcc, exec, s[24:25]
	s_cbranch_vccz .LBB126_944
; %bb.930:
	s_cmp_lt_i32 s35, 27
	s_mov_b64 s[24:25], -1
	s_cbranch_scc1 .LBB126_936
; %bb.931:
	v_cvt_u32_f64_e32 v2, v[0:1]
	s_cmp_gt_i32 s35, 27
	s_cbranch_scc0 .LBB126_933
; %bb.932:
	s_mov_b64 s[24:25], 0
	global_store_dword v[4:5], v2, off
.LBB126_933:
	s_andn2_b64 vcc, exec, s[24:25]
	s_cbranch_vccnz .LBB126_935
; %bb.934:
	global_store_short v[4:5], v2, off
.LBB126_935:
	s_mov_b64 s[24:25], 0
.LBB126_936:
	s_andn2_b64 vcc, exec, s[24:25]
	s_cbranch_vccnz .LBB126_944
; %bb.937:
	v_cvt_f32_f64_e32 v2, v[0:1]
	s_mov_b32 s24, 0x43800000
	v_mov_b32_e32 v6, 0x80
	v_and_b32_e32 v3, 0x7fffffff, v2
	v_cmp_gt_u32_e32 vcc, s24, v3
	s_and_saveexec_b64 s[24:25], vcc
	s_cbranch_execz .LBB126_943
; %bb.938:
	s_mov_b32 s26, 0x3bffffff
	v_cmp_lt_u32_e32 vcc, s26, v3
	s_mov_b64 s[26:27], 0
                                        ; implicit-def: $vgpr3
	s_and_saveexec_b64 s[28:29], vcc
	s_xor_b64 s[28:29], exec, s[28:29]
	s_cbranch_execz .LBB126_1041
; %bb.939:
	v_bfe_u32 v3, v2, 20, 1
	s_mov_b32 s30, 0x487ffff
	v_add3_u32 v3, v2, v3, s30
	s_mov_b64 s[26:27], exec
	v_lshrrev_b32_e32 v3, 20, v3
	s_andn2_saveexec_b64 s[28:29], s[28:29]
	s_cbranch_execnz .LBB126_1042
.LBB126_940:
	s_or_b64 exec, exec, s[28:29]
	v_mov_b32_e32 v6, 0
	s_and_saveexec_b64 s[28:29], s[26:27]
.LBB126_941:
	v_lshrrev_b32_e32 v2, 24, v2
	s_movk_i32 s26, 0x80
	v_and_or_b32 v6, v2, s26, v3
.LBB126_942:
	s_or_b64 exec, exec, s[28:29]
.LBB126_943:
	s_or_b64 exec, exec, s[24:25]
	global_store_byte v[4:5], v6, off
.LBB126_944:
	s_mov_b64 s[26:27], 0
.LBB126_945:
	s_mov_b64 s[24:25], 0
	s_and_b64 vcc, exec, s[26:27]
	s_cbranch_vccz .LBB126_985
; %bb.946:
	s_cmp_gt_i32 s35, 22
	s_mov_b64 s[26:27], -1
	s_cbranch_scc0 .LBB126_978
; %bb.947:
	s_cmp_lt_i32 s35, 24
	s_cbranch_scc1 .LBB126_967
; %bb.948:
	s_cmp_gt_i32 s35, 24
	s_cbranch_scc0 .LBB126_956
; %bb.949:
	v_cvt_f32_f64_e32 v2, v[0:1]
	s_mov_b32 s26, 0x47800000
	v_mov_b32_e32 v6, 0x80
	v_and_b32_e32 v3, 0x7fffffff, v2
	v_cmp_gt_u32_e32 vcc, s26, v3
	s_and_saveexec_b64 s[26:27], vcc
	s_cbranch_execz .LBB126_955
; %bb.950:
	s_mov_b32 s28, 0x37ffffff
	v_cmp_lt_u32_e32 vcc, s28, v3
	s_mov_b64 s[28:29], 0
                                        ; implicit-def: $vgpr3
	s_and_saveexec_b64 s[30:31], vcc
	s_xor_b64 s[30:31], exec, s[30:31]
	s_cbranch_execz .LBB126_1167
; %bb.951:
	v_bfe_u32 v3, v2, 21, 1
	s_mov_b32 s36, 0x88fffff
	v_add3_u32 v3, v2, v3, s36
	s_mov_b64 s[28:29], exec
	v_lshrrev_b32_e32 v3, 21, v3
	s_andn2_saveexec_b64 s[30:31], s[30:31]
	s_cbranch_execnz .LBB126_1168
.LBB126_952:
	s_or_b64 exec, exec, s[30:31]
	v_mov_b32_e32 v6, 0
	s_and_saveexec_b64 s[30:31], s[28:29]
.LBB126_953:
	v_lshrrev_b32_e32 v2, 24, v2
	s_movk_i32 s28, 0x80
	v_and_or_b32 v6, v2, s28, v3
.LBB126_954:
	s_or_b64 exec, exec, s[30:31]
.LBB126_955:
	s_or_b64 exec, exec, s[26:27]
	s_mov_b64 s[26:27], 0
	global_store_byte v[4:5], v6, off
.LBB126_956:
	s_and_b64 vcc, exec, s[26:27]
	s_cbranch_vccz .LBB126_966
; %bb.957:
	v_cvt_f32_f64_e32 v2, v[0:1]
	s_mov_b32 s26, 0x43f00000
                                        ; implicit-def: $vgpr3
	v_and_b32_e32 v6, 0x7fffffff, v2
	v_cmp_gt_u32_e32 vcc, s26, v6
	s_and_saveexec_b64 s[26:27], vcc
	s_xor_b64 s[26:27], exec, s[26:27]
	s_cbranch_execz .LBB126_963
; %bb.958:
	s_mov_b32 s28, 0x3c7fffff
	v_cmp_lt_u32_e32 vcc, s28, v6
                                        ; implicit-def: $vgpr3
	s_and_saveexec_b64 s[28:29], vcc
	s_xor_b64 s[28:29], exec, s[28:29]
; %bb.959:
	v_bfe_u32 v3, v2, 20, 1
	s_mov_b32 s30, 0x407ffff
	v_add3_u32 v3, v2, v3, s30
	v_lshrrev_b32_e32 v6, 20, v3
	v_and_b32_e32 v3, 0xff00000, v3
	s_mov_b32 s30, 0x7f00000
	v_mov_b32_e32 v7, 0x7e
	v_cmp_ne_u32_e32 vcc, s30, v3
	v_cndmask_b32_e32 v3, v7, v6, vcc
; %bb.960:
	s_andn2_saveexec_b64 s[28:29], s[28:29]
; %bb.961:
	s_mov_b32 s30, 0x46800000
	v_add_f32_e64 v3, |v2|, s30
; %bb.962:
	s_or_b64 exec, exec, s[28:29]
                                        ; implicit-def: $vgpr6
.LBB126_963:
	s_andn2_saveexec_b64 s[26:27], s[26:27]
; %bb.964:
	s_mov_b32 s28, 0x7f800000
	v_mov_b32_e32 v3, 0x7e
	v_mov_b32_e32 v7, 0x7f
	v_cmp_lt_u32_e32 vcc, s28, v6
	v_cndmask_b32_e32 v3, v3, v7, vcc
; %bb.965:
	s_or_b64 exec, exec, s[26:27]
	v_lshrrev_b32_e32 v2, 24, v2
	s_movk_i32 s26, 0x80
	v_and_or_b32 v2, v2, s26, v3
	global_store_byte v[4:5], v2, off
.LBB126_966:
	s_mov_b64 s[26:27], 0
.LBB126_967:
	s_andn2_b64 vcc, exec, s[26:27]
	s_cbranch_vccnz .LBB126_977
; %bb.968:
	v_cvt_f32_f64_e32 v2, v[0:1]
	s_mov_b32 s26, 0x47800000
                                        ; implicit-def: $vgpr3
	v_and_b32_e32 v6, 0x7fffffff, v2
	v_cmp_gt_u32_e32 vcc, s26, v6
	s_and_saveexec_b64 s[26:27], vcc
	s_xor_b64 s[26:27], exec, s[26:27]
	s_cbranch_execz .LBB126_974
; %bb.969:
	s_mov_b32 s28, 0x387fffff
	v_cmp_lt_u32_e32 vcc, s28, v6
                                        ; implicit-def: $vgpr3
	s_and_saveexec_b64 s[28:29], vcc
	s_xor_b64 s[28:29], exec, s[28:29]
; %bb.970:
	v_bfe_u32 v3, v2, 21, 1
	s_mov_b32 s30, 0x80fffff
	v_add3_u32 v3, v2, v3, s30
	v_lshrrev_b32_e32 v3, 21, v3
; %bb.971:
	s_andn2_saveexec_b64 s[28:29], s[28:29]
; %bb.972:
	s_mov_b32 s30, 0x43000000
	v_add_f32_e64 v3, |v2|, s30
; %bb.973:
	s_or_b64 exec, exec, s[28:29]
                                        ; implicit-def: $vgpr6
.LBB126_974:
	s_andn2_saveexec_b64 s[26:27], s[26:27]
; %bb.975:
	s_mov_b32 s28, 0x7f800000
	v_mov_b32_e32 v3, 0x7c
	v_mov_b32_e32 v7, 0x7f
	v_cmp_lt_u32_e32 vcc, s28, v6
	v_cndmask_b32_e32 v3, v3, v7, vcc
; %bb.976:
	s_or_b64 exec, exec, s[26:27]
	v_lshrrev_b32_e32 v2, 24, v2
	s_movk_i32 s26, 0x80
	v_and_or_b32 v2, v2, s26, v3
	global_store_byte v[4:5], v2, off
.LBB126_977:
	s_mov_b64 s[26:27], 0
.LBB126_978:
	s_andn2_b64 vcc, exec, s[26:27]
	s_mov_b64 s[26:27], 0
	s_cbranch_vccnz .LBB126_986
; %bb.979:
	s_cmp_gt_i32 s35, 14
	s_mov_b64 s[28:29], -1
	s_cbranch_scc0 .LBB126_983
; %bb.980:
	s_cmp_eq_u32 s35, 15
	s_mov_b64 s[0:1], -1
	s_cbranch_scc0 .LBB126_982
; %bb.981:
	v_cvt_f32_f64_e32 v2, v[0:1]
	s_movk_i32 s0, 0x7fff
	v_mov_b32_e32 v3, 0x7fc0
	v_bfe_u32 v6, v2, 16, 1
	v_cmp_o_f32_e32 vcc, v2, v2
	v_add3_u32 v2, v2, v6, s0
	v_cndmask_b32_sdwa v2, v3, v2, vcc dst_sel:DWORD dst_unused:UNUSED_PAD src0_sel:DWORD src1_sel:WORD_1
	global_store_short v[4:5], v2, off
	s_mov_b64 s[0:1], 0
.LBB126_982:
	s_mov_b64 s[28:29], 0
.LBB126_983:
	s_and_b64 vcc, exec, s[28:29]
	s_cbranch_vccz .LBB126_986
; %bb.984:
	s_cmp_lg_u32 s35, 11
	s_cselect_b64 s[28:29], -1, 0
	s_andn2_b64 s[0:1], s[0:1], exec
	s_and_b64 s[28:29], s[28:29], exec
	s_mov_b64 s[26:27], -1
	s_or_b64 s[0:1], s[0:1], s[28:29]
	s_branch .LBB126_986
.LBB126_985:
	s_mov_b64 s[26:27], 0
.LBB126_986:
	s_andn2_b64 s[20:21], s[20:21], exec
	s_and_b64 s[0:1], s[0:1], exec
	s_and_b64 s[24:25], s[24:25], exec
	;; [unrolled: 1-line block ×3, first 2 shown]
	s_or_b64 s[20:21], s[20:21], s[0:1]
	s_or_b64 exec, exec, s[22:23]
	s_and_saveexec_b64 s[0:1], s[20:21]
	s_cbranch_execz .LBB126_915
.LBB126_987:
	s_or_b64 s[2:3], s[2:3], exec
	s_andn2_b64 s[26:27], s[26:27], exec
	s_trap 2
	s_or_b64 exec, exec, s[0:1]
	s_and_saveexec_b64 s[0:1], s[26:27]
	s_xor_b64 s[0:1], exec, s[0:1]
	s_cbranch_execnz .LBB126_916
.LBB126_988:
	s_or_b64 exec, exec, s[0:1]
	s_and_saveexec_b64 s[0:1], s[24:25]
	s_xor_b64 s[0:1], exec, s[0:1]
	s_cbranch_execz .LBB126_1026
.LBB126_989:
	s_sext_i32_i16 s22, s34
	s_cmp_lt_i32 s22, 5
	s_mov_b64 s[20:21], -1
	s_cbranch_scc1 .LBB126_1010
; %bb.990:
	s_cmp_lt_i32 s22, 8
	s_cbranch_scc1 .LBB126_1000
; %bb.991:
	s_cmp_lt_i32 s22, 9
	s_cbranch_scc1 .LBB126_997
; %bb.992:
	s_cmp_gt_i32 s22, 9
	s_cbranch_scc0 .LBB126_994
; %bb.993:
	s_waitcnt vmcnt(0)
	v_mov_b32_e32 v2, 0
	v_mov_b32_e32 v3, v2
	s_mov_b64 s[20:21], 0
	global_store_dwordx4 v[4:5], v[0:3], off
.LBB126_994:
	s_andn2_b64 vcc, exec, s[20:21]
	s_cbranch_vccnz .LBB126_996
; %bb.995:
	s_waitcnt vmcnt(0)
	v_cvt_f32_f64_e32 v2, v[0:1]
	v_mov_b32_e32 v3, 0
	global_store_dwordx2 v[4:5], v[2:3], off
.LBB126_996:
	s_mov_b64 s[20:21], 0
.LBB126_997:
	s_andn2_b64 vcc, exec, s[20:21]
	s_cbranch_vccnz .LBB126_999
; %bb.998:
	s_movk_i32 s20, 0x1ff
	s_waitcnt vmcnt(0)
	v_and_or_b32 v2, v1, s20, v0
	v_cmp_ne_u32_e32 vcc, 0, v2
	v_cndmask_b32_e64 v2, 0, 1, vcc
	v_lshrrev_b32_e32 v3, 8, v1
	s_movk_i32 s20, 0xffe
	v_bfe_u32 v6, v1, 20, 11
	v_and_or_b32 v2, v3, s20, v2
	v_sub_u32_e32 v7, 0x3f1, v6
	v_or_b32_e32 v3, 0x1000, v2
	v_med3_i32 v7, v7, 0, 13
	v_lshrrev_b32_e32 v8, v7, v3
	v_lshlrev_b32_e32 v7, v7, v8
	v_cmp_ne_u32_e32 vcc, v7, v3
	v_cndmask_b32_e64 v3, 0, 1, vcc
	v_add_u32_e32 v6, 0xfffffc10, v6
	v_or_b32_e32 v3, v8, v3
	v_lshl_or_b32 v7, v6, 12, v2
	v_cmp_gt_i32_e32 vcc, 1, v6
	v_cndmask_b32_e32 v3, v7, v3, vcc
	v_and_b32_e32 v7, 7, v3
	v_cmp_lt_i32_e32 vcc, 5, v7
	v_cndmask_b32_e64 v8, 0, 1, vcc
	v_cmp_eq_u32_e32 vcc, 3, v7
	v_cndmask_b32_e64 v7, 0, 1, vcc
	v_or_b32_e32 v7, v7, v8
	v_lshrrev_b32_e32 v3, 2, v3
	v_add_u32_e32 v3, v3, v7
	v_mov_b32_e32 v7, 0x7c00
	v_cmp_gt_i32_e32 vcc, 31, v6
	v_cndmask_b32_e32 v3, v7, v3, vcc
	v_mov_b32_e32 v8, 0x7e00
	v_cmp_ne_u32_e32 vcc, 0, v2
	s_movk_i32 s20, 0x40f
	v_cndmask_b32_e32 v2, v7, v8, vcc
	v_cmp_eq_u32_e32 vcc, s20, v6
	v_cndmask_b32_e32 v2, v3, v2, vcc
	v_lshrrev_b32_e32 v3, 16, v1
	s_mov_b32 s20, 0x8000
	v_and_or_b32 v2, v3, s20, v2
	v_and_b32_e32 v2, 0xffff, v2
	global_store_dword v[4:5], v2, off
.LBB126_999:
	s_mov_b64 s[20:21], 0
.LBB126_1000:
	s_andn2_b64 vcc, exec, s[20:21]
	s_cbranch_vccnz .LBB126_1009
; %bb.1001:
	s_sext_i32_i16 s22, s34
	s_cmp_lt_i32 s22, 6
	s_mov_b64 s[20:21], -1
	s_cbranch_scc1 .LBB126_1007
; %bb.1002:
	s_cmp_gt_i32 s22, 6
	s_cbranch_scc0 .LBB126_1004
; %bb.1003:
	s_mov_b64 s[20:21], 0
	global_store_dwordx2 v[4:5], v[0:1], off
.LBB126_1004:
	s_andn2_b64 vcc, exec, s[20:21]
	s_cbranch_vccnz .LBB126_1006
; %bb.1005:
	s_waitcnt vmcnt(0)
	v_cvt_f32_f64_e32 v2, v[0:1]
	global_store_dword v[4:5], v2, off
.LBB126_1006:
	s_mov_b64 s[20:21], 0
.LBB126_1007:
	s_andn2_b64 vcc, exec, s[20:21]
	s_cbranch_vccnz .LBB126_1009
; %bb.1008:
	s_movk_i32 s20, 0x1ff
	s_waitcnt vmcnt(0)
	v_and_or_b32 v2, v1, s20, v0
	v_cmp_ne_u32_e32 vcc, 0, v2
	v_cndmask_b32_e64 v2, 0, 1, vcc
	v_lshrrev_b32_e32 v3, 8, v1
	s_movk_i32 s20, 0xffe
	v_bfe_u32 v6, v1, 20, 11
	v_and_or_b32 v2, v3, s20, v2
	v_sub_u32_e32 v7, 0x3f1, v6
	v_or_b32_e32 v3, 0x1000, v2
	v_med3_i32 v7, v7, 0, 13
	v_lshrrev_b32_e32 v8, v7, v3
	v_lshlrev_b32_e32 v7, v7, v8
	v_cmp_ne_u32_e32 vcc, v7, v3
	v_cndmask_b32_e64 v3, 0, 1, vcc
	v_add_u32_e32 v6, 0xfffffc10, v6
	v_or_b32_e32 v3, v8, v3
	v_lshl_or_b32 v7, v6, 12, v2
	v_cmp_gt_i32_e32 vcc, 1, v6
	v_cndmask_b32_e32 v3, v7, v3, vcc
	v_and_b32_e32 v7, 7, v3
	v_cmp_lt_i32_e32 vcc, 5, v7
	v_cndmask_b32_e64 v8, 0, 1, vcc
	v_cmp_eq_u32_e32 vcc, 3, v7
	v_cndmask_b32_e64 v7, 0, 1, vcc
	v_or_b32_e32 v7, v7, v8
	v_lshrrev_b32_e32 v3, 2, v3
	v_add_u32_e32 v3, v3, v7
	v_mov_b32_e32 v7, 0x7c00
	v_cmp_gt_i32_e32 vcc, 31, v6
	v_cndmask_b32_e32 v3, v7, v3, vcc
	v_mov_b32_e32 v8, 0x7e00
	v_cmp_ne_u32_e32 vcc, 0, v2
	s_movk_i32 s20, 0x40f
	v_cndmask_b32_e32 v2, v7, v8, vcc
	v_cmp_eq_u32_e32 vcc, s20, v6
	v_cndmask_b32_e32 v2, v3, v2, vcc
	v_lshrrev_b32_e32 v3, 16, v1
	s_mov_b32 s20, 0x8000
	v_and_or_b32 v2, v3, s20, v2
	global_store_short v[4:5], v2, off
.LBB126_1009:
	s_mov_b64 s[20:21], 0
.LBB126_1010:
	s_andn2_b64 vcc, exec, s[20:21]
	s_cbranch_vccnz .LBB126_1026
; %bb.1011:
	s_sext_i32_i16 s22, s34
	s_cmp_lt_i32 s22, 2
	s_mov_b64 s[20:21], -1
	s_cbranch_scc1 .LBB126_1021
; %bb.1012:
	s_cmp_lt_i32 s22, 3
	s_cbranch_scc1 .LBB126_1018
; %bb.1013:
	s_cmp_gt_i32 s22, 3
	s_cbranch_scc0 .LBB126_1015
; %bb.1014:
	s_waitcnt vmcnt(0)
	v_trunc_f64_e32 v[2:3], v[0:1]
	s_movk_i32 s20, 0xffe0
	v_ldexp_f64 v[6:7], v[2:3], s20
	s_mov_b32 s20, 0
	s_mov_b32 s21, 0xc1f00000
	v_floor_f64_e32 v[6:7], v[6:7]
	v_fma_f64 v[2:3], v[6:7], s[20:21], v[2:3]
	v_cvt_i32_f64_e32 v7, v[6:7]
	s_mov_b64 s[20:21], 0
	v_cvt_u32_f64_e32 v6, v[2:3]
	global_store_dwordx2 v[4:5], v[6:7], off
.LBB126_1015:
	s_andn2_b64 vcc, exec, s[20:21]
	s_cbranch_vccnz .LBB126_1017
; %bb.1016:
	s_waitcnt vmcnt(0)
	v_cvt_i32_f64_e32 v2, v[0:1]
	global_store_dword v[4:5], v2, off
.LBB126_1017:
	s_mov_b64 s[20:21], 0
.LBB126_1018:
	s_andn2_b64 vcc, exec, s[20:21]
	s_cbranch_vccnz .LBB126_1020
; %bb.1019:
	s_waitcnt vmcnt(0)
	v_cvt_i32_f64_e32 v2, v[0:1]
	global_store_short v[4:5], v2, off
.LBB126_1020:
	s_mov_b64 s[20:21], 0
.LBB126_1021:
	s_andn2_b64 vcc, exec, s[20:21]
	s_cbranch_vccnz .LBB126_1026
; %bb.1022:
	s_sext_i32_i16 s20, s34
	s_cmp_gt_i32 s20, 0
	s_mov_b64 s[20:21], -1
	s_cbranch_scc0 .LBB126_1024
; %bb.1023:
	s_waitcnt vmcnt(0)
	v_cvt_i32_f64_e32 v2, v[0:1]
	s_mov_b64 s[20:21], 0
	global_store_byte v[4:5], v2, off
.LBB126_1024:
	s_andn2_b64 vcc, exec, s[20:21]
	s_cbranch_vccnz .LBB126_1026
; %bb.1025:
	v_trunc_f64_e32 v[0:1], v[0:1]
	s_movk_i32 s20, 0xffe0
	s_waitcnt vmcnt(0)
	v_ldexp_f64 v[2:3], v[0:1], s20
	s_mov_b32 s20, 0
	s_mov_b32 s21, 0xc1f00000
	v_floor_f64_e32 v[2:3], v[2:3]
	v_fma_f64 v[0:1], v[2:3], s[20:21], v[0:1]
	v_cvt_u32_f64_e32 v0, v[0:1]
	global_store_byte v[4:5], v0, off
.LBB126_1026:
	s_or_b64 exec, exec, s[0:1]
	s_and_b64 s[20:21], s[2:3], exec
                                        ; implicit-def: $vgpr10
.LBB126_1027:
	s_or_saveexec_b64 s[6:7], s[6:7]
	s_mov_b64 s[0:1], 0
                                        ; implicit-def: $sgpr24
                                        ; implicit-def: $vgpr4_vgpr5
                                        ; implicit-def: $vgpr0_vgpr1
	s_xor_b64 exec, exec, s[6:7]
	s_cbranch_execz .LBB126_1976
; %bb.1028:
	v_mul_lo_u32 v4, s17, v10
	v_mov_b32_e32 v0, s11
	s_and_b32 s28, 0xffff, s50
	s_cmp_lt_i32 s28, 11
	v_ashrrev_i32_e32 v1, 31, v4
	s_waitcnt vmcnt(0)
	v_add_co_u32_e32 v2, vcc, s10, v4
	v_addc_co_u32_e32 v3, vcc, v0, v1, vcc
	s_cbranch_scc1 .LBB126_1035
; %bb.1029:
	s_cmp_gt_i32 s28, 25
	s_mov_b64 s[2:3], 0
	s_cbranch_scc0 .LBB126_1037
; %bb.1030:
	s_cmp_gt_i32 s28, 28
	s_cbranch_scc0 .LBB126_1038
; %bb.1031:
	s_cmp_gt_i32 s28, 43
	;; [unrolled: 3-line block ×3, first 2 shown]
	s_cbranch_scc0 .LBB126_1040
; %bb.1033:
	s_cmp_eq_u32 s28, 46
	s_mov_b64 s[22:23], 0
	s_cbranch_scc0 .LBB126_1043
; %bb.1034:
	global_load_dword v0, v[2:3], off
	s_mov_b64 s[4:5], -1
	s_waitcnt vmcnt(0)
	v_lshlrev_b32_e32 v0, 16, v0
	v_cvt_f64_f32_e32 v[0:1], v0
	s_branch .LBB126_1045
.LBB126_1035:
                                        ; implicit-def: $vgpr0_vgpr1
	s_mov_b64 s[22:23], s[20:21]
	s_cbranch_execnz .LBB126_1108
.LBB126_1036:
	s_andn2_b64 vcc, exec, s[4:5]
                                        ; implicit-def: $vgpr2_vgpr3
	s_cbranch_vccz .LBB126_1153
	s_branch .LBB126_1974
.LBB126_1037:
                                        ; implicit-def: $vgpr0_vgpr1
	s_cbranch_execnz .LBB126_1075
	s_branch .LBB126_1104
.LBB126_1038:
	s_mov_b64 s[22:23], -1
                                        ; implicit-def: $vgpr0_vgpr1
	s_branch .LBB126_1054
.LBB126_1039:
                                        ; implicit-def: $vgpr0_vgpr1
	s_cbranch_execnz .LBB126_1050
	s_branch .LBB126_1053
.LBB126_1040:
	s_mov_b64 s[22:23], -1
	s_branch .LBB126_1044
.LBB126_1041:
	s_andn2_saveexec_b64 s[28:29], s[28:29]
	s_cbranch_execz .LBB126_940
.LBB126_1042:
	s_mov_b32 s30, 0x46000000
	v_add_f32_e64 v3, |v2|, s30
	v_and_b32_e32 v3, 0xff, v3
	v_cmp_ne_u32_e32 vcc, 0, v3
	s_andn2_b64 s[26:27], s[26:27], exec
	s_and_b64 s[30:31], vcc, exec
	s_or_b64 s[26:27], s[26:27], s[30:31]
	s_or_b64 exec, exec, s[28:29]
	v_mov_b32_e32 v6, 0
	s_and_saveexec_b64 s[28:29], s[26:27]
	s_cbranch_execnz .LBB126_941
	s_branch .LBB126_942
.LBB126_1043:
	s_mov_b64 s[0:1], -1
.LBB126_1044:
                                        ; implicit-def: $vgpr0_vgpr1
.LBB126_1045:
	s_and_b64 vcc, exec, s[22:23]
	s_cbranch_vccz .LBB126_1048
; %bb.1046:
	s_cmp_eq_u32 s28, 44
	s_cbranch_scc0 .LBB126_1049
; %bb.1047:
	global_load_ubyte v5, v[2:3], off
	s_movk_i32 s4, 0xff
	v_bfrev_b32_e32 v6, 4
	v_mov_b32_e32 v7, 0x7ff80000
	v_bfrev_b32_e32 v8, 28
	s_mov_b64 s[0:1], 0
	s_waitcnt vmcnt(0)
	v_lshlrev_b32_e32 v0, 23, v5
	v_cvt_f64_f32_e32 v[0:1], v0
	v_cmp_ne_u32_e32 vcc, s4, v5
	s_mov_b64 s[4:5], -1
	v_cndmask_b32_e32 v0, v6, v0, vcc
	v_cndmask_b32_e32 v1, v7, v1, vcc
	v_cmp_ne_u32_e32 vcc, 0, v5
	v_cndmask_b32_e32 v1, v8, v1, vcc
	v_cndmask_b32_e32 v0, 0, v0, vcc
.LBB126_1048:
	s_branch .LBB126_1053
.LBB126_1049:
	s_mov_b64 s[0:1], -1
                                        ; implicit-def: $vgpr0_vgpr1
	s_branch .LBB126_1053
.LBB126_1050:
	s_cmp_eq_u32 s28, 29
	s_cbranch_scc0 .LBB126_1052
; %bb.1051:
	global_load_dwordx2 v[0:1], v[2:3], off
	s_mov_b64 s[0:1], 0
	s_mov_b64 s[4:5], -1
	s_mov_b64 s[22:23], 0
	s_waitcnt vmcnt(0)
	v_cvt_f64_u32_e32 v[5:6], v1
	v_cvt_f64_u32_e32 v[0:1], v0
	v_ldexp_f64 v[5:6], v[5:6], 32
	v_add_f64 v[0:1], v[5:6], v[0:1]
	s_branch .LBB126_1054
.LBB126_1052:
	s_mov_b64 s[0:1], -1
                                        ; implicit-def: $vgpr0_vgpr1
.LBB126_1053:
	s_mov_b64 s[22:23], 0
.LBB126_1054:
	s_and_b64 vcc, exec, s[22:23]
	s_cbranch_vccz .LBB126_1074
; %bb.1055:
	s_cmp_lt_i32 s28, 27
	s_cbranch_scc1 .LBB126_1058
; %bb.1056:
	s_cmp_gt_i32 s28, 27
	s_cbranch_scc0 .LBB126_1059
; %bb.1057:
	global_load_dword v0, v[2:3], off
	s_mov_b64 s[4:5], 0
	s_waitcnt vmcnt(0)
	v_cvt_f64_u32_e32 v[0:1], v0
	s_branch .LBB126_1060
.LBB126_1058:
	s_mov_b64 s[4:5], -1
                                        ; implicit-def: $vgpr0_vgpr1
	s_branch .LBB126_1063
.LBB126_1059:
	s_mov_b64 s[4:5], -1
                                        ; implicit-def: $vgpr0_vgpr1
.LBB126_1060:
	s_andn2_b64 vcc, exec, s[4:5]
	s_cbranch_vccnz .LBB126_1062
; %bb.1061:
	global_load_ushort v0, v[2:3], off
	s_waitcnt vmcnt(0)
	v_cvt_f64_u32_e32 v[0:1], v0
.LBB126_1062:
	s_mov_b64 s[4:5], 0
.LBB126_1063:
	s_andn2_b64 vcc, exec, s[4:5]
	s_cbranch_vccnz .LBB126_1073
; %bb.1064:
	global_load_ubyte v5, v[2:3], off
	s_movk_i32 s4, 0x7f
	s_waitcnt vmcnt(0)
	v_cmp_lt_i16_e32 vcc, s4, v5
	s_mov_b64 s[4:5], 0
	s_and_saveexec_b64 s[22:23], vcc
	s_xor_b64 s[22:23], exec, s[22:23]
	s_cbranch_execz .LBB126_1068
; %bb.1065:
	s_movk_i32 s4, 0x80
	v_cmp_eq_u16_e32 vcc, s4, v5
	s_mov_b64 s[4:5], -1
	s_and_saveexec_b64 s[24:25], vcc
; %bb.1066:
	s_xor_b64 s[4:5], exec, -1
; %bb.1067:
	s_or_b64 exec, exec, s[24:25]
	s_and_b64 s[4:5], s[4:5], exec
.LBB126_1068:
	s_or_saveexec_b64 s[22:23], s[22:23]
	v_bfrev_b32_e32 v0, 4
	v_mov_b32_e32 v1, 0x7ff80000
	s_xor_b64 exec, exec, s[22:23]
; %bb.1069:
	v_cmp_ne_u16_e32 vcc, 0, v5
	v_mov_b32_e32 v0, 0
	s_andn2_b64 s[4:5], s[4:5], exec
	s_and_b64 s[24:25], vcc, exec
	v_mov_b32_e32 v1, 0
	s_or_b64 s[4:5], s[4:5], s[24:25]
; %bb.1070:
	s_or_b64 exec, exec, s[22:23]
	s_and_saveexec_b64 s[22:23], s[4:5]
	s_cbranch_execz .LBB126_1072
; %bb.1071:
	v_and_b32_e32 v1, 0xffff, v5
	v_lshlrev_b32_e32 v0, 24, v5
	v_and_b32_e32 v5, 7, v1
	v_ffbh_u32_e32 v7, v5
	v_min_u32_e32 v7, 32, v7
	v_subrev_u32_e32 v8, 28, v7
	v_bfe_u32 v6, v1, 3, 4
	v_lshlrev_b32_e32 v1, v8, v1
	v_sub_u32_e32 v7, 29, v7
	v_and_b32_e32 v1, 7, v1
	v_cmp_eq_u32_e32 vcc, 0, v6
	v_cndmask_b32_e32 v6, v6, v7, vcc
	v_cndmask_b32_e32 v1, v5, v1, vcc
	v_mov_b32_e32 v5, 0x3b800000
	v_lshlrev_b32_e32 v1, 20, v1
	v_and_b32_e32 v0, 0x80000000, v0
	v_lshl_add_u32 v5, v6, 23, v5
	v_or3_b32 v0, v0, v5, v1
	v_cvt_f64_f32_e32 v[0:1], v0
.LBB126_1072:
	s_or_b64 exec, exec, s[22:23]
.LBB126_1073:
	s_mov_b64 s[4:5], -1
.LBB126_1074:
	s_branch .LBB126_1104
.LBB126_1075:
	s_cmp_gt_i32 s28, 22
	s_cbranch_scc0 .LBB126_1087
; %bb.1076:
	s_cmp_lt_i32 s28, 24
	s_cbranch_scc1 .LBB126_1088
; %bb.1077:
	s_cmp_gt_i32 s28, 24
	s_cbranch_scc0 .LBB126_1089
; %bb.1078:
	global_load_ubyte v5, v[2:3], off
	s_movk_i32 s2, 0x7f
	s_waitcnt vmcnt(0)
	v_cmp_lt_i16_e32 vcc, s2, v5
	s_mov_b64 s[2:3], 0
	s_and_saveexec_b64 s[4:5], vcc
	s_xor_b64 s[4:5], exec, s[4:5]
	s_cbranch_execz .LBB126_1082
; %bb.1079:
	s_movk_i32 s2, 0x80
	v_cmp_eq_u16_e32 vcc, s2, v5
	s_mov_b64 s[2:3], -1
	s_and_saveexec_b64 s[22:23], vcc
; %bb.1080:
	s_xor_b64 s[2:3], exec, -1
; %bb.1081:
	s_or_b64 exec, exec, s[22:23]
	s_and_b64 s[2:3], s[2:3], exec
.LBB126_1082:
	s_or_saveexec_b64 s[4:5], s[4:5]
	v_bfrev_b32_e32 v0, 4
	v_mov_b32_e32 v1, 0x7ff80000
	s_xor_b64 exec, exec, s[4:5]
; %bb.1083:
	v_cmp_ne_u16_e32 vcc, 0, v5
	v_mov_b32_e32 v0, 0
	s_andn2_b64 s[2:3], s[2:3], exec
	s_and_b64 s[22:23], vcc, exec
	v_mov_b32_e32 v1, 0
	s_or_b64 s[2:3], s[2:3], s[22:23]
; %bb.1084:
	s_or_b64 exec, exec, s[4:5]
	s_and_saveexec_b64 s[4:5], s[2:3]
	s_cbranch_execz .LBB126_1086
; %bb.1085:
	v_and_b32_e32 v1, 0xffff, v5
	v_lshlrev_b32_e32 v0, 24, v5
	v_and_b32_e32 v5, 3, v1
	v_ffbh_u32_e32 v7, v5
	v_min_u32_e32 v7, 32, v7
	v_subrev_u32_e32 v8, 29, v7
	v_bfe_u32 v6, v1, 2, 5
	v_lshlrev_b32_e32 v1, v8, v1
	v_sub_u32_e32 v7, 30, v7
	v_and_b32_e32 v1, 3, v1
	v_cmp_eq_u32_e32 vcc, 0, v6
	v_cndmask_b32_e32 v6, v6, v7, vcc
	v_cndmask_b32_e32 v1, v5, v1, vcc
	v_mov_b32_e32 v5, 0x37800000
	v_lshlrev_b32_e32 v1, 21, v1
	v_and_b32_e32 v0, 0x80000000, v0
	v_lshl_add_u32 v5, v6, 23, v5
	v_or3_b32 v0, v0, v5, v1
	v_cvt_f64_f32_e32 v[0:1], v0
.LBB126_1086:
	s_or_b64 exec, exec, s[4:5]
	s_mov_b64 s[2:3], 0
	s_branch .LBB126_1090
.LBB126_1087:
                                        ; implicit-def: $vgpr0_vgpr1
	s_mov_b64 s[2:3], 0
	s_branch .LBB126_1096
.LBB126_1088:
	s_mov_b64 s[2:3], -1
                                        ; implicit-def: $vgpr0_vgpr1
	s_branch .LBB126_1093
.LBB126_1089:
	s_mov_b64 s[2:3], -1
                                        ; implicit-def: $vgpr0_vgpr1
.LBB126_1090:
	s_and_b64 vcc, exec, s[2:3]
	s_cbranch_vccz .LBB126_1092
; %bb.1091:
	global_load_ubyte v0, v[2:3], off
	s_mov_b32 s2, 0x7f800000
	s_waitcnt vmcnt(0)
	v_lshlrev_b32_e32 v0, 24, v0
	v_and_b32_e32 v1, 0x7f000000, v0
	v_ffbh_u32_e32 v5, v1
	v_min_u32_e32 v5, 32, v5
	v_sub_u32_e64 v5, v5, 4 clamp
	v_lshlrev_b32_e32 v7, v5, v1
	v_lshlrev_b32_e32 v5, 23, v5
	v_lshrrev_b32_e32 v7, 4, v7
	v_add_u32_e32 v6, 0x1000000, v1
	v_sub_u32_e32 v5, v7, v5
	v_ashrrev_i32_e32 v6, 8, v6
	v_add_u32_e32 v5, 0x3c000000, v5
	v_and_or_b32 v5, v6, s2, v5
	v_cmp_ne_u32_e32 vcc, 0, v1
	v_cndmask_b32_e32 v1, 0, v5, vcc
	s_brev_b32 s2, 1
	v_and_or_b32 v0, v0, s2, v1
	v_cvt_f64_f32_e32 v[0:1], v0
.LBB126_1092:
	s_mov_b64 s[2:3], 0
.LBB126_1093:
	s_andn2_b64 vcc, exec, s[2:3]
	s_cbranch_vccnz .LBB126_1095
; %bb.1094:
	global_load_ubyte v0, v[2:3], off
	s_movk_i32 s2, 0x7f00
	s_brev_b32 s3, 16
	s_waitcnt vmcnt(0)
	v_lshlrev_b16_e32 v1, 8, v0
	v_lshlrev_b32_e32 v0, 25, v0
	v_lshrrev_b32_e32 v5, 4, v0
	v_and_or_b32 v6, v1, s2, 0.5
	v_or_b32_e32 v5, 0x70000000, v5
	v_add_f32_e32 v6, -0.5, v6
	v_mul_f32_e32 v5, 0x7800000, v5
	v_cmp_gt_u32_e32 vcc, s3, v0
	v_bfe_i32 v1, v1, 0, 16
	v_cndmask_b32_e32 v0, v5, v6, vcc
	s_brev_b32 s2, 1
	v_and_or_b32 v0, v1, s2, v0
	v_cvt_f64_f32_e32 v[0:1], v0
.LBB126_1095:
	s_mov_b64 s[4:5], -1
	s_mov_b64 s[2:3], 0
	s_cbranch_execnz .LBB126_1104
.LBB126_1096:
	s_cmp_gt_i32 s28, 14
	s_cbranch_scc0 .LBB126_1099
; %bb.1097:
	s_cmp_eq_u32 s28, 15
	s_cbranch_scc0 .LBB126_1100
; %bb.1098:
	global_load_ushort v0, v[2:3], off
	s_mov_b64 s[0:1], 0
	s_mov_b64 s[4:5], -1
	s_waitcnt vmcnt(0)
	v_lshlrev_b32_e32 v0, 16, v0
	v_cvt_f64_f32_e32 v[0:1], v0
	s_branch .LBB126_1101
.LBB126_1099:
	s_mov_b64 s[22:23], -1
                                        ; implicit-def: $vgpr0_vgpr1
	s_branch .LBB126_1102
.LBB126_1100:
	s_mov_b64 s[0:1], -1
                                        ; implicit-def: $vgpr0_vgpr1
.LBB126_1101:
	s_mov_b64 s[22:23], 0
.LBB126_1102:
	s_and_b64 vcc, exec, s[22:23]
	s_cbranch_vccz .LBB126_1104
; %bb.1103:
	s_cmp_lg_u32 s28, 11
	s_mov_b64 s[2:3], -1
	s_cselect_b64 s[0:1], -1, 0
.LBB126_1104:
	s_and_b64 vcc, exec, s[0:1]
	s_mov_b64 s[22:23], s[20:21]
	s_cbranch_vccnz .LBB126_1165
; %bb.1105:
	s_andn2_b64 vcc, exec, s[2:3]
	s_cbranch_vccnz .LBB126_1107
.LBB126_1106:
	global_load_ubyte v1, v[2:3], off
	v_mov_b32_e32 v5, 0x3ff00000
	v_mov_b32_e32 v0, 0
	s_mov_b64 s[4:5], -1
	s_waitcnt vmcnt(0)
	v_cmp_ne_u16_e32 vcc, 0, v1
	v_cndmask_b32_e32 v1, 0, v5, vcc
.LBB126_1107:
	s_branch .LBB126_1036
.LBB126_1108:
	s_cmp_lt_i32 s28, 5
	s_cbranch_scc1 .LBB126_1113
; %bb.1109:
	s_cmp_lt_i32 s28, 8
	s_cbranch_scc1 .LBB126_1114
; %bb.1110:
	s_cmp_lt_i32 s28, 9
	s_cbranch_scc1 .LBB126_1115
; %bb.1111:
	s_cmp_gt_i32 s28, 9
	s_cbranch_scc0 .LBB126_1116
; %bb.1112:
	global_load_dwordx2 v[0:1], v[2:3], off
	s_mov_b64 s[0:1], 0
	s_branch .LBB126_1117
.LBB126_1113:
                                        ; implicit-def: $vgpr0_vgpr1
	s_branch .LBB126_1134
.LBB126_1114:
                                        ; implicit-def: $vgpr0_vgpr1
	s_branch .LBB126_1123
.LBB126_1115:
	s_mov_b64 s[0:1], -1
                                        ; implicit-def: $vgpr0_vgpr1
	s_branch .LBB126_1120
.LBB126_1116:
	s_mov_b64 s[0:1], -1
                                        ; implicit-def: $vgpr0_vgpr1
.LBB126_1117:
	s_andn2_b64 vcc, exec, s[0:1]
	s_cbranch_vccnz .LBB126_1119
; %bb.1118:
	global_load_dword v0, v[2:3], off
	s_waitcnt vmcnt(0)
	v_cvt_f64_f32_e32 v[0:1], v0
.LBB126_1119:
	s_mov_b64 s[0:1], 0
.LBB126_1120:
	s_andn2_b64 vcc, exec, s[0:1]
	s_cbranch_vccnz .LBB126_1122
; %bb.1121:
	global_load_dword v0, v[2:3], off
	s_waitcnt vmcnt(0)
	v_cvt_f32_f16_e32 v0, v0
	v_cvt_f64_f32_e32 v[0:1], v0
.LBB126_1122:
	s_cbranch_execnz .LBB126_1133
.LBB126_1123:
	s_cmp_lt_i32 s28, 6
	s_cbranch_scc1 .LBB126_1126
; %bb.1124:
	s_cmp_gt_i32 s28, 6
	s_cbranch_scc0 .LBB126_1127
; %bb.1125:
	global_load_dwordx2 v[0:1], v[2:3], off
	s_mov_b64 s[0:1], 0
	s_branch .LBB126_1128
.LBB126_1126:
	s_mov_b64 s[0:1], -1
                                        ; implicit-def: $vgpr0_vgpr1
	s_branch .LBB126_1131
.LBB126_1127:
	s_mov_b64 s[0:1], -1
                                        ; implicit-def: $vgpr0_vgpr1
.LBB126_1128:
	s_andn2_b64 vcc, exec, s[0:1]
	s_cbranch_vccnz .LBB126_1130
; %bb.1129:
	global_load_dword v0, v[2:3], off
	s_waitcnt vmcnt(0)
	v_cvt_f64_f32_e32 v[0:1], v0
.LBB126_1130:
	s_mov_b64 s[0:1], 0
.LBB126_1131:
	s_andn2_b64 vcc, exec, s[0:1]
	s_cbranch_vccnz .LBB126_1133
; %bb.1132:
	global_load_ushort v0, v[2:3], off
	s_waitcnt vmcnt(0)
	v_cvt_f32_f16_e32 v0, v0
	v_cvt_f64_f32_e32 v[0:1], v0
.LBB126_1133:
	s_cbranch_execnz .LBB126_1152
.LBB126_1134:
	s_cmp_lt_i32 s28, 2
	s_cbranch_scc1 .LBB126_1138
; %bb.1135:
	s_cmp_lt_i32 s28, 3
	s_cbranch_scc1 .LBB126_1139
; %bb.1136:
	s_cmp_gt_i32 s28, 3
	s_cbranch_scc0 .LBB126_1140
; %bb.1137:
	global_load_dwordx2 v[0:1], v[2:3], off
	s_mov_b64 s[0:1], 0
	s_waitcnt vmcnt(0)
	v_cvt_f64_i32_e32 v[5:6], v1
	v_cvt_f64_u32_e32 v[0:1], v0
	v_ldexp_f64 v[5:6], v[5:6], 32
	v_add_f64 v[0:1], v[5:6], v[0:1]
	s_branch .LBB126_1141
.LBB126_1138:
                                        ; implicit-def: $vgpr0_vgpr1
	s_branch .LBB126_1147
.LBB126_1139:
	s_mov_b64 s[0:1], -1
                                        ; implicit-def: $vgpr0_vgpr1
	s_branch .LBB126_1144
.LBB126_1140:
	s_mov_b64 s[0:1], -1
                                        ; implicit-def: $vgpr0_vgpr1
.LBB126_1141:
	s_andn2_b64 vcc, exec, s[0:1]
	s_cbranch_vccnz .LBB126_1143
; %bb.1142:
	global_load_dword v0, v[2:3], off
	s_waitcnt vmcnt(0)
	v_cvt_f64_i32_e32 v[0:1], v0
.LBB126_1143:
	s_mov_b64 s[0:1], 0
.LBB126_1144:
	s_andn2_b64 vcc, exec, s[0:1]
	s_cbranch_vccnz .LBB126_1146
; %bb.1145:
	global_load_sshort v0, v[2:3], off
	s_waitcnt vmcnt(0)
	v_cvt_f64_i32_e32 v[0:1], v0
.LBB126_1146:
	s_cbranch_execnz .LBB126_1152
.LBB126_1147:
	s_cmp_gt_i32 s28, 0
	s_cbranch_scc0 .LBB126_1149
; %bb.1148:
	global_load_sbyte v0, v[2:3], off
	s_mov_b64 s[0:1], 0
	s_waitcnt vmcnt(0)
	v_cvt_f64_i32_e32 v[0:1], v0
	s_branch .LBB126_1150
.LBB126_1149:
	s_mov_b64 s[0:1], -1
                                        ; implicit-def: $vgpr0_vgpr1
.LBB126_1150:
	s_andn2_b64 vcc, exec, s[0:1]
	s_cbranch_vccnz .LBB126_1152
; %bb.1151:
	global_load_ubyte v0, v[2:3], off
	s_waitcnt vmcnt(0)
	v_cvt_f64_u32_e32 v[0:1], v0
.LBB126_1152:
                                        ; implicit-def: $vgpr2_vgpr3
.LBB126_1153:
	s_lshl_b32 s17, s17, 7
	v_add_u32_e32 v4, s17, v4
	v_ashrrev_i32_e32 v3, 31, v4
	v_mov_b32_e32 v5, s11
	v_add_co_u32_e32 v2, vcc, s10, v4
	s_cmp_lt_i32 s28, 11
	v_addc_co_u32_e32 v3, vcc, v5, v3, vcc
	s_cbranch_scc1 .LBB126_1160
; %bb.1154:
	s_cmp_gt_i32 s28, 25
	s_mov_b64 s[2:3], 0
	s_cbranch_scc0 .LBB126_1162
; %bb.1155:
	s_cmp_gt_i32 s28, 28
	s_cbranch_scc0 .LBB126_1163
; %bb.1156:
	s_cmp_gt_i32 s28, 43
	s_cbranch_scc0 .LBB126_1164
; %bb.1157:
	s_cmp_gt_i32 s28, 45
	s_cbranch_scc0 .LBB126_1166
; %bb.1158:
	s_cmp_eq_u32 s28, 46
	s_mov_b64 s[24:25], 0
	s_cbranch_scc0 .LBB126_1169
; %bb.1159:
	global_load_dword v5, v[2:3], off
	s_mov_b64 s[0:1], 0
	s_mov_b64 s[4:5], -1
	s_waitcnt vmcnt(0)
	v_lshlrev_b32_e32 v5, 16, v5
	v_cvt_f64_f32_e32 v[8:9], v5
	s_branch .LBB126_1170
.LBB126_1160:
	s_mov_b64 s[4:5], 0
                                        ; implicit-def: $vgpr8_vgpr9
	s_cbranch_execnz .LBB126_1235
.LBB126_1161:
	s_andn2_b64 vcc, exec, s[4:5]
	s_cbranch_vccnz .LBB126_1974
	s_branch .LBB126_1282
.LBB126_1162:
	s_mov_b64 s[4:5], 0
	s_mov_b64 s[0:1], 0
                                        ; implicit-def: $vgpr8_vgpr9
	s_cbranch_execnz .LBB126_1201
	s_branch .LBB126_1231
.LBB126_1163:
	s_mov_b64 s[24:25], -1
	s_mov_b64 s[4:5], 0
	s_mov_b64 s[0:1], 0
                                        ; implicit-def: $vgpr8_vgpr9
	s_branch .LBB126_1180
.LBB126_1164:
	s_mov_b64 s[24:25], -1
	s_mov_b64 s[4:5], 0
	s_mov_b64 s[0:1], 0
                                        ; implicit-def: $vgpr8_vgpr9
	s_branch .LBB126_1175
.LBB126_1165:
	s_or_b64 s[22:23], s[20:21], exec
	s_trap 2
	s_cbranch_execz .LBB126_1106
	s_branch .LBB126_1107
.LBB126_1166:
	s_mov_b64 s[24:25], -1
	s_mov_b64 s[4:5], 0
	s_mov_b64 s[0:1], 0
                                        ; implicit-def: $vgpr8_vgpr9
	s_branch .LBB126_1170
.LBB126_1167:
	s_andn2_saveexec_b64 s[30:31], s[30:31]
	s_cbranch_execz .LBB126_952
.LBB126_1168:
	s_mov_b32 s36, 0x42800000
	v_add_f32_e64 v3, |v2|, s36
	v_and_b32_e32 v3, 0xff, v3
	v_cmp_ne_u32_e32 vcc, 0, v3
	s_andn2_b64 s[28:29], s[28:29], exec
	s_and_b64 s[36:37], vcc, exec
	s_or_b64 s[28:29], s[28:29], s[36:37]
	s_or_b64 exec, exec, s[30:31]
	v_mov_b32_e32 v6, 0
	s_and_saveexec_b64 s[30:31], s[28:29]
	s_cbranch_execnz .LBB126_953
	s_branch .LBB126_954
.LBB126_1169:
	s_mov_b64 s[0:1], -1
                                        ; implicit-def: $vgpr8_vgpr9
	s_mov_b64 s[4:5], 0
.LBB126_1170:
	s_and_b64 vcc, exec, s[24:25]
	s_cbranch_vccz .LBB126_1174
; %bb.1171:
	s_cmp_eq_u32 s28, 44
	s_cbranch_scc0 .LBB126_1173
; %bb.1172:
	global_load_ubyte v7, v[2:3], off
	s_movk_i32 s4, 0xff
	v_bfrev_b32_e32 v8, 4
	v_mov_b32_e32 v9, 0x7ff80000
	v_bfrev_b32_e32 v11, 28
	s_mov_b64 s[0:1], 0
	s_waitcnt vmcnt(0)
	v_lshlrev_b32_e32 v5, 23, v7
	v_cvt_f64_f32_e32 v[5:6], v5
	v_cmp_ne_u32_e32 vcc, s4, v7
	s_mov_b64 s[4:5], -1
	v_cndmask_b32_e32 v5, v8, v5, vcc
	v_cndmask_b32_e32 v6, v9, v6, vcc
	v_cmp_ne_u32_e32 vcc, 0, v7
	v_cndmask_b32_e32 v9, v11, v6, vcc
	v_cndmask_b32_e32 v8, 0, v5, vcc
	s_branch .LBB126_1174
.LBB126_1173:
	s_mov_b64 s[0:1], -1
                                        ; implicit-def: $vgpr8_vgpr9
.LBB126_1174:
	s_mov_b64 s[24:25], 0
.LBB126_1175:
	s_and_b64 vcc, exec, s[24:25]
	s_cbranch_vccz .LBB126_1179
; %bb.1176:
	s_cmp_eq_u32 s28, 29
	s_cbranch_scc0 .LBB126_1178
; %bb.1177:
	global_load_dwordx2 v[5:6], v[2:3], off
	s_mov_b64 s[0:1], 0
	s_mov_b64 s[4:5], -1
	s_mov_b64 s[24:25], 0
	s_waitcnt vmcnt(0)
	v_cvt_f64_u32_e32 v[6:7], v6
	v_cvt_f64_u32_e32 v[8:9], v5
	v_ldexp_f64 v[6:7], v[6:7], 32
	v_add_f64 v[8:9], v[6:7], v[8:9]
	s_branch .LBB126_1180
.LBB126_1178:
	s_mov_b64 s[0:1], -1
                                        ; implicit-def: $vgpr8_vgpr9
.LBB126_1179:
	s_mov_b64 s[24:25], 0
.LBB126_1180:
	s_and_b64 vcc, exec, s[24:25]
	s_cbranch_vccz .LBB126_1200
; %bb.1181:
	s_cmp_lt_i32 s28, 27
	s_cbranch_scc1 .LBB126_1184
; %bb.1182:
	s_cmp_gt_i32 s28, 27
	s_cbranch_scc0 .LBB126_1185
; %bb.1183:
	global_load_dword v5, v[2:3], off
	s_mov_b64 s[4:5], 0
	s_waitcnt vmcnt(0)
	v_cvt_f64_u32_e32 v[8:9], v5
	s_branch .LBB126_1186
.LBB126_1184:
	s_mov_b64 s[4:5], -1
                                        ; implicit-def: $vgpr8_vgpr9
	s_branch .LBB126_1189
.LBB126_1185:
	s_mov_b64 s[4:5], -1
                                        ; implicit-def: $vgpr8_vgpr9
.LBB126_1186:
	s_andn2_b64 vcc, exec, s[4:5]
	s_cbranch_vccnz .LBB126_1188
; %bb.1187:
	global_load_ushort v5, v[2:3], off
	s_waitcnt vmcnt(0)
	v_cvt_f64_u32_e32 v[8:9], v5
.LBB126_1188:
	s_mov_b64 s[4:5], 0
.LBB126_1189:
	s_andn2_b64 vcc, exec, s[4:5]
	s_cbranch_vccnz .LBB126_1199
; %bb.1190:
	global_load_ubyte v5, v[2:3], off
	s_movk_i32 s4, 0x7f
	s_waitcnt vmcnt(0)
	v_cmp_lt_i16_e32 vcc, s4, v5
	s_mov_b64 s[4:5], 0
	s_and_saveexec_b64 s[24:25], vcc
	s_xor_b64 s[24:25], exec, s[24:25]
	s_cbranch_execz .LBB126_1194
; %bb.1191:
	s_movk_i32 s4, 0x80
	v_cmp_eq_u16_e32 vcc, s4, v5
	s_mov_b64 s[4:5], -1
	s_and_saveexec_b64 s[26:27], vcc
; %bb.1192:
	s_xor_b64 s[4:5], exec, -1
; %bb.1193:
	s_or_b64 exec, exec, s[26:27]
	s_and_b64 s[4:5], s[4:5], exec
.LBB126_1194:
	s_or_saveexec_b64 s[24:25], s[24:25]
	v_bfrev_b32_e32 v8, 4
	v_mov_b32_e32 v9, 0x7ff80000
	s_xor_b64 exec, exec, s[24:25]
; %bb.1195:
	v_cmp_ne_u16_e32 vcc, 0, v5
	v_mov_b32_e32 v8, 0
	s_andn2_b64 s[4:5], s[4:5], exec
	s_and_b64 s[26:27], vcc, exec
	v_mov_b32_e32 v9, 0
	s_or_b64 s[4:5], s[4:5], s[26:27]
; %bb.1196:
	s_or_b64 exec, exec, s[24:25]
	s_and_saveexec_b64 s[24:25], s[4:5]
	s_cbranch_execz .LBB126_1198
; %bb.1197:
	v_lshlrev_b32_e32 v6, 24, v5
	v_and_b32_e32 v5, 0xffff, v5
	v_and_b32_e32 v7, 7, v5
	v_ffbh_u32_e32 v9, v7
	v_min_u32_e32 v9, 32, v9
	v_subrev_u32_e32 v11, 28, v9
	v_bfe_u32 v8, v5, 3, 4
	v_lshlrev_b32_e32 v5, v11, v5
	v_sub_u32_e32 v9, 29, v9
	v_and_b32_e32 v5, 7, v5
	v_cmp_eq_u32_e32 vcc, 0, v8
	v_cndmask_b32_e32 v8, v8, v9, vcc
	v_cndmask_b32_e32 v5, v7, v5, vcc
	v_mov_b32_e32 v7, 0x3b800000
	v_lshlrev_b32_e32 v5, 20, v5
	v_and_b32_e32 v6, 0x80000000, v6
	v_lshl_add_u32 v7, v8, 23, v7
	v_or3_b32 v5, v6, v7, v5
	v_cvt_f64_f32_e32 v[8:9], v5
.LBB126_1198:
	s_or_b64 exec, exec, s[24:25]
.LBB126_1199:
	s_mov_b64 s[4:5], -1
.LBB126_1200:
	s_branch .LBB126_1231
.LBB126_1201:
	s_cmp_gt_i32 s28, 22
	s_cbranch_scc0 .LBB126_1213
; %bb.1202:
	s_cmp_lt_i32 s28, 24
	s_cbranch_scc1 .LBB126_1214
; %bb.1203:
	s_cmp_gt_i32 s28, 24
	s_cbranch_scc0 .LBB126_1215
; %bb.1204:
	global_load_ubyte v5, v[2:3], off
	s_movk_i32 s2, 0x7f
	s_waitcnt vmcnt(0)
	v_cmp_lt_i16_e32 vcc, s2, v5
	s_mov_b64 s[2:3], 0
	s_and_saveexec_b64 s[4:5], vcc
	s_xor_b64 s[4:5], exec, s[4:5]
	s_cbranch_execz .LBB126_1208
; %bb.1205:
	s_movk_i32 s2, 0x80
	v_cmp_eq_u16_e32 vcc, s2, v5
	s_mov_b64 s[2:3], -1
	s_and_saveexec_b64 s[24:25], vcc
; %bb.1206:
	s_xor_b64 s[2:3], exec, -1
; %bb.1207:
	s_or_b64 exec, exec, s[24:25]
	s_and_b64 s[2:3], s[2:3], exec
.LBB126_1208:
	s_or_saveexec_b64 s[4:5], s[4:5]
	v_bfrev_b32_e32 v8, 4
	v_mov_b32_e32 v9, 0x7ff80000
	s_xor_b64 exec, exec, s[4:5]
; %bb.1209:
	v_cmp_ne_u16_e32 vcc, 0, v5
	v_mov_b32_e32 v8, 0
	s_andn2_b64 s[2:3], s[2:3], exec
	s_and_b64 s[24:25], vcc, exec
	v_mov_b32_e32 v9, 0
	s_or_b64 s[2:3], s[2:3], s[24:25]
; %bb.1210:
	s_or_b64 exec, exec, s[4:5]
	s_and_saveexec_b64 s[4:5], s[2:3]
	s_cbranch_execz .LBB126_1212
; %bb.1211:
	v_lshlrev_b32_e32 v6, 24, v5
	v_and_b32_e32 v5, 0xffff, v5
	v_and_b32_e32 v7, 3, v5
	v_ffbh_u32_e32 v9, v7
	v_min_u32_e32 v9, 32, v9
	v_subrev_u32_e32 v11, 29, v9
	v_bfe_u32 v8, v5, 2, 5
	v_lshlrev_b32_e32 v5, v11, v5
	v_sub_u32_e32 v9, 30, v9
	v_and_b32_e32 v5, 3, v5
	v_cmp_eq_u32_e32 vcc, 0, v8
	v_cndmask_b32_e32 v8, v8, v9, vcc
	v_cndmask_b32_e32 v5, v7, v5, vcc
	v_mov_b32_e32 v7, 0x37800000
	v_lshlrev_b32_e32 v5, 21, v5
	v_and_b32_e32 v6, 0x80000000, v6
	v_lshl_add_u32 v7, v8, 23, v7
	v_or3_b32 v5, v6, v7, v5
	v_cvt_f64_f32_e32 v[8:9], v5
.LBB126_1212:
	s_or_b64 exec, exec, s[4:5]
	s_mov_b64 s[2:3], 0
	s_branch .LBB126_1216
.LBB126_1213:
	s_mov_b64 s[2:3], -1
                                        ; implicit-def: $vgpr8_vgpr9
	s_branch .LBB126_1222
.LBB126_1214:
	s_mov_b64 s[2:3], -1
                                        ; implicit-def: $vgpr8_vgpr9
	s_branch .LBB126_1219
.LBB126_1215:
	s_mov_b64 s[2:3], -1
                                        ; implicit-def: $vgpr8_vgpr9
.LBB126_1216:
	s_and_b64 vcc, exec, s[2:3]
	s_cbranch_vccz .LBB126_1218
; %bb.1217:
	global_load_ubyte v5, v[2:3], off
	s_mov_b32 s2, 0x7f800000
	s_waitcnt vmcnt(0)
	v_lshlrev_b32_e32 v5, 24, v5
	v_and_b32_e32 v6, 0x7f000000, v5
	v_ffbh_u32_e32 v7, v6
	v_min_u32_e32 v7, 32, v7
	v_sub_u32_e64 v7, v7, 4 clamp
	v_lshlrev_b32_e32 v9, v7, v6
	v_lshlrev_b32_e32 v7, 23, v7
	v_lshrrev_b32_e32 v9, 4, v9
	v_add_u32_e32 v8, 0x1000000, v6
	v_sub_u32_e32 v7, v9, v7
	v_ashrrev_i32_e32 v8, 8, v8
	v_add_u32_e32 v7, 0x3c000000, v7
	v_and_or_b32 v7, v8, s2, v7
	v_cmp_ne_u32_e32 vcc, 0, v6
	v_cndmask_b32_e32 v6, 0, v7, vcc
	s_brev_b32 s2, 1
	v_and_or_b32 v5, v5, s2, v6
	v_cvt_f64_f32_e32 v[8:9], v5
.LBB126_1218:
	s_mov_b64 s[2:3], 0
.LBB126_1219:
	s_andn2_b64 vcc, exec, s[2:3]
	s_cbranch_vccnz .LBB126_1221
; %bb.1220:
	global_load_ubyte v5, v[2:3], off
	s_movk_i32 s2, 0x7f00
	s_brev_b32 s3, 16
	s_waitcnt vmcnt(0)
	v_lshlrev_b16_e32 v6, 8, v5
	v_lshlrev_b32_e32 v5, 25, v5
	v_lshrrev_b32_e32 v7, 4, v5
	v_and_or_b32 v8, v6, s2, 0.5
	v_or_b32_e32 v7, 0x70000000, v7
	v_add_f32_e32 v8, -0.5, v8
	v_mul_f32_e32 v7, 0x7800000, v7
	v_cmp_gt_u32_e32 vcc, s3, v5
	v_bfe_i32 v6, v6, 0, 16
	v_cndmask_b32_e32 v5, v7, v8, vcc
	s_brev_b32 s2, 1
	v_and_or_b32 v5, v6, s2, v5
	v_cvt_f64_f32_e32 v[8:9], v5
.LBB126_1221:
	s_mov_b64 s[2:3], 0
	s_mov_b64 s[4:5], -1
.LBB126_1222:
	s_andn2_b64 vcc, exec, s[2:3]
	s_mov_b64 s[2:3], 0
	s_cbranch_vccnz .LBB126_1231
; %bb.1223:
	s_cmp_gt_i32 s28, 14
	s_cbranch_scc0 .LBB126_1226
; %bb.1224:
	s_cmp_eq_u32 s28, 15
	s_cbranch_scc0 .LBB126_1227
; %bb.1225:
	global_load_ushort v5, v[2:3], off
	s_mov_b64 s[0:1], 0
	s_mov_b64 s[4:5], -1
	s_waitcnt vmcnt(0)
	v_lshlrev_b32_e32 v5, 16, v5
	v_cvt_f64_f32_e32 v[8:9], v5
	s_branch .LBB126_1228
.LBB126_1226:
	s_mov_b64 s[24:25], -1
                                        ; implicit-def: $vgpr8_vgpr9
	s_branch .LBB126_1229
.LBB126_1227:
	s_mov_b64 s[0:1], -1
                                        ; implicit-def: $vgpr8_vgpr9
.LBB126_1228:
	s_mov_b64 s[24:25], 0
.LBB126_1229:
	s_and_b64 vcc, exec, s[24:25]
	s_cbranch_vccz .LBB126_1231
; %bb.1230:
	s_cmp_lg_u32 s28, 11
	s_mov_b64 s[2:3], -1
	s_cselect_b64 s[0:1], -1, 0
.LBB126_1231:
	s_and_b64 vcc, exec, s[0:1]
	s_cbranch_vccnz .LBB126_1294
; %bb.1232:
	s_andn2_b64 vcc, exec, s[2:3]
	s_cbranch_vccnz .LBB126_1234
.LBB126_1233:
	global_load_ubyte v5, v[2:3], off
	v_mov_b32_e32 v6, 0x3ff00000
	v_mov_b32_e32 v8, 0
	s_mov_b64 s[4:5], -1
	s_waitcnt vmcnt(0)
	v_cmp_ne_u16_e32 vcc, 0, v5
	v_cndmask_b32_e32 v9, 0, v6, vcc
.LBB126_1234:
	s_branch .LBB126_1161
.LBB126_1235:
	s_cmp_lt_i32 s28, 5
	s_cbranch_scc1 .LBB126_1240
; %bb.1236:
	s_cmp_lt_i32 s28, 8
	s_cbranch_scc1 .LBB126_1241
; %bb.1237:
	;; [unrolled: 3-line block ×3, first 2 shown]
	s_cmp_gt_i32 s28, 9
	s_cbranch_scc0 .LBB126_1243
; %bb.1239:
	global_load_dwordx2 v[8:9], v[2:3], off
	s_mov_b64 s[0:1], 0
	s_branch .LBB126_1244
.LBB126_1240:
                                        ; implicit-def: $vgpr8_vgpr9
	s_branch .LBB126_1262
.LBB126_1241:
	s_mov_b64 s[0:1], -1
                                        ; implicit-def: $vgpr8_vgpr9
	s_branch .LBB126_1250
.LBB126_1242:
	s_mov_b64 s[0:1], -1
                                        ; implicit-def: $vgpr8_vgpr9
	s_branch .LBB126_1247
.LBB126_1243:
	s_mov_b64 s[0:1], -1
                                        ; implicit-def: $vgpr8_vgpr9
.LBB126_1244:
	s_andn2_b64 vcc, exec, s[0:1]
	s_cbranch_vccnz .LBB126_1246
; %bb.1245:
	global_load_dword v5, v[2:3], off
	s_waitcnt vmcnt(0)
	v_cvt_f64_f32_e32 v[8:9], v5
.LBB126_1246:
	s_mov_b64 s[0:1], 0
.LBB126_1247:
	s_andn2_b64 vcc, exec, s[0:1]
	s_cbranch_vccnz .LBB126_1249
; %bb.1248:
	global_load_dword v5, v[2:3], off
	s_waitcnt vmcnt(0)
	v_cvt_f32_f16_e32 v5, v5
	v_cvt_f64_f32_e32 v[8:9], v5
.LBB126_1249:
	s_mov_b64 s[0:1], 0
.LBB126_1250:
	s_andn2_b64 vcc, exec, s[0:1]
	s_cbranch_vccnz .LBB126_1261
; %bb.1251:
	s_cmp_lt_i32 s28, 6
	s_cbranch_scc1 .LBB126_1254
; %bb.1252:
	s_cmp_gt_i32 s28, 6
	s_cbranch_scc0 .LBB126_1255
; %bb.1253:
	global_load_dwordx2 v[8:9], v[2:3], off
	s_mov_b64 s[0:1], 0
	s_branch .LBB126_1256
.LBB126_1254:
	s_mov_b64 s[0:1], -1
                                        ; implicit-def: $vgpr8_vgpr9
	s_branch .LBB126_1259
.LBB126_1255:
	s_mov_b64 s[0:1], -1
                                        ; implicit-def: $vgpr8_vgpr9
.LBB126_1256:
	s_andn2_b64 vcc, exec, s[0:1]
	s_cbranch_vccnz .LBB126_1258
; %bb.1257:
	global_load_dword v5, v[2:3], off
	s_waitcnt vmcnt(0)
	v_cvt_f64_f32_e32 v[8:9], v5
.LBB126_1258:
	s_mov_b64 s[0:1], 0
.LBB126_1259:
	s_andn2_b64 vcc, exec, s[0:1]
	s_cbranch_vccnz .LBB126_1261
; %bb.1260:
	global_load_ushort v5, v[2:3], off
	s_waitcnt vmcnt(0)
	v_cvt_f32_f16_e32 v5, v5
	v_cvt_f64_f32_e32 v[8:9], v5
.LBB126_1261:
	s_cbranch_execnz .LBB126_1281
.LBB126_1262:
	s_cmp_lt_i32 s28, 2
	s_cbranch_scc1 .LBB126_1266
; %bb.1263:
	s_cmp_lt_i32 s28, 3
	s_cbranch_scc1 .LBB126_1267
; %bb.1264:
	s_cmp_gt_i32 s28, 3
	s_cbranch_scc0 .LBB126_1268
; %bb.1265:
	global_load_dwordx2 v[5:6], v[2:3], off
	s_mov_b64 s[0:1], 0
	s_waitcnt vmcnt(0)
	v_cvt_f64_i32_e32 v[6:7], v6
	v_cvt_f64_u32_e32 v[8:9], v5
	v_ldexp_f64 v[6:7], v[6:7], 32
	v_add_f64 v[8:9], v[6:7], v[8:9]
	s_branch .LBB126_1269
.LBB126_1266:
	s_mov_b64 s[0:1], -1
                                        ; implicit-def: $vgpr8_vgpr9
	s_branch .LBB126_1275
.LBB126_1267:
	s_mov_b64 s[0:1], -1
                                        ; implicit-def: $vgpr8_vgpr9
	s_branch .LBB126_1272
.LBB126_1268:
	s_mov_b64 s[0:1], -1
                                        ; implicit-def: $vgpr8_vgpr9
.LBB126_1269:
	s_andn2_b64 vcc, exec, s[0:1]
	s_cbranch_vccnz .LBB126_1271
; %bb.1270:
	global_load_dword v5, v[2:3], off
	s_waitcnt vmcnt(0)
	v_cvt_f64_i32_e32 v[8:9], v5
.LBB126_1271:
	s_mov_b64 s[0:1], 0
.LBB126_1272:
	s_andn2_b64 vcc, exec, s[0:1]
	s_cbranch_vccnz .LBB126_1274
; %bb.1273:
	global_load_sshort v5, v[2:3], off
	s_waitcnt vmcnt(0)
	v_cvt_f64_i32_e32 v[8:9], v5
.LBB126_1274:
	s_mov_b64 s[0:1], 0
.LBB126_1275:
	s_andn2_b64 vcc, exec, s[0:1]
	s_cbranch_vccnz .LBB126_1281
; %bb.1276:
	s_cmp_gt_i32 s28, 0
	s_cbranch_scc0 .LBB126_1278
; %bb.1277:
	global_load_sbyte v5, v[2:3], off
	s_mov_b64 s[0:1], 0
	s_waitcnt vmcnt(0)
	v_cvt_f64_i32_e32 v[8:9], v5
	s_branch .LBB126_1279
.LBB126_1278:
	s_mov_b64 s[0:1], -1
                                        ; implicit-def: $vgpr8_vgpr9
.LBB126_1279:
	s_andn2_b64 vcc, exec, s[0:1]
	s_cbranch_vccnz .LBB126_1281
; %bb.1280:
	global_load_ubyte v2, v[2:3], off
	s_waitcnt vmcnt(0)
	v_cvt_f64_u32_e32 v[8:9], v2
.LBB126_1281:
.LBB126_1282:
	v_add_u32_e32 v4, s17, v4
	v_ashrrev_i32_e32 v3, 31, v4
	v_mov_b32_e32 v5, s11
	v_add_co_u32_e32 v2, vcc, s10, v4
	s_cmp_lt_i32 s28, 11
	v_addc_co_u32_e32 v3, vcc, v5, v3, vcc
	s_cbranch_scc1 .LBB126_1289
; %bb.1283:
	s_cmp_gt_i32 s28, 25
	s_mov_b64 s[2:3], 0
	s_cbranch_scc0 .LBB126_1291
; %bb.1284:
	s_cmp_gt_i32 s28, 28
	s_cbranch_scc0 .LBB126_1292
; %bb.1285:
	s_cmp_gt_i32 s28, 43
	;; [unrolled: 3-line block ×3, first 2 shown]
	s_cbranch_scc0 .LBB126_1295
; %bb.1287:
	s_cmp_eq_u32 s28, 46
	s_mov_b64 s[24:25], 0
	s_cbranch_scc0 .LBB126_1296
; %bb.1288:
	global_load_dword v5, v[2:3], off
	s_mov_b64 s[0:1], 0
	s_mov_b64 s[4:5], -1
	s_waitcnt vmcnt(0)
	v_lshlrev_b32_e32 v5, 16, v5
	v_cvt_f64_f32_e32 v[6:7], v5
	s_branch .LBB126_1297
.LBB126_1289:
	s_mov_b64 s[4:5], 0
                                        ; implicit-def: $vgpr6_vgpr7
	s_cbranch_execnz .LBB126_1363
.LBB126_1290:
	s_andn2_b64 vcc, exec, s[4:5]
	s_cbranch_vccnz .LBB126_1974
	s_branch .LBB126_1411
.LBB126_1291:
	s_mov_b64 s[24:25], -1
	s_mov_b64 s[4:5], 0
	s_mov_b64 s[0:1], 0
                                        ; implicit-def: $vgpr6_vgpr7
	s_branch .LBB126_1328
.LBB126_1292:
	s_mov_b64 s[24:25], -1
	s_mov_b64 s[4:5], 0
	s_mov_b64 s[0:1], 0
                                        ; implicit-def: $vgpr6_vgpr7
	s_branch .LBB126_1307
.LBB126_1293:
	s_mov_b64 s[24:25], -1
	s_mov_b64 s[4:5], 0
	s_mov_b64 s[0:1], 0
                                        ; implicit-def: $vgpr6_vgpr7
	s_branch .LBB126_1302
.LBB126_1294:
	s_trap 2
	s_or_b64 s[22:23], s[22:23], exec
	s_cbranch_execz .LBB126_1233
	s_branch .LBB126_1234
.LBB126_1295:
	s_mov_b64 s[24:25], -1
	s_mov_b64 s[4:5], 0
	s_mov_b64 s[0:1], 0
                                        ; implicit-def: $vgpr6_vgpr7
	s_branch .LBB126_1297
.LBB126_1296:
	s_mov_b64 s[0:1], -1
                                        ; implicit-def: $vgpr6_vgpr7
	s_mov_b64 s[4:5], 0
.LBB126_1297:
	s_and_b64 vcc, exec, s[24:25]
	s_cbranch_vccz .LBB126_1301
; %bb.1298:
	s_cmp_eq_u32 s28, 44
	s_cbranch_scc0 .LBB126_1300
; %bb.1299:
	global_load_ubyte v7, v[2:3], off
	s_movk_i32 s4, 0xff
	v_bfrev_b32_e32 v11, 4
	v_mov_b32_e32 v12, 0x7ff80000
	v_bfrev_b32_e32 v13, 28
	s_mov_b64 s[0:1], 0
	s_waitcnt vmcnt(0)
	v_lshlrev_b32_e32 v5, 23, v7
	v_cvt_f64_f32_e32 v[5:6], v5
	v_cmp_ne_u32_e32 vcc, s4, v7
	s_mov_b64 s[4:5], -1
	v_cndmask_b32_e32 v5, v11, v5, vcc
	v_cndmask_b32_e32 v6, v12, v6, vcc
	v_cmp_ne_u32_e32 vcc, 0, v7
	v_cndmask_b32_e32 v7, v13, v6, vcc
	v_cndmask_b32_e32 v6, 0, v5, vcc
	s_branch .LBB126_1301
.LBB126_1300:
	s_mov_b64 s[0:1], -1
                                        ; implicit-def: $vgpr6_vgpr7
.LBB126_1301:
	s_mov_b64 s[24:25], 0
.LBB126_1302:
	s_and_b64 vcc, exec, s[24:25]
	s_cbranch_vccz .LBB126_1306
; %bb.1303:
	s_cmp_eq_u32 s28, 29
	s_cbranch_scc0 .LBB126_1305
; %bb.1304:
	global_load_dwordx2 v[5:6], v[2:3], off
	s_mov_b64 s[0:1], 0
	s_mov_b64 s[4:5], -1
	s_mov_b64 s[24:25], 0
	s_waitcnt vmcnt(0)
	v_cvt_f64_u32_e32 v[6:7], v6
	v_cvt_f64_u32_e32 v[11:12], v5
	v_ldexp_f64 v[6:7], v[6:7], 32
	v_add_f64 v[6:7], v[6:7], v[11:12]
	s_branch .LBB126_1307
.LBB126_1305:
	s_mov_b64 s[0:1], -1
                                        ; implicit-def: $vgpr6_vgpr7
.LBB126_1306:
	s_mov_b64 s[24:25], 0
.LBB126_1307:
	s_and_b64 vcc, exec, s[24:25]
	s_cbranch_vccz .LBB126_1327
; %bb.1308:
	s_cmp_lt_i32 s28, 27
	s_cbranch_scc1 .LBB126_1311
; %bb.1309:
	s_cmp_gt_i32 s28, 27
	s_cbranch_scc0 .LBB126_1312
; %bb.1310:
	global_load_dword v5, v[2:3], off
	s_mov_b64 s[4:5], 0
	s_waitcnt vmcnt(0)
	v_cvt_f64_u32_e32 v[6:7], v5
	s_branch .LBB126_1313
.LBB126_1311:
	s_mov_b64 s[4:5], -1
                                        ; implicit-def: $vgpr6_vgpr7
	s_branch .LBB126_1316
.LBB126_1312:
	s_mov_b64 s[4:5], -1
                                        ; implicit-def: $vgpr6_vgpr7
.LBB126_1313:
	s_andn2_b64 vcc, exec, s[4:5]
	s_cbranch_vccnz .LBB126_1315
; %bb.1314:
	global_load_ushort v5, v[2:3], off
	s_waitcnt vmcnt(0)
	v_cvt_f64_u32_e32 v[6:7], v5
.LBB126_1315:
	s_mov_b64 s[4:5], 0
.LBB126_1316:
	s_andn2_b64 vcc, exec, s[4:5]
	s_cbranch_vccnz .LBB126_1326
; %bb.1317:
	global_load_ubyte v5, v[2:3], off
	s_movk_i32 s4, 0x7f
	s_waitcnt vmcnt(0)
	v_cmp_lt_i16_e32 vcc, s4, v5
	s_mov_b64 s[4:5], 0
	s_and_saveexec_b64 s[24:25], vcc
	s_xor_b64 s[24:25], exec, s[24:25]
	s_cbranch_execz .LBB126_1321
; %bb.1318:
	s_movk_i32 s4, 0x80
	v_cmp_eq_u16_e32 vcc, s4, v5
	s_mov_b64 s[4:5], -1
	s_and_saveexec_b64 s[26:27], vcc
; %bb.1319:
	s_xor_b64 s[4:5], exec, -1
; %bb.1320:
	s_or_b64 exec, exec, s[26:27]
	s_and_b64 s[4:5], s[4:5], exec
.LBB126_1321:
	s_or_saveexec_b64 s[24:25], s[24:25]
	v_bfrev_b32_e32 v6, 4
	v_mov_b32_e32 v7, 0x7ff80000
	s_xor_b64 exec, exec, s[24:25]
; %bb.1322:
	v_cmp_ne_u16_e32 vcc, 0, v5
	v_mov_b32_e32 v6, 0
	s_andn2_b64 s[4:5], s[4:5], exec
	s_and_b64 s[26:27], vcc, exec
	v_mov_b32_e32 v7, 0
	s_or_b64 s[4:5], s[4:5], s[26:27]
; %bb.1323:
	s_or_b64 exec, exec, s[24:25]
	s_and_saveexec_b64 s[24:25], s[4:5]
	s_cbranch_execz .LBB126_1325
; %bb.1324:
	v_lshlrev_b32_e32 v6, 24, v5
	v_and_b32_e32 v5, 0xffff, v5
	v_and_b32_e32 v7, 7, v5
	v_ffbh_u32_e32 v12, v7
	v_min_u32_e32 v12, 32, v12
	v_subrev_u32_e32 v13, 28, v12
	v_bfe_u32 v11, v5, 3, 4
	v_lshlrev_b32_e32 v5, v13, v5
	v_sub_u32_e32 v12, 29, v12
	v_and_b32_e32 v5, 7, v5
	v_cmp_eq_u32_e32 vcc, 0, v11
	v_cndmask_b32_e32 v11, v11, v12, vcc
	v_cndmask_b32_e32 v5, v7, v5, vcc
	v_mov_b32_e32 v7, 0x3b800000
	v_lshlrev_b32_e32 v5, 20, v5
	v_and_b32_e32 v6, 0x80000000, v6
	v_lshl_add_u32 v7, v11, 23, v7
	v_or3_b32 v5, v6, v7, v5
	v_cvt_f64_f32_e32 v[6:7], v5
.LBB126_1325:
	s_or_b64 exec, exec, s[24:25]
.LBB126_1326:
	s_mov_b64 s[4:5], -1
.LBB126_1327:
	s_mov_b64 s[24:25], 0
.LBB126_1328:
	s_and_b64 vcc, exec, s[24:25]
	s_cbranch_vccz .LBB126_1359
; %bb.1329:
	s_cmp_gt_i32 s28, 22
	s_cbranch_scc0 .LBB126_1341
; %bb.1330:
	s_cmp_lt_i32 s28, 24
	s_cbranch_scc1 .LBB126_1342
; %bb.1331:
	s_cmp_gt_i32 s28, 24
	s_cbranch_scc0 .LBB126_1343
; %bb.1332:
	global_load_ubyte v5, v[2:3], off
	s_movk_i32 s2, 0x7f
	s_waitcnt vmcnt(0)
	v_cmp_lt_i16_e32 vcc, s2, v5
	s_mov_b64 s[2:3], 0
	s_and_saveexec_b64 s[4:5], vcc
	s_xor_b64 s[4:5], exec, s[4:5]
	s_cbranch_execz .LBB126_1336
; %bb.1333:
	s_movk_i32 s2, 0x80
	v_cmp_eq_u16_e32 vcc, s2, v5
	s_mov_b64 s[2:3], -1
	s_and_saveexec_b64 s[24:25], vcc
; %bb.1334:
	s_xor_b64 s[2:3], exec, -1
; %bb.1335:
	s_or_b64 exec, exec, s[24:25]
	s_and_b64 s[2:3], s[2:3], exec
.LBB126_1336:
	s_or_saveexec_b64 s[4:5], s[4:5]
	v_bfrev_b32_e32 v6, 4
	v_mov_b32_e32 v7, 0x7ff80000
	s_xor_b64 exec, exec, s[4:5]
; %bb.1337:
	v_cmp_ne_u16_e32 vcc, 0, v5
	v_mov_b32_e32 v6, 0
	s_andn2_b64 s[2:3], s[2:3], exec
	s_and_b64 s[24:25], vcc, exec
	v_mov_b32_e32 v7, 0
	s_or_b64 s[2:3], s[2:3], s[24:25]
; %bb.1338:
	s_or_b64 exec, exec, s[4:5]
	s_and_saveexec_b64 s[4:5], s[2:3]
	s_cbranch_execz .LBB126_1340
; %bb.1339:
	v_lshlrev_b32_e32 v6, 24, v5
	v_and_b32_e32 v5, 0xffff, v5
	v_and_b32_e32 v7, 3, v5
	v_ffbh_u32_e32 v12, v7
	v_min_u32_e32 v12, 32, v12
	v_subrev_u32_e32 v13, 29, v12
	v_bfe_u32 v11, v5, 2, 5
	v_lshlrev_b32_e32 v5, v13, v5
	v_sub_u32_e32 v12, 30, v12
	v_and_b32_e32 v5, 3, v5
	v_cmp_eq_u32_e32 vcc, 0, v11
	v_cndmask_b32_e32 v11, v11, v12, vcc
	v_cndmask_b32_e32 v5, v7, v5, vcc
	v_mov_b32_e32 v7, 0x37800000
	v_lshlrev_b32_e32 v5, 21, v5
	v_and_b32_e32 v6, 0x80000000, v6
	v_lshl_add_u32 v7, v11, 23, v7
	v_or3_b32 v5, v6, v7, v5
	v_cvt_f64_f32_e32 v[6:7], v5
.LBB126_1340:
	s_or_b64 exec, exec, s[4:5]
	s_mov_b64 s[2:3], 0
	s_branch .LBB126_1344
.LBB126_1341:
	s_mov_b64 s[2:3], -1
                                        ; implicit-def: $vgpr6_vgpr7
	s_branch .LBB126_1350
.LBB126_1342:
	s_mov_b64 s[2:3], -1
                                        ; implicit-def: $vgpr6_vgpr7
	s_branch .LBB126_1347
.LBB126_1343:
	s_mov_b64 s[2:3], -1
                                        ; implicit-def: $vgpr6_vgpr7
.LBB126_1344:
	s_and_b64 vcc, exec, s[2:3]
	s_cbranch_vccz .LBB126_1346
; %bb.1345:
	global_load_ubyte v5, v[2:3], off
	s_mov_b32 s2, 0x7f800000
	s_waitcnt vmcnt(0)
	v_lshlrev_b32_e32 v5, 24, v5
	v_and_b32_e32 v6, 0x7f000000, v5
	v_ffbh_u32_e32 v7, v6
	v_min_u32_e32 v7, 32, v7
	v_sub_u32_e64 v7, v7, 4 clamp
	v_lshlrev_b32_e32 v12, v7, v6
	v_lshlrev_b32_e32 v7, 23, v7
	v_lshrrev_b32_e32 v12, 4, v12
	v_add_u32_e32 v11, 0x1000000, v6
	v_sub_u32_e32 v7, v12, v7
	v_ashrrev_i32_e32 v11, 8, v11
	v_add_u32_e32 v7, 0x3c000000, v7
	v_and_or_b32 v7, v11, s2, v7
	v_cmp_ne_u32_e32 vcc, 0, v6
	v_cndmask_b32_e32 v6, 0, v7, vcc
	s_brev_b32 s2, 1
	v_and_or_b32 v5, v5, s2, v6
	v_cvt_f64_f32_e32 v[6:7], v5
.LBB126_1346:
	s_mov_b64 s[2:3], 0
.LBB126_1347:
	s_andn2_b64 vcc, exec, s[2:3]
	s_cbranch_vccnz .LBB126_1349
; %bb.1348:
	global_load_ubyte v5, v[2:3], off
	s_movk_i32 s2, 0x7f00
	s_brev_b32 s3, 16
	s_waitcnt vmcnt(0)
	v_lshlrev_b16_e32 v6, 8, v5
	v_lshlrev_b32_e32 v5, 25, v5
	v_lshrrev_b32_e32 v7, 4, v5
	v_and_or_b32 v11, v6, s2, 0.5
	v_or_b32_e32 v7, 0x70000000, v7
	v_add_f32_e32 v11, -0.5, v11
	v_mul_f32_e32 v7, 0x7800000, v7
	v_cmp_gt_u32_e32 vcc, s3, v5
	v_bfe_i32 v6, v6, 0, 16
	v_cndmask_b32_e32 v5, v7, v11, vcc
	s_brev_b32 s2, 1
	v_and_or_b32 v5, v6, s2, v5
	v_cvt_f64_f32_e32 v[6:7], v5
.LBB126_1349:
	s_mov_b64 s[2:3], 0
	s_mov_b64 s[4:5], -1
.LBB126_1350:
	s_andn2_b64 vcc, exec, s[2:3]
	s_mov_b64 s[2:3], 0
	s_cbranch_vccnz .LBB126_1359
; %bb.1351:
	s_cmp_gt_i32 s28, 14
	s_cbranch_scc0 .LBB126_1354
; %bb.1352:
	s_cmp_eq_u32 s28, 15
	s_cbranch_scc0 .LBB126_1355
; %bb.1353:
	global_load_ushort v5, v[2:3], off
	s_mov_b64 s[0:1], 0
	s_mov_b64 s[4:5], -1
	s_waitcnt vmcnt(0)
	v_lshlrev_b32_e32 v5, 16, v5
	v_cvt_f64_f32_e32 v[6:7], v5
	s_branch .LBB126_1356
.LBB126_1354:
	s_mov_b64 s[24:25], -1
                                        ; implicit-def: $vgpr6_vgpr7
	s_branch .LBB126_1357
.LBB126_1355:
	s_mov_b64 s[0:1], -1
                                        ; implicit-def: $vgpr6_vgpr7
.LBB126_1356:
	s_mov_b64 s[24:25], 0
.LBB126_1357:
	s_and_b64 vcc, exec, s[24:25]
	s_cbranch_vccz .LBB126_1359
; %bb.1358:
	s_cmp_lg_u32 s28, 11
	s_mov_b64 s[2:3], -1
	s_cselect_b64 s[0:1], -1, 0
.LBB126_1359:
	s_and_b64 vcc, exec, s[0:1]
	s_cbranch_vccnz .LBB126_1422
; %bb.1360:
	s_andn2_b64 vcc, exec, s[2:3]
	s_cbranch_vccnz .LBB126_1362
.LBB126_1361:
	global_load_ubyte v5, v[2:3], off
	v_mov_b32_e32 v7, 0x3ff00000
	v_mov_b32_e32 v6, 0
	s_mov_b64 s[4:5], -1
	s_waitcnt vmcnt(0)
	v_cmp_ne_u16_e32 vcc, 0, v5
	v_cndmask_b32_e32 v7, 0, v7, vcc
.LBB126_1362:
	s_branch .LBB126_1290
.LBB126_1363:
	s_cmp_lt_i32 s28, 5
	s_cbranch_scc1 .LBB126_1368
; %bb.1364:
	s_cmp_lt_i32 s28, 8
	s_cbranch_scc1 .LBB126_1369
; %bb.1365:
	;; [unrolled: 3-line block ×3, first 2 shown]
	s_cmp_gt_i32 s28, 9
	s_cbranch_scc0 .LBB126_1371
; %bb.1367:
	global_load_dwordx2 v[6:7], v[2:3], off
	s_mov_b64 s[0:1], 0
	s_branch .LBB126_1372
.LBB126_1368:
	s_mov_b64 s[0:1], -1
                                        ; implicit-def: $vgpr6_vgpr7
	s_branch .LBB126_1390
.LBB126_1369:
	s_mov_b64 s[0:1], -1
                                        ; implicit-def: $vgpr6_vgpr7
	s_branch .LBB126_1378
.LBB126_1370:
	s_mov_b64 s[0:1], -1
                                        ; implicit-def: $vgpr6_vgpr7
	s_branch .LBB126_1375
.LBB126_1371:
	s_mov_b64 s[0:1], -1
                                        ; implicit-def: $vgpr6_vgpr7
.LBB126_1372:
	s_andn2_b64 vcc, exec, s[0:1]
	s_cbranch_vccnz .LBB126_1374
; %bb.1373:
	global_load_dword v5, v[2:3], off
	s_waitcnt vmcnt(0)
	v_cvt_f64_f32_e32 v[6:7], v5
.LBB126_1374:
	s_mov_b64 s[0:1], 0
.LBB126_1375:
	s_andn2_b64 vcc, exec, s[0:1]
	s_cbranch_vccnz .LBB126_1377
; %bb.1376:
	global_load_dword v5, v[2:3], off
	s_waitcnt vmcnt(0)
	v_cvt_f32_f16_e32 v5, v5
	v_cvt_f64_f32_e32 v[6:7], v5
.LBB126_1377:
	s_mov_b64 s[0:1], 0
.LBB126_1378:
	s_andn2_b64 vcc, exec, s[0:1]
	s_cbranch_vccnz .LBB126_1389
; %bb.1379:
	s_cmp_lt_i32 s28, 6
	s_cbranch_scc1 .LBB126_1382
; %bb.1380:
	s_cmp_gt_i32 s28, 6
	s_cbranch_scc0 .LBB126_1383
; %bb.1381:
	global_load_dwordx2 v[6:7], v[2:3], off
	s_mov_b64 s[0:1], 0
	s_branch .LBB126_1384
.LBB126_1382:
	s_mov_b64 s[0:1], -1
                                        ; implicit-def: $vgpr6_vgpr7
	s_branch .LBB126_1387
.LBB126_1383:
	s_mov_b64 s[0:1], -1
                                        ; implicit-def: $vgpr6_vgpr7
.LBB126_1384:
	s_andn2_b64 vcc, exec, s[0:1]
	s_cbranch_vccnz .LBB126_1386
; %bb.1385:
	global_load_dword v5, v[2:3], off
	s_waitcnt vmcnt(0)
	v_cvt_f64_f32_e32 v[6:7], v5
.LBB126_1386:
	s_mov_b64 s[0:1], 0
.LBB126_1387:
	s_andn2_b64 vcc, exec, s[0:1]
	s_cbranch_vccnz .LBB126_1389
; %bb.1388:
	global_load_ushort v5, v[2:3], off
	s_waitcnt vmcnt(0)
	v_cvt_f32_f16_e32 v5, v5
	v_cvt_f64_f32_e32 v[6:7], v5
.LBB126_1389:
	s_mov_b64 s[0:1], 0
.LBB126_1390:
	s_andn2_b64 vcc, exec, s[0:1]
	s_cbranch_vccnz .LBB126_1410
; %bb.1391:
	s_cmp_lt_i32 s28, 2
	s_cbranch_scc1 .LBB126_1395
; %bb.1392:
	s_cmp_lt_i32 s28, 3
	s_cbranch_scc1 .LBB126_1396
; %bb.1393:
	s_cmp_gt_i32 s28, 3
	s_cbranch_scc0 .LBB126_1397
; %bb.1394:
	global_load_dwordx2 v[5:6], v[2:3], off
	s_mov_b64 s[0:1], 0
	s_waitcnt vmcnt(0)
	v_cvt_f64_i32_e32 v[6:7], v6
	v_cvt_f64_u32_e32 v[11:12], v5
	v_ldexp_f64 v[6:7], v[6:7], 32
	v_add_f64 v[6:7], v[6:7], v[11:12]
	s_branch .LBB126_1398
.LBB126_1395:
	s_mov_b64 s[0:1], -1
                                        ; implicit-def: $vgpr6_vgpr7
	s_branch .LBB126_1404
.LBB126_1396:
	s_mov_b64 s[0:1], -1
                                        ; implicit-def: $vgpr6_vgpr7
	s_branch .LBB126_1401
.LBB126_1397:
	s_mov_b64 s[0:1], -1
                                        ; implicit-def: $vgpr6_vgpr7
.LBB126_1398:
	s_andn2_b64 vcc, exec, s[0:1]
	s_cbranch_vccnz .LBB126_1400
; %bb.1399:
	global_load_dword v5, v[2:3], off
	s_waitcnt vmcnt(0)
	v_cvt_f64_i32_e32 v[6:7], v5
.LBB126_1400:
	s_mov_b64 s[0:1], 0
.LBB126_1401:
	s_andn2_b64 vcc, exec, s[0:1]
	s_cbranch_vccnz .LBB126_1403
; %bb.1402:
	global_load_sshort v5, v[2:3], off
	s_waitcnt vmcnt(0)
	v_cvt_f64_i32_e32 v[6:7], v5
.LBB126_1403:
	s_mov_b64 s[0:1], 0
.LBB126_1404:
	s_andn2_b64 vcc, exec, s[0:1]
	s_cbranch_vccnz .LBB126_1410
; %bb.1405:
	s_cmp_gt_i32 s28, 0
	s_cbranch_scc0 .LBB126_1407
; %bb.1406:
	global_load_sbyte v5, v[2:3], off
	s_mov_b64 s[0:1], 0
	s_waitcnt vmcnt(0)
	v_cvt_f64_i32_e32 v[6:7], v5
	s_branch .LBB126_1408
.LBB126_1407:
	s_mov_b64 s[0:1], -1
                                        ; implicit-def: $vgpr6_vgpr7
.LBB126_1408:
	s_andn2_b64 vcc, exec, s[0:1]
	s_cbranch_vccnz .LBB126_1410
; %bb.1409:
	global_load_ubyte v2, v[2:3], off
	s_waitcnt vmcnt(0)
	v_cvt_f64_u32_e32 v[6:7], v2
.LBB126_1410:
.LBB126_1411:
	v_add_u32_e32 v2, s17, v4
	v_ashrrev_i32_e32 v3, 31, v2
	v_mov_b32_e32 v4, s11
	v_add_co_u32_e32 v2, vcc, s10, v2
	s_cmp_lt_i32 s28, 11
	v_addc_co_u32_e32 v3, vcc, v4, v3, vcc
	s_cbranch_scc1 .LBB126_1418
; %bb.1412:
	s_cmp_gt_i32 s28, 25
	s_mov_b64 s[2:3], 0
	s_cbranch_scc0 .LBB126_1419
; %bb.1413:
	s_cmp_gt_i32 s28, 28
	s_cbranch_scc0 .LBB126_1420
; %bb.1414:
	s_cmp_gt_i32 s28, 43
	;; [unrolled: 3-line block ×3, first 2 shown]
	s_cbranch_scc0 .LBB126_1423
; %bb.1416:
	s_cmp_eq_u32 s28, 46
	s_mov_b64 s[10:11], 0
	s_cbranch_scc0 .LBB126_1424
; %bb.1417:
	global_load_dword v4, v[2:3], off
	s_mov_b64 s[0:1], 0
	s_mov_b64 s[4:5], -1
	s_waitcnt vmcnt(0)
	v_lshlrev_b32_e32 v4, 16, v4
	v_cvt_f64_f32_e32 v[4:5], v4
	s_branch .LBB126_1425
.LBB126_1418:
	s_mov_b64 s[0:1], -1
	s_mov_b64 s[4:5], 0
                                        ; implicit-def: $vgpr4_vgpr5
	s_branch .LBB126_1491
.LBB126_1419:
	s_mov_b64 s[10:11], -1
	s_mov_b64 s[4:5], 0
	s_mov_b64 s[0:1], 0
                                        ; implicit-def: $vgpr4_vgpr5
	s_branch .LBB126_1456
.LBB126_1420:
	s_mov_b64 s[10:11], -1
	s_mov_b64 s[4:5], 0
	s_mov_b64 s[0:1], 0
                                        ; implicit-def: $vgpr4_vgpr5
	s_branch .LBB126_1435
.LBB126_1421:
	s_mov_b64 s[10:11], -1
	s_mov_b64 s[4:5], 0
	s_mov_b64 s[0:1], 0
                                        ; implicit-def: $vgpr4_vgpr5
	s_branch .LBB126_1430
.LBB126_1422:
	s_trap 2
	s_or_b64 s[22:23], s[22:23], exec
	s_cbranch_execz .LBB126_1361
	s_branch .LBB126_1362
.LBB126_1423:
	s_mov_b64 s[10:11], -1
	s_mov_b64 s[4:5], 0
	s_mov_b64 s[0:1], 0
                                        ; implicit-def: $vgpr4_vgpr5
	s_branch .LBB126_1425
.LBB126_1424:
	s_mov_b64 s[0:1], -1
                                        ; implicit-def: $vgpr4_vgpr5
	s_mov_b64 s[4:5], 0
.LBB126_1425:
	s_and_b64 vcc, exec, s[10:11]
	s_cbranch_vccz .LBB126_1429
; %bb.1426:
	s_cmp_eq_u32 s28, 44
	s_cbranch_scc0 .LBB126_1428
; %bb.1427:
	global_load_ubyte v11, v[2:3], off
	s_movk_i32 s4, 0xff
	v_bfrev_b32_e32 v12, 4
	v_mov_b32_e32 v13, 0x7ff80000
	v_bfrev_b32_e32 v14, 28
	s_mov_b64 s[0:1], 0
	s_waitcnt vmcnt(0)
	v_lshlrev_b32_e32 v4, 23, v11
	v_cvt_f64_f32_e32 v[4:5], v4
	v_cmp_ne_u32_e32 vcc, s4, v11
	s_mov_b64 s[4:5], -1
	v_cndmask_b32_e32 v4, v12, v4, vcc
	v_cndmask_b32_e32 v5, v13, v5, vcc
	v_cmp_ne_u32_e32 vcc, 0, v11
	v_cndmask_b32_e32 v5, v14, v5, vcc
	v_cndmask_b32_e32 v4, 0, v4, vcc
	s_branch .LBB126_1429
.LBB126_1428:
	s_mov_b64 s[0:1], -1
                                        ; implicit-def: $vgpr4_vgpr5
.LBB126_1429:
	s_mov_b64 s[10:11], 0
.LBB126_1430:
	s_and_b64 vcc, exec, s[10:11]
	s_cbranch_vccz .LBB126_1434
; %bb.1431:
	s_cmp_eq_u32 s28, 29
	s_cbranch_scc0 .LBB126_1433
; %bb.1432:
	global_load_dwordx2 v[4:5], v[2:3], off
	s_mov_b64 s[0:1], 0
	s_mov_b64 s[4:5], -1
	s_mov_b64 s[10:11], 0
	s_waitcnt vmcnt(0)
	v_cvt_f64_u32_e32 v[11:12], v5
	v_cvt_f64_u32_e32 v[4:5], v4
	v_ldexp_f64 v[11:12], v[11:12], 32
	v_add_f64 v[4:5], v[11:12], v[4:5]
	s_branch .LBB126_1435
.LBB126_1433:
	s_mov_b64 s[0:1], -1
                                        ; implicit-def: $vgpr4_vgpr5
.LBB126_1434:
	s_mov_b64 s[10:11], 0
.LBB126_1435:
	s_and_b64 vcc, exec, s[10:11]
	s_cbranch_vccz .LBB126_1455
; %bb.1436:
	s_cmp_lt_i32 s28, 27
	s_cbranch_scc1 .LBB126_1439
; %bb.1437:
	s_cmp_gt_i32 s28, 27
	s_cbranch_scc0 .LBB126_1440
; %bb.1438:
	global_load_dword v4, v[2:3], off
	s_mov_b64 s[4:5], 0
	s_waitcnt vmcnt(0)
	v_cvt_f64_u32_e32 v[4:5], v4
	s_branch .LBB126_1441
.LBB126_1439:
	s_mov_b64 s[4:5], -1
                                        ; implicit-def: $vgpr4_vgpr5
	s_branch .LBB126_1444
.LBB126_1440:
	s_mov_b64 s[4:5], -1
                                        ; implicit-def: $vgpr4_vgpr5
.LBB126_1441:
	s_andn2_b64 vcc, exec, s[4:5]
	s_cbranch_vccnz .LBB126_1443
; %bb.1442:
	global_load_ushort v4, v[2:3], off
	s_waitcnt vmcnt(0)
	v_cvt_f64_u32_e32 v[4:5], v4
.LBB126_1443:
	s_mov_b64 s[4:5], 0
.LBB126_1444:
	s_andn2_b64 vcc, exec, s[4:5]
	s_cbranch_vccnz .LBB126_1454
; %bb.1445:
	global_load_ubyte v11, v[2:3], off
	s_movk_i32 s4, 0x7f
	s_waitcnt vmcnt(0)
	v_cmp_lt_i16_e32 vcc, s4, v11
	s_mov_b64 s[4:5], 0
	s_and_saveexec_b64 s[10:11], vcc
	s_xor_b64 s[10:11], exec, s[10:11]
	s_cbranch_execz .LBB126_1449
; %bb.1446:
	s_movk_i32 s4, 0x80
	v_cmp_eq_u16_e32 vcc, s4, v11
	s_mov_b64 s[4:5], -1
	s_and_saveexec_b64 s[24:25], vcc
; %bb.1447:
	s_xor_b64 s[4:5], exec, -1
; %bb.1448:
	s_or_b64 exec, exec, s[24:25]
	s_and_b64 s[4:5], s[4:5], exec
.LBB126_1449:
	s_or_saveexec_b64 s[10:11], s[10:11]
	v_bfrev_b32_e32 v4, 4
	v_mov_b32_e32 v5, 0x7ff80000
	s_xor_b64 exec, exec, s[10:11]
; %bb.1450:
	v_cmp_ne_u16_e32 vcc, 0, v11
	v_mov_b32_e32 v4, 0
	s_andn2_b64 s[4:5], s[4:5], exec
	s_and_b64 s[24:25], vcc, exec
	v_mov_b32_e32 v5, 0
	s_or_b64 s[4:5], s[4:5], s[24:25]
; %bb.1451:
	s_or_b64 exec, exec, s[10:11]
	s_and_saveexec_b64 s[10:11], s[4:5]
	s_cbranch_execz .LBB126_1453
; %bb.1452:
	v_and_b32_e32 v5, 0xffff, v11
	v_lshlrev_b32_e32 v4, 24, v11
	v_and_b32_e32 v11, 7, v5
	v_ffbh_u32_e32 v13, v11
	v_min_u32_e32 v13, 32, v13
	v_subrev_u32_e32 v14, 28, v13
	v_bfe_u32 v12, v5, 3, 4
	v_lshlrev_b32_e32 v5, v14, v5
	v_sub_u32_e32 v13, 29, v13
	v_and_b32_e32 v5, 7, v5
	v_cmp_eq_u32_e32 vcc, 0, v12
	v_cndmask_b32_e32 v12, v12, v13, vcc
	v_cndmask_b32_e32 v5, v11, v5, vcc
	v_mov_b32_e32 v11, 0x3b800000
	v_lshlrev_b32_e32 v5, 20, v5
	v_and_b32_e32 v4, 0x80000000, v4
	v_lshl_add_u32 v11, v12, 23, v11
	v_or3_b32 v4, v4, v11, v5
	v_cvt_f64_f32_e32 v[4:5], v4
.LBB126_1453:
	s_or_b64 exec, exec, s[10:11]
.LBB126_1454:
	s_mov_b64 s[4:5], -1
.LBB126_1455:
	s_mov_b64 s[10:11], 0
.LBB126_1456:
	s_and_b64 vcc, exec, s[10:11]
	s_cbranch_vccz .LBB126_1487
; %bb.1457:
	s_cmp_gt_i32 s28, 22
	s_cbranch_scc0 .LBB126_1469
; %bb.1458:
	s_cmp_lt_i32 s28, 24
	s_cbranch_scc1 .LBB126_1470
; %bb.1459:
	s_cmp_gt_i32 s28, 24
	s_cbranch_scc0 .LBB126_1471
; %bb.1460:
	global_load_ubyte v11, v[2:3], off
	s_movk_i32 s2, 0x7f
	s_waitcnt vmcnt(0)
	v_cmp_lt_i16_e32 vcc, s2, v11
	s_mov_b64 s[2:3], 0
	s_and_saveexec_b64 s[4:5], vcc
	s_xor_b64 s[4:5], exec, s[4:5]
	s_cbranch_execz .LBB126_1464
; %bb.1461:
	s_movk_i32 s2, 0x80
	v_cmp_eq_u16_e32 vcc, s2, v11
	s_mov_b64 s[2:3], -1
	s_and_saveexec_b64 s[10:11], vcc
; %bb.1462:
	s_xor_b64 s[2:3], exec, -1
; %bb.1463:
	s_or_b64 exec, exec, s[10:11]
	s_and_b64 s[2:3], s[2:3], exec
.LBB126_1464:
	s_or_saveexec_b64 s[4:5], s[4:5]
	v_bfrev_b32_e32 v4, 4
	v_mov_b32_e32 v5, 0x7ff80000
	s_xor_b64 exec, exec, s[4:5]
; %bb.1465:
	v_cmp_ne_u16_e32 vcc, 0, v11
	v_mov_b32_e32 v4, 0
	s_andn2_b64 s[2:3], s[2:3], exec
	s_and_b64 s[10:11], vcc, exec
	v_mov_b32_e32 v5, 0
	s_or_b64 s[2:3], s[2:3], s[10:11]
; %bb.1466:
	s_or_b64 exec, exec, s[4:5]
	s_and_saveexec_b64 s[4:5], s[2:3]
	s_cbranch_execz .LBB126_1468
; %bb.1467:
	v_and_b32_e32 v5, 0xffff, v11
	v_lshlrev_b32_e32 v4, 24, v11
	v_and_b32_e32 v11, 3, v5
	v_ffbh_u32_e32 v13, v11
	v_min_u32_e32 v13, 32, v13
	v_subrev_u32_e32 v14, 29, v13
	v_bfe_u32 v12, v5, 2, 5
	v_lshlrev_b32_e32 v5, v14, v5
	v_sub_u32_e32 v13, 30, v13
	v_and_b32_e32 v5, 3, v5
	v_cmp_eq_u32_e32 vcc, 0, v12
	v_cndmask_b32_e32 v12, v12, v13, vcc
	v_cndmask_b32_e32 v5, v11, v5, vcc
	v_mov_b32_e32 v11, 0x37800000
	v_lshlrev_b32_e32 v5, 21, v5
	v_and_b32_e32 v4, 0x80000000, v4
	v_lshl_add_u32 v11, v12, 23, v11
	v_or3_b32 v4, v4, v11, v5
	v_cvt_f64_f32_e32 v[4:5], v4
.LBB126_1468:
	s_or_b64 exec, exec, s[4:5]
	s_mov_b64 s[2:3], 0
	s_branch .LBB126_1472
.LBB126_1469:
	s_mov_b64 s[2:3], -1
                                        ; implicit-def: $vgpr4_vgpr5
	s_branch .LBB126_1478
.LBB126_1470:
	s_mov_b64 s[2:3], -1
                                        ; implicit-def: $vgpr4_vgpr5
	s_branch .LBB126_1475
.LBB126_1471:
	s_mov_b64 s[2:3], -1
                                        ; implicit-def: $vgpr4_vgpr5
.LBB126_1472:
	s_and_b64 vcc, exec, s[2:3]
	s_cbranch_vccz .LBB126_1474
; %bb.1473:
	global_load_ubyte v4, v[2:3], off
	s_mov_b32 s2, 0x7f800000
	s_waitcnt vmcnt(0)
	v_lshlrev_b32_e32 v4, 24, v4
	v_and_b32_e32 v5, 0x7f000000, v4
	v_ffbh_u32_e32 v11, v5
	v_min_u32_e32 v11, 32, v11
	v_sub_u32_e64 v11, v11, 4 clamp
	v_lshlrev_b32_e32 v13, v11, v5
	v_lshlrev_b32_e32 v11, 23, v11
	v_lshrrev_b32_e32 v13, 4, v13
	v_add_u32_e32 v12, 0x1000000, v5
	v_sub_u32_e32 v11, v13, v11
	v_ashrrev_i32_e32 v12, 8, v12
	v_add_u32_e32 v11, 0x3c000000, v11
	v_and_or_b32 v11, v12, s2, v11
	v_cmp_ne_u32_e32 vcc, 0, v5
	v_cndmask_b32_e32 v5, 0, v11, vcc
	s_brev_b32 s2, 1
	v_and_or_b32 v4, v4, s2, v5
	v_cvt_f64_f32_e32 v[4:5], v4
.LBB126_1474:
	s_mov_b64 s[2:3], 0
.LBB126_1475:
	s_andn2_b64 vcc, exec, s[2:3]
	s_cbranch_vccnz .LBB126_1477
; %bb.1476:
	global_load_ubyte v4, v[2:3], off
	s_movk_i32 s2, 0x7f00
	s_brev_b32 s3, 16
	s_waitcnt vmcnt(0)
	v_lshlrev_b16_e32 v5, 8, v4
	v_lshlrev_b32_e32 v4, 25, v4
	v_lshrrev_b32_e32 v11, 4, v4
	v_and_or_b32 v12, v5, s2, 0.5
	v_or_b32_e32 v11, 0x70000000, v11
	v_add_f32_e32 v12, -0.5, v12
	v_mul_f32_e32 v11, 0x7800000, v11
	v_cmp_gt_u32_e32 vcc, s3, v4
	v_bfe_i32 v5, v5, 0, 16
	v_cndmask_b32_e32 v4, v11, v12, vcc
	s_brev_b32 s2, 1
	v_and_or_b32 v4, v5, s2, v4
	v_cvt_f64_f32_e32 v[4:5], v4
.LBB126_1477:
	s_mov_b64 s[2:3], 0
	s_mov_b64 s[4:5], -1
.LBB126_1478:
	s_andn2_b64 vcc, exec, s[2:3]
	s_mov_b64 s[2:3], 0
	s_cbranch_vccnz .LBB126_1487
; %bb.1479:
	s_cmp_gt_i32 s28, 14
	s_cbranch_scc0 .LBB126_1482
; %bb.1480:
	s_cmp_eq_u32 s28, 15
	s_cbranch_scc0 .LBB126_1483
; %bb.1481:
	global_load_ushort v4, v[2:3], off
	s_mov_b64 s[0:1], 0
	s_mov_b64 s[4:5], -1
	s_waitcnt vmcnt(0)
	v_lshlrev_b32_e32 v4, 16, v4
	v_cvt_f64_f32_e32 v[4:5], v4
	s_branch .LBB126_1484
.LBB126_1482:
	s_mov_b64 s[10:11], -1
                                        ; implicit-def: $vgpr4_vgpr5
	s_branch .LBB126_1485
.LBB126_1483:
	s_mov_b64 s[0:1], -1
                                        ; implicit-def: $vgpr4_vgpr5
.LBB126_1484:
	s_mov_b64 s[10:11], 0
.LBB126_1485:
	s_and_b64 vcc, exec, s[10:11]
	s_cbranch_vccz .LBB126_1487
; %bb.1486:
	s_cmp_lg_u32 s28, 11
	s_mov_b64 s[2:3], -1
	s_cselect_b64 s[0:1], -1, 0
.LBB126_1487:
	s_and_b64 vcc, exec, s[0:1]
	s_cbranch_vccnz .LBB126_2020
; %bb.1488:
	s_andn2_b64 vcc, exec, s[2:3]
	s_cbranch_vccnz .LBB126_1490
.LBB126_1489:
	global_load_ubyte v5, v[2:3], off
	v_mov_b32_e32 v11, 0x3ff00000
	v_mov_b32_e32 v4, 0
	s_mov_b64 s[4:5], -1
	s_waitcnt vmcnt(0)
	v_cmp_ne_u16_e32 vcc, 0, v5
	v_cndmask_b32_e32 v5, 0, v11, vcc
.LBB126_1490:
	s_mov_b64 s[0:1], 0
.LBB126_1491:
	s_and_b64 vcc, exec, s[0:1]
	s_cbranch_vccz .LBB126_1540
; %bb.1492:
	s_cmp_lt_i32 s28, 5
	s_cbranch_scc1 .LBB126_1497
; %bb.1493:
	s_cmp_lt_i32 s28, 8
	s_cbranch_scc1 .LBB126_1498
; %bb.1494:
	s_cmp_lt_i32 s28, 9
	s_cbranch_scc1 .LBB126_1499
; %bb.1495:
	s_cmp_gt_i32 s28, 9
	s_cbranch_scc0 .LBB126_1500
; %bb.1496:
	global_load_dwordx2 v[4:5], v[2:3], off
	s_mov_b64 s[0:1], 0
	s_branch .LBB126_1501
.LBB126_1497:
	s_mov_b64 s[0:1], -1
                                        ; implicit-def: $vgpr4_vgpr5
	s_branch .LBB126_1519
.LBB126_1498:
	s_mov_b64 s[0:1], -1
                                        ; implicit-def: $vgpr4_vgpr5
	s_branch .LBB126_1507
.LBB126_1499:
	s_mov_b64 s[0:1], -1
                                        ; implicit-def: $vgpr4_vgpr5
	s_branch .LBB126_1504
.LBB126_1500:
	s_mov_b64 s[0:1], -1
                                        ; implicit-def: $vgpr4_vgpr5
.LBB126_1501:
	s_andn2_b64 vcc, exec, s[0:1]
	s_cbranch_vccnz .LBB126_1503
; %bb.1502:
	global_load_dword v4, v[2:3], off
	s_waitcnt vmcnt(0)
	v_cvt_f64_f32_e32 v[4:5], v4
.LBB126_1503:
	s_mov_b64 s[0:1], 0
.LBB126_1504:
	s_andn2_b64 vcc, exec, s[0:1]
	s_cbranch_vccnz .LBB126_1506
; %bb.1505:
	global_load_dword v4, v[2:3], off
	s_waitcnt vmcnt(0)
	v_cvt_f32_f16_e32 v4, v4
	v_cvt_f64_f32_e32 v[4:5], v4
.LBB126_1506:
	s_mov_b64 s[0:1], 0
.LBB126_1507:
	s_andn2_b64 vcc, exec, s[0:1]
	s_cbranch_vccnz .LBB126_1518
; %bb.1508:
	s_cmp_lt_i32 s28, 6
	s_cbranch_scc1 .LBB126_1511
; %bb.1509:
	s_cmp_gt_i32 s28, 6
	s_cbranch_scc0 .LBB126_1512
; %bb.1510:
	global_load_dwordx2 v[4:5], v[2:3], off
	s_mov_b64 s[0:1], 0
	s_branch .LBB126_1513
.LBB126_1511:
	s_mov_b64 s[0:1], -1
                                        ; implicit-def: $vgpr4_vgpr5
	s_branch .LBB126_1516
.LBB126_1512:
	s_mov_b64 s[0:1], -1
                                        ; implicit-def: $vgpr4_vgpr5
.LBB126_1513:
	s_andn2_b64 vcc, exec, s[0:1]
	s_cbranch_vccnz .LBB126_1515
; %bb.1514:
	global_load_dword v4, v[2:3], off
	s_waitcnt vmcnt(0)
	v_cvt_f64_f32_e32 v[4:5], v4
.LBB126_1515:
	s_mov_b64 s[0:1], 0
.LBB126_1516:
	s_andn2_b64 vcc, exec, s[0:1]
	s_cbranch_vccnz .LBB126_1518
; %bb.1517:
	global_load_ushort v4, v[2:3], off
	s_waitcnt vmcnt(0)
	v_cvt_f32_f16_e32 v4, v4
	v_cvt_f64_f32_e32 v[4:5], v4
.LBB126_1518:
	s_mov_b64 s[0:1], 0
.LBB126_1519:
	s_andn2_b64 vcc, exec, s[0:1]
	s_cbranch_vccnz .LBB126_1539
; %bb.1520:
	s_cmp_lt_i32 s28, 2
	s_cbranch_scc1 .LBB126_1524
; %bb.1521:
	s_cmp_lt_i32 s28, 3
	s_cbranch_scc1 .LBB126_1525
; %bb.1522:
	s_cmp_gt_i32 s28, 3
	s_cbranch_scc0 .LBB126_1526
; %bb.1523:
	global_load_dwordx2 v[4:5], v[2:3], off
	s_mov_b64 s[0:1], 0
	s_waitcnt vmcnt(0)
	v_cvt_f64_i32_e32 v[11:12], v5
	v_cvt_f64_u32_e32 v[4:5], v4
	v_ldexp_f64 v[11:12], v[11:12], 32
	v_add_f64 v[4:5], v[11:12], v[4:5]
	s_branch .LBB126_1527
.LBB126_1524:
	s_mov_b64 s[0:1], -1
                                        ; implicit-def: $vgpr4_vgpr5
	s_branch .LBB126_1533
.LBB126_1525:
	s_mov_b64 s[0:1], -1
                                        ; implicit-def: $vgpr4_vgpr5
	s_branch .LBB126_1530
.LBB126_1526:
	s_mov_b64 s[0:1], -1
                                        ; implicit-def: $vgpr4_vgpr5
.LBB126_1527:
	s_andn2_b64 vcc, exec, s[0:1]
	s_cbranch_vccnz .LBB126_1529
; %bb.1528:
	global_load_dword v4, v[2:3], off
	s_waitcnt vmcnt(0)
	v_cvt_f64_i32_e32 v[4:5], v4
.LBB126_1529:
	s_mov_b64 s[0:1], 0
.LBB126_1530:
	s_andn2_b64 vcc, exec, s[0:1]
	s_cbranch_vccnz .LBB126_1532
; %bb.1531:
	global_load_sshort v4, v[2:3], off
	s_waitcnt vmcnt(0)
	v_cvt_f64_i32_e32 v[4:5], v4
.LBB126_1532:
	s_mov_b64 s[0:1], 0
.LBB126_1533:
	s_andn2_b64 vcc, exec, s[0:1]
	s_cbranch_vccnz .LBB126_1539
; %bb.1534:
	s_cmp_gt_i32 s28, 0
	s_cbranch_scc0 .LBB126_1536
; %bb.1535:
	global_load_sbyte v4, v[2:3], off
	s_mov_b64 s[0:1], 0
	s_waitcnt vmcnt(0)
	v_cvt_f64_i32_e32 v[4:5], v4
	s_branch .LBB126_1537
.LBB126_1536:
	s_mov_b64 s[0:1], -1
                                        ; implicit-def: $vgpr4_vgpr5
.LBB126_1537:
	s_andn2_b64 vcc, exec, s[0:1]
	s_cbranch_vccnz .LBB126_1539
; %bb.1538:
	global_load_ubyte v2, v[2:3], off
	s_waitcnt vmcnt(0)
	v_cvt_f64_u32_e32 v[4:5], v2
.LBB126_1539:
	s_mov_b64 s[4:5], -1
.LBB126_1540:
	s_andn2_b64 vcc, exec, s[4:5]
	s_cbranch_vccnz .LBB126_1974
; %bb.1541:
	v_mov_b32_e32 v2, s12
	v_mov_b32_e32 v3, s13
	v_cmp_nle_f64_e64 s[0:1], s[18:19], v[2:3]
	v_mul_lo_u32 v12, s16, v10
	v_mov_b32_e32 v11, s15
	v_mov_b32_e32 v2, s14
	;; [unrolled: 1-line block ×3, first 2 shown]
	s_and_b32 s24, s33, 0xff
	v_add_co_u32_e32 v10, vcc, s8, v12
	s_waitcnt vmcnt(0)
	v_cndmask_b32_e64 v1, v11, v1, s[0:1]
	v_ashrrev_i32_e32 v11, 31, v12
	v_cndmask_b32_e64 v0, v2, v0, s[0:1]
	s_cmp_lt_i32 s24, 11
	v_addc_co_u32_e32 v11, vcc, v3, v11, vcc
	s_cbranch_scc1 .LBB126_1619
; %bb.1542:
	s_and_b32 s17, 0xffff, s24
	s_mov_b64 s[12:13], -1
	s_mov_b64 s[4:5], 0
	s_cmp_gt_i32 s17, 25
	s_mov_b64 s[10:11], 0
	s_mov_b64 s[2:3], 0
	s_cbranch_scc0 .LBB126_1575
; %bb.1543:
	s_cmp_gt_i32 s17, 28
	s_cbranch_scc0 .LBB126_1558
; %bb.1544:
	s_cmp_gt_i32 s17, 43
	;; [unrolled: 3-line block ×3, first 2 shown]
	s_cbranch_scc0 .LBB126_1548
; %bb.1546:
	s_mov_b64 s[2:3], -1
	s_mov_b64 s[12:13], 0
	s_cmp_eq_u32 s17, 46
	s_cbranch_scc0 .LBB126_1548
; %bb.1547:
	v_cvt_f32_f64_e32 v2, v[0:1]
	s_movk_i32 s2, 0x7fff
	v_mov_b32_e32 v3, 0x7fc0
	s_mov_b64 s[10:11], -1
	v_bfe_u32 v13, v2, 16, 1
	v_cmp_o_f32_e32 vcc, v2, v2
	v_add3_u32 v2, v2, v13, s2
	v_cndmask_b32_sdwa v2, v3, v2, vcc dst_sel:DWORD dst_unused:UNUSED_PAD src0_sel:DWORD src1_sel:WORD_1
	global_store_dword v[10:11], v2, off
	s_mov_b64 s[2:3], 0
.LBB126_1548:
	s_and_b64 vcc, exec, s[12:13]
	s_cbranch_vccz .LBB126_1553
; %bb.1549:
	s_cmp_eq_u32 s17, 44
	s_mov_b64 s[2:3], -1
	s_cbranch_scc0 .LBB126_1553
; %bb.1550:
	v_cvt_f32_f64_e32 v2, v[0:1]
	s_movk_i32 s2, 0xff
	v_mov_b32_e32 v13, 0xff
	v_bfe_u32 v3, v2, 23, 8
	v_cmp_ne_u32_e32 vcc, s2, v3
	s_and_saveexec_b64 s[10:11], vcc
; %bb.1551:
	s_mov_b32 s2, 0x3fffff
	v_lshrrev_b32_e32 v13, 23, v2
	v_and_b32_e32 v14, 0x400000, v2
	v_and_or_b32 v2, v2, s2, v3
	v_cmp_ne_u32_e32 vcc, 0, v14
	v_cmp_ne_u32_e64 s[2:3], 0, v2
	s_and_b64 s[2:3], vcc, s[2:3]
	v_cndmask_b32_e64 v2, 0, 1, s[2:3]
	v_add_u32_e32 v13, v13, v2
; %bb.1552:
	s_or_b64 exec, exec, s[10:11]
	s_mov_b64 s[2:3], 0
	s_mov_b64 s[10:11], -1
	global_store_byte v[10:11], v13, off
.LBB126_1553:
	s_mov_b64 s[12:13], 0
.LBB126_1554:
	s_and_b64 vcc, exec, s[12:13]
	s_cbranch_vccz .LBB126_1557
; %bb.1555:
	s_cmp_eq_u32 s17, 29
	s_mov_b64 s[2:3], -1
	s_cbranch_scc0 .LBB126_1557
; %bb.1556:
	v_trunc_f64_e32 v[2:3], v[0:1]
	s_movk_i32 s2, 0xffe0
	s_mov_b64 s[10:11], -1
	v_ldexp_f64 v[13:14], v[2:3], s2
	s_mov_b32 s2, 0
	s_mov_b32 s3, 0xc1f00000
	v_floor_f64_e32 v[13:14], v[13:14]
	v_fma_f64 v[2:3], v[13:14], s[2:3], v[2:3]
	v_cvt_u32_f64_e32 v14, v[13:14]
	s_mov_b64 s[2:3], 0
	v_cvt_u32_f64_e32 v13, v[2:3]
	global_store_dwordx2 v[10:11], v[13:14], off
.LBB126_1557:
	s_mov_b64 s[12:13], 0
.LBB126_1558:
	s_and_b64 vcc, exec, s[12:13]
	s_cbranch_vccz .LBB126_1574
; %bb.1559:
	s_cmp_lt_i32 s17, 27
	s_mov_b64 s[10:11], -1
	s_cbranch_scc1 .LBB126_1565
; %bb.1560:
	v_cvt_u32_f64_e32 v2, v[0:1]
	s_cmp_gt_i32 s17, 27
	s_cbranch_scc0 .LBB126_1562
; %bb.1561:
	s_mov_b64 s[10:11], 0
	global_store_dword v[10:11], v2, off
.LBB126_1562:
	s_andn2_b64 vcc, exec, s[10:11]
	s_cbranch_vccnz .LBB126_1564
; %bb.1563:
	global_store_short v[10:11], v2, off
.LBB126_1564:
	s_mov_b64 s[10:11], 0
.LBB126_1565:
	s_andn2_b64 vcc, exec, s[10:11]
	s_cbranch_vccnz .LBB126_1573
; %bb.1566:
	v_cvt_f32_f64_e32 v2, v[0:1]
	s_mov_b32 s10, 0x43800000
	v_mov_b32_e32 v13, 0x80
	v_and_b32_e32 v3, 0x7fffffff, v2
	v_cmp_gt_u32_e32 vcc, s10, v3
	s_and_saveexec_b64 s[10:11], vcc
	s_cbranch_execz .LBB126_1572
; %bb.1567:
	s_mov_b32 s12, 0x3bffffff
	v_cmp_lt_u32_e32 vcc, s12, v3
	s_mov_b64 s[12:13], 0
                                        ; implicit-def: $vgpr3
	s_and_saveexec_b64 s[18:19], vcc
	s_xor_b64 s[18:19], exec, s[18:19]
	s_cbranch_execz .LBB126_2021
; %bb.1568:
	v_bfe_u32 v3, v2, 20, 1
	s_mov_b32 s25, 0x487ffff
	v_add3_u32 v3, v2, v3, s25
	s_mov_b64 s[12:13], exec
	v_lshrrev_b32_e32 v3, 20, v3
	s_andn2_saveexec_b64 s[18:19], s[18:19]
	s_cbranch_execnz .LBB126_2022
.LBB126_1569:
	s_or_b64 exec, exec, s[18:19]
	v_mov_b32_e32 v13, 0
	s_and_saveexec_b64 s[18:19], s[12:13]
.LBB126_1570:
	v_lshrrev_b32_e32 v2, 24, v2
	s_movk_i32 s12, 0x80
	v_and_or_b32 v13, v2, s12, v3
.LBB126_1571:
	s_or_b64 exec, exec, s[18:19]
.LBB126_1572:
	s_or_b64 exec, exec, s[10:11]
	global_store_byte v[10:11], v13, off
.LBB126_1573:
	s_mov_b64 s[10:11], -1
.LBB126_1574:
	s_mov_b64 s[12:13], 0
.LBB126_1575:
	s_and_b64 vcc, exec, s[12:13]
	s_cbranch_vccz .LBB126_1615
; %bb.1576:
	s_cmp_gt_i32 s17, 22
	s_mov_b64 s[4:5], -1
	s_cbranch_scc0 .LBB126_1608
; %bb.1577:
	s_cmp_lt_i32 s17, 24
	s_cbranch_scc1 .LBB126_1597
; %bb.1578:
	s_cmp_gt_i32 s17, 24
	s_cbranch_scc0 .LBB126_1586
; %bb.1579:
	v_cvt_f32_f64_e32 v2, v[0:1]
	s_mov_b32 s4, 0x47800000
	v_mov_b32_e32 v13, 0x80
	v_and_b32_e32 v3, 0x7fffffff, v2
	v_cmp_gt_u32_e32 vcc, s4, v3
	s_and_saveexec_b64 s[4:5], vcc
	s_cbranch_execz .LBB126_1585
; %bb.1580:
	s_mov_b32 s10, 0x37ffffff
	v_cmp_lt_u32_e32 vcc, s10, v3
	s_mov_b64 s[10:11], 0
                                        ; implicit-def: $vgpr3
	s_and_saveexec_b64 s[12:13], vcc
	s_xor_b64 s[12:13], exec, s[12:13]
	s_cbranch_execz .LBB126_2024
; %bb.1581:
	v_bfe_u32 v3, v2, 21, 1
	s_mov_b32 s18, 0x88fffff
	v_add3_u32 v3, v2, v3, s18
	s_mov_b64 s[10:11], exec
	v_lshrrev_b32_e32 v3, 21, v3
	s_andn2_saveexec_b64 s[12:13], s[12:13]
	s_cbranch_execnz .LBB126_2025
.LBB126_1582:
	s_or_b64 exec, exec, s[12:13]
	v_mov_b32_e32 v13, 0
	s_and_saveexec_b64 s[12:13], s[10:11]
.LBB126_1583:
	v_lshrrev_b32_e32 v2, 24, v2
	s_movk_i32 s10, 0x80
	v_and_or_b32 v13, v2, s10, v3
.LBB126_1584:
	s_or_b64 exec, exec, s[12:13]
.LBB126_1585:
	s_or_b64 exec, exec, s[4:5]
	s_mov_b64 s[4:5], 0
	global_store_byte v[10:11], v13, off
.LBB126_1586:
	s_and_b64 vcc, exec, s[4:5]
	s_cbranch_vccz .LBB126_1596
; %bb.1587:
	v_cvt_f32_f64_e32 v2, v[0:1]
	s_mov_b32 s4, 0x43f00000
                                        ; implicit-def: $vgpr3
	v_and_b32_e32 v13, 0x7fffffff, v2
	v_cmp_gt_u32_e32 vcc, s4, v13
	s_and_saveexec_b64 s[4:5], vcc
	s_xor_b64 s[4:5], exec, s[4:5]
	s_cbranch_execz .LBB126_1593
; %bb.1588:
	s_mov_b32 s10, 0x3c7fffff
	v_cmp_lt_u32_e32 vcc, s10, v13
                                        ; implicit-def: $vgpr3
	s_and_saveexec_b64 s[10:11], vcc
	s_xor_b64 s[10:11], exec, s[10:11]
; %bb.1589:
	v_bfe_u32 v3, v2, 20, 1
	s_mov_b32 s12, 0x407ffff
	v_add3_u32 v3, v2, v3, s12
	v_lshrrev_b32_e32 v13, 20, v3
	v_and_b32_e32 v3, 0xff00000, v3
	s_mov_b32 s12, 0x7f00000
	v_mov_b32_e32 v14, 0x7e
	v_cmp_ne_u32_e32 vcc, s12, v3
	v_cndmask_b32_e32 v3, v14, v13, vcc
; %bb.1590:
	s_andn2_saveexec_b64 s[10:11], s[10:11]
; %bb.1591:
	s_mov_b32 s12, 0x46800000
	v_add_f32_e64 v3, |v2|, s12
; %bb.1592:
	s_or_b64 exec, exec, s[10:11]
                                        ; implicit-def: $vgpr13
.LBB126_1593:
	s_andn2_saveexec_b64 s[4:5], s[4:5]
; %bb.1594:
	s_mov_b32 s10, 0x7f800000
	v_mov_b32_e32 v3, 0x7e
	v_mov_b32_e32 v14, 0x7f
	v_cmp_lt_u32_e32 vcc, s10, v13
	v_cndmask_b32_e32 v3, v3, v14, vcc
; %bb.1595:
	s_or_b64 exec, exec, s[4:5]
	v_lshrrev_b32_e32 v2, 24, v2
	s_movk_i32 s4, 0x80
	v_and_or_b32 v2, v2, s4, v3
	global_store_byte v[10:11], v2, off
.LBB126_1596:
	s_mov_b64 s[4:5], 0
.LBB126_1597:
	s_andn2_b64 vcc, exec, s[4:5]
	s_cbranch_vccnz .LBB126_1607
; %bb.1598:
	v_cvt_f32_f64_e32 v2, v[0:1]
	s_mov_b32 s4, 0x47800000
                                        ; implicit-def: $vgpr3
	v_and_b32_e32 v13, 0x7fffffff, v2
	v_cmp_gt_u32_e32 vcc, s4, v13
	s_and_saveexec_b64 s[4:5], vcc
	s_xor_b64 s[4:5], exec, s[4:5]
	s_cbranch_execz .LBB126_1604
; %bb.1599:
	s_mov_b32 s10, 0x387fffff
	v_cmp_lt_u32_e32 vcc, s10, v13
                                        ; implicit-def: $vgpr3
	s_and_saveexec_b64 s[10:11], vcc
	s_xor_b64 s[10:11], exec, s[10:11]
; %bb.1600:
	v_bfe_u32 v3, v2, 21, 1
	s_mov_b32 s12, 0x80fffff
	v_add3_u32 v3, v2, v3, s12
	v_lshrrev_b32_e32 v3, 21, v3
; %bb.1601:
	s_andn2_saveexec_b64 s[10:11], s[10:11]
; %bb.1602:
	s_mov_b32 s12, 0x43000000
	v_add_f32_e64 v3, |v2|, s12
; %bb.1603:
	s_or_b64 exec, exec, s[10:11]
                                        ; implicit-def: $vgpr13
.LBB126_1604:
	s_andn2_saveexec_b64 s[4:5], s[4:5]
; %bb.1605:
	s_mov_b32 s10, 0x7f800000
	v_mov_b32_e32 v3, 0x7c
	v_mov_b32_e32 v14, 0x7f
	v_cmp_lt_u32_e32 vcc, s10, v13
	v_cndmask_b32_e32 v3, v3, v14, vcc
; %bb.1606:
	s_or_b64 exec, exec, s[4:5]
	v_lshrrev_b32_e32 v2, 24, v2
	s_movk_i32 s4, 0x80
	v_and_or_b32 v2, v2, s4, v3
	global_store_byte v[10:11], v2, off
.LBB126_1607:
	s_mov_b64 s[4:5], 0
	s_mov_b64 s[10:11], -1
.LBB126_1608:
	s_andn2_b64 vcc, exec, s[4:5]
	s_mov_b64 s[4:5], 0
	s_cbranch_vccnz .LBB126_1615
; %bb.1609:
	s_cmp_gt_i32 s17, 14
	s_mov_b64 s[12:13], -1
	s_cbranch_scc0 .LBB126_1613
; %bb.1610:
	s_cmp_eq_u32 s17, 15
	s_mov_b64 s[2:3], -1
	s_cbranch_scc0 .LBB126_1612
; %bb.1611:
	v_cvt_f32_f64_e32 v2, v[0:1]
	s_movk_i32 s2, 0x7fff
	v_mov_b32_e32 v3, 0x7fc0
	s_mov_b64 s[10:11], -1
	v_bfe_u32 v13, v2, 16, 1
	v_cmp_o_f32_e32 vcc, v2, v2
	v_add3_u32 v2, v2, v13, s2
	v_cndmask_b32_sdwa v2, v3, v2, vcc dst_sel:DWORD dst_unused:UNUSED_PAD src0_sel:DWORD src1_sel:WORD_1
	global_store_short v[10:11], v2, off
	s_mov_b64 s[2:3], 0
.LBB126_1612:
	s_mov_b64 s[12:13], 0
.LBB126_1613:
	s_and_b64 vcc, exec, s[12:13]
	s_cbranch_vccz .LBB126_1615
; %bb.1614:
	s_cmp_lg_u32 s17, 11
	s_mov_b64 s[4:5], -1
	s_cselect_b64 s[2:3], -1, 0
.LBB126_1615:
	s_and_b64 vcc, exec, s[2:3]
	s_cbranch_vccnz .LBB126_2023
; %bb.1616:
	s_andn2_b64 vcc, exec, s[4:5]
	s_cbranch_vccnz .LBB126_1618
.LBB126_1617:
	v_cmp_neq_f64_e32 vcc, 0, v[0:1]
	s_mov_b64 s[10:11], -1
	v_cndmask_b32_e64 v2, 0, 1, vcc
	global_store_byte v[10:11], v2, off
.LBB126_1618:
	s_mov_b64 s[2:3], 0
	s_branch .LBB126_1620
.LBB126_1619:
	s_mov_b64 s[2:3], -1
	s_mov_b64 s[10:11], 0
.LBB126_1620:
	s_and_b64 vcc, exec, s[2:3]
	s_cbranch_vccz .LBB126_1659
; %bb.1621:
	s_and_b32 s4, 0xffff, s24
	s_cmp_lt_i32 s4, 5
	s_mov_b64 s[2:3], -1
	s_cbranch_scc1 .LBB126_1642
; %bb.1622:
	s_cmp_lt_i32 s4, 8
	s_cbranch_scc1 .LBB126_1632
; %bb.1623:
	s_cmp_lt_i32 s4, 9
	s_cbranch_scc1 .LBB126_1629
; %bb.1624:
	s_cmp_gt_i32 s4, 9
	s_cbranch_scc0 .LBB126_1626
; %bb.1625:
	v_mov_b32_e32 v2, 0
	v_mov_b32_e32 v3, v2
	global_store_dwordx4 v[10:11], v[0:3], off
	s_mov_b64 s[2:3], 0
.LBB126_1626:
	s_andn2_b64 vcc, exec, s[2:3]
	s_cbranch_vccnz .LBB126_1628
; %bb.1627:
	v_cvt_f32_f64_e32 v2, v[0:1]
	v_mov_b32_e32 v3, 0
	global_store_dwordx2 v[10:11], v[2:3], off
.LBB126_1628:
	s_mov_b64 s[2:3], 0
.LBB126_1629:
	s_andn2_b64 vcc, exec, s[2:3]
	s_cbranch_vccnz .LBB126_1631
; %bb.1630:
	s_movk_i32 s2, 0x1ff
	v_and_or_b32 v2, v1, s2, v0
	v_cmp_ne_u32_e32 vcc, 0, v2
	v_cndmask_b32_e64 v2, 0, 1, vcc
	v_lshrrev_b32_e32 v3, 8, v1
	s_movk_i32 s2, 0xffe
	v_bfe_u32 v13, v1, 20, 11
	v_and_or_b32 v2, v3, s2, v2
	v_sub_u32_e32 v14, 0x3f1, v13
	v_or_b32_e32 v3, 0x1000, v2
	v_med3_i32 v14, v14, 0, 13
	v_lshrrev_b32_e32 v15, v14, v3
	v_lshlrev_b32_e32 v14, v14, v15
	v_cmp_ne_u32_e32 vcc, v14, v3
	v_cndmask_b32_e64 v3, 0, 1, vcc
	v_add_u32_e32 v13, 0xfffffc10, v13
	v_or_b32_e32 v3, v15, v3
	v_lshl_or_b32 v14, v13, 12, v2
	v_cmp_gt_i32_e32 vcc, 1, v13
	v_cndmask_b32_e32 v3, v14, v3, vcc
	v_and_b32_e32 v14, 7, v3
	v_cmp_lt_i32_e32 vcc, 5, v14
	v_cndmask_b32_e64 v15, 0, 1, vcc
	v_cmp_eq_u32_e32 vcc, 3, v14
	v_cndmask_b32_e64 v14, 0, 1, vcc
	v_or_b32_e32 v14, v14, v15
	v_lshrrev_b32_e32 v3, 2, v3
	v_add_u32_e32 v3, v3, v14
	v_mov_b32_e32 v14, 0x7c00
	v_cmp_gt_i32_e32 vcc, 31, v13
	v_cndmask_b32_e32 v3, v14, v3, vcc
	v_mov_b32_e32 v15, 0x7e00
	v_cmp_ne_u32_e32 vcc, 0, v2
	s_movk_i32 s2, 0x40f
	v_cndmask_b32_e32 v2, v14, v15, vcc
	v_cmp_eq_u32_e32 vcc, s2, v13
	v_cndmask_b32_e32 v2, v3, v2, vcc
	v_lshrrev_b32_e32 v3, 16, v1
	s_mov_b32 s2, 0x8000
	v_and_or_b32 v2, v3, s2, v2
	v_and_b32_e32 v2, 0xffff, v2
	global_store_dword v[10:11], v2, off
.LBB126_1631:
	s_mov_b64 s[2:3], 0
.LBB126_1632:
	s_andn2_b64 vcc, exec, s[2:3]
	s_cbranch_vccnz .LBB126_1641
; %bb.1633:
	s_cmp_lt_i32 s4, 6
	s_mov_b64 s[2:3], -1
	s_cbranch_scc1 .LBB126_1639
; %bb.1634:
	s_cmp_gt_i32 s4, 6
	s_cbranch_scc0 .LBB126_1636
; %bb.1635:
	global_store_dwordx2 v[10:11], v[0:1], off
	s_mov_b64 s[2:3], 0
.LBB126_1636:
	s_andn2_b64 vcc, exec, s[2:3]
	s_cbranch_vccnz .LBB126_1638
; %bb.1637:
	v_cvt_f32_f64_e32 v2, v[0:1]
	global_store_dword v[10:11], v2, off
.LBB126_1638:
	s_mov_b64 s[2:3], 0
.LBB126_1639:
	s_andn2_b64 vcc, exec, s[2:3]
	s_cbranch_vccnz .LBB126_1641
; %bb.1640:
	s_movk_i32 s2, 0x1ff
	v_and_or_b32 v2, v1, s2, v0
	v_cmp_ne_u32_e32 vcc, 0, v2
	v_cndmask_b32_e64 v2, 0, 1, vcc
	v_lshrrev_b32_e32 v3, 8, v1
	s_movk_i32 s2, 0xffe
	v_bfe_u32 v13, v1, 20, 11
	v_and_or_b32 v2, v3, s2, v2
	v_sub_u32_e32 v14, 0x3f1, v13
	v_or_b32_e32 v3, 0x1000, v2
	v_med3_i32 v14, v14, 0, 13
	v_lshrrev_b32_e32 v15, v14, v3
	v_lshlrev_b32_e32 v14, v14, v15
	v_cmp_ne_u32_e32 vcc, v14, v3
	v_cndmask_b32_e64 v3, 0, 1, vcc
	v_add_u32_e32 v13, 0xfffffc10, v13
	v_or_b32_e32 v3, v15, v3
	v_lshl_or_b32 v14, v13, 12, v2
	v_cmp_gt_i32_e32 vcc, 1, v13
	v_cndmask_b32_e32 v3, v14, v3, vcc
	v_and_b32_e32 v14, 7, v3
	v_cmp_lt_i32_e32 vcc, 5, v14
	v_cndmask_b32_e64 v15, 0, 1, vcc
	v_cmp_eq_u32_e32 vcc, 3, v14
	v_cndmask_b32_e64 v14, 0, 1, vcc
	v_or_b32_e32 v14, v14, v15
	v_lshrrev_b32_e32 v3, 2, v3
	v_add_u32_e32 v3, v3, v14
	v_mov_b32_e32 v14, 0x7c00
	v_cmp_gt_i32_e32 vcc, 31, v13
	v_cndmask_b32_e32 v3, v14, v3, vcc
	v_mov_b32_e32 v15, 0x7e00
	v_cmp_ne_u32_e32 vcc, 0, v2
	s_movk_i32 s2, 0x40f
	v_cndmask_b32_e32 v2, v14, v15, vcc
	v_cmp_eq_u32_e32 vcc, s2, v13
	v_cndmask_b32_e32 v2, v3, v2, vcc
	v_lshrrev_b32_e32 v3, 16, v1
	s_mov_b32 s2, 0x8000
	v_and_or_b32 v2, v3, s2, v2
	global_store_short v[10:11], v2, off
.LBB126_1641:
	s_mov_b64 s[2:3], 0
.LBB126_1642:
	s_andn2_b64 vcc, exec, s[2:3]
	s_cbranch_vccnz .LBB126_1658
; %bb.1643:
	s_cmp_lt_i32 s4, 2
	s_mov_b64 s[2:3], -1
	s_cbranch_scc1 .LBB126_1653
; %bb.1644:
	s_cmp_lt_i32 s4, 3
	s_cbranch_scc1 .LBB126_1650
; %bb.1645:
	s_cmp_gt_i32 s4, 3
	s_cbranch_scc0 .LBB126_1647
; %bb.1646:
	v_trunc_f64_e32 v[2:3], v[0:1]
	s_movk_i32 s2, 0xffe0
	v_ldexp_f64 v[13:14], v[2:3], s2
	s_mov_b32 s2, 0
	s_mov_b32 s3, 0xc1f00000
	v_floor_f64_e32 v[13:14], v[13:14]
	v_fma_f64 v[2:3], v[13:14], s[2:3], v[2:3]
	v_cvt_i32_f64_e32 v14, v[13:14]
	s_mov_b64 s[2:3], 0
	v_cvt_u32_f64_e32 v13, v[2:3]
	global_store_dwordx2 v[10:11], v[13:14], off
.LBB126_1647:
	s_andn2_b64 vcc, exec, s[2:3]
	s_cbranch_vccnz .LBB126_1649
; %bb.1648:
	v_cvt_i32_f64_e32 v2, v[0:1]
	global_store_dword v[10:11], v2, off
.LBB126_1649:
	s_mov_b64 s[2:3], 0
.LBB126_1650:
	s_andn2_b64 vcc, exec, s[2:3]
	s_cbranch_vccnz .LBB126_1652
; %bb.1651:
	v_cvt_i32_f64_e32 v2, v[0:1]
	global_store_short v[10:11], v2, off
.LBB126_1652:
	s_mov_b64 s[2:3], 0
.LBB126_1653:
	s_andn2_b64 vcc, exec, s[2:3]
	s_cbranch_vccnz .LBB126_1658
; %bb.1654:
	s_cmp_gt_i32 s4, 0
	s_mov_b64 s[2:3], -1
	s_cbranch_scc0 .LBB126_1656
; %bb.1655:
	v_cvt_i32_f64_e32 v2, v[0:1]
	s_mov_b64 s[2:3], 0
	global_store_byte v[10:11], v2, off
.LBB126_1656:
	s_andn2_b64 vcc, exec, s[2:3]
	s_cbranch_vccnz .LBB126_1658
; %bb.1657:
	v_trunc_f64_e32 v[0:1], v[0:1]
	s_movk_i32 s2, 0xffe0
	v_ldexp_f64 v[2:3], v[0:1], s2
	s_mov_b32 s2, 0
	s_mov_b32 s3, 0xc1f00000
	v_floor_f64_e32 v[2:3], v[2:3]
	v_fma_f64 v[0:1], v[2:3], s[2:3], v[0:1]
	v_cvt_u32_f64_e32 v0, v[0:1]
	global_store_byte v[10:11], v0, off
.LBB126_1658:
	s_mov_b64 s[10:11], -1
.LBB126_1659:
	s_andn2_b64 vcc, exec, s[10:11]
	s_cbranch_vccnz .LBB126_1974
; %bb.1660:
	v_mov_b32_e32 v0, s15
	s_lshl_b32 s18, s16, 7
	v_cndmask_b32_e64 v1, v0, v9, s[0:1]
	v_mov_b32_e32 v0, s14
	v_add_u32_e32 v10, s18, v12
	v_cndmask_b32_e64 v0, v0, v8, s[0:1]
	v_ashrrev_i32_e32 v2, 31, v10
	v_mov_b32_e32 v3, s9
	v_add_co_u32_e32 v8, vcc, s8, v10
	s_cmp_lt_i32 s24, 11
	v_addc_co_u32_e32 v9, vcc, v3, v2, vcc
	s_cbranch_scc1 .LBB126_1738
; %bb.1661:
	s_and_b32 s19, 0xffff, s24
	s_mov_b64 s[12:13], -1
	s_mov_b64 s[4:5], 0
	s_cmp_gt_i32 s19, 25
	s_mov_b64 s[10:11], 0
	s_mov_b64 s[2:3], 0
	s_cbranch_scc0 .LBB126_1694
; %bb.1662:
	s_cmp_gt_i32 s19, 28
	s_cbranch_scc0 .LBB126_1677
; %bb.1663:
	s_cmp_gt_i32 s19, 43
	;; [unrolled: 3-line block ×3, first 2 shown]
	s_cbranch_scc0 .LBB126_1667
; %bb.1665:
	s_mov_b64 s[2:3], -1
	s_mov_b64 s[12:13], 0
	s_cmp_eq_u32 s19, 46
	s_cbranch_scc0 .LBB126_1667
; %bb.1666:
	v_cvt_f32_f64_e32 v2, v[0:1]
	s_movk_i32 s2, 0x7fff
	v_mov_b32_e32 v3, 0x7fc0
	s_mov_b64 s[10:11], -1
	v_bfe_u32 v11, v2, 16, 1
	v_cmp_o_f32_e32 vcc, v2, v2
	v_add3_u32 v2, v2, v11, s2
	v_cndmask_b32_sdwa v2, v3, v2, vcc dst_sel:DWORD dst_unused:UNUSED_PAD src0_sel:DWORD src1_sel:WORD_1
	global_store_dword v[8:9], v2, off
	s_mov_b64 s[2:3], 0
.LBB126_1667:
	s_and_b64 vcc, exec, s[12:13]
	s_cbranch_vccz .LBB126_1672
; %bb.1668:
	s_cmp_eq_u32 s19, 44
	s_mov_b64 s[2:3], -1
	s_cbranch_scc0 .LBB126_1672
; %bb.1669:
	v_cvt_f32_f64_e32 v2, v[0:1]
	s_movk_i32 s2, 0xff
	v_mov_b32_e32 v11, 0xff
	v_bfe_u32 v3, v2, 23, 8
	v_cmp_ne_u32_e32 vcc, s2, v3
	s_and_saveexec_b64 s[10:11], vcc
; %bb.1670:
	s_mov_b32 s2, 0x3fffff
	v_lshrrev_b32_e32 v11, 23, v2
	v_and_b32_e32 v12, 0x400000, v2
	v_and_or_b32 v2, v2, s2, v3
	v_cmp_ne_u32_e32 vcc, 0, v12
	v_cmp_ne_u32_e64 s[2:3], 0, v2
	s_and_b64 s[2:3], vcc, s[2:3]
	v_cndmask_b32_e64 v2, 0, 1, s[2:3]
	v_add_u32_e32 v11, v11, v2
; %bb.1671:
	s_or_b64 exec, exec, s[10:11]
	s_mov_b64 s[2:3], 0
	s_mov_b64 s[10:11], -1
	global_store_byte v[8:9], v11, off
.LBB126_1672:
	s_mov_b64 s[12:13], 0
.LBB126_1673:
	s_and_b64 vcc, exec, s[12:13]
	s_cbranch_vccz .LBB126_1676
; %bb.1674:
	s_cmp_eq_u32 s19, 29
	s_mov_b64 s[2:3], -1
	s_cbranch_scc0 .LBB126_1676
; %bb.1675:
	v_trunc_f64_e32 v[2:3], v[0:1]
	s_movk_i32 s2, 0xffe0
	s_mov_b64 s[10:11], -1
	v_ldexp_f64 v[11:12], v[2:3], s2
	s_mov_b32 s2, 0
	s_mov_b32 s3, 0xc1f00000
	v_floor_f64_e32 v[11:12], v[11:12]
	v_fma_f64 v[2:3], v[11:12], s[2:3], v[2:3]
	v_cvt_u32_f64_e32 v12, v[11:12]
	s_mov_b64 s[2:3], 0
	v_cvt_u32_f64_e32 v11, v[2:3]
	global_store_dwordx2 v[8:9], v[11:12], off
.LBB126_1676:
	s_mov_b64 s[12:13], 0
.LBB126_1677:
	s_and_b64 vcc, exec, s[12:13]
	s_cbranch_vccz .LBB126_1693
; %bb.1678:
	s_cmp_lt_i32 s19, 27
	s_mov_b64 s[10:11], -1
	s_cbranch_scc1 .LBB126_1684
; %bb.1679:
	v_cvt_u32_f64_e32 v2, v[0:1]
	s_cmp_gt_i32 s19, 27
	s_cbranch_scc0 .LBB126_1681
; %bb.1680:
	s_mov_b64 s[10:11], 0
	global_store_dword v[8:9], v2, off
.LBB126_1681:
	s_andn2_b64 vcc, exec, s[10:11]
	s_cbranch_vccnz .LBB126_1683
; %bb.1682:
	global_store_short v[8:9], v2, off
.LBB126_1683:
	s_mov_b64 s[10:11], 0
.LBB126_1684:
	s_andn2_b64 vcc, exec, s[10:11]
	s_cbranch_vccnz .LBB126_1692
; %bb.1685:
	v_cvt_f32_f64_e32 v2, v[0:1]
	s_mov_b32 s10, 0x43800000
	v_mov_b32_e32 v11, 0x80
	v_and_b32_e32 v3, 0x7fffffff, v2
	v_cmp_gt_u32_e32 vcc, s10, v3
	s_and_saveexec_b64 s[10:11], vcc
	s_cbranch_execz .LBB126_1691
; %bb.1686:
	s_mov_b32 s12, 0x3bffffff
	v_cmp_lt_u32_e32 vcc, s12, v3
	s_mov_b64 s[12:13], 0
                                        ; implicit-def: $vgpr3
	s_and_saveexec_b64 s[16:17], vcc
	s_xor_b64 s[16:17], exec, s[16:17]
	s_cbranch_execz .LBB126_2026
; %bb.1687:
	v_bfe_u32 v3, v2, 20, 1
	s_mov_b32 s25, 0x487ffff
	v_add3_u32 v3, v2, v3, s25
	s_mov_b64 s[12:13], exec
	v_lshrrev_b32_e32 v3, 20, v3
	s_andn2_saveexec_b64 s[16:17], s[16:17]
	s_cbranch_execnz .LBB126_2027
.LBB126_1688:
	s_or_b64 exec, exec, s[16:17]
	v_mov_b32_e32 v11, 0
	s_and_saveexec_b64 s[16:17], s[12:13]
.LBB126_1689:
	v_lshrrev_b32_e32 v2, 24, v2
	s_movk_i32 s12, 0x80
	v_and_or_b32 v11, v2, s12, v3
.LBB126_1690:
	s_or_b64 exec, exec, s[16:17]
.LBB126_1691:
	s_or_b64 exec, exec, s[10:11]
	global_store_byte v[8:9], v11, off
.LBB126_1692:
	s_mov_b64 s[10:11], -1
.LBB126_1693:
	s_mov_b64 s[12:13], 0
.LBB126_1694:
	s_and_b64 vcc, exec, s[12:13]
	s_cbranch_vccz .LBB126_1734
; %bb.1695:
	s_cmp_gt_i32 s19, 22
	s_mov_b64 s[4:5], -1
	s_cbranch_scc0 .LBB126_1727
; %bb.1696:
	s_cmp_lt_i32 s19, 24
	s_cbranch_scc1 .LBB126_1716
; %bb.1697:
	s_cmp_gt_i32 s19, 24
	s_cbranch_scc0 .LBB126_1705
; %bb.1698:
	v_cvt_f32_f64_e32 v2, v[0:1]
	s_mov_b32 s4, 0x47800000
	v_mov_b32_e32 v11, 0x80
	v_and_b32_e32 v3, 0x7fffffff, v2
	v_cmp_gt_u32_e32 vcc, s4, v3
	s_and_saveexec_b64 s[4:5], vcc
	s_cbranch_execz .LBB126_1704
; %bb.1699:
	s_mov_b32 s10, 0x37ffffff
	v_cmp_lt_u32_e32 vcc, s10, v3
	s_mov_b64 s[10:11], 0
                                        ; implicit-def: $vgpr3
	s_and_saveexec_b64 s[12:13], vcc
	s_xor_b64 s[12:13], exec, s[12:13]
	s_cbranch_execz .LBB126_2029
; %bb.1700:
	v_bfe_u32 v3, v2, 21, 1
	s_mov_b32 s16, 0x88fffff
	v_add3_u32 v3, v2, v3, s16
	s_mov_b64 s[10:11], exec
	v_lshrrev_b32_e32 v3, 21, v3
	s_andn2_saveexec_b64 s[12:13], s[12:13]
	s_cbranch_execnz .LBB126_2030
.LBB126_1701:
	s_or_b64 exec, exec, s[12:13]
	v_mov_b32_e32 v11, 0
	s_and_saveexec_b64 s[12:13], s[10:11]
.LBB126_1702:
	v_lshrrev_b32_e32 v2, 24, v2
	s_movk_i32 s10, 0x80
	v_and_or_b32 v11, v2, s10, v3
.LBB126_1703:
	s_or_b64 exec, exec, s[12:13]
.LBB126_1704:
	s_or_b64 exec, exec, s[4:5]
	s_mov_b64 s[4:5], 0
	global_store_byte v[8:9], v11, off
.LBB126_1705:
	s_and_b64 vcc, exec, s[4:5]
	s_cbranch_vccz .LBB126_1715
; %bb.1706:
	v_cvt_f32_f64_e32 v2, v[0:1]
	s_mov_b32 s4, 0x43f00000
                                        ; implicit-def: $vgpr3
	v_and_b32_e32 v11, 0x7fffffff, v2
	v_cmp_gt_u32_e32 vcc, s4, v11
	s_and_saveexec_b64 s[4:5], vcc
	s_xor_b64 s[4:5], exec, s[4:5]
	s_cbranch_execz .LBB126_1712
; %bb.1707:
	s_mov_b32 s10, 0x3c7fffff
	v_cmp_lt_u32_e32 vcc, s10, v11
                                        ; implicit-def: $vgpr3
	s_and_saveexec_b64 s[10:11], vcc
	s_xor_b64 s[10:11], exec, s[10:11]
; %bb.1708:
	v_bfe_u32 v3, v2, 20, 1
	s_mov_b32 s12, 0x407ffff
	v_add3_u32 v3, v2, v3, s12
	v_lshrrev_b32_e32 v11, 20, v3
	v_and_b32_e32 v3, 0xff00000, v3
	s_mov_b32 s12, 0x7f00000
	v_mov_b32_e32 v12, 0x7e
	v_cmp_ne_u32_e32 vcc, s12, v3
	v_cndmask_b32_e32 v3, v12, v11, vcc
; %bb.1709:
	s_andn2_saveexec_b64 s[10:11], s[10:11]
; %bb.1710:
	s_mov_b32 s12, 0x46800000
	v_add_f32_e64 v3, |v2|, s12
; %bb.1711:
	s_or_b64 exec, exec, s[10:11]
                                        ; implicit-def: $vgpr11
.LBB126_1712:
	s_andn2_saveexec_b64 s[4:5], s[4:5]
; %bb.1713:
	s_mov_b32 s10, 0x7f800000
	v_mov_b32_e32 v3, 0x7e
	v_mov_b32_e32 v12, 0x7f
	v_cmp_lt_u32_e32 vcc, s10, v11
	v_cndmask_b32_e32 v3, v3, v12, vcc
; %bb.1714:
	s_or_b64 exec, exec, s[4:5]
	v_lshrrev_b32_e32 v2, 24, v2
	s_movk_i32 s4, 0x80
	v_and_or_b32 v2, v2, s4, v3
	global_store_byte v[8:9], v2, off
.LBB126_1715:
	s_mov_b64 s[4:5], 0
.LBB126_1716:
	s_andn2_b64 vcc, exec, s[4:5]
	s_cbranch_vccnz .LBB126_1726
; %bb.1717:
	v_cvt_f32_f64_e32 v2, v[0:1]
	s_mov_b32 s4, 0x47800000
                                        ; implicit-def: $vgpr3
	v_and_b32_e32 v11, 0x7fffffff, v2
	v_cmp_gt_u32_e32 vcc, s4, v11
	s_and_saveexec_b64 s[4:5], vcc
	s_xor_b64 s[4:5], exec, s[4:5]
	s_cbranch_execz .LBB126_1723
; %bb.1718:
	s_mov_b32 s10, 0x387fffff
	v_cmp_lt_u32_e32 vcc, s10, v11
                                        ; implicit-def: $vgpr3
	s_and_saveexec_b64 s[10:11], vcc
	s_xor_b64 s[10:11], exec, s[10:11]
; %bb.1719:
	v_bfe_u32 v3, v2, 21, 1
	s_mov_b32 s12, 0x80fffff
	v_add3_u32 v3, v2, v3, s12
	v_lshrrev_b32_e32 v3, 21, v3
; %bb.1720:
	s_andn2_saveexec_b64 s[10:11], s[10:11]
; %bb.1721:
	s_mov_b32 s12, 0x43000000
	v_add_f32_e64 v3, |v2|, s12
; %bb.1722:
	s_or_b64 exec, exec, s[10:11]
                                        ; implicit-def: $vgpr11
.LBB126_1723:
	s_andn2_saveexec_b64 s[4:5], s[4:5]
; %bb.1724:
	s_mov_b32 s10, 0x7f800000
	v_mov_b32_e32 v3, 0x7c
	v_mov_b32_e32 v12, 0x7f
	v_cmp_lt_u32_e32 vcc, s10, v11
	v_cndmask_b32_e32 v3, v3, v12, vcc
; %bb.1725:
	s_or_b64 exec, exec, s[4:5]
	v_lshrrev_b32_e32 v2, 24, v2
	s_movk_i32 s4, 0x80
	v_and_or_b32 v2, v2, s4, v3
	global_store_byte v[8:9], v2, off
.LBB126_1726:
	s_mov_b64 s[4:5], 0
	s_mov_b64 s[10:11], -1
.LBB126_1727:
	s_andn2_b64 vcc, exec, s[4:5]
	s_mov_b64 s[4:5], 0
	s_cbranch_vccnz .LBB126_1734
; %bb.1728:
	s_cmp_gt_i32 s19, 14
	s_mov_b64 s[12:13], -1
	s_cbranch_scc0 .LBB126_1732
; %bb.1729:
	s_cmp_eq_u32 s19, 15
	s_mov_b64 s[2:3], -1
	s_cbranch_scc0 .LBB126_1731
; %bb.1730:
	v_cvt_f32_f64_e32 v2, v[0:1]
	s_movk_i32 s2, 0x7fff
	v_mov_b32_e32 v3, 0x7fc0
	s_mov_b64 s[10:11], -1
	v_bfe_u32 v11, v2, 16, 1
	v_cmp_o_f32_e32 vcc, v2, v2
	v_add3_u32 v2, v2, v11, s2
	v_cndmask_b32_sdwa v2, v3, v2, vcc dst_sel:DWORD dst_unused:UNUSED_PAD src0_sel:DWORD src1_sel:WORD_1
	global_store_short v[8:9], v2, off
	s_mov_b64 s[2:3], 0
.LBB126_1731:
	s_mov_b64 s[12:13], 0
.LBB126_1732:
	s_and_b64 vcc, exec, s[12:13]
	s_cbranch_vccz .LBB126_1734
; %bb.1733:
	s_cmp_lg_u32 s19, 11
	s_mov_b64 s[4:5], -1
	s_cselect_b64 s[2:3], -1, 0
.LBB126_1734:
	s_and_b64 vcc, exec, s[2:3]
	s_cbranch_vccnz .LBB126_2028
; %bb.1735:
	s_andn2_b64 vcc, exec, s[4:5]
	s_cbranch_vccnz .LBB126_1737
.LBB126_1736:
	v_cmp_neq_f64_e32 vcc, 0, v[0:1]
	s_mov_b64 s[10:11], -1
	v_cndmask_b32_e64 v2, 0, 1, vcc
	global_store_byte v[8:9], v2, off
.LBB126_1737:
	s_mov_b64 s[2:3], 0
	s_branch .LBB126_1739
.LBB126_1738:
	s_mov_b64 s[2:3], -1
	s_mov_b64 s[10:11], 0
.LBB126_1739:
	s_and_b64 vcc, exec, s[2:3]
	s_cbranch_vccz .LBB126_1778
; %bb.1740:
	s_and_b32 s4, 0xffff, s24
	s_cmp_lt_i32 s4, 5
	s_mov_b64 s[2:3], -1
	s_cbranch_scc1 .LBB126_1761
; %bb.1741:
	s_cmp_lt_i32 s4, 8
	s_cbranch_scc1 .LBB126_1751
; %bb.1742:
	s_cmp_lt_i32 s4, 9
	s_cbranch_scc1 .LBB126_1748
; %bb.1743:
	s_cmp_gt_i32 s4, 9
	s_cbranch_scc0 .LBB126_1745
; %bb.1744:
	v_mov_b32_e32 v2, 0
	v_mov_b32_e32 v3, v2
	global_store_dwordx4 v[8:9], v[0:3], off
	s_mov_b64 s[2:3], 0
.LBB126_1745:
	s_andn2_b64 vcc, exec, s[2:3]
	s_cbranch_vccnz .LBB126_1747
; %bb.1746:
	v_cvt_f32_f64_e32 v2, v[0:1]
	v_mov_b32_e32 v3, 0
	global_store_dwordx2 v[8:9], v[2:3], off
.LBB126_1747:
	s_mov_b64 s[2:3], 0
.LBB126_1748:
	s_andn2_b64 vcc, exec, s[2:3]
	s_cbranch_vccnz .LBB126_1750
; %bb.1749:
	s_movk_i32 s2, 0x1ff
	v_and_or_b32 v2, v1, s2, v0
	v_cmp_ne_u32_e32 vcc, 0, v2
	v_cndmask_b32_e64 v2, 0, 1, vcc
	v_lshrrev_b32_e32 v3, 8, v1
	s_movk_i32 s2, 0xffe
	v_bfe_u32 v11, v1, 20, 11
	v_and_or_b32 v2, v3, s2, v2
	v_sub_u32_e32 v12, 0x3f1, v11
	v_or_b32_e32 v3, 0x1000, v2
	v_med3_i32 v12, v12, 0, 13
	v_lshrrev_b32_e32 v13, v12, v3
	v_lshlrev_b32_e32 v12, v12, v13
	v_cmp_ne_u32_e32 vcc, v12, v3
	v_cndmask_b32_e64 v3, 0, 1, vcc
	v_add_u32_e32 v11, 0xfffffc10, v11
	v_or_b32_e32 v3, v13, v3
	v_lshl_or_b32 v12, v11, 12, v2
	v_cmp_gt_i32_e32 vcc, 1, v11
	v_cndmask_b32_e32 v3, v12, v3, vcc
	v_and_b32_e32 v12, 7, v3
	v_cmp_lt_i32_e32 vcc, 5, v12
	v_cndmask_b32_e64 v13, 0, 1, vcc
	v_cmp_eq_u32_e32 vcc, 3, v12
	v_cndmask_b32_e64 v12, 0, 1, vcc
	v_or_b32_e32 v12, v12, v13
	v_lshrrev_b32_e32 v3, 2, v3
	v_add_u32_e32 v3, v3, v12
	v_mov_b32_e32 v12, 0x7c00
	v_cmp_gt_i32_e32 vcc, 31, v11
	v_cndmask_b32_e32 v3, v12, v3, vcc
	v_mov_b32_e32 v13, 0x7e00
	v_cmp_ne_u32_e32 vcc, 0, v2
	s_movk_i32 s2, 0x40f
	v_cndmask_b32_e32 v2, v12, v13, vcc
	v_cmp_eq_u32_e32 vcc, s2, v11
	v_cndmask_b32_e32 v2, v3, v2, vcc
	v_lshrrev_b32_e32 v3, 16, v1
	s_mov_b32 s2, 0x8000
	v_and_or_b32 v2, v3, s2, v2
	v_and_b32_e32 v2, 0xffff, v2
	global_store_dword v[8:9], v2, off
.LBB126_1750:
	s_mov_b64 s[2:3], 0
.LBB126_1751:
	s_andn2_b64 vcc, exec, s[2:3]
	s_cbranch_vccnz .LBB126_1760
; %bb.1752:
	s_cmp_lt_i32 s4, 6
	s_mov_b64 s[2:3], -1
	s_cbranch_scc1 .LBB126_1758
; %bb.1753:
	s_cmp_gt_i32 s4, 6
	s_cbranch_scc0 .LBB126_1755
; %bb.1754:
	global_store_dwordx2 v[8:9], v[0:1], off
	s_mov_b64 s[2:3], 0
.LBB126_1755:
	s_andn2_b64 vcc, exec, s[2:3]
	s_cbranch_vccnz .LBB126_1757
; %bb.1756:
	v_cvt_f32_f64_e32 v2, v[0:1]
	global_store_dword v[8:9], v2, off
.LBB126_1757:
	s_mov_b64 s[2:3], 0
.LBB126_1758:
	s_andn2_b64 vcc, exec, s[2:3]
	s_cbranch_vccnz .LBB126_1760
; %bb.1759:
	s_movk_i32 s2, 0x1ff
	v_and_or_b32 v2, v1, s2, v0
	v_cmp_ne_u32_e32 vcc, 0, v2
	v_cndmask_b32_e64 v2, 0, 1, vcc
	v_lshrrev_b32_e32 v3, 8, v1
	s_movk_i32 s2, 0xffe
	v_bfe_u32 v11, v1, 20, 11
	v_and_or_b32 v2, v3, s2, v2
	v_sub_u32_e32 v12, 0x3f1, v11
	v_or_b32_e32 v3, 0x1000, v2
	v_med3_i32 v12, v12, 0, 13
	v_lshrrev_b32_e32 v13, v12, v3
	v_lshlrev_b32_e32 v12, v12, v13
	v_cmp_ne_u32_e32 vcc, v12, v3
	v_cndmask_b32_e64 v3, 0, 1, vcc
	v_add_u32_e32 v11, 0xfffffc10, v11
	v_or_b32_e32 v3, v13, v3
	v_lshl_or_b32 v12, v11, 12, v2
	v_cmp_gt_i32_e32 vcc, 1, v11
	v_cndmask_b32_e32 v3, v12, v3, vcc
	v_and_b32_e32 v12, 7, v3
	v_cmp_lt_i32_e32 vcc, 5, v12
	v_cndmask_b32_e64 v13, 0, 1, vcc
	v_cmp_eq_u32_e32 vcc, 3, v12
	v_cndmask_b32_e64 v12, 0, 1, vcc
	v_or_b32_e32 v12, v12, v13
	v_lshrrev_b32_e32 v3, 2, v3
	v_add_u32_e32 v3, v3, v12
	v_mov_b32_e32 v12, 0x7c00
	v_cmp_gt_i32_e32 vcc, 31, v11
	v_cndmask_b32_e32 v3, v12, v3, vcc
	v_mov_b32_e32 v13, 0x7e00
	v_cmp_ne_u32_e32 vcc, 0, v2
	s_movk_i32 s2, 0x40f
	v_cndmask_b32_e32 v2, v12, v13, vcc
	v_cmp_eq_u32_e32 vcc, s2, v11
	v_cndmask_b32_e32 v2, v3, v2, vcc
	v_lshrrev_b32_e32 v3, 16, v1
	s_mov_b32 s2, 0x8000
	v_and_or_b32 v2, v3, s2, v2
	global_store_short v[8:9], v2, off
.LBB126_1760:
	s_mov_b64 s[2:3], 0
.LBB126_1761:
	s_andn2_b64 vcc, exec, s[2:3]
	s_cbranch_vccnz .LBB126_1777
; %bb.1762:
	s_cmp_lt_i32 s4, 2
	s_mov_b64 s[2:3], -1
	s_cbranch_scc1 .LBB126_1772
; %bb.1763:
	s_cmp_lt_i32 s4, 3
	s_cbranch_scc1 .LBB126_1769
; %bb.1764:
	s_cmp_gt_i32 s4, 3
	s_cbranch_scc0 .LBB126_1766
; %bb.1765:
	v_trunc_f64_e32 v[2:3], v[0:1]
	s_movk_i32 s2, 0xffe0
	v_ldexp_f64 v[11:12], v[2:3], s2
	s_mov_b32 s2, 0
	s_mov_b32 s3, 0xc1f00000
	v_floor_f64_e32 v[11:12], v[11:12]
	v_fma_f64 v[2:3], v[11:12], s[2:3], v[2:3]
	v_cvt_i32_f64_e32 v12, v[11:12]
	s_mov_b64 s[2:3], 0
	v_cvt_u32_f64_e32 v11, v[2:3]
	global_store_dwordx2 v[8:9], v[11:12], off
.LBB126_1766:
	s_andn2_b64 vcc, exec, s[2:3]
	s_cbranch_vccnz .LBB126_1768
; %bb.1767:
	v_cvt_i32_f64_e32 v2, v[0:1]
	global_store_dword v[8:9], v2, off
.LBB126_1768:
	s_mov_b64 s[2:3], 0
.LBB126_1769:
	s_andn2_b64 vcc, exec, s[2:3]
	s_cbranch_vccnz .LBB126_1771
; %bb.1770:
	v_cvt_i32_f64_e32 v2, v[0:1]
	global_store_short v[8:9], v2, off
.LBB126_1771:
	s_mov_b64 s[2:3], 0
.LBB126_1772:
	s_andn2_b64 vcc, exec, s[2:3]
	s_cbranch_vccnz .LBB126_1777
; %bb.1773:
	s_cmp_gt_i32 s4, 0
	s_mov_b64 s[2:3], -1
	s_cbranch_scc0 .LBB126_1775
; %bb.1774:
	v_cvt_i32_f64_e32 v2, v[0:1]
	s_mov_b64 s[2:3], 0
	global_store_byte v[8:9], v2, off
.LBB126_1775:
	s_andn2_b64 vcc, exec, s[2:3]
	s_cbranch_vccnz .LBB126_1777
; %bb.1776:
	v_trunc_f64_e32 v[0:1], v[0:1]
	s_movk_i32 s2, 0xffe0
	v_ldexp_f64 v[2:3], v[0:1], s2
	s_mov_b32 s2, 0
	s_mov_b32 s3, 0xc1f00000
	v_floor_f64_e32 v[2:3], v[2:3]
	v_fma_f64 v[0:1], v[2:3], s[2:3], v[0:1]
	v_cvt_u32_f64_e32 v0, v[0:1]
	global_store_byte v[8:9], v0, off
.LBB126_1777:
	s_mov_b64 s[10:11], -1
.LBB126_1778:
	s_andn2_b64 vcc, exec, s[10:11]
	s_cbranch_vccnz .LBB126_1974
; %bb.1779:
	v_mov_b32_e32 v0, s15
	v_cndmask_b32_e64 v1, v0, v7, s[0:1]
	v_mov_b32_e32 v0, s14
	v_add_u32_e32 v8, s18, v10
	v_cndmask_b32_e64 v0, v0, v6, s[0:1]
	v_ashrrev_i32_e32 v2, 31, v8
	v_mov_b32_e32 v3, s9
	v_add_co_u32_e32 v6, vcc, s8, v8
	s_cmp_lt_i32 s24, 11
	v_addc_co_u32_e32 v7, vcc, v3, v2, vcc
	s_cbranch_scc1 .LBB126_1857
; %bb.1780:
	s_and_b32 s19, 0xffff, s24
	s_mov_b64 s[12:13], -1
	s_mov_b64 s[4:5], 0
	s_cmp_gt_i32 s19, 25
	s_mov_b64 s[10:11], 0
	s_mov_b64 s[2:3], 0
	s_cbranch_scc0 .LBB126_1813
; %bb.1781:
	s_cmp_gt_i32 s19, 28
	s_cbranch_scc0 .LBB126_1796
; %bb.1782:
	s_cmp_gt_i32 s19, 43
	;; [unrolled: 3-line block ×3, first 2 shown]
	s_cbranch_scc0 .LBB126_1786
; %bb.1784:
	s_mov_b64 s[2:3], -1
	s_mov_b64 s[12:13], 0
	s_cmp_eq_u32 s19, 46
	s_cbranch_scc0 .LBB126_1786
; %bb.1785:
	v_cvt_f32_f64_e32 v2, v[0:1]
	s_movk_i32 s2, 0x7fff
	v_mov_b32_e32 v3, 0x7fc0
	s_mov_b64 s[10:11], -1
	v_bfe_u32 v9, v2, 16, 1
	v_cmp_o_f32_e32 vcc, v2, v2
	v_add3_u32 v2, v2, v9, s2
	v_cndmask_b32_sdwa v2, v3, v2, vcc dst_sel:DWORD dst_unused:UNUSED_PAD src0_sel:DWORD src1_sel:WORD_1
	global_store_dword v[6:7], v2, off
	s_mov_b64 s[2:3], 0
.LBB126_1786:
	s_and_b64 vcc, exec, s[12:13]
	s_cbranch_vccz .LBB126_1791
; %bb.1787:
	s_cmp_eq_u32 s19, 44
	s_mov_b64 s[2:3], -1
	s_cbranch_scc0 .LBB126_1791
; %bb.1788:
	v_cvt_f32_f64_e32 v2, v[0:1]
	s_movk_i32 s2, 0xff
	v_mov_b32_e32 v9, 0xff
	v_bfe_u32 v3, v2, 23, 8
	v_cmp_ne_u32_e32 vcc, s2, v3
	s_and_saveexec_b64 s[10:11], vcc
; %bb.1789:
	s_mov_b32 s2, 0x3fffff
	v_lshrrev_b32_e32 v9, 23, v2
	v_and_b32_e32 v10, 0x400000, v2
	v_and_or_b32 v2, v2, s2, v3
	v_cmp_ne_u32_e32 vcc, 0, v10
	v_cmp_ne_u32_e64 s[2:3], 0, v2
	s_and_b64 s[2:3], vcc, s[2:3]
	v_cndmask_b32_e64 v2, 0, 1, s[2:3]
	v_add_u32_e32 v9, v9, v2
; %bb.1790:
	s_or_b64 exec, exec, s[10:11]
	s_mov_b64 s[2:3], 0
	s_mov_b64 s[10:11], -1
	global_store_byte v[6:7], v9, off
.LBB126_1791:
	s_mov_b64 s[12:13], 0
.LBB126_1792:
	s_and_b64 vcc, exec, s[12:13]
	s_cbranch_vccz .LBB126_1795
; %bb.1793:
	s_cmp_eq_u32 s19, 29
	s_mov_b64 s[2:3], -1
	s_cbranch_scc0 .LBB126_1795
; %bb.1794:
	v_trunc_f64_e32 v[2:3], v[0:1]
	s_movk_i32 s2, 0xffe0
	s_mov_b64 s[10:11], -1
	v_ldexp_f64 v[9:10], v[2:3], s2
	s_mov_b32 s2, 0
	s_mov_b32 s3, 0xc1f00000
	v_floor_f64_e32 v[9:10], v[9:10]
	v_fma_f64 v[2:3], v[9:10], s[2:3], v[2:3]
	v_cvt_u32_f64_e32 v10, v[9:10]
	s_mov_b64 s[2:3], 0
	v_cvt_u32_f64_e32 v9, v[2:3]
	global_store_dwordx2 v[6:7], v[9:10], off
.LBB126_1795:
	s_mov_b64 s[12:13], 0
.LBB126_1796:
	s_and_b64 vcc, exec, s[12:13]
	s_cbranch_vccz .LBB126_1812
; %bb.1797:
	s_cmp_lt_i32 s19, 27
	s_mov_b64 s[10:11], -1
	s_cbranch_scc1 .LBB126_1803
; %bb.1798:
	v_cvt_u32_f64_e32 v2, v[0:1]
	s_cmp_gt_i32 s19, 27
	s_cbranch_scc0 .LBB126_1800
; %bb.1799:
	s_mov_b64 s[10:11], 0
	global_store_dword v[6:7], v2, off
.LBB126_1800:
	s_andn2_b64 vcc, exec, s[10:11]
	s_cbranch_vccnz .LBB126_1802
; %bb.1801:
	global_store_short v[6:7], v2, off
.LBB126_1802:
	s_mov_b64 s[10:11], 0
.LBB126_1803:
	s_andn2_b64 vcc, exec, s[10:11]
	s_cbranch_vccnz .LBB126_1811
; %bb.1804:
	v_cvt_f32_f64_e32 v2, v[0:1]
	s_mov_b32 s10, 0x43800000
	v_mov_b32_e32 v9, 0x80
	v_and_b32_e32 v3, 0x7fffffff, v2
	v_cmp_gt_u32_e32 vcc, s10, v3
	s_and_saveexec_b64 s[10:11], vcc
	s_cbranch_execz .LBB126_1810
; %bb.1805:
	s_mov_b32 s12, 0x3bffffff
	v_cmp_lt_u32_e32 vcc, s12, v3
	s_mov_b64 s[12:13], 0
                                        ; implicit-def: $vgpr3
	s_and_saveexec_b64 s[16:17], vcc
	s_xor_b64 s[16:17], exec, s[16:17]
	s_cbranch_execz .LBB126_2031
; %bb.1806:
	v_bfe_u32 v3, v2, 20, 1
	s_mov_b32 s25, 0x487ffff
	v_add3_u32 v3, v2, v3, s25
	s_mov_b64 s[12:13], exec
	v_lshrrev_b32_e32 v3, 20, v3
	s_andn2_saveexec_b64 s[16:17], s[16:17]
	s_cbranch_execnz .LBB126_2032
.LBB126_1807:
	s_or_b64 exec, exec, s[16:17]
	v_mov_b32_e32 v9, 0
	s_and_saveexec_b64 s[16:17], s[12:13]
.LBB126_1808:
	v_lshrrev_b32_e32 v2, 24, v2
	s_movk_i32 s12, 0x80
	v_and_or_b32 v9, v2, s12, v3
.LBB126_1809:
	s_or_b64 exec, exec, s[16:17]
.LBB126_1810:
	s_or_b64 exec, exec, s[10:11]
	global_store_byte v[6:7], v9, off
.LBB126_1811:
	s_mov_b64 s[10:11], -1
.LBB126_1812:
	s_mov_b64 s[12:13], 0
.LBB126_1813:
	s_and_b64 vcc, exec, s[12:13]
	s_cbranch_vccz .LBB126_1853
; %bb.1814:
	s_cmp_gt_i32 s19, 22
	s_mov_b64 s[4:5], -1
	s_cbranch_scc0 .LBB126_1846
; %bb.1815:
	s_cmp_lt_i32 s19, 24
	s_cbranch_scc1 .LBB126_1835
; %bb.1816:
	s_cmp_gt_i32 s19, 24
	s_cbranch_scc0 .LBB126_1824
; %bb.1817:
	v_cvt_f32_f64_e32 v2, v[0:1]
	s_mov_b32 s4, 0x47800000
	v_mov_b32_e32 v9, 0x80
	v_and_b32_e32 v3, 0x7fffffff, v2
	v_cmp_gt_u32_e32 vcc, s4, v3
	s_and_saveexec_b64 s[4:5], vcc
	s_cbranch_execz .LBB126_1823
; %bb.1818:
	s_mov_b32 s10, 0x37ffffff
	v_cmp_lt_u32_e32 vcc, s10, v3
	s_mov_b64 s[10:11], 0
                                        ; implicit-def: $vgpr3
	s_and_saveexec_b64 s[12:13], vcc
	s_xor_b64 s[12:13], exec, s[12:13]
	s_cbranch_execz .LBB126_2034
; %bb.1819:
	v_bfe_u32 v3, v2, 21, 1
	s_mov_b32 s16, 0x88fffff
	v_add3_u32 v3, v2, v3, s16
	s_mov_b64 s[10:11], exec
	v_lshrrev_b32_e32 v3, 21, v3
	s_andn2_saveexec_b64 s[12:13], s[12:13]
	s_cbranch_execnz .LBB126_2035
.LBB126_1820:
	s_or_b64 exec, exec, s[12:13]
	v_mov_b32_e32 v9, 0
	s_and_saveexec_b64 s[12:13], s[10:11]
.LBB126_1821:
	v_lshrrev_b32_e32 v2, 24, v2
	s_movk_i32 s10, 0x80
	v_and_or_b32 v9, v2, s10, v3
.LBB126_1822:
	s_or_b64 exec, exec, s[12:13]
.LBB126_1823:
	s_or_b64 exec, exec, s[4:5]
	s_mov_b64 s[4:5], 0
	global_store_byte v[6:7], v9, off
.LBB126_1824:
	s_and_b64 vcc, exec, s[4:5]
	s_cbranch_vccz .LBB126_1834
; %bb.1825:
	v_cvt_f32_f64_e32 v2, v[0:1]
	s_mov_b32 s4, 0x43f00000
                                        ; implicit-def: $vgpr3
	v_and_b32_e32 v9, 0x7fffffff, v2
	v_cmp_gt_u32_e32 vcc, s4, v9
	s_and_saveexec_b64 s[4:5], vcc
	s_xor_b64 s[4:5], exec, s[4:5]
	s_cbranch_execz .LBB126_1831
; %bb.1826:
	s_mov_b32 s10, 0x3c7fffff
	v_cmp_lt_u32_e32 vcc, s10, v9
                                        ; implicit-def: $vgpr3
	s_and_saveexec_b64 s[10:11], vcc
	s_xor_b64 s[10:11], exec, s[10:11]
; %bb.1827:
	v_bfe_u32 v3, v2, 20, 1
	s_mov_b32 s12, 0x407ffff
	v_add3_u32 v3, v2, v3, s12
	v_lshrrev_b32_e32 v9, 20, v3
	v_and_b32_e32 v3, 0xff00000, v3
	s_mov_b32 s12, 0x7f00000
	v_mov_b32_e32 v10, 0x7e
	v_cmp_ne_u32_e32 vcc, s12, v3
	v_cndmask_b32_e32 v3, v10, v9, vcc
; %bb.1828:
	s_andn2_saveexec_b64 s[10:11], s[10:11]
; %bb.1829:
	s_mov_b32 s12, 0x46800000
	v_add_f32_e64 v3, |v2|, s12
; %bb.1830:
	s_or_b64 exec, exec, s[10:11]
                                        ; implicit-def: $vgpr9
.LBB126_1831:
	s_andn2_saveexec_b64 s[4:5], s[4:5]
; %bb.1832:
	s_mov_b32 s10, 0x7f800000
	v_mov_b32_e32 v3, 0x7e
	v_mov_b32_e32 v10, 0x7f
	v_cmp_lt_u32_e32 vcc, s10, v9
	v_cndmask_b32_e32 v3, v3, v10, vcc
; %bb.1833:
	s_or_b64 exec, exec, s[4:5]
	v_lshrrev_b32_e32 v2, 24, v2
	s_movk_i32 s4, 0x80
	v_and_or_b32 v2, v2, s4, v3
	global_store_byte v[6:7], v2, off
.LBB126_1834:
	s_mov_b64 s[4:5], 0
.LBB126_1835:
	s_andn2_b64 vcc, exec, s[4:5]
	s_cbranch_vccnz .LBB126_1845
; %bb.1836:
	v_cvt_f32_f64_e32 v2, v[0:1]
	s_mov_b32 s4, 0x47800000
                                        ; implicit-def: $vgpr3
	v_and_b32_e32 v9, 0x7fffffff, v2
	v_cmp_gt_u32_e32 vcc, s4, v9
	s_and_saveexec_b64 s[4:5], vcc
	s_xor_b64 s[4:5], exec, s[4:5]
	s_cbranch_execz .LBB126_1842
; %bb.1837:
	s_mov_b32 s10, 0x387fffff
	v_cmp_lt_u32_e32 vcc, s10, v9
                                        ; implicit-def: $vgpr3
	s_and_saveexec_b64 s[10:11], vcc
	s_xor_b64 s[10:11], exec, s[10:11]
; %bb.1838:
	v_bfe_u32 v3, v2, 21, 1
	s_mov_b32 s12, 0x80fffff
	v_add3_u32 v3, v2, v3, s12
	v_lshrrev_b32_e32 v3, 21, v3
; %bb.1839:
	s_andn2_saveexec_b64 s[10:11], s[10:11]
; %bb.1840:
	s_mov_b32 s12, 0x43000000
	v_add_f32_e64 v3, |v2|, s12
; %bb.1841:
	s_or_b64 exec, exec, s[10:11]
                                        ; implicit-def: $vgpr9
.LBB126_1842:
	s_andn2_saveexec_b64 s[4:5], s[4:5]
; %bb.1843:
	s_mov_b32 s10, 0x7f800000
	v_mov_b32_e32 v3, 0x7c
	v_mov_b32_e32 v10, 0x7f
	v_cmp_lt_u32_e32 vcc, s10, v9
	v_cndmask_b32_e32 v3, v3, v10, vcc
; %bb.1844:
	s_or_b64 exec, exec, s[4:5]
	v_lshrrev_b32_e32 v2, 24, v2
	s_movk_i32 s4, 0x80
	v_and_or_b32 v2, v2, s4, v3
	global_store_byte v[6:7], v2, off
.LBB126_1845:
	s_mov_b64 s[4:5], 0
	s_mov_b64 s[10:11], -1
.LBB126_1846:
	s_andn2_b64 vcc, exec, s[4:5]
	s_mov_b64 s[4:5], 0
	s_cbranch_vccnz .LBB126_1853
; %bb.1847:
	s_cmp_gt_i32 s19, 14
	s_mov_b64 s[12:13], -1
	s_cbranch_scc0 .LBB126_1851
; %bb.1848:
	s_cmp_eq_u32 s19, 15
	s_mov_b64 s[2:3], -1
	s_cbranch_scc0 .LBB126_1850
; %bb.1849:
	v_cvt_f32_f64_e32 v2, v[0:1]
	s_movk_i32 s2, 0x7fff
	v_mov_b32_e32 v3, 0x7fc0
	s_mov_b64 s[10:11], -1
	v_bfe_u32 v9, v2, 16, 1
	v_cmp_o_f32_e32 vcc, v2, v2
	v_add3_u32 v2, v2, v9, s2
	v_cndmask_b32_sdwa v2, v3, v2, vcc dst_sel:DWORD dst_unused:UNUSED_PAD src0_sel:DWORD src1_sel:WORD_1
	global_store_short v[6:7], v2, off
	s_mov_b64 s[2:3], 0
.LBB126_1850:
	s_mov_b64 s[12:13], 0
.LBB126_1851:
	s_and_b64 vcc, exec, s[12:13]
	s_cbranch_vccz .LBB126_1853
; %bb.1852:
	s_cmp_lg_u32 s19, 11
	s_mov_b64 s[4:5], -1
	s_cselect_b64 s[2:3], -1, 0
.LBB126_1853:
	s_and_b64 vcc, exec, s[2:3]
	s_cbranch_vccnz .LBB126_2033
; %bb.1854:
	s_andn2_b64 vcc, exec, s[4:5]
	s_cbranch_vccnz .LBB126_1856
.LBB126_1855:
	v_cmp_neq_f64_e32 vcc, 0, v[0:1]
	s_mov_b64 s[10:11], -1
	v_cndmask_b32_e64 v2, 0, 1, vcc
	global_store_byte v[6:7], v2, off
.LBB126_1856:
	s_mov_b64 s[2:3], 0
	s_branch .LBB126_1858
.LBB126_1857:
	s_mov_b64 s[2:3], -1
	s_mov_b64 s[10:11], 0
.LBB126_1858:
	s_and_b64 vcc, exec, s[2:3]
	s_cbranch_vccz .LBB126_1897
; %bb.1859:
	s_and_b32 s4, 0xffff, s24
	s_cmp_lt_i32 s4, 5
	s_mov_b64 s[2:3], -1
	s_cbranch_scc1 .LBB126_1880
; %bb.1860:
	s_cmp_lt_i32 s4, 8
	s_cbranch_scc1 .LBB126_1870
; %bb.1861:
	s_cmp_lt_i32 s4, 9
	s_cbranch_scc1 .LBB126_1867
; %bb.1862:
	s_cmp_gt_i32 s4, 9
	s_cbranch_scc0 .LBB126_1864
; %bb.1863:
	v_mov_b32_e32 v2, 0
	v_mov_b32_e32 v3, v2
	global_store_dwordx4 v[6:7], v[0:3], off
	s_mov_b64 s[2:3], 0
.LBB126_1864:
	s_andn2_b64 vcc, exec, s[2:3]
	s_cbranch_vccnz .LBB126_1866
; %bb.1865:
	v_cvt_f32_f64_e32 v2, v[0:1]
	v_mov_b32_e32 v3, 0
	global_store_dwordx2 v[6:7], v[2:3], off
.LBB126_1866:
	s_mov_b64 s[2:3], 0
.LBB126_1867:
	s_andn2_b64 vcc, exec, s[2:3]
	s_cbranch_vccnz .LBB126_1869
; %bb.1868:
	s_movk_i32 s2, 0x1ff
	v_and_or_b32 v2, v1, s2, v0
	v_cmp_ne_u32_e32 vcc, 0, v2
	v_cndmask_b32_e64 v2, 0, 1, vcc
	v_lshrrev_b32_e32 v3, 8, v1
	s_movk_i32 s2, 0xffe
	v_bfe_u32 v9, v1, 20, 11
	v_and_or_b32 v2, v3, s2, v2
	v_sub_u32_e32 v10, 0x3f1, v9
	v_or_b32_e32 v3, 0x1000, v2
	v_med3_i32 v10, v10, 0, 13
	v_lshrrev_b32_e32 v11, v10, v3
	v_lshlrev_b32_e32 v10, v10, v11
	v_cmp_ne_u32_e32 vcc, v10, v3
	v_cndmask_b32_e64 v3, 0, 1, vcc
	v_add_u32_e32 v9, 0xfffffc10, v9
	v_or_b32_e32 v3, v11, v3
	v_lshl_or_b32 v10, v9, 12, v2
	v_cmp_gt_i32_e32 vcc, 1, v9
	v_cndmask_b32_e32 v3, v10, v3, vcc
	v_and_b32_e32 v10, 7, v3
	v_cmp_lt_i32_e32 vcc, 5, v10
	v_cndmask_b32_e64 v11, 0, 1, vcc
	v_cmp_eq_u32_e32 vcc, 3, v10
	v_cndmask_b32_e64 v10, 0, 1, vcc
	v_or_b32_e32 v10, v10, v11
	v_lshrrev_b32_e32 v3, 2, v3
	v_add_u32_e32 v3, v3, v10
	v_mov_b32_e32 v10, 0x7c00
	v_cmp_gt_i32_e32 vcc, 31, v9
	v_cndmask_b32_e32 v3, v10, v3, vcc
	v_mov_b32_e32 v11, 0x7e00
	v_cmp_ne_u32_e32 vcc, 0, v2
	s_movk_i32 s2, 0x40f
	v_cndmask_b32_e32 v2, v10, v11, vcc
	v_cmp_eq_u32_e32 vcc, s2, v9
	v_cndmask_b32_e32 v2, v3, v2, vcc
	v_lshrrev_b32_e32 v3, 16, v1
	s_mov_b32 s2, 0x8000
	v_and_or_b32 v2, v3, s2, v2
	v_and_b32_e32 v2, 0xffff, v2
	global_store_dword v[6:7], v2, off
.LBB126_1869:
	s_mov_b64 s[2:3], 0
.LBB126_1870:
	s_andn2_b64 vcc, exec, s[2:3]
	s_cbranch_vccnz .LBB126_1879
; %bb.1871:
	s_cmp_lt_i32 s4, 6
	s_mov_b64 s[2:3], -1
	s_cbranch_scc1 .LBB126_1877
; %bb.1872:
	s_cmp_gt_i32 s4, 6
	s_cbranch_scc0 .LBB126_1874
; %bb.1873:
	global_store_dwordx2 v[6:7], v[0:1], off
	s_mov_b64 s[2:3], 0
.LBB126_1874:
	s_andn2_b64 vcc, exec, s[2:3]
	s_cbranch_vccnz .LBB126_1876
; %bb.1875:
	v_cvt_f32_f64_e32 v2, v[0:1]
	global_store_dword v[6:7], v2, off
.LBB126_1876:
	s_mov_b64 s[2:3], 0
.LBB126_1877:
	s_andn2_b64 vcc, exec, s[2:3]
	s_cbranch_vccnz .LBB126_1879
; %bb.1878:
	s_movk_i32 s2, 0x1ff
	v_and_or_b32 v2, v1, s2, v0
	v_cmp_ne_u32_e32 vcc, 0, v2
	v_cndmask_b32_e64 v2, 0, 1, vcc
	v_lshrrev_b32_e32 v3, 8, v1
	s_movk_i32 s2, 0xffe
	v_bfe_u32 v9, v1, 20, 11
	v_and_or_b32 v2, v3, s2, v2
	v_sub_u32_e32 v10, 0x3f1, v9
	v_or_b32_e32 v3, 0x1000, v2
	v_med3_i32 v10, v10, 0, 13
	v_lshrrev_b32_e32 v11, v10, v3
	v_lshlrev_b32_e32 v10, v10, v11
	v_cmp_ne_u32_e32 vcc, v10, v3
	v_cndmask_b32_e64 v3, 0, 1, vcc
	v_add_u32_e32 v9, 0xfffffc10, v9
	v_or_b32_e32 v3, v11, v3
	v_lshl_or_b32 v10, v9, 12, v2
	v_cmp_gt_i32_e32 vcc, 1, v9
	v_cndmask_b32_e32 v3, v10, v3, vcc
	v_and_b32_e32 v10, 7, v3
	v_cmp_lt_i32_e32 vcc, 5, v10
	v_cndmask_b32_e64 v11, 0, 1, vcc
	v_cmp_eq_u32_e32 vcc, 3, v10
	v_cndmask_b32_e64 v10, 0, 1, vcc
	v_or_b32_e32 v10, v10, v11
	v_lshrrev_b32_e32 v3, 2, v3
	v_add_u32_e32 v3, v3, v10
	v_mov_b32_e32 v10, 0x7c00
	v_cmp_gt_i32_e32 vcc, 31, v9
	v_cndmask_b32_e32 v3, v10, v3, vcc
	v_mov_b32_e32 v11, 0x7e00
	v_cmp_ne_u32_e32 vcc, 0, v2
	s_movk_i32 s2, 0x40f
	v_cndmask_b32_e32 v2, v10, v11, vcc
	v_cmp_eq_u32_e32 vcc, s2, v9
	v_cndmask_b32_e32 v2, v3, v2, vcc
	v_lshrrev_b32_e32 v3, 16, v1
	s_mov_b32 s2, 0x8000
	v_and_or_b32 v2, v3, s2, v2
	global_store_short v[6:7], v2, off
.LBB126_1879:
	s_mov_b64 s[2:3], 0
.LBB126_1880:
	s_andn2_b64 vcc, exec, s[2:3]
	s_cbranch_vccnz .LBB126_1896
; %bb.1881:
	s_cmp_lt_i32 s4, 2
	s_mov_b64 s[2:3], -1
	s_cbranch_scc1 .LBB126_1891
; %bb.1882:
	s_cmp_lt_i32 s4, 3
	s_cbranch_scc1 .LBB126_1888
; %bb.1883:
	s_cmp_gt_i32 s4, 3
	s_cbranch_scc0 .LBB126_1885
; %bb.1884:
	v_trunc_f64_e32 v[2:3], v[0:1]
	s_movk_i32 s2, 0xffe0
	v_ldexp_f64 v[9:10], v[2:3], s2
	s_mov_b32 s2, 0
	s_mov_b32 s3, 0xc1f00000
	v_floor_f64_e32 v[9:10], v[9:10]
	v_fma_f64 v[2:3], v[9:10], s[2:3], v[2:3]
	v_cvt_i32_f64_e32 v10, v[9:10]
	s_mov_b64 s[2:3], 0
	v_cvt_u32_f64_e32 v9, v[2:3]
	global_store_dwordx2 v[6:7], v[9:10], off
.LBB126_1885:
	s_andn2_b64 vcc, exec, s[2:3]
	s_cbranch_vccnz .LBB126_1887
; %bb.1886:
	v_cvt_i32_f64_e32 v2, v[0:1]
	global_store_dword v[6:7], v2, off
.LBB126_1887:
	s_mov_b64 s[2:3], 0
.LBB126_1888:
	s_andn2_b64 vcc, exec, s[2:3]
	s_cbranch_vccnz .LBB126_1890
; %bb.1889:
	v_cvt_i32_f64_e32 v2, v[0:1]
	global_store_short v[6:7], v2, off
.LBB126_1890:
	s_mov_b64 s[2:3], 0
.LBB126_1891:
	s_andn2_b64 vcc, exec, s[2:3]
	s_cbranch_vccnz .LBB126_1896
; %bb.1892:
	s_cmp_gt_i32 s4, 0
	s_mov_b64 s[2:3], -1
	s_cbranch_scc0 .LBB126_1894
; %bb.1893:
	v_cvt_i32_f64_e32 v2, v[0:1]
	s_mov_b64 s[2:3], 0
	global_store_byte v[6:7], v2, off
.LBB126_1894:
	s_andn2_b64 vcc, exec, s[2:3]
	s_cbranch_vccnz .LBB126_1896
; %bb.1895:
	v_trunc_f64_e32 v[0:1], v[0:1]
	s_movk_i32 s2, 0xffe0
	v_ldexp_f64 v[2:3], v[0:1], s2
	s_mov_b32 s2, 0
	s_mov_b32 s3, 0xc1f00000
	v_floor_f64_e32 v[2:3], v[2:3]
	v_fma_f64 v[0:1], v[2:3], s[2:3], v[0:1]
	v_cvt_u32_f64_e32 v0, v[0:1]
	global_store_byte v[6:7], v0, off
.LBB126_1896:
	s_mov_b64 s[10:11], -1
.LBB126_1897:
	s_andn2_b64 vcc, exec, s[10:11]
	s_cbranch_vccnz .LBB126_1974
; %bb.1898:
	v_mov_b32_e32 v0, s15
	v_cndmask_b32_e64 v1, v0, v5, s[0:1]
	v_mov_b32_e32 v0, s14
	v_add_u32_e32 v2, s18, v8
	v_cndmask_b32_e64 v0, v0, v4, s[0:1]
	v_ashrrev_i32_e32 v3, 31, v2
	v_mov_b32_e32 v5, s9
	v_add_co_u32_e32 v4, vcc, s8, v2
	s_cmp_lt_i32 s24, 11
	v_addc_co_u32_e32 v5, vcc, v5, v3, vcc
	s_cbranch_scc1 .LBB126_2019
; %bb.1899:
	s_and_b32 s12, 0xffff, s24
	s_mov_b64 s[4:5], -1
	s_mov_b64 s[2:3], 0
	s_cmp_gt_i32 s12, 25
	s_mov_b64 s[0:1], 0
	s_cbranch_scc0 .LBB126_1932
; %bb.1900:
	s_cmp_gt_i32 s12, 28
	s_cbranch_scc0 .LBB126_1916
; %bb.1901:
	s_cmp_gt_i32 s12, 43
	;; [unrolled: 3-line block ×3, first 2 shown]
	s_cbranch_scc0 .LBB126_1906
; %bb.1903:
	s_cmp_eq_u32 s12, 46
	s_mov_b64 s[0:1], -1
	s_cbranch_scc0 .LBB126_1905
; %bb.1904:
	v_cvt_f32_f64_e32 v2, v[0:1]
	s_movk_i32 s0, 0x7fff
	v_mov_b32_e32 v3, 0x7fc0
	v_bfe_u32 v6, v2, 16, 1
	v_cmp_o_f32_e32 vcc, v2, v2
	v_add3_u32 v2, v2, v6, s0
	v_cndmask_b32_sdwa v2, v3, v2, vcc dst_sel:DWORD dst_unused:UNUSED_PAD src0_sel:DWORD src1_sel:WORD_1
	global_store_dword v[4:5], v2, off
	s_mov_b64 s[0:1], 0
.LBB126_1905:
	s_mov_b64 s[4:5], 0
.LBB126_1906:
	s_and_b64 vcc, exec, s[4:5]
	s_cbranch_vccz .LBB126_1911
; %bb.1907:
	s_cmp_eq_u32 s12, 44
	s_mov_b64 s[0:1], -1
	s_cbranch_scc0 .LBB126_1911
; %bb.1908:
	v_cvt_f32_f64_e32 v2, v[0:1]
	s_movk_i32 s0, 0xff
	v_mov_b32_e32 v6, 0xff
	v_bfe_u32 v3, v2, 23, 8
	v_cmp_ne_u32_e32 vcc, s0, v3
	s_and_saveexec_b64 s[4:5], vcc
; %bb.1909:
	s_mov_b32 s0, 0x3fffff
	v_lshrrev_b32_e32 v6, 23, v2
	v_and_b32_e32 v7, 0x400000, v2
	v_and_or_b32 v2, v2, s0, v3
	v_cmp_ne_u32_e32 vcc, 0, v7
	v_cmp_ne_u32_e64 s[0:1], 0, v2
	s_and_b64 s[0:1], vcc, s[0:1]
	v_cndmask_b32_e64 v2, 0, 1, s[0:1]
	v_add_u32_e32 v6, v6, v2
; %bb.1910:
	s_or_b64 exec, exec, s[4:5]
	s_mov_b64 s[0:1], 0
	global_store_byte v[4:5], v6, off
.LBB126_1911:
	s_mov_b64 s[4:5], 0
.LBB126_1912:
	s_and_b64 vcc, exec, s[4:5]
	s_cbranch_vccz .LBB126_1915
; %bb.1913:
	s_cmp_eq_u32 s12, 29
	s_mov_b64 s[0:1], -1
	s_cbranch_scc0 .LBB126_1915
; %bb.1914:
	v_trunc_f64_e32 v[2:3], v[0:1]
	s_movk_i32 s0, 0xffe0
	v_ldexp_f64 v[6:7], v[2:3], s0
	s_mov_b32 s0, 0
	s_mov_b32 s1, 0xc1f00000
	v_floor_f64_e32 v[6:7], v[6:7]
	v_fma_f64 v[2:3], v[6:7], s[0:1], v[2:3]
	v_cvt_u32_f64_e32 v7, v[6:7]
	s_mov_b64 s[0:1], 0
	v_cvt_u32_f64_e32 v6, v[2:3]
	global_store_dwordx2 v[4:5], v[6:7], off
.LBB126_1915:
	s_mov_b64 s[4:5], 0
.LBB126_1916:
	s_and_b64 vcc, exec, s[4:5]
	s_cbranch_vccz .LBB126_1931
; %bb.1917:
	s_cmp_lt_i32 s12, 27
	s_mov_b64 s[4:5], -1
	s_cbranch_scc1 .LBB126_1923
; %bb.1918:
	v_cvt_u32_f64_e32 v2, v[0:1]
	s_cmp_gt_i32 s12, 27
	s_cbranch_scc0 .LBB126_1920
; %bb.1919:
	global_store_dword v[4:5], v2, off
	s_mov_b64 s[4:5], 0
.LBB126_1920:
	s_andn2_b64 vcc, exec, s[4:5]
	s_cbranch_vccnz .LBB126_1922
; %bb.1921:
	global_store_short v[4:5], v2, off
.LBB126_1922:
	s_mov_b64 s[4:5], 0
.LBB126_1923:
	s_andn2_b64 vcc, exec, s[4:5]
	s_cbranch_vccnz .LBB126_1931
; %bb.1924:
	v_cvt_f32_f64_e32 v2, v[0:1]
	s_mov_b32 s4, 0x43800000
	v_mov_b32_e32 v6, 0x80
	v_and_b32_e32 v3, 0x7fffffff, v2
	v_cmp_gt_u32_e32 vcc, s4, v3
	s_and_saveexec_b64 s[4:5], vcc
	s_cbranch_execz .LBB126_1930
; %bb.1925:
	s_mov_b32 s8, 0x3bffffff
	v_cmp_lt_u32_e32 vcc, s8, v3
	s_mov_b64 s[8:9], 0
                                        ; implicit-def: $vgpr3
	s_and_saveexec_b64 s[10:11], vcc
	s_xor_b64 s[10:11], exec, s[10:11]
	s_cbranch_execz .LBB126_2036
; %bb.1926:
	v_bfe_u32 v3, v2, 20, 1
	s_mov_b32 s13, 0x487ffff
	v_add3_u32 v3, v2, v3, s13
	s_mov_b64 s[8:9], exec
	v_lshrrev_b32_e32 v3, 20, v3
	s_andn2_saveexec_b64 s[10:11], s[10:11]
	s_cbranch_execnz .LBB126_2037
.LBB126_1927:
	s_or_b64 exec, exec, s[10:11]
	v_mov_b32_e32 v6, 0
	s_and_saveexec_b64 s[10:11], s[8:9]
.LBB126_1928:
	v_lshrrev_b32_e32 v2, 24, v2
	s_movk_i32 s8, 0x80
	v_and_or_b32 v6, v2, s8, v3
.LBB126_1929:
	s_or_b64 exec, exec, s[10:11]
.LBB126_1930:
	s_or_b64 exec, exec, s[4:5]
	global_store_byte v[4:5], v6, off
.LBB126_1931:
	s_mov_b64 s[4:5], 0
.LBB126_1932:
	s_and_b64 vcc, exec, s[4:5]
	s_cbranch_vccz .LBB126_1972
; %bb.1933:
	s_cmp_gt_i32 s12, 22
	s_mov_b64 s[2:3], -1
	s_cbranch_scc0 .LBB126_1965
; %bb.1934:
	s_cmp_lt_i32 s12, 24
	s_cbranch_scc1 .LBB126_1954
; %bb.1935:
	s_cmp_gt_i32 s12, 24
	s_cbranch_scc0 .LBB126_1943
; %bb.1936:
	v_cvt_f32_f64_e32 v2, v[0:1]
	s_mov_b32 s2, 0x47800000
	v_mov_b32_e32 v6, 0x80
	v_and_b32_e32 v3, 0x7fffffff, v2
	v_cmp_gt_u32_e32 vcc, s2, v3
	s_and_saveexec_b64 s[2:3], vcc
	s_cbranch_execz .LBB126_1942
; %bb.1937:
	s_mov_b32 s4, 0x37ffffff
	v_cmp_lt_u32_e32 vcc, s4, v3
	s_mov_b64 s[4:5], 0
                                        ; implicit-def: $vgpr3
	s_and_saveexec_b64 s[8:9], vcc
	s_xor_b64 s[8:9], exec, s[8:9]
	s_cbranch_execz .LBB126_2039
; %bb.1938:
	v_bfe_u32 v3, v2, 21, 1
	s_mov_b32 s10, 0x88fffff
	v_add3_u32 v3, v2, v3, s10
	s_mov_b64 s[4:5], exec
	v_lshrrev_b32_e32 v3, 21, v3
	s_andn2_saveexec_b64 s[8:9], s[8:9]
	s_cbranch_execnz .LBB126_2040
.LBB126_1939:
	s_or_b64 exec, exec, s[8:9]
	v_mov_b32_e32 v6, 0
	s_and_saveexec_b64 s[8:9], s[4:5]
.LBB126_1940:
	v_lshrrev_b32_e32 v2, 24, v2
	s_movk_i32 s4, 0x80
	v_and_or_b32 v6, v2, s4, v3
.LBB126_1941:
	s_or_b64 exec, exec, s[8:9]
.LBB126_1942:
	s_or_b64 exec, exec, s[2:3]
	s_mov_b64 s[2:3], 0
	global_store_byte v[4:5], v6, off
.LBB126_1943:
	s_and_b64 vcc, exec, s[2:3]
	s_cbranch_vccz .LBB126_1953
; %bb.1944:
	v_cvt_f32_f64_e32 v2, v[0:1]
	s_mov_b32 s2, 0x43f00000
                                        ; implicit-def: $vgpr3
	v_and_b32_e32 v6, 0x7fffffff, v2
	v_cmp_gt_u32_e32 vcc, s2, v6
	s_and_saveexec_b64 s[2:3], vcc
	s_xor_b64 s[2:3], exec, s[2:3]
	s_cbranch_execz .LBB126_1950
; %bb.1945:
	s_mov_b32 s4, 0x3c7fffff
	v_cmp_lt_u32_e32 vcc, s4, v6
                                        ; implicit-def: $vgpr3
	s_and_saveexec_b64 s[4:5], vcc
	s_xor_b64 s[4:5], exec, s[4:5]
; %bb.1946:
	v_bfe_u32 v3, v2, 20, 1
	s_mov_b32 s8, 0x407ffff
	v_add3_u32 v3, v2, v3, s8
	v_lshrrev_b32_e32 v6, 20, v3
	v_and_b32_e32 v3, 0xff00000, v3
	s_mov_b32 s8, 0x7f00000
	v_mov_b32_e32 v7, 0x7e
	v_cmp_ne_u32_e32 vcc, s8, v3
	v_cndmask_b32_e32 v3, v7, v6, vcc
; %bb.1947:
	s_andn2_saveexec_b64 s[4:5], s[4:5]
; %bb.1948:
	s_mov_b32 s8, 0x46800000
	v_add_f32_e64 v3, |v2|, s8
; %bb.1949:
	s_or_b64 exec, exec, s[4:5]
                                        ; implicit-def: $vgpr6
.LBB126_1950:
	s_andn2_saveexec_b64 s[2:3], s[2:3]
; %bb.1951:
	s_mov_b32 s4, 0x7f800000
	v_mov_b32_e32 v3, 0x7e
	v_mov_b32_e32 v7, 0x7f
	v_cmp_lt_u32_e32 vcc, s4, v6
	v_cndmask_b32_e32 v3, v3, v7, vcc
; %bb.1952:
	s_or_b64 exec, exec, s[2:3]
	v_lshrrev_b32_e32 v2, 24, v2
	s_movk_i32 s2, 0x80
	v_and_or_b32 v2, v2, s2, v3
	global_store_byte v[4:5], v2, off
.LBB126_1953:
	s_mov_b64 s[2:3], 0
.LBB126_1954:
	s_andn2_b64 vcc, exec, s[2:3]
	s_cbranch_vccnz .LBB126_1964
; %bb.1955:
	v_cvt_f32_f64_e32 v2, v[0:1]
	s_mov_b32 s2, 0x47800000
                                        ; implicit-def: $vgpr3
	v_and_b32_e32 v6, 0x7fffffff, v2
	v_cmp_gt_u32_e32 vcc, s2, v6
	s_and_saveexec_b64 s[2:3], vcc
	s_xor_b64 s[2:3], exec, s[2:3]
	s_cbranch_execz .LBB126_1961
; %bb.1956:
	s_mov_b32 s4, 0x387fffff
	v_cmp_lt_u32_e32 vcc, s4, v6
                                        ; implicit-def: $vgpr3
	s_and_saveexec_b64 s[4:5], vcc
	s_xor_b64 s[4:5], exec, s[4:5]
; %bb.1957:
	v_bfe_u32 v3, v2, 21, 1
	s_mov_b32 s8, 0x80fffff
	v_add3_u32 v3, v2, v3, s8
	v_lshrrev_b32_e32 v3, 21, v3
; %bb.1958:
	s_andn2_saveexec_b64 s[4:5], s[4:5]
; %bb.1959:
	s_mov_b32 s8, 0x43000000
	v_add_f32_e64 v3, |v2|, s8
; %bb.1960:
	s_or_b64 exec, exec, s[4:5]
                                        ; implicit-def: $vgpr6
.LBB126_1961:
	s_andn2_saveexec_b64 s[2:3], s[2:3]
; %bb.1962:
	s_mov_b32 s4, 0x7f800000
	v_mov_b32_e32 v3, 0x7c
	v_mov_b32_e32 v7, 0x7f
	v_cmp_lt_u32_e32 vcc, s4, v6
	v_cndmask_b32_e32 v3, v3, v7, vcc
; %bb.1963:
	s_or_b64 exec, exec, s[2:3]
	v_lshrrev_b32_e32 v2, 24, v2
	s_movk_i32 s2, 0x80
	v_and_or_b32 v2, v2, s2, v3
	global_store_byte v[4:5], v2, off
.LBB126_1964:
	s_mov_b64 s[2:3], 0
.LBB126_1965:
	s_andn2_b64 vcc, exec, s[2:3]
	s_mov_b64 s[2:3], 0
	s_cbranch_vccnz .LBB126_1972
; %bb.1966:
	s_cmp_gt_i32 s12, 14
	s_mov_b64 s[4:5], -1
	s_cbranch_scc0 .LBB126_1970
; %bb.1967:
	s_cmp_eq_u32 s12, 15
	s_mov_b64 s[0:1], -1
	s_cbranch_scc0 .LBB126_1969
; %bb.1968:
	v_cvt_f32_f64_e32 v2, v[0:1]
	s_movk_i32 s0, 0x7fff
	v_mov_b32_e32 v3, 0x7fc0
	v_bfe_u32 v6, v2, 16, 1
	v_cmp_o_f32_e32 vcc, v2, v2
	v_add3_u32 v2, v2, v6, s0
	v_cndmask_b32_sdwa v2, v3, v2, vcc dst_sel:DWORD dst_unused:UNUSED_PAD src0_sel:DWORD src1_sel:WORD_1
	global_store_short v[4:5], v2, off
	s_mov_b64 s[0:1], 0
.LBB126_1969:
	s_mov_b64 s[4:5], 0
.LBB126_1970:
	s_and_b64 vcc, exec, s[4:5]
	s_cbranch_vccz .LBB126_1972
; %bb.1971:
	s_cmp_lg_u32 s12, 11
	s_mov_b64 s[2:3], -1
	s_cselect_b64 s[0:1], -1, 0
.LBB126_1972:
	s_and_b64 vcc, exec, s[0:1]
	s_cbranch_vccnz .LBB126_2038
.LBB126_1973:
	s_mov_b64 s[0:1], 0
	s_branch .LBB126_1975
.LBB126_1974:
	s_mov_b64 s[0:1], 0
	s_mov_b64 s[2:3], 0
                                        ; implicit-def: $sgpr24
                                        ; implicit-def: $vgpr4_vgpr5
                                        ; implicit-def: $vgpr0_vgpr1
.LBB126_1975:
	s_and_b64 s[4:5], s[2:3], exec
	s_andn2_b64 s[2:3], s[20:21], exec
	s_and_b64 s[8:9], s[22:23], exec
	s_and_b64 s[0:1], s[0:1], exec
	s_or_b64 s[20:21], s[2:3], s[8:9]
.LBB126_1976:
	s_or_b64 exec, exec, s[6:7]
	s_and_saveexec_b64 s[2:3], s[20:21]
	s_cbranch_execz .LBB126_1979
; %bb.1977:
	; divergent unreachable
	s_or_b64 exec, exec, s[2:3]
	s_and_saveexec_b64 s[2:3], s[4:5]
	s_xor_b64 s[2:3], exec, s[2:3]
	s_cbranch_execnz .LBB126_1980
.LBB126_1978:
	s_or_b64 exec, exec, s[2:3]
	s_and_saveexec_b64 s[2:3], s[0:1]
	s_cbranch_execnz .LBB126_1981
	s_branch .LBB126_2018
.LBB126_1979:
	s_or_b64 exec, exec, s[2:3]
	s_and_saveexec_b64 s[2:3], s[4:5]
	s_xor_b64 s[2:3], exec, s[2:3]
	s_cbranch_execz .LBB126_1978
.LBB126_1980:
	s_waitcnt vmcnt(0)
	v_cmp_neq_f64_e32 vcc, 0, v[0:1]
	v_cndmask_b32_e64 v2, 0, 1, vcc
	global_store_byte v[4:5], v2, off
	s_or_b64 exec, exec, s[2:3]
	s_and_saveexec_b64 s[2:3], s[0:1]
	s_cbranch_execz .LBB126_2018
.LBB126_1981:
	s_sext_i32_i16 s2, s24
	s_cmp_lt_i32 s2, 5
	s_mov_b64 s[0:1], -1
	s_cbranch_scc1 .LBB126_2002
; %bb.1982:
	s_cmp_lt_i32 s2, 8
	s_cbranch_scc1 .LBB126_1992
; %bb.1983:
	s_cmp_lt_i32 s2, 9
	s_cbranch_scc1 .LBB126_1989
; %bb.1984:
	s_cmp_gt_i32 s2, 9
	s_cbranch_scc0 .LBB126_1986
; %bb.1985:
	s_waitcnt vmcnt(0)
	v_mov_b32_e32 v2, 0
	v_mov_b32_e32 v3, v2
	global_store_dwordx4 v[4:5], v[0:3], off
	s_mov_b64 s[0:1], 0
.LBB126_1986:
	s_andn2_b64 vcc, exec, s[0:1]
	s_cbranch_vccnz .LBB126_1988
; %bb.1987:
	s_waitcnt vmcnt(0)
	v_cvt_f32_f64_e32 v2, v[0:1]
	v_mov_b32_e32 v3, 0
	global_store_dwordx2 v[4:5], v[2:3], off
.LBB126_1988:
	s_mov_b64 s[0:1], 0
.LBB126_1989:
	s_andn2_b64 vcc, exec, s[0:1]
	s_cbranch_vccnz .LBB126_1991
; %bb.1990:
	s_movk_i32 s0, 0x1ff
	s_waitcnt vmcnt(0)
	v_and_or_b32 v2, v1, s0, v0
	v_cmp_ne_u32_e32 vcc, 0, v2
	v_cndmask_b32_e64 v2, 0, 1, vcc
	v_lshrrev_b32_e32 v3, 8, v1
	s_movk_i32 s0, 0xffe
	v_bfe_u32 v6, v1, 20, 11
	v_and_or_b32 v2, v3, s0, v2
	v_sub_u32_e32 v7, 0x3f1, v6
	v_or_b32_e32 v3, 0x1000, v2
	v_med3_i32 v7, v7, 0, 13
	v_lshrrev_b32_e32 v8, v7, v3
	v_lshlrev_b32_e32 v7, v7, v8
	v_cmp_ne_u32_e32 vcc, v7, v3
	v_cndmask_b32_e64 v3, 0, 1, vcc
	v_add_u32_e32 v6, 0xfffffc10, v6
	v_or_b32_e32 v3, v8, v3
	v_lshl_or_b32 v7, v6, 12, v2
	v_cmp_gt_i32_e32 vcc, 1, v6
	v_cndmask_b32_e32 v3, v7, v3, vcc
	v_and_b32_e32 v7, 7, v3
	v_cmp_lt_i32_e32 vcc, 5, v7
	v_cndmask_b32_e64 v8, 0, 1, vcc
	v_cmp_eq_u32_e32 vcc, 3, v7
	v_cndmask_b32_e64 v7, 0, 1, vcc
	v_or_b32_e32 v7, v7, v8
	v_lshrrev_b32_e32 v3, 2, v3
	v_add_u32_e32 v3, v3, v7
	v_mov_b32_e32 v7, 0x7c00
	v_cmp_gt_i32_e32 vcc, 31, v6
	v_cndmask_b32_e32 v3, v7, v3, vcc
	v_mov_b32_e32 v8, 0x7e00
	v_cmp_ne_u32_e32 vcc, 0, v2
	s_movk_i32 s0, 0x40f
	v_cndmask_b32_e32 v2, v7, v8, vcc
	v_cmp_eq_u32_e32 vcc, s0, v6
	v_cndmask_b32_e32 v2, v3, v2, vcc
	v_lshrrev_b32_e32 v3, 16, v1
	s_mov_b32 s0, 0x8000
	v_and_or_b32 v2, v3, s0, v2
	v_and_b32_e32 v2, 0xffff, v2
	global_store_dword v[4:5], v2, off
.LBB126_1991:
	s_mov_b64 s[0:1], 0
.LBB126_1992:
	s_andn2_b64 vcc, exec, s[0:1]
	s_cbranch_vccnz .LBB126_2001
; %bb.1993:
	s_sext_i32_i16 s2, s24
	s_cmp_lt_i32 s2, 6
	s_mov_b64 s[0:1], -1
	s_cbranch_scc1 .LBB126_1999
; %bb.1994:
	s_cmp_gt_i32 s2, 6
	s_cbranch_scc0 .LBB126_1996
; %bb.1995:
	s_waitcnt vmcnt(0)
	global_store_dwordx2 v[4:5], v[0:1], off
	s_mov_b64 s[0:1], 0
.LBB126_1996:
	s_andn2_b64 vcc, exec, s[0:1]
	s_cbranch_vccnz .LBB126_1998
; %bb.1997:
	s_waitcnt vmcnt(0)
	v_cvt_f32_f64_e32 v2, v[0:1]
	global_store_dword v[4:5], v2, off
.LBB126_1998:
	s_mov_b64 s[0:1], 0
.LBB126_1999:
	s_andn2_b64 vcc, exec, s[0:1]
	s_cbranch_vccnz .LBB126_2001
; %bb.2000:
	s_movk_i32 s0, 0x1ff
	s_waitcnt vmcnt(0)
	v_and_or_b32 v2, v1, s0, v0
	v_cmp_ne_u32_e32 vcc, 0, v2
	v_cndmask_b32_e64 v2, 0, 1, vcc
	v_lshrrev_b32_e32 v3, 8, v1
	s_movk_i32 s0, 0xffe
	v_bfe_u32 v6, v1, 20, 11
	v_and_or_b32 v2, v3, s0, v2
	v_sub_u32_e32 v7, 0x3f1, v6
	v_or_b32_e32 v3, 0x1000, v2
	v_med3_i32 v7, v7, 0, 13
	v_lshrrev_b32_e32 v8, v7, v3
	v_lshlrev_b32_e32 v7, v7, v8
	v_cmp_ne_u32_e32 vcc, v7, v3
	v_cndmask_b32_e64 v3, 0, 1, vcc
	v_add_u32_e32 v6, 0xfffffc10, v6
	v_or_b32_e32 v3, v8, v3
	v_lshl_or_b32 v7, v6, 12, v2
	v_cmp_gt_i32_e32 vcc, 1, v6
	v_cndmask_b32_e32 v3, v7, v3, vcc
	v_and_b32_e32 v7, 7, v3
	v_cmp_lt_i32_e32 vcc, 5, v7
	v_cndmask_b32_e64 v8, 0, 1, vcc
	v_cmp_eq_u32_e32 vcc, 3, v7
	v_cndmask_b32_e64 v7, 0, 1, vcc
	v_or_b32_e32 v7, v7, v8
	v_lshrrev_b32_e32 v3, 2, v3
	v_add_u32_e32 v3, v3, v7
	v_mov_b32_e32 v7, 0x7c00
	v_cmp_gt_i32_e32 vcc, 31, v6
	v_cndmask_b32_e32 v3, v7, v3, vcc
	v_mov_b32_e32 v8, 0x7e00
	v_cmp_ne_u32_e32 vcc, 0, v2
	s_movk_i32 s0, 0x40f
	v_cndmask_b32_e32 v2, v7, v8, vcc
	v_cmp_eq_u32_e32 vcc, s0, v6
	v_cndmask_b32_e32 v2, v3, v2, vcc
	v_lshrrev_b32_e32 v3, 16, v1
	s_mov_b32 s0, 0x8000
	v_and_or_b32 v2, v3, s0, v2
	global_store_short v[4:5], v2, off
.LBB126_2001:
	s_mov_b64 s[0:1], 0
.LBB126_2002:
	s_andn2_b64 vcc, exec, s[0:1]
	s_cbranch_vccnz .LBB126_2018
; %bb.2003:
	s_sext_i32_i16 s2, s24
	s_cmp_lt_i32 s2, 2
	s_mov_b64 s[0:1], -1
	s_cbranch_scc1 .LBB126_2013
; %bb.2004:
	s_cmp_lt_i32 s2, 3
	s_cbranch_scc1 .LBB126_2010
; %bb.2005:
	s_cmp_gt_i32 s2, 3
	s_cbranch_scc0 .LBB126_2007
; %bb.2006:
	s_waitcnt vmcnt(0)
	v_trunc_f64_e32 v[2:3], v[0:1]
	s_movk_i32 s0, 0xffe0
	v_ldexp_f64 v[6:7], v[2:3], s0
	s_mov_b32 s0, 0
	s_mov_b32 s1, 0xc1f00000
	v_floor_f64_e32 v[6:7], v[6:7]
	v_fma_f64 v[2:3], v[6:7], s[0:1], v[2:3]
	v_cvt_i32_f64_e32 v7, v[6:7]
	s_mov_b64 s[0:1], 0
	v_cvt_u32_f64_e32 v6, v[2:3]
	global_store_dwordx2 v[4:5], v[6:7], off
.LBB126_2007:
	s_andn2_b64 vcc, exec, s[0:1]
	s_cbranch_vccnz .LBB126_2009
; %bb.2008:
	s_waitcnt vmcnt(0)
	v_cvt_i32_f64_e32 v2, v[0:1]
	global_store_dword v[4:5], v2, off
.LBB126_2009:
	s_mov_b64 s[0:1], 0
.LBB126_2010:
	s_andn2_b64 vcc, exec, s[0:1]
	s_cbranch_vccnz .LBB126_2012
; %bb.2011:
	s_waitcnt vmcnt(0)
	v_cvt_i32_f64_e32 v2, v[0:1]
	global_store_short v[4:5], v2, off
.LBB126_2012:
	s_mov_b64 s[0:1], 0
.LBB126_2013:
	s_andn2_b64 vcc, exec, s[0:1]
	s_cbranch_vccnz .LBB126_2018
; %bb.2014:
	s_sext_i32_i16 s0, s24
	s_cmp_gt_i32 s0, 0
	s_mov_b64 s[0:1], -1
	s_cbranch_scc0 .LBB126_2016
; %bb.2015:
	s_waitcnt vmcnt(0)
	v_cvt_i32_f64_e32 v2, v[0:1]
	s_mov_b64 s[0:1], 0
	global_store_byte v[4:5], v2, off
.LBB126_2016:
	s_andn2_b64 vcc, exec, s[0:1]
	s_cbranch_vccnz .LBB126_2018
; %bb.2017:
	s_waitcnt vmcnt(0)
	v_trunc_f64_e32 v[0:1], v[0:1]
	s_movk_i32 s0, 0xffe0
	v_ldexp_f64 v[2:3], v[0:1], s0
	s_mov_b32 s0, 0
	s_mov_b32 s1, 0xc1f00000
	v_floor_f64_e32 v[2:3], v[2:3]
	v_fma_f64 v[0:1], v[2:3], s[0:1], v[0:1]
	v_cvt_u32_f64_e32 v0, v[0:1]
	global_store_byte v[4:5], v0, off
	s_endpgm
.LBB126_2018:
	s_endpgm
.LBB126_2019:
	s_mov_b64 s[2:3], 0
	s_mov_b64 s[0:1], -1
	s_branch .LBB126_1975
.LBB126_2020:
	s_trap 2
	s_or_b64 s[22:23], s[22:23], exec
	s_cbranch_execz .LBB126_1489
	s_branch .LBB126_1490
.LBB126_2021:
	s_andn2_saveexec_b64 s[18:19], s[18:19]
	s_cbranch_execz .LBB126_1569
.LBB126_2022:
	s_mov_b32 s25, 0x46000000
	v_add_f32_e64 v3, |v2|, s25
	v_and_b32_e32 v3, 0xff, v3
	v_cmp_ne_u32_e32 vcc, 0, v3
	s_andn2_b64 s[12:13], s[12:13], exec
	s_and_b64 s[26:27], vcc, exec
	s_or_b64 s[12:13], s[12:13], s[26:27]
	s_or_b64 exec, exec, s[18:19]
	v_mov_b32_e32 v13, 0
	s_and_saveexec_b64 s[18:19], s[12:13]
	s_cbranch_execnz .LBB126_1570
	s_branch .LBB126_1571
.LBB126_2023:
	s_trap 2
	s_or_b64 s[22:23], s[22:23], exec
	s_cbranch_execz .LBB126_1617
	s_branch .LBB126_1618
.LBB126_2024:
	s_andn2_saveexec_b64 s[12:13], s[12:13]
	s_cbranch_execz .LBB126_1582
.LBB126_2025:
	s_mov_b32 s18, 0x42800000
	v_add_f32_e64 v3, |v2|, s18
	v_and_b32_e32 v3, 0xff, v3
	v_cmp_ne_u32_e32 vcc, 0, v3
	s_andn2_b64 s[10:11], s[10:11], exec
	s_and_b64 s[18:19], vcc, exec
	s_or_b64 s[10:11], s[10:11], s[18:19]
	s_or_b64 exec, exec, s[12:13]
	v_mov_b32_e32 v13, 0
	s_and_saveexec_b64 s[12:13], s[10:11]
	s_cbranch_execnz .LBB126_1583
	s_branch .LBB126_1584
.LBB126_2026:
	s_andn2_saveexec_b64 s[16:17], s[16:17]
	s_cbranch_execz .LBB126_1688
.LBB126_2027:
	s_mov_b32 s25, 0x46000000
	v_add_f32_e64 v3, |v2|, s25
	v_and_b32_e32 v3, 0xff, v3
	v_cmp_ne_u32_e32 vcc, 0, v3
	s_andn2_b64 s[12:13], s[12:13], exec
	s_and_b64 s[26:27], vcc, exec
	s_or_b64 s[12:13], s[12:13], s[26:27]
	s_or_b64 exec, exec, s[16:17]
	v_mov_b32_e32 v11, 0
	s_and_saveexec_b64 s[16:17], s[12:13]
	s_cbranch_execnz .LBB126_1689
	s_branch .LBB126_1690
.LBB126_2028:
	s_trap 2
	s_or_b64 s[22:23], s[22:23], exec
	s_cbranch_execz .LBB126_1736
	s_branch .LBB126_1737
.LBB126_2029:
	s_andn2_saveexec_b64 s[12:13], s[12:13]
	s_cbranch_execz .LBB126_1701
.LBB126_2030:
	s_mov_b32 s16, 0x42800000
	v_add_f32_e64 v3, |v2|, s16
	v_and_b32_e32 v3, 0xff, v3
	v_cmp_ne_u32_e32 vcc, 0, v3
	s_andn2_b64 s[10:11], s[10:11], exec
	s_and_b64 s[16:17], vcc, exec
	s_or_b64 s[10:11], s[10:11], s[16:17]
	s_or_b64 exec, exec, s[12:13]
	v_mov_b32_e32 v11, 0
	s_and_saveexec_b64 s[12:13], s[10:11]
	s_cbranch_execnz .LBB126_1702
	s_branch .LBB126_1703
.LBB126_2031:
	s_andn2_saveexec_b64 s[16:17], s[16:17]
	s_cbranch_execz .LBB126_1807
.LBB126_2032:
	s_mov_b32 s25, 0x46000000
	v_add_f32_e64 v3, |v2|, s25
	v_and_b32_e32 v3, 0xff, v3
	v_cmp_ne_u32_e32 vcc, 0, v3
	s_andn2_b64 s[12:13], s[12:13], exec
	s_and_b64 s[26:27], vcc, exec
	s_or_b64 s[12:13], s[12:13], s[26:27]
	s_or_b64 exec, exec, s[16:17]
	v_mov_b32_e32 v9, 0
	s_and_saveexec_b64 s[16:17], s[12:13]
	s_cbranch_execnz .LBB126_1808
	s_branch .LBB126_1809
.LBB126_2033:
	s_trap 2
	s_or_b64 s[22:23], s[22:23], exec
	s_cbranch_execz .LBB126_1855
	s_branch .LBB126_1856
.LBB126_2034:
	s_andn2_saveexec_b64 s[12:13], s[12:13]
	s_cbranch_execz .LBB126_1820
.LBB126_2035:
	s_mov_b32 s16, 0x42800000
	v_add_f32_e64 v3, |v2|, s16
	v_and_b32_e32 v3, 0xff, v3
	v_cmp_ne_u32_e32 vcc, 0, v3
	s_andn2_b64 s[10:11], s[10:11], exec
	s_and_b64 s[16:17], vcc, exec
	s_or_b64 s[10:11], s[10:11], s[16:17]
	s_or_b64 exec, exec, s[12:13]
	v_mov_b32_e32 v9, 0
	s_and_saveexec_b64 s[12:13], s[10:11]
	s_cbranch_execnz .LBB126_1821
	s_branch .LBB126_1822
.LBB126_2036:
	s_andn2_saveexec_b64 s[10:11], s[10:11]
	s_cbranch_execz .LBB126_1927
.LBB126_2037:
	s_mov_b32 s13, 0x46000000
	v_add_f32_e64 v3, |v2|, s13
	v_and_b32_e32 v3, 0xff, v3
	v_cmp_ne_u32_e32 vcc, 0, v3
	s_andn2_b64 s[8:9], s[8:9], exec
	s_and_b64 s[14:15], vcc, exec
	s_or_b64 s[8:9], s[8:9], s[14:15]
	s_or_b64 exec, exec, s[10:11]
	v_mov_b32_e32 v6, 0
	s_and_saveexec_b64 s[10:11], s[8:9]
	s_cbranch_execnz .LBB126_1928
	s_branch .LBB126_1929
.LBB126_2038:
	s_mov_b64 s[2:3], 0
	s_or_b64 s[22:23], s[22:23], exec
	s_trap 2
	s_branch .LBB126_1973
.LBB126_2039:
	s_andn2_saveexec_b64 s[8:9], s[8:9]
	s_cbranch_execz .LBB126_1939
.LBB126_2040:
	s_mov_b32 s10, 0x42800000
	v_add_f32_e64 v3, |v2|, s10
	v_and_b32_e32 v3, 0xff, v3
	v_cmp_ne_u32_e32 vcc, 0, v3
	s_andn2_b64 s[4:5], s[4:5], exec
	s_and_b64 s[10:11], vcc, exec
	s_or_b64 s[4:5], s[4:5], s[10:11]
	s_or_b64 exec, exec, s[8:9]
	v_mov_b32_e32 v6, 0
	s_and_saveexec_b64 s[8:9], s[4:5]
	s_cbranch_execnz .LBB126_1940
	s_branch .LBB126_1941
	.section	.rodata,"a",@progbits
	.p2align	6, 0x0
	.amdhsa_kernel _ZN2at6native32elementwise_kernel_manual_unrollILi128ELi4EZNS0_15gpu_kernel_implINS0_13AUnaryFunctorIdddZNS0_12_GLOBAL__N_121threshold_kernel_implIdEEvRNS_18TensorIteratorBaseET_S8_EUlddE_EEEEvS7_RKS8_EUlibE_EEviT1_
		.amdhsa_group_segment_fixed_size 0
		.amdhsa_private_segment_fixed_size 0
		.amdhsa_kernarg_size 64
		.amdhsa_user_sgpr_count 6
		.amdhsa_user_sgpr_private_segment_buffer 1
		.amdhsa_user_sgpr_dispatch_ptr 0
		.amdhsa_user_sgpr_queue_ptr 0
		.amdhsa_user_sgpr_kernarg_segment_ptr 1
		.amdhsa_user_sgpr_dispatch_id 0
		.amdhsa_user_sgpr_flat_scratch_init 0
		.amdhsa_user_sgpr_private_segment_size 0
		.amdhsa_uses_dynamic_stack 0
		.amdhsa_system_sgpr_private_segment_wavefront_offset 0
		.amdhsa_system_sgpr_workgroup_id_x 1
		.amdhsa_system_sgpr_workgroup_id_y 0
		.amdhsa_system_sgpr_workgroup_id_z 0
		.amdhsa_system_sgpr_workgroup_info 0
		.amdhsa_system_vgpr_workitem_id 0
		.amdhsa_next_free_vgpr 16
		.amdhsa_next_free_sgpr 52
		.amdhsa_reserve_vcc 1
		.amdhsa_reserve_flat_scratch 0
		.amdhsa_float_round_mode_32 0
		.amdhsa_float_round_mode_16_64 0
		.amdhsa_float_denorm_mode_32 3
		.amdhsa_float_denorm_mode_16_64 3
		.amdhsa_dx10_clamp 1
		.amdhsa_ieee_mode 1
		.amdhsa_fp16_overflow 0
		.amdhsa_exception_fp_ieee_invalid_op 0
		.amdhsa_exception_fp_denorm_src 0
		.amdhsa_exception_fp_ieee_div_zero 0
		.amdhsa_exception_fp_ieee_overflow 0
		.amdhsa_exception_fp_ieee_underflow 0
		.amdhsa_exception_fp_ieee_inexact 0
		.amdhsa_exception_int_div_zero 0
	.end_amdhsa_kernel
	.section	.text._ZN2at6native32elementwise_kernel_manual_unrollILi128ELi4EZNS0_15gpu_kernel_implINS0_13AUnaryFunctorIdddZNS0_12_GLOBAL__N_121threshold_kernel_implIdEEvRNS_18TensorIteratorBaseET_S8_EUlddE_EEEEvS7_RKS8_EUlibE_EEviT1_,"axG",@progbits,_ZN2at6native32elementwise_kernel_manual_unrollILi128ELi4EZNS0_15gpu_kernel_implINS0_13AUnaryFunctorIdddZNS0_12_GLOBAL__N_121threshold_kernel_implIdEEvRNS_18TensorIteratorBaseET_S8_EUlddE_EEEEvS7_RKS8_EUlibE_EEviT1_,comdat
.Lfunc_end126:
	.size	_ZN2at6native32elementwise_kernel_manual_unrollILi128ELi4EZNS0_15gpu_kernel_implINS0_13AUnaryFunctorIdddZNS0_12_GLOBAL__N_121threshold_kernel_implIdEEvRNS_18TensorIteratorBaseET_S8_EUlddE_EEEEvS7_RKS8_EUlibE_EEviT1_, .Lfunc_end126-_ZN2at6native32elementwise_kernel_manual_unrollILi128ELi4EZNS0_15gpu_kernel_implINS0_13AUnaryFunctorIdddZNS0_12_GLOBAL__N_121threshold_kernel_implIdEEvRNS_18TensorIteratorBaseET_S8_EUlddE_EEEEvS7_RKS8_EUlibE_EEviT1_
                                        ; -- End function
	.set _ZN2at6native32elementwise_kernel_manual_unrollILi128ELi4EZNS0_15gpu_kernel_implINS0_13AUnaryFunctorIdddZNS0_12_GLOBAL__N_121threshold_kernel_implIdEEvRNS_18TensorIteratorBaseET_S8_EUlddE_EEEEvS7_RKS8_EUlibE_EEviT1_.num_vgpr, 16
	.set _ZN2at6native32elementwise_kernel_manual_unrollILi128ELi4EZNS0_15gpu_kernel_implINS0_13AUnaryFunctorIdddZNS0_12_GLOBAL__N_121threshold_kernel_implIdEEvRNS_18TensorIteratorBaseET_S8_EUlddE_EEEEvS7_RKS8_EUlibE_EEviT1_.num_agpr, 0
	.set _ZN2at6native32elementwise_kernel_manual_unrollILi128ELi4EZNS0_15gpu_kernel_implINS0_13AUnaryFunctorIdddZNS0_12_GLOBAL__N_121threshold_kernel_implIdEEvRNS_18TensorIteratorBaseET_S8_EUlddE_EEEEvS7_RKS8_EUlibE_EEviT1_.numbered_sgpr, 52
	.set _ZN2at6native32elementwise_kernel_manual_unrollILi128ELi4EZNS0_15gpu_kernel_implINS0_13AUnaryFunctorIdddZNS0_12_GLOBAL__N_121threshold_kernel_implIdEEvRNS_18TensorIteratorBaseET_S8_EUlddE_EEEEvS7_RKS8_EUlibE_EEviT1_.num_named_barrier, 0
	.set _ZN2at6native32elementwise_kernel_manual_unrollILi128ELi4EZNS0_15gpu_kernel_implINS0_13AUnaryFunctorIdddZNS0_12_GLOBAL__N_121threshold_kernel_implIdEEvRNS_18TensorIteratorBaseET_S8_EUlddE_EEEEvS7_RKS8_EUlibE_EEviT1_.private_seg_size, 0
	.set _ZN2at6native32elementwise_kernel_manual_unrollILi128ELi4EZNS0_15gpu_kernel_implINS0_13AUnaryFunctorIdddZNS0_12_GLOBAL__N_121threshold_kernel_implIdEEvRNS_18TensorIteratorBaseET_S8_EUlddE_EEEEvS7_RKS8_EUlibE_EEviT1_.uses_vcc, 1
	.set _ZN2at6native32elementwise_kernel_manual_unrollILi128ELi4EZNS0_15gpu_kernel_implINS0_13AUnaryFunctorIdddZNS0_12_GLOBAL__N_121threshold_kernel_implIdEEvRNS_18TensorIteratorBaseET_S8_EUlddE_EEEEvS7_RKS8_EUlibE_EEviT1_.uses_flat_scratch, 0
	.set _ZN2at6native32elementwise_kernel_manual_unrollILi128ELi4EZNS0_15gpu_kernel_implINS0_13AUnaryFunctorIdddZNS0_12_GLOBAL__N_121threshold_kernel_implIdEEvRNS_18TensorIteratorBaseET_S8_EUlddE_EEEEvS7_RKS8_EUlibE_EEviT1_.has_dyn_sized_stack, 0
	.set _ZN2at6native32elementwise_kernel_manual_unrollILi128ELi4EZNS0_15gpu_kernel_implINS0_13AUnaryFunctorIdddZNS0_12_GLOBAL__N_121threshold_kernel_implIdEEvRNS_18TensorIteratorBaseET_S8_EUlddE_EEEEvS7_RKS8_EUlibE_EEviT1_.has_recursion, 0
	.set _ZN2at6native32elementwise_kernel_manual_unrollILi128ELi4EZNS0_15gpu_kernel_implINS0_13AUnaryFunctorIdddZNS0_12_GLOBAL__N_121threshold_kernel_implIdEEvRNS_18TensorIteratorBaseET_S8_EUlddE_EEEEvS7_RKS8_EUlibE_EEviT1_.has_indirect_call, 0
	.section	.AMDGPU.csdata,"",@progbits
; Kernel info:
; codeLenInByte = 35596
; TotalNumSgprs: 56
; NumVgprs: 16
; ScratchSize: 0
; MemoryBound: 1
; FloatMode: 240
; IeeeMode: 1
; LDSByteSize: 0 bytes/workgroup (compile time only)
; SGPRBlocks: 6
; VGPRBlocks: 3
; NumSGPRsForWavesPerEU: 56
; NumVGPRsForWavesPerEU: 16
; Occupancy: 10
; WaveLimiterHint : 0
; COMPUTE_PGM_RSRC2:SCRATCH_EN: 0
; COMPUTE_PGM_RSRC2:USER_SGPR: 6
; COMPUTE_PGM_RSRC2:TRAP_HANDLER: 0
; COMPUTE_PGM_RSRC2:TGID_X_EN: 1
; COMPUTE_PGM_RSRC2:TGID_Y_EN: 0
; COMPUTE_PGM_RSRC2:TGID_Z_EN: 0
; COMPUTE_PGM_RSRC2:TIDIG_COMP_CNT: 0
	.section	.text._ZN2at6native32elementwise_kernel_manual_unrollILi128ELi4EZNS0_15gpu_kernel_implINS0_13AUnaryFunctorIdddZNS0_12_GLOBAL__N_121threshold_kernel_implIdEEvRNS_18TensorIteratorBaseET_S8_EUlddE_EEEEvS7_RKS8_EUlibE0_EEviT1_,"axG",@progbits,_ZN2at6native32elementwise_kernel_manual_unrollILi128ELi4EZNS0_15gpu_kernel_implINS0_13AUnaryFunctorIdddZNS0_12_GLOBAL__N_121threshold_kernel_implIdEEvRNS_18TensorIteratorBaseET_S8_EUlddE_EEEEvS7_RKS8_EUlibE0_EEviT1_,comdat
	.globl	_ZN2at6native32elementwise_kernel_manual_unrollILi128ELi4EZNS0_15gpu_kernel_implINS0_13AUnaryFunctorIdddZNS0_12_GLOBAL__N_121threshold_kernel_implIdEEvRNS_18TensorIteratorBaseET_S8_EUlddE_EEEEvS7_RKS8_EUlibE0_EEviT1_ ; -- Begin function _ZN2at6native32elementwise_kernel_manual_unrollILi128ELi4EZNS0_15gpu_kernel_implINS0_13AUnaryFunctorIdddZNS0_12_GLOBAL__N_121threshold_kernel_implIdEEvRNS_18TensorIteratorBaseET_S8_EUlddE_EEEEvS7_RKS8_EUlibE0_EEviT1_
	.p2align	8
	.type	_ZN2at6native32elementwise_kernel_manual_unrollILi128ELi4EZNS0_15gpu_kernel_implINS0_13AUnaryFunctorIdddZNS0_12_GLOBAL__N_121threshold_kernel_implIdEEvRNS_18TensorIteratorBaseET_S8_EUlddE_EEEEvS7_RKS8_EUlibE0_EEviT1_,@function
_ZN2at6native32elementwise_kernel_manual_unrollILi128ELi4EZNS0_15gpu_kernel_implINS0_13AUnaryFunctorIdddZNS0_12_GLOBAL__N_121threshold_kernel_implIdEEvRNS_18TensorIteratorBaseET_S8_EUlddE_EEEEvS7_RKS8_EUlibE0_EEviT1_: ; @_ZN2at6native32elementwise_kernel_manual_unrollILi128ELi4EZNS0_15gpu_kernel_implINS0_13AUnaryFunctorIdddZNS0_12_GLOBAL__N_121threshold_kernel_implIdEEvRNS_18TensorIteratorBaseET_S8_EUlddE_EEEEvS7_RKS8_EUlibE0_EEviT1_
; %bb.0:
	s_load_dword s74, s[4:5], 0x0
	s_load_dword s33, s[4:5], 0x8
	s_add_u32 s34, s4, 8
	s_addc_u32 s35, s5, 0
	v_lshl_or_b32 v10, s6, 9, v0
	v_or_b32_e32 v13, 0x180, v10
	s_waitcnt lgkmcnt(0)
	s_add_i32 s76, s33, -1
	s_cmp_gt_u32 s76, 1
	v_cmp_le_i32_e32 vcc, s74, v13
	s_cselect_b64 s[48:49], -1, 0
	s_mov_b64 s[6:7], 0
	s_mov_b64 s[28:29], 0
	s_and_saveexec_b64 s[0:1], vcc
	s_xor_b64 s[50:51], exec, s[0:1]
	s_cbranch_execz .LBB127_1086
; %bb.1:
	s_load_dwordx4 s[36:39], s[34:35], 0x4
	s_load_dwordx2 s[52:53], s[34:35], 0x14
	s_load_dwordx8 s[8:15], s[34:35], 0x148
	s_load_dwordx4 s[40:43], s[34:35], 0xc4
	s_load_dwordx2 s[0:1], s[34:35], 0x168
	s_load_dword s77, s[34:35], 0x170
	s_cmp_lg_u32 s33, 0
	s_waitcnt lgkmcnt(0)
	v_mov_b32_e32 v0, s12
	v_mov_b32_e32 v1, s13
	v_cmp_nle_f64_e64 s[0:1], s[0:1], v[0:1]
	s_cselect_b64 s[56:57], -1, 0
	s_add_u32 s54, s34, 0xc4
	s_addc_u32 s55, s35, 0
	s_min_u32 s79, s76, 15
	s_cmp_gt_u32 s33, 1
	s_cselect_b64 s[12:13], -1, 0
	s_bfe_u32 s78, s77, 0x80008
	v_cmp_gt_i32_e32 vcc, s74, v10
	s_mov_b64 s[2:3], -1
	s_mov_b64 s[66:67], 0
	s_mov_b64 s[60:61], 0
	;; [unrolled: 1-line block ×3, first 2 shown]
	s_and_saveexec_b64 s[62:63], vcc
	s_cbranch_execz .LBB127_266
; %bb.2:
	s_andn2_b64 vcc, exec, s[48:49]
	s_cbranch_vccnz .LBB127_7
; %bb.3:
	s_andn2_b64 vcc, exec, s[56:57]
	s_cbranch_vccnz .LBB127_8
; %bb.4:
	s_add_i32 s61, s79, 1
	s_cmp_eq_u32 s76, 2
	s_cbranch_scc1 .LBB127_9
; %bb.5:
	s_and_b32 s60, s61, 28
	v_mov_b32_e32 v0, 0
	s_mov_b32 s64, 0
	s_mov_b64 s[2:3], s[34:35]
	s_mov_b64 s[58:59], s[54:55]
	v_mov_b32_e32 v2, 0
	v_mov_b32_e32 v1, v10
.LBB127_6:                              ; =>This Inner Loop Header: Depth=1
	s_load_dwordx8 s[24:31], s[2:3], 0x4
	s_load_dwordx4 s[44:47], s[2:3], 0x24
	s_load_dwordx8 s[16:23], s[58:59], 0x0
	s_add_u32 s2, s2, 48
	s_addc_u32 s3, s3, 0
	s_waitcnt lgkmcnt(0)
	v_mul_hi_u32 v3, s25, v1
	s_add_i32 s64, s64, 4
	s_add_u32 s58, s58, 32
	s_addc_u32 s59, s59, 0
	v_add_u32_e32 v3, v1, v3
	v_lshrrev_b32_e32 v3, s26, v3
	v_mul_lo_u32 v4, v3, s24
	v_mul_hi_u32 v5, s28, v3
	s_cmp_lg_u32 s60, s64
	v_sub_u32_e32 v1, v1, v4
	v_add_u32_e32 v4, v3, v5
	v_mul_lo_u32 v5, v1, s16
	v_mul_lo_u32 v6, v1, s17
	v_lshrrev_b32_e32 v1, s29, v4
	v_mul_lo_u32 v4, v1, s27
	v_mul_hi_u32 v7, s31, v1
	v_sub_u32_e32 v3, v3, v4
	v_add_u32_e32 v4, v1, v7
	v_lshrrev_b32_e32 v4, s44, v4
	v_mul_hi_u32 v8, s46, v4
	v_mul_lo_u32 v9, v4, s30
	v_mul_lo_u32 v7, v3, s18
	;; [unrolled: 1-line block ×3, first 2 shown]
	v_sub_u32_e32 v9, v1, v9
	v_add_u32_e32 v1, v4, v8
	v_lshrrev_b32_e32 v1, s47, v1
	v_mul_lo_u32 v8, v1, s45
	v_mul_lo_u32 v11, v9, s20
	;; [unrolled: 1-line block ×3, first 2 shown]
	v_add3_u32 v2, v5, v2, v7
	v_sub_u32_e32 v4, v4, v8
	v_mul_lo_u32 v8, v4, s22
	v_mul_lo_u32 v4, v4, s23
	v_add3_u32 v0, v6, v0, v3
	v_add3_u32 v2, v11, v2, v8
	;; [unrolled: 1-line block ×3, first 2 shown]
	s_cbranch_scc1 .LBB127_6
	s_branch .LBB127_10
.LBB127_7:
                                        ; implicit-def: $vgpr2
                                        ; implicit-def: $vgpr0
	s_andn2_b64 vcc, exec, s[2:3]
	s_cbranch_vccz .LBB127_14
	s_branch .LBB127_16
.LBB127_8:
	v_mov_b32_e32 v2, 0
	v_mov_b32_e32 v0, 0
	s_branch .LBB127_13
.LBB127_9:
	s_mov_b32 s60, 0
	v_mov_b32_e32 v2, 0
	v_mov_b32_e32 v0, 0
	;; [unrolled: 1-line block ×3, first 2 shown]
.LBB127_10:
	s_and_b32 s18, s61, 3
	s_cmp_eq_u32 s18, 0
	s_cbranch_scc1 .LBB127_13
; %bb.11:
	s_lshl_b32 s2, s60, 3
	s_add_u32 s2, s34, s2
	s_addc_u32 s3, s35, 0
	s_add_u32 s2, s2, 0xc4
	s_addc_u32 s3, s3, 0
	s_mul_i32 s16, s60, 12
	s_add_u32 s16, s34, s16
	s_addc_u32 s17, s35, 0
.LBB127_12:                             ; =>This Inner Loop Header: Depth=1
	s_load_dwordx2 s[20:21], s[16:17], 0x4
	s_load_dword s19, s[16:17], 0xc
	s_load_dwordx2 s[22:23], s[2:3], 0x0
	s_add_u32 s16, s16, 12
	s_addc_u32 s17, s17, 0
	s_waitcnt lgkmcnt(0)
	v_mul_hi_u32 v3, s21, v1
	s_add_u32 s2, s2, 8
	s_addc_u32 s3, s3, 0
	s_add_i32 s18, s18, -1
	v_add_u32_e32 v3, v1, v3
	v_lshrrev_b32_e32 v4, s19, v3
	v_mul_lo_u32 v3, v4, s20
	s_cmp_lg_u32 s18, 0
	v_sub_u32_e32 v1, v1, v3
	v_mad_u64_u32 v[2:3], s[20:21], v1, s22, v[2:3]
	v_mad_u64_u32 v[0:1], s[20:21], v1, s23, v[0:1]
	v_mov_b32_e32 v1, v4
	s_cbranch_scc1 .LBB127_12
.LBB127_13:
	s_cbranch_execnz .LBB127_16
.LBB127_14:
	v_mul_hi_u32 v0, s37, v10
	s_andn2_b64 vcc, exec, s[12:13]
	v_add_u32_e32 v0, v10, v0
	v_lshrrev_b32_e32 v1, s38, v0
	v_mul_lo_u32 v0, v1, s36
	v_sub_u32_e32 v0, v10, v0
	v_mul_lo_u32 v2, v0, s40
	v_mul_lo_u32 v0, v0, s41
	s_cbranch_vccnz .LBB127_16
; %bb.15:
	v_mul_hi_u32 v3, s52, v1
	v_add_u32_e32 v3, v1, v3
	v_lshrrev_b32_e32 v3, s53, v3
	v_mul_lo_u32 v3, v3, s39
	v_sub_u32_e32 v1, v1, v3
	v_mad_u64_u32 v[2:3], s[2:3], v1, s42, v[2:3]
	v_mad_u64_u32 v[0:1], s[2:3], v1, s43, v[0:1]
.LBB127_16:
	v_mov_b32_e32 v1, s11
	s_and_b32 s22, 0xffff, s78
	v_add_co_u32_e32 v0, vcc, s10, v0
	s_cmp_lt_i32 s22, 11
	v_addc_co_u32_e32 v1, vcc, 0, v1, vcc
	s_cbranch_scc1 .LBB127_23
; %bb.17:
	s_cmp_gt_i32 s22, 25
	s_cbranch_scc0 .LBB127_32
; %bb.18:
	s_cmp_gt_i32 s22, 28
	s_cbranch_scc0 .LBB127_35
	;; [unrolled: 3-line block ×4, first 2 shown]
; %bb.21:
	s_cmp_eq_u32 s22, 46
	s_mov_b64 s[18:19], 0
	s_cbranch_scc0 .LBB127_41
; %bb.22:
	global_load_dword v3, v[0:1], off
	s_mov_b64 s[2:3], -1
	s_mov_b64 s[16:17], 0
	s_waitcnt vmcnt(0)
	v_lshlrev_b32_e32 v3, 16, v3
	v_cvt_f64_f32_e32 v[3:4], v3
	s_branch .LBB127_43
.LBB127_23:
	s_mov_b64 s[16:17], 0
                                        ; implicit-def: $vgpr3_vgpr4
	s_mov_b64 s[2:3], 0
	s_cbranch_execnz .LBB127_216
.LBB127_24:
	s_andn2_b64 vcc, exec, s[2:3]
	s_cbranch_vccnz .LBB127_263
.LBB127_25:
	v_mov_b32_e32 v0, s15
	s_waitcnt vmcnt(0)
	v_cndmask_b32_e64 v1, v0, v4, s[0:1]
	v_mov_b32_e32 v0, s14
	v_cndmask_b32_e64 v0, v0, v3, s[0:1]
	v_mov_b32_e32 v3, s9
	s_and_b32 s24, s77, 0xff
	v_add_co_u32_e32 v4, vcc, s8, v2
	s_cmp_lt_i32 s24, 11
	v_addc_co_u32_e32 v5, vcc, 0, v3, vcc
	s_cbranch_scc1 .LBB127_33
; %bb.26:
	s_and_b32 s25, 0xffff, s24
	s_cmp_gt_i32 s25, 25
	s_cbranch_scc0 .LBB127_36
; %bb.27:
	s_cmp_gt_i32 s25, 28
	s_cbranch_scc0 .LBB127_38
; %bb.28:
	;; [unrolled: 3-line block ×4, first 2 shown]
	s_mov_b64 s[20:21], 0
	s_mov_b64 s[2:3], -1
	s_cmp_eq_u32 s25, 46
	s_mov_b64 s[18:19], 0
	s_cbranch_scc0 .LBB127_47
; %bb.31:
	v_cvt_f32_f64_e32 v2, v[0:1]
	s_movk_i32 s2, 0x7fff
	v_mov_b32_e32 v3, 0x7fc0
	s_mov_b64 s[18:19], -1
	v_bfe_u32 v6, v2, 16, 1
	v_cmp_o_f32_e32 vcc, v2, v2
	v_add3_u32 v2, v2, v6, s2
	v_cndmask_b32_sdwa v2, v3, v2, vcc dst_sel:DWORD dst_unused:UNUSED_PAD src0_sel:DWORD src1_sel:WORD_1
	global_store_dword v[4:5], v2, off
	s_mov_b64 s[2:3], 0
	s_branch .LBB127_47
.LBB127_32:
	s_mov_b64 s[16:17], 0
	s_mov_b64 s[2:3], 0
                                        ; implicit-def: $vgpr3_vgpr4
	s_cbranch_execnz .LBB127_183
	s_branch .LBB127_215
.LBB127_33:
	s_mov_b64 s[2:3], 0
	s_mov_b64 s[18:19], 0
	s_cbranch_execnz .LBB127_116
.LBB127_34:
	s_andn2_b64 vcc, exec, s[18:19]
	s_cbranch_vccnz .LBB127_264
	s_branch .LBB127_154
.LBB127_35:
	s_mov_b64 s[18:19], -1
	s_mov_b64 s[16:17], 0
	s_mov_b64 s[2:3], 0
                                        ; implicit-def: $vgpr3_vgpr4
	s_branch .LBB127_162
.LBB127_36:
	s_mov_b64 s[20:21], -1
	s_mov_b64 s[2:3], 0
	s_mov_b64 s[18:19], 0
	s_branch .LBB127_74
.LBB127_37:
	s_mov_b64 s[18:19], -1
	s_mov_b64 s[16:17], 0
	s_mov_b64 s[2:3], 0
                                        ; implicit-def: $vgpr3_vgpr4
	s_branch .LBB127_157
.LBB127_38:
	s_mov_b64 s[20:21], -1
	s_mov_b64 s[2:3], 0
	s_mov_b64 s[18:19], 0
	s_branch .LBB127_57
.LBB127_39:
	s_mov_b64 s[18:19], -1
	s_mov_b64 s[16:17], 0
	s_branch .LBB127_42
.LBB127_40:
	s_mov_b64 s[20:21], -1
	s_mov_b64 s[2:3], 0
	s_mov_b64 s[18:19], 0
	s_branch .LBB127_53
.LBB127_41:
	s_mov_b64 s[16:17], -1
.LBB127_42:
	s_mov_b64 s[2:3], 0
                                        ; implicit-def: $vgpr3_vgpr4
.LBB127_43:
	s_and_b64 vcc, exec, s[18:19]
	s_cbranch_vccz .LBB127_156
; %bb.44:
	s_cmp_eq_u32 s22, 44
	s_cbranch_scc0 .LBB127_155
; %bb.45:
	global_load_ubyte v5, v[0:1], off
	s_movk_i32 s16, 0xff
	v_bfrev_b32_e32 v6, 4
	v_mov_b32_e32 v7, 0x7ff80000
	v_bfrev_b32_e32 v8, 28
	s_mov_b64 s[2:3], -1
	s_waitcnt vmcnt(0)
	v_lshlrev_b32_e32 v3, 23, v5
	v_cvt_f64_f32_e32 v[3:4], v3
	v_cmp_ne_u32_e32 vcc, s16, v5
	s_mov_b64 s[16:17], 0
	v_cndmask_b32_e32 v3, v6, v3, vcc
	v_cndmask_b32_e32 v4, v7, v4, vcc
	v_cmp_ne_u32_e32 vcc, 0, v5
	v_cndmask_b32_e32 v4, v8, v4, vcc
	v_cndmask_b32_e32 v3, 0, v3, vcc
	s_branch .LBB127_156
.LBB127_46:
	s_mov_b64 s[20:21], -1
	s_mov_b64 s[2:3], 0
	s_mov_b64 s[18:19], 0
.LBB127_47:
	s_and_b64 vcc, exec, s[20:21]
	s_cbranch_vccz .LBB127_52
; %bb.48:
	s_cmp_eq_u32 s25, 44
	s_mov_b64 s[2:3], -1
	s_cbranch_scc0 .LBB127_52
; %bb.49:
	v_cvt_f32_f64_e32 v2, v[0:1]
	s_movk_i32 s2, 0xff
	v_mov_b32_e32 v6, 0xff
	v_bfe_u32 v3, v2, 23, 8
	v_cmp_ne_u32_e32 vcc, s2, v3
	s_and_saveexec_b64 s[18:19], vcc
; %bb.50:
	s_mov_b32 s2, 0x3fffff
	v_lshrrev_b32_e32 v6, 23, v2
	v_and_b32_e32 v7, 0x400000, v2
	v_and_or_b32 v2, v2, s2, v3
	v_cmp_ne_u32_e32 vcc, 0, v7
	v_cmp_ne_u32_e64 s[2:3], 0, v2
	s_and_b64 s[2:3], vcc, s[2:3]
	v_cndmask_b32_e64 v2, 0, 1, s[2:3]
	v_add_u32_e32 v6, v6, v2
; %bb.51:
	s_or_b64 exec, exec, s[18:19]
	s_mov_b64 s[18:19], -1
	s_mov_b64 s[2:3], 0
	global_store_byte v[4:5], v6, off
.LBB127_52:
	s_mov_b64 s[20:21], 0
.LBB127_53:
	s_and_b64 vcc, exec, s[20:21]
	s_cbranch_vccz .LBB127_56
; %bb.54:
	s_cmp_eq_u32 s25, 29
	s_mov_b64 s[2:3], -1
	s_cbranch_scc0 .LBB127_56
; %bb.55:
	v_trunc_f64_e32 v[2:3], v[0:1]
	s_movk_i32 s2, 0xffe0
	s_mov_b64 s[18:19], -1
	s_mov_b64 s[20:21], 0
	v_ldexp_f64 v[6:7], v[2:3], s2
	s_mov_b32 s2, 0
	s_mov_b32 s3, 0xc1f00000
	v_floor_f64_e32 v[6:7], v[6:7]
	v_fma_f64 v[2:3], v[6:7], s[2:3], v[2:3]
	v_cvt_u32_f64_e32 v7, v[6:7]
	s_mov_b64 s[2:3], 0
	v_cvt_u32_f64_e32 v6, v[2:3]
	global_store_dwordx2 v[4:5], v[6:7], off
	s_branch .LBB127_57
.LBB127_56:
	s_mov_b64 s[20:21], 0
.LBB127_57:
	s_and_b64 vcc, exec, s[20:21]
	s_cbranch_vccz .LBB127_73
; %bb.58:
	s_cmp_lt_i32 s25, 27
	s_mov_b64 s[18:19], -1
	s_cbranch_scc1 .LBB127_64
; %bb.59:
	v_cvt_u32_f64_e32 v2, v[0:1]
	s_cmp_gt_i32 s25, 27
	s_cbranch_scc0 .LBB127_61
; %bb.60:
	s_mov_b64 s[18:19], 0
	global_store_dword v[4:5], v2, off
.LBB127_61:
	s_andn2_b64 vcc, exec, s[18:19]
	s_cbranch_vccnz .LBB127_63
; %bb.62:
	global_store_short v[4:5], v2, off
.LBB127_63:
	s_mov_b64 s[18:19], 0
.LBB127_64:
	s_andn2_b64 vcc, exec, s[18:19]
	s_cbranch_vccnz .LBB127_72
; %bb.65:
	v_cvt_f32_f64_e32 v2, v[0:1]
	s_mov_b32 s18, 0x43800000
	v_mov_b32_e32 v6, 0x80
	v_and_b32_e32 v3, 0x7fffffff, v2
	v_cmp_gt_u32_e32 vcc, s18, v3
	s_and_saveexec_b64 s[18:19], vcc
	s_cbranch_execz .LBB127_71
; %bb.66:
	s_mov_b32 s20, 0x3bffffff
	v_cmp_lt_u32_e32 vcc, s20, v3
	s_mov_b64 s[20:21], 0
                                        ; implicit-def: $vgpr3
	s_and_saveexec_b64 s[22:23], vcc
	s_xor_b64 s[22:23], exec, s[22:23]
	s_cbranch_execz .LBB127_307
; %bb.67:
	v_bfe_u32 v3, v2, 20, 1
	s_mov_b32 s26, 0x487ffff
	v_add3_u32 v3, v2, v3, s26
	s_mov_b64 s[20:21], exec
	v_lshrrev_b32_e32 v3, 20, v3
	s_andn2_saveexec_b64 s[22:23], s[22:23]
	s_cbranch_execnz .LBB127_308
.LBB127_68:
	s_or_b64 exec, exec, s[22:23]
	v_mov_b32_e32 v6, 0
	s_and_saveexec_b64 s[22:23], s[20:21]
.LBB127_69:
	v_lshrrev_b32_e32 v2, 24, v2
	s_movk_i32 s20, 0x80
	v_and_or_b32 v6, v2, s20, v3
.LBB127_70:
	s_or_b64 exec, exec, s[22:23]
.LBB127_71:
	s_or_b64 exec, exec, s[18:19]
	global_store_byte v[4:5], v6, off
.LBB127_72:
	s_mov_b64 s[18:19], -1
.LBB127_73:
	s_mov_b64 s[20:21], 0
.LBB127_74:
	s_and_b64 vcc, exec, s[20:21]
	s_cbranch_vccz .LBB127_115
; %bb.75:
	s_cmp_gt_i32 s25, 22
	s_mov_b64 s[20:21], -1
	s_cbranch_scc0 .LBB127_107
; %bb.76:
	s_cmp_lt_i32 s25, 24
	s_mov_b64 s[18:19], -1
	s_cbranch_scc1 .LBB127_96
; %bb.77:
	s_cmp_gt_i32 s25, 24
	s_cbranch_scc0 .LBB127_85
; %bb.78:
	v_cvt_f32_f64_e32 v2, v[0:1]
	s_mov_b32 s18, 0x47800000
	v_mov_b32_e32 v6, 0x80
	v_and_b32_e32 v3, 0x7fffffff, v2
	v_cmp_gt_u32_e32 vcc, s18, v3
	s_and_saveexec_b64 s[18:19], vcc
	s_cbranch_execz .LBB127_84
; %bb.79:
	s_mov_b32 s20, 0x37ffffff
	v_cmp_lt_u32_e32 vcc, s20, v3
	s_mov_b64 s[20:21], 0
                                        ; implicit-def: $vgpr3
	s_and_saveexec_b64 s[22:23], vcc
	s_xor_b64 s[22:23], exec, s[22:23]
	s_cbranch_execz .LBB127_311
; %bb.80:
	v_bfe_u32 v3, v2, 21, 1
	s_mov_b32 s26, 0x88fffff
	v_add3_u32 v3, v2, v3, s26
	s_mov_b64 s[20:21], exec
	v_lshrrev_b32_e32 v3, 21, v3
	s_andn2_saveexec_b64 s[22:23], s[22:23]
	s_cbranch_execnz .LBB127_312
.LBB127_81:
	s_or_b64 exec, exec, s[22:23]
	v_mov_b32_e32 v6, 0
	s_and_saveexec_b64 s[22:23], s[20:21]
.LBB127_82:
	v_lshrrev_b32_e32 v2, 24, v2
	s_movk_i32 s20, 0x80
	v_and_or_b32 v6, v2, s20, v3
.LBB127_83:
	s_or_b64 exec, exec, s[22:23]
.LBB127_84:
	s_or_b64 exec, exec, s[18:19]
	s_mov_b64 s[18:19], 0
	global_store_byte v[4:5], v6, off
.LBB127_85:
	s_and_b64 vcc, exec, s[18:19]
	s_cbranch_vccz .LBB127_95
; %bb.86:
	v_cvt_f32_f64_e32 v2, v[0:1]
	s_mov_b32 s18, 0x43f00000
                                        ; implicit-def: $vgpr3
	v_and_b32_e32 v6, 0x7fffffff, v2
	v_cmp_gt_u32_e32 vcc, s18, v6
	s_and_saveexec_b64 s[18:19], vcc
	s_xor_b64 s[18:19], exec, s[18:19]
	s_cbranch_execz .LBB127_92
; %bb.87:
	s_mov_b32 s20, 0x3c7fffff
	v_cmp_lt_u32_e32 vcc, s20, v6
                                        ; implicit-def: $vgpr3
	s_and_saveexec_b64 s[20:21], vcc
	s_xor_b64 s[20:21], exec, s[20:21]
; %bb.88:
	v_bfe_u32 v3, v2, 20, 1
	s_mov_b32 s22, 0x407ffff
	v_add3_u32 v3, v2, v3, s22
	v_lshrrev_b32_e32 v6, 20, v3
	v_and_b32_e32 v3, 0xff00000, v3
	s_mov_b32 s22, 0x7f00000
	v_mov_b32_e32 v7, 0x7e
	v_cmp_ne_u32_e32 vcc, s22, v3
	v_cndmask_b32_e32 v3, v7, v6, vcc
; %bb.89:
	s_andn2_saveexec_b64 s[20:21], s[20:21]
; %bb.90:
	s_mov_b32 s22, 0x46800000
	v_add_f32_e64 v3, |v2|, s22
; %bb.91:
	s_or_b64 exec, exec, s[20:21]
                                        ; implicit-def: $vgpr6
.LBB127_92:
	s_andn2_saveexec_b64 s[18:19], s[18:19]
; %bb.93:
	s_mov_b32 s20, 0x7f800000
	v_mov_b32_e32 v3, 0x7e
	v_mov_b32_e32 v7, 0x7f
	v_cmp_lt_u32_e32 vcc, s20, v6
	v_cndmask_b32_e32 v3, v3, v7, vcc
; %bb.94:
	s_or_b64 exec, exec, s[18:19]
	v_lshrrev_b32_e32 v2, 24, v2
	s_movk_i32 s18, 0x80
	v_and_or_b32 v2, v2, s18, v3
	global_store_byte v[4:5], v2, off
.LBB127_95:
	s_mov_b64 s[18:19], 0
.LBB127_96:
	s_andn2_b64 vcc, exec, s[18:19]
	s_cbranch_vccnz .LBB127_106
; %bb.97:
	v_cvt_f32_f64_e32 v2, v[0:1]
	s_mov_b32 s18, 0x47800000
                                        ; implicit-def: $vgpr3
	v_and_b32_e32 v6, 0x7fffffff, v2
	v_cmp_gt_u32_e32 vcc, s18, v6
	s_and_saveexec_b64 s[18:19], vcc
	s_xor_b64 s[18:19], exec, s[18:19]
	s_cbranch_execz .LBB127_103
; %bb.98:
	s_mov_b32 s20, 0x387fffff
	v_cmp_lt_u32_e32 vcc, s20, v6
                                        ; implicit-def: $vgpr3
	s_and_saveexec_b64 s[20:21], vcc
	s_xor_b64 s[20:21], exec, s[20:21]
; %bb.99:
	v_bfe_u32 v3, v2, 21, 1
	s_mov_b32 s22, 0x80fffff
	v_add3_u32 v3, v2, v3, s22
	v_lshrrev_b32_e32 v3, 21, v3
; %bb.100:
	s_andn2_saveexec_b64 s[20:21], s[20:21]
; %bb.101:
	s_mov_b32 s22, 0x43000000
	v_add_f32_e64 v3, |v2|, s22
; %bb.102:
	s_or_b64 exec, exec, s[20:21]
                                        ; implicit-def: $vgpr6
.LBB127_103:
	s_andn2_saveexec_b64 s[18:19], s[18:19]
; %bb.104:
	s_mov_b32 s20, 0x7f800000
	v_mov_b32_e32 v3, 0x7c
	v_mov_b32_e32 v7, 0x7f
	v_cmp_lt_u32_e32 vcc, s20, v6
	v_cndmask_b32_e32 v3, v3, v7, vcc
; %bb.105:
	s_or_b64 exec, exec, s[18:19]
	v_lshrrev_b32_e32 v2, 24, v2
	s_movk_i32 s18, 0x80
	v_and_or_b32 v2, v2, s18, v3
	global_store_byte v[4:5], v2, off
.LBB127_106:
	s_mov_b64 s[20:21], 0
	s_mov_b64 s[18:19], -1
.LBB127_107:
	s_andn2_b64 vcc, exec, s[20:21]
	s_cbranch_vccnz .LBB127_115
; %bb.108:
	s_cmp_gt_i32 s25, 14
	s_mov_b64 s[20:21], -1
	s_cbranch_scc0 .LBB127_112
; %bb.109:
	s_cmp_eq_u32 s25, 15
	s_mov_b64 s[2:3], -1
	s_cbranch_scc0 .LBB127_111
; %bb.110:
	v_cvt_f32_f64_e32 v2, v[0:1]
	s_movk_i32 s2, 0x7fff
	v_mov_b32_e32 v3, 0x7fc0
	s_mov_b64 s[18:19], -1
	v_bfe_u32 v6, v2, 16, 1
	v_cmp_o_f32_e32 vcc, v2, v2
	v_add3_u32 v2, v2, v6, s2
	v_cndmask_b32_sdwa v2, v3, v2, vcc dst_sel:DWORD dst_unused:UNUSED_PAD src0_sel:DWORD src1_sel:WORD_1
	global_store_short v[4:5], v2, off
	s_mov_b64 s[2:3], 0
.LBB127_111:
	s_mov_b64 s[20:21], 0
.LBB127_112:
	s_and_b64 vcc, exec, s[20:21]
	s_cbranch_vccz .LBB127_115
; %bb.113:
	s_cmp_eq_u32 s25, 11
	s_mov_b64 s[2:3], -1
	s_cbranch_scc0 .LBB127_115
; %bb.114:
	v_cmp_neq_f64_e32 vcc, 0, v[0:1]
	s_mov_b64 s[2:3], 0
	s_mov_b64 s[18:19], -1
	v_cndmask_b32_e64 v2, 0, 1, vcc
	global_store_byte v[4:5], v2, off
.LBB127_115:
	s_branch .LBB127_34
.LBB127_116:
	s_and_b32 s20, 0xffff, s24
	s_cmp_lt_i32 s20, 5
	s_mov_b64 s[18:19], -1
	s_cbranch_scc1 .LBB127_137
; %bb.117:
	s_cmp_lt_i32 s20, 8
	s_cbranch_scc1 .LBB127_127
; %bb.118:
	s_cmp_lt_i32 s20, 9
	s_cbranch_scc1 .LBB127_124
; %bb.119:
	s_cmp_gt_i32 s20, 9
	s_cbranch_scc0 .LBB127_121
; %bb.120:
	v_mov_b32_e32 v2, 0
	v_mov_b32_e32 v3, v2
	global_store_dwordx4 v[4:5], v[0:3], off
	s_mov_b64 s[18:19], 0
.LBB127_121:
	s_andn2_b64 vcc, exec, s[18:19]
	s_cbranch_vccnz .LBB127_123
; %bb.122:
	v_cvt_f32_f64_e32 v2, v[0:1]
	v_mov_b32_e32 v3, 0
	global_store_dwordx2 v[4:5], v[2:3], off
.LBB127_123:
	s_mov_b64 s[18:19], 0
.LBB127_124:
	s_andn2_b64 vcc, exec, s[18:19]
	s_cbranch_vccnz .LBB127_126
; %bb.125:
	s_movk_i32 s18, 0x1ff
	v_and_or_b32 v2, v1, s18, v0
	v_cmp_ne_u32_e32 vcc, 0, v2
	v_cndmask_b32_e64 v2, 0, 1, vcc
	v_lshrrev_b32_e32 v3, 8, v1
	s_movk_i32 s18, 0xffe
	v_bfe_u32 v6, v1, 20, 11
	v_and_or_b32 v2, v3, s18, v2
	v_sub_u32_e32 v7, 0x3f1, v6
	v_or_b32_e32 v3, 0x1000, v2
	v_med3_i32 v7, v7, 0, 13
	v_lshrrev_b32_e32 v8, v7, v3
	v_lshlrev_b32_e32 v7, v7, v8
	v_cmp_ne_u32_e32 vcc, v7, v3
	v_cndmask_b32_e64 v3, 0, 1, vcc
	v_add_u32_e32 v6, 0xfffffc10, v6
	v_or_b32_e32 v3, v8, v3
	v_lshl_or_b32 v7, v6, 12, v2
	v_cmp_gt_i32_e32 vcc, 1, v6
	v_cndmask_b32_e32 v3, v7, v3, vcc
	v_and_b32_e32 v7, 7, v3
	v_cmp_lt_i32_e32 vcc, 5, v7
	v_cndmask_b32_e64 v8, 0, 1, vcc
	v_cmp_eq_u32_e32 vcc, 3, v7
	v_cndmask_b32_e64 v7, 0, 1, vcc
	v_or_b32_e32 v7, v7, v8
	v_lshrrev_b32_e32 v3, 2, v3
	v_add_u32_e32 v3, v3, v7
	v_mov_b32_e32 v7, 0x7c00
	v_cmp_gt_i32_e32 vcc, 31, v6
	v_cndmask_b32_e32 v3, v7, v3, vcc
	v_mov_b32_e32 v8, 0x7e00
	v_cmp_ne_u32_e32 vcc, 0, v2
	s_movk_i32 s18, 0x40f
	v_cndmask_b32_e32 v2, v7, v8, vcc
	v_cmp_eq_u32_e32 vcc, s18, v6
	v_cndmask_b32_e32 v2, v3, v2, vcc
	v_lshrrev_b32_e32 v3, 16, v1
	s_mov_b32 s18, 0x8000
	v_and_or_b32 v2, v3, s18, v2
	v_and_b32_e32 v2, 0xffff, v2
	global_store_dword v[4:5], v2, off
.LBB127_126:
	s_mov_b64 s[18:19], 0
.LBB127_127:
	s_andn2_b64 vcc, exec, s[18:19]
	s_cbranch_vccnz .LBB127_136
; %bb.128:
	s_cmp_lt_i32 s20, 6
	s_mov_b64 s[18:19], -1
	s_cbranch_scc1 .LBB127_134
; %bb.129:
	s_cmp_gt_i32 s20, 6
	s_cbranch_scc0 .LBB127_131
; %bb.130:
	global_store_dwordx2 v[4:5], v[0:1], off
	s_mov_b64 s[18:19], 0
.LBB127_131:
	s_andn2_b64 vcc, exec, s[18:19]
	s_cbranch_vccnz .LBB127_133
; %bb.132:
	v_cvt_f32_f64_e32 v2, v[0:1]
	global_store_dword v[4:5], v2, off
.LBB127_133:
	s_mov_b64 s[18:19], 0
.LBB127_134:
	s_andn2_b64 vcc, exec, s[18:19]
	s_cbranch_vccnz .LBB127_136
; %bb.135:
	s_movk_i32 s18, 0x1ff
	v_and_or_b32 v2, v1, s18, v0
	v_cmp_ne_u32_e32 vcc, 0, v2
	v_cndmask_b32_e64 v2, 0, 1, vcc
	v_lshrrev_b32_e32 v3, 8, v1
	s_movk_i32 s18, 0xffe
	v_bfe_u32 v6, v1, 20, 11
	v_and_or_b32 v2, v3, s18, v2
	v_sub_u32_e32 v7, 0x3f1, v6
	v_or_b32_e32 v3, 0x1000, v2
	v_med3_i32 v7, v7, 0, 13
	v_lshrrev_b32_e32 v8, v7, v3
	v_lshlrev_b32_e32 v7, v7, v8
	v_cmp_ne_u32_e32 vcc, v7, v3
	v_cndmask_b32_e64 v3, 0, 1, vcc
	v_add_u32_e32 v6, 0xfffffc10, v6
	v_or_b32_e32 v3, v8, v3
	v_lshl_or_b32 v7, v6, 12, v2
	v_cmp_gt_i32_e32 vcc, 1, v6
	v_cndmask_b32_e32 v3, v7, v3, vcc
	v_and_b32_e32 v7, 7, v3
	v_cmp_lt_i32_e32 vcc, 5, v7
	v_cndmask_b32_e64 v8, 0, 1, vcc
	v_cmp_eq_u32_e32 vcc, 3, v7
	v_cndmask_b32_e64 v7, 0, 1, vcc
	v_or_b32_e32 v7, v7, v8
	v_lshrrev_b32_e32 v3, 2, v3
	v_add_u32_e32 v3, v3, v7
	v_mov_b32_e32 v7, 0x7c00
	v_cmp_gt_i32_e32 vcc, 31, v6
	v_cndmask_b32_e32 v3, v7, v3, vcc
	v_mov_b32_e32 v8, 0x7e00
	v_cmp_ne_u32_e32 vcc, 0, v2
	s_movk_i32 s18, 0x40f
	v_cndmask_b32_e32 v2, v7, v8, vcc
	v_cmp_eq_u32_e32 vcc, s18, v6
	v_cndmask_b32_e32 v2, v3, v2, vcc
	v_lshrrev_b32_e32 v3, 16, v1
	s_mov_b32 s18, 0x8000
	v_and_or_b32 v2, v3, s18, v2
	global_store_short v[4:5], v2, off
.LBB127_136:
	s_mov_b64 s[18:19], 0
.LBB127_137:
	s_andn2_b64 vcc, exec, s[18:19]
	s_cbranch_vccnz .LBB127_153
; %bb.138:
	s_cmp_lt_i32 s20, 2
	s_mov_b64 s[18:19], -1
	s_cbranch_scc1 .LBB127_148
; %bb.139:
	s_cmp_lt_i32 s20, 3
	s_cbranch_scc1 .LBB127_145
; %bb.140:
	s_cmp_gt_i32 s20, 3
	s_cbranch_scc0 .LBB127_142
; %bb.141:
	v_trunc_f64_e32 v[2:3], v[0:1]
	s_movk_i32 s18, 0xffe0
	v_ldexp_f64 v[6:7], v[2:3], s18
	s_mov_b32 s18, 0
	s_mov_b32 s19, 0xc1f00000
	v_floor_f64_e32 v[6:7], v[6:7]
	v_fma_f64 v[2:3], v[6:7], s[18:19], v[2:3]
	v_cvt_i32_f64_e32 v7, v[6:7]
	s_mov_b64 s[18:19], 0
	v_cvt_u32_f64_e32 v6, v[2:3]
	global_store_dwordx2 v[4:5], v[6:7], off
.LBB127_142:
	s_andn2_b64 vcc, exec, s[18:19]
	s_cbranch_vccnz .LBB127_144
; %bb.143:
	v_cvt_i32_f64_e32 v2, v[0:1]
	global_store_dword v[4:5], v2, off
.LBB127_144:
	s_mov_b64 s[18:19], 0
.LBB127_145:
	s_andn2_b64 vcc, exec, s[18:19]
	s_cbranch_vccnz .LBB127_147
; %bb.146:
	v_cvt_i32_f64_e32 v2, v[0:1]
	global_store_short v[4:5], v2, off
.LBB127_147:
	s_mov_b64 s[18:19], 0
.LBB127_148:
	s_andn2_b64 vcc, exec, s[18:19]
	s_cbranch_vccnz .LBB127_153
; %bb.149:
	s_cmp_gt_i32 s20, 0
	s_mov_b64 s[18:19], -1
	s_cbranch_scc0 .LBB127_151
; %bb.150:
	v_cvt_i32_f64_e32 v2, v[0:1]
	s_mov_b64 s[18:19], 0
	global_store_byte v[4:5], v2, off
.LBB127_151:
	s_andn2_b64 vcc, exec, s[18:19]
	s_cbranch_vccnz .LBB127_153
; %bb.152:
	v_trunc_f64_e32 v[0:1], v[0:1]
	s_movk_i32 s18, 0xffe0
	v_ldexp_f64 v[2:3], v[0:1], s18
	s_mov_b32 s18, 0
	s_mov_b32 s19, 0xc1f00000
	v_floor_f64_e32 v[2:3], v[2:3]
	v_fma_f64 v[0:1], v[2:3], s[18:19], v[0:1]
	v_cvt_u32_f64_e32 v0, v[0:1]
	global_store_byte v[4:5], v0, off
.LBB127_153:
.LBB127_154:
	v_add_u32_e32 v10, 0x80, v10
	s_mov_b64 s[18:19], -1
	s_branch .LBB127_265
.LBB127_155:
	s_mov_b64 s[16:17], -1
                                        ; implicit-def: $vgpr3_vgpr4
.LBB127_156:
	s_mov_b64 s[18:19], 0
.LBB127_157:
	s_and_b64 vcc, exec, s[18:19]
	s_cbranch_vccz .LBB127_161
; %bb.158:
	s_cmp_eq_u32 s22, 29
	s_cbranch_scc0 .LBB127_160
; %bb.159:
	global_load_dwordx2 v[3:4], v[0:1], off
	s_mov_b64 s[2:3], -1
	s_mov_b64 s[16:17], 0
	s_mov_b64 s[18:19], 0
	s_waitcnt vmcnt(0)
	v_cvt_f64_u32_e32 v[4:5], v4
	v_cvt_f64_u32_e32 v[6:7], v3
	v_ldexp_f64 v[4:5], v[4:5], 32
	v_add_f64 v[3:4], v[4:5], v[6:7]
	s_branch .LBB127_162
.LBB127_160:
	s_mov_b64 s[16:17], -1
                                        ; implicit-def: $vgpr3_vgpr4
.LBB127_161:
	s_mov_b64 s[18:19], 0
.LBB127_162:
	s_and_b64 vcc, exec, s[18:19]
	s_cbranch_vccz .LBB127_182
; %bb.163:
	s_cmp_lt_i32 s22, 27
	s_cbranch_scc1 .LBB127_166
; %bb.164:
	s_cmp_gt_i32 s22, 27
	s_cbranch_scc0 .LBB127_167
; %bb.165:
	global_load_dword v3, v[0:1], off
	s_mov_b64 s[2:3], 0
	s_waitcnt vmcnt(0)
	v_cvt_f64_u32_e32 v[3:4], v3
	s_branch .LBB127_168
.LBB127_166:
	s_mov_b64 s[2:3], -1
                                        ; implicit-def: $vgpr3_vgpr4
	s_branch .LBB127_171
.LBB127_167:
	s_mov_b64 s[2:3], -1
                                        ; implicit-def: $vgpr3_vgpr4
.LBB127_168:
	s_andn2_b64 vcc, exec, s[2:3]
	s_cbranch_vccnz .LBB127_170
; %bb.169:
	global_load_ushort v3, v[0:1], off
	s_waitcnt vmcnt(0)
	v_cvt_f64_u32_e32 v[3:4], v3
.LBB127_170:
	s_mov_b64 s[2:3], 0
.LBB127_171:
	s_andn2_b64 vcc, exec, s[2:3]
	s_cbranch_vccnz .LBB127_181
; %bb.172:
	global_load_ubyte v5, v[0:1], off
	s_movk_i32 s2, 0x7f
	s_waitcnt vmcnt(0)
	v_cmp_lt_i16_e32 vcc, s2, v5
	s_mov_b64 s[2:3], 0
	s_and_saveexec_b64 s[18:19], vcc
	s_xor_b64 s[18:19], exec, s[18:19]
	s_cbranch_execz .LBB127_176
; %bb.173:
	s_movk_i32 s2, 0x80
	v_cmp_eq_u16_e32 vcc, s2, v5
	s_mov_b64 s[2:3], -1
	s_and_saveexec_b64 s[20:21], vcc
; %bb.174:
	s_xor_b64 s[2:3], exec, -1
; %bb.175:
	s_or_b64 exec, exec, s[20:21]
	s_and_b64 s[2:3], s[2:3], exec
.LBB127_176:
	s_or_saveexec_b64 s[18:19], s[18:19]
	v_bfrev_b32_e32 v3, 4
	v_mov_b32_e32 v4, 0x7ff80000
	s_xor_b64 exec, exec, s[18:19]
; %bb.177:
	v_cmp_ne_u16_e32 vcc, 0, v5
	v_mov_b32_e32 v3, 0
	s_andn2_b64 s[2:3], s[2:3], exec
	s_and_b64 s[20:21], vcc, exec
	v_mov_b32_e32 v4, 0
	s_or_b64 s[2:3], s[2:3], s[20:21]
; %bb.178:
	s_or_b64 exec, exec, s[18:19]
	s_and_saveexec_b64 s[18:19], s[2:3]
	s_cbranch_execz .LBB127_180
; %bb.179:
	v_and_b32_e32 v4, 0xffff, v5
	v_lshlrev_b32_e32 v3, 24, v5
	v_and_b32_e32 v5, 7, v4
	v_ffbh_u32_e32 v7, v5
	v_min_u32_e32 v7, 32, v7
	v_subrev_u32_e32 v8, 28, v7
	v_bfe_u32 v6, v4, 3, 4
	v_lshlrev_b32_e32 v4, v8, v4
	v_sub_u32_e32 v7, 29, v7
	v_and_b32_e32 v4, 7, v4
	v_cmp_eq_u32_e32 vcc, 0, v6
	v_cndmask_b32_e32 v6, v6, v7, vcc
	v_cndmask_b32_e32 v4, v5, v4, vcc
	v_mov_b32_e32 v5, 0x3b800000
	v_lshlrev_b32_e32 v4, 20, v4
	v_and_b32_e32 v3, 0x80000000, v3
	v_lshl_add_u32 v5, v6, 23, v5
	v_or3_b32 v3, v3, v5, v4
	v_cvt_f64_f32_e32 v[3:4], v3
.LBB127_180:
	s_or_b64 exec, exec, s[18:19]
.LBB127_181:
	s_mov_b64 s[2:3], -1
.LBB127_182:
	s_branch .LBB127_215
.LBB127_183:
	s_cmp_gt_i32 s22, 22
	s_cbranch_scc0 .LBB127_195
; %bb.184:
	s_cmp_lt_i32 s22, 24
	s_cbranch_scc1 .LBB127_196
; %bb.185:
	s_cmp_gt_i32 s22, 24
	s_cbranch_scc0 .LBB127_197
; %bb.186:
	global_load_ubyte v5, v[0:1], off
	s_movk_i32 s2, 0x7f
	s_waitcnt vmcnt(0)
	v_cmp_lt_i16_e32 vcc, s2, v5
	s_mov_b64 s[2:3], 0
	s_and_saveexec_b64 s[18:19], vcc
	s_xor_b64 s[18:19], exec, s[18:19]
	s_cbranch_execz .LBB127_190
; %bb.187:
	s_movk_i32 s2, 0x80
	v_cmp_eq_u16_e32 vcc, s2, v5
	s_mov_b64 s[2:3], -1
	s_and_saveexec_b64 s[20:21], vcc
; %bb.188:
	s_xor_b64 s[2:3], exec, -1
; %bb.189:
	s_or_b64 exec, exec, s[20:21]
	s_and_b64 s[2:3], s[2:3], exec
.LBB127_190:
	s_or_saveexec_b64 s[18:19], s[18:19]
	v_bfrev_b32_e32 v3, 4
	v_mov_b32_e32 v4, 0x7ff80000
	s_xor_b64 exec, exec, s[18:19]
; %bb.191:
	v_cmp_ne_u16_e32 vcc, 0, v5
	v_mov_b32_e32 v3, 0
	s_andn2_b64 s[2:3], s[2:3], exec
	s_and_b64 s[20:21], vcc, exec
	v_mov_b32_e32 v4, 0
	s_or_b64 s[2:3], s[2:3], s[20:21]
; %bb.192:
	s_or_b64 exec, exec, s[18:19]
	s_and_saveexec_b64 s[18:19], s[2:3]
	s_cbranch_execz .LBB127_194
; %bb.193:
	v_and_b32_e32 v4, 0xffff, v5
	v_lshlrev_b32_e32 v3, 24, v5
	v_and_b32_e32 v5, 3, v4
	v_ffbh_u32_e32 v7, v5
	v_min_u32_e32 v7, 32, v7
	v_subrev_u32_e32 v8, 29, v7
	v_bfe_u32 v6, v4, 2, 5
	v_lshlrev_b32_e32 v4, v8, v4
	v_sub_u32_e32 v7, 30, v7
	v_and_b32_e32 v4, 3, v4
	v_cmp_eq_u32_e32 vcc, 0, v6
	v_cndmask_b32_e32 v6, v6, v7, vcc
	v_cndmask_b32_e32 v4, v5, v4, vcc
	v_mov_b32_e32 v5, 0x37800000
	v_lshlrev_b32_e32 v4, 21, v4
	v_and_b32_e32 v3, 0x80000000, v3
	v_lshl_add_u32 v5, v6, 23, v5
	v_or3_b32 v3, v3, v5, v4
	v_cvt_f64_f32_e32 v[3:4], v3
.LBB127_194:
	s_or_b64 exec, exec, s[18:19]
	s_mov_b64 s[2:3], 0
	s_branch .LBB127_198
.LBB127_195:
	s_mov_b64 s[18:19], -1
                                        ; implicit-def: $vgpr3_vgpr4
	s_branch .LBB127_204
.LBB127_196:
	s_mov_b64 s[2:3], -1
                                        ; implicit-def: $vgpr3_vgpr4
	s_branch .LBB127_201
.LBB127_197:
	s_mov_b64 s[2:3], -1
                                        ; implicit-def: $vgpr3_vgpr4
.LBB127_198:
	s_and_b64 vcc, exec, s[2:3]
	s_cbranch_vccz .LBB127_200
; %bb.199:
	global_load_ubyte v3, v[0:1], off
	s_mov_b32 s2, 0x7f800000
	s_waitcnt vmcnt(0)
	v_lshlrev_b32_e32 v3, 24, v3
	v_and_b32_e32 v4, 0x7f000000, v3
	v_ffbh_u32_e32 v5, v4
	v_min_u32_e32 v5, 32, v5
	v_sub_u32_e64 v5, v5, 4 clamp
	v_lshlrev_b32_e32 v7, v5, v4
	v_lshlrev_b32_e32 v5, 23, v5
	v_lshrrev_b32_e32 v7, 4, v7
	v_add_u32_e32 v6, 0x1000000, v4
	v_sub_u32_e32 v5, v7, v5
	v_ashrrev_i32_e32 v6, 8, v6
	v_add_u32_e32 v5, 0x3c000000, v5
	v_and_or_b32 v5, v6, s2, v5
	v_cmp_ne_u32_e32 vcc, 0, v4
	v_cndmask_b32_e32 v4, 0, v5, vcc
	s_brev_b32 s2, 1
	v_and_or_b32 v3, v3, s2, v4
	v_cvt_f64_f32_e32 v[3:4], v3
.LBB127_200:
	s_mov_b64 s[2:3], 0
.LBB127_201:
	s_andn2_b64 vcc, exec, s[2:3]
	s_cbranch_vccnz .LBB127_203
; %bb.202:
	global_load_ubyte v3, v[0:1], off
	s_movk_i32 s2, 0x7f00
	s_brev_b32 s3, 16
	s_waitcnt vmcnt(0)
	v_lshlrev_b16_e32 v4, 8, v3
	v_lshlrev_b32_e32 v3, 25, v3
	v_lshrrev_b32_e32 v5, 4, v3
	v_and_or_b32 v6, v4, s2, 0.5
	v_or_b32_e32 v5, 0x70000000, v5
	v_add_f32_e32 v6, -0.5, v6
	v_mul_f32_e32 v5, 0x7800000, v5
	v_cmp_gt_u32_e32 vcc, s3, v3
	v_bfe_i32 v4, v4, 0, 16
	v_cndmask_b32_e32 v3, v5, v6, vcc
	s_brev_b32 s2, 1
	v_and_or_b32 v3, v4, s2, v3
	v_cvt_f64_f32_e32 v[3:4], v3
.LBB127_203:
	s_mov_b64 s[18:19], 0
	s_mov_b64 s[2:3], -1
.LBB127_204:
	s_andn2_b64 vcc, exec, s[18:19]
	s_cbranch_vccnz .LBB127_215
; %bb.205:
	s_cmp_gt_i32 s22, 14
	s_cbranch_scc0 .LBB127_208
; %bb.206:
	s_cmp_eq_u32 s22, 15
	s_cbranch_scc0 .LBB127_209
; %bb.207:
	global_load_ushort v3, v[0:1], off
	s_mov_b64 s[2:3], -1
	s_mov_b64 s[16:17], 0
	s_waitcnt vmcnt(0)
	v_lshlrev_b32_e32 v3, 16, v3
	v_cvt_f64_f32_e32 v[3:4], v3
	s_branch .LBB127_210
.LBB127_208:
	s_mov_b64 s[18:19], -1
                                        ; implicit-def: $vgpr3_vgpr4
	s_branch .LBB127_211
.LBB127_209:
	s_mov_b64 s[16:17], -1
                                        ; implicit-def: $vgpr3_vgpr4
.LBB127_210:
	s_mov_b64 s[18:19], 0
.LBB127_211:
	s_and_b64 vcc, exec, s[18:19]
	s_cbranch_vccz .LBB127_215
; %bb.212:
	s_cmp_eq_u32 s22, 11
	s_cbranch_scc0 .LBB127_214
; %bb.213:
	global_load_ubyte v4, v[0:1], off
	v_mov_b32_e32 v5, 0x3ff00000
	v_mov_b32_e32 v3, 0
	s_mov_b64 s[2:3], -1
	s_mov_b64 s[16:17], 0
	s_waitcnt vmcnt(0)
	v_cmp_ne_u16_e32 vcc, 0, v4
	v_cndmask_b32_e32 v4, 0, v5, vcc
	s_branch .LBB127_215
.LBB127_214:
	s_mov_b64 s[16:17], -1
                                        ; implicit-def: $vgpr3_vgpr4
.LBB127_215:
	s_branch .LBB127_24
.LBB127_216:
	s_cmp_lt_i32 s22, 5
	s_cbranch_scc1 .LBB127_221
; %bb.217:
	s_cmp_lt_i32 s22, 8
	s_cbranch_scc1 .LBB127_222
; %bb.218:
	;; [unrolled: 3-line block ×3, first 2 shown]
	s_cmp_gt_i32 s22, 9
	s_cbranch_scc0 .LBB127_224
; %bb.220:
	global_load_dwordx2 v[3:4], v[0:1], off
	s_mov_b64 s[2:3], 0
	s_branch .LBB127_225
.LBB127_221:
                                        ; implicit-def: $vgpr3_vgpr4
	s_branch .LBB127_243
.LBB127_222:
	s_mov_b64 s[2:3], -1
                                        ; implicit-def: $vgpr3_vgpr4
	s_branch .LBB127_231
.LBB127_223:
	s_mov_b64 s[2:3], -1
                                        ; implicit-def: $vgpr3_vgpr4
	s_branch .LBB127_228
.LBB127_224:
	s_mov_b64 s[2:3], -1
                                        ; implicit-def: $vgpr3_vgpr4
.LBB127_225:
	s_andn2_b64 vcc, exec, s[2:3]
	s_cbranch_vccnz .LBB127_227
; %bb.226:
	global_load_dword v3, v[0:1], off
	s_waitcnt vmcnt(0)
	v_cvt_f64_f32_e32 v[3:4], v3
.LBB127_227:
	s_mov_b64 s[2:3], 0
.LBB127_228:
	s_andn2_b64 vcc, exec, s[2:3]
	s_cbranch_vccnz .LBB127_230
; %bb.229:
	global_load_dword v3, v[0:1], off
	s_waitcnt vmcnt(0)
	v_cvt_f32_f16_e32 v3, v3
	v_cvt_f64_f32_e32 v[3:4], v3
.LBB127_230:
	s_mov_b64 s[2:3], 0
.LBB127_231:
	s_andn2_b64 vcc, exec, s[2:3]
	s_cbranch_vccnz .LBB127_242
; %bb.232:
	s_cmp_lt_i32 s22, 6
	s_cbranch_scc1 .LBB127_235
; %bb.233:
	s_cmp_gt_i32 s22, 6
	s_cbranch_scc0 .LBB127_236
; %bb.234:
	global_load_dwordx2 v[3:4], v[0:1], off
	s_mov_b64 s[2:3], 0
	s_branch .LBB127_237
.LBB127_235:
	s_mov_b64 s[2:3], -1
                                        ; implicit-def: $vgpr3_vgpr4
	s_branch .LBB127_240
.LBB127_236:
	s_mov_b64 s[2:3], -1
                                        ; implicit-def: $vgpr3_vgpr4
.LBB127_237:
	s_andn2_b64 vcc, exec, s[2:3]
	s_cbranch_vccnz .LBB127_239
; %bb.238:
	global_load_dword v3, v[0:1], off
	s_waitcnt vmcnt(0)
	v_cvt_f64_f32_e32 v[3:4], v3
.LBB127_239:
	s_mov_b64 s[2:3], 0
.LBB127_240:
	s_andn2_b64 vcc, exec, s[2:3]
	s_cbranch_vccnz .LBB127_242
; %bb.241:
	global_load_ushort v3, v[0:1], off
	s_waitcnt vmcnt(0)
	v_cvt_f32_f16_e32 v3, v3
	v_cvt_f64_f32_e32 v[3:4], v3
.LBB127_242:
	s_cbranch_execnz .LBB127_262
.LBB127_243:
	s_cmp_lt_i32 s22, 2
	s_cbranch_scc1 .LBB127_247
; %bb.244:
	s_cmp_lt_i32 s22, 3
	s_cbranch_scc1 .LBB127_248
; %bb.245:
	s_cmp_gt_i32 s22, 3
	s_cbranch_scc0 .LBB127_249
; %bb.246:
	global_load_dwordx2 v[3:4], v[0:1], off
	s_mov_b64 s[2:3], 0
	s_waitcnt vmcnt(0)
	v_cvt_f64_i32_e32 v[4:5], v4
	v_cvt_f64_u32_e32 v[6:7], v3
	v_ldexp_f64 v[4:5], v[4:5], 32
	v_add_f64 v[3:4], v[4:5], v[6:7]
	s_branch .LBB127_250
.LBB127_247:
	s_mov_b64 s[2:3], -1
                                        ; implicit-def: $vgpr3_vgpr4
	s_branch .LBB127_256
.LBB127_248:
	s_mov_b64 s[2:3], -1
                                        ; implicit-def: $vgpr3_vgpr4
	s_branch .LBB127_253
.LBB127_249:
	s_mov_b64 s[2:3], -1
                                        ; implicit-def: $vgpr3_vgpr4
.LBB127_250:
	s_andn2_b64 vcc, exec, s[2:3]
	s_cbranch_vccnz .LBB127_252
; %bb.251:
	global_load_dword v3, v[0:1], off
	s_waitcnt vmcnt(0)
	v_cvt_f64_i32_e32 v[3:4], v3
.LBB127_252:
	s_mov_b64 s[2:3], 0
.LBB127_253:
	s_andn2_b64 vcc, exec, s[2:3]
	s_cbranch_vccnz .LBB127_255
; %bb.254:
	global_load_sshort v3, v[0:1], off
	s_waitcnt vmcnt(0)
	v_cvt_f64_i32_e32 v[3:4], v3
.LBB127_255:
	s_mov_b64 s[2:3], 0
.LBB127_256:
	s_andn2_b64 vcc, exec, s[2:3]
	s_cbranch_vccnz .LBB127_262
; %bb.257:
	s_cmp_gt_i32 s22, 0
	s_cbranch_scc0 .LBB127_259
; %bb.258:
	global_load_sbyte v3, v[0:1], off
	s_mov_b64 s[2:3], 0
	s_waitcnt vmcnt(0)
	v_cvt_f64_i32_e32 v[3:4], v3
	s_branch .LBB127_260
.LBB127_259:
	s_mov_b64 s[2:3], -1
                                        ; implicit-def: $vgpr3_vgpr4
.LBB127_260:
	s_andn2_b64 vcc, exec, s[2:3]
	s_cbranch_vccnz .LBB127_262
; %bb.261:
	global_load_ubyte v0, v[0:1], off
	s_waitcnt vmcnt(0)
	v_cvt_f64_u32_e32 v[3:4], v0
.LBB127_262:
	s_branch .LBB127_25
.LBB127_263:
	s_mov_b64 s[2:3], 0
.LBB127_264:
	s_mov_b64 s[18:19], 0
                                        ; implicit-def: $vgpr10
.LBB127_265:
	s_and_b64 s[58:59], s[2:3], exec
	s_and_b64 s[60:61], s[16:17], exec
	s_orn2_b64 s[2:3], s[18:19], exec
.LBB127_266:
	s_or_b64 exec, exec, s[62:63]
	s_mov_b64 s[18:19], 0
	s_mov_b64 s[16:17], 0
                                        ; implicit-def: $vgpr0_vgpr1
                                        ; implicit-def: $vgpr2
                                        ; implicit-def: $vgpr6_vgpr7
	s_and_saveexec_b64 s[62:63], s[2:3]
	s_cbranch_execz .LBB127_273
; %bb.267:
	v_cmp_gt_i32_e32 vcc, s74, v10
	s_mov_b64 s[2:3], -1
	s_mov_b64 s[64:65], s[60:61]
	s_mov_b64 s[66:67], s[58:59]
	s_and_saveexec_b64 s[68:69], vcc
	s_cbranch_execz .LBB127_542
; %bb.268:
	s_andn2_b64 vcc, exec, s[48:49]
	s_cbranch_vccnz .LBB127_276
; %bb.269:
	s_andn2_b64 vcc, exec, s[56:57]
	s_cbranch_vccnz .LBB127_277
; %bb.270:
	s_add_i32 s67, s79, 1
	s_cmp_eq_u32 s76, 2
	s_cbranch_scc1 .LBB127_278
; %bb.271:
	s_and_b32 s66, s67, 28
	v_mov_b32_e32 v0, 0
	s_mov_b32 s70, 0
	s_mov_b64 s[2:3], s[34:35]
	s_mov_b64 s[64:65], s[54:55]
	v_mov_b32_e32 v2, 0
	v_mov_b32_e32 v1, v10
.LBB127_272:                            ; =>This Inner Loop Header: Depth=1
	s_load_dwordx8 s[24:31], s[2:3], 0x4
	s_load_dwordx4 s[44:47], s[2:3], 0x24
	s_load_dwordx8 s[16:23], s[64:65], 0x0
	s_add_u32 s2, s2, 48
	s_addc_u32 s3, s3, 0
	s_waitcnt vmcnt(0) lgkmcnt(0)
	v_mul_hi_u32 v3, s25, v1
	s_add_i32 s70, s70, 4
	s_add_u32 s64, s64, 32
	s_addc_u32 s65, s65, 0
	v_add_u32_e32 v3, v1, v3
	v_lshrrev_b32_e32 v3, s26, v3
	v_mul_lo_u32 v4, v3, s24
	v_mul_hi_u32 v5, s28, v3
	s_cmp_eq_u32 s66, s70
	v_sub_u32_e32 v1, v1, v4
	v_add_u32_e32 v4, v3, v5
	v_mul_lo_u32 v5, v1, s16
	v_mul_lo_u32 v6, v1, s17
	v_lshrrev_b32_e32 v1, s29, v4
	v_mul_lo_u32 v4, v1, s27
	v_mul_hi_u32 v7, s31, v1
	v_sub_u32_e32 v3, v3, v4
	v_add_u32_e32 v4, v1, v7
	v_lshrrev_b32_e32 v4, s44, v4
	v_mul_hi_u32 v8, s46, v4
	v_mul_lo_u32 v9, v4, s30
	v_mul_lo_u32 v7, v3, s18
	;; [unrolled: 1-line block ×3, first 2 shown]
	v_sub_u32_e32 v9, v1, v9
	v_add_u32_e32 v1, v4, v8
	v_lshrrev_b32_e32 v1, s47, v1
	v_mul_lo_u32 v8, v1, s45
	v_mul_lo_u32 v11, v9, s20
	;; [unrolled: 1-line block ×3, first 2 shown]
	v_add3_u32 v2, v5, v2, v7
	v_sub_u32_e32 v4, v4, v8
	v_mul_lo_u32 v8, v4, s22
	v_mul_lo_u32 v4, v4, s23
	v_add3_u32 v0, v6, v0, v3
	v_add3_u32 v2, v11, v2, v8
	;; [unrolled: 1-line block ×3, first 2 shown]
	s_cbranch_scc0 .LBB127_272
	s_branch .LBB127_279
.LBB127_273:
	s_or_b64 exec, exec, s[62:63]
	s_mov_b64 s[2:3], 0
	s_and_saveexec_b64 s[10:11], s[60:61]
	s_cbranch_execnz .LBB127_918
.LBB127_274:
	s_or_b64 exec, exec, s[10:11]
	s_and_saveexec_b64 s[10:11], s[66:67]
	s_xor_b64 s[10:11], exec, s[10:11]
	s_cbranch_execz .LBB127_919
.LBB127_275:
	global_load_ubyte v3, v[0:1], off
	s_waitcnt vmcnt(1)
	v_mov_b32_e32 v4, 0x3ff00000
	v_mov_b32_e32 v6, 0
	s_or_b64 s[16:17], s[16:17], exec
	s_waitcnt vmcnt(0)
	v_cmp_ne_u16_e32 vcc, 0, v3
	v_cndmask_b32_e32 v7, 0, v4, vcc
	s_or_b64 exec, exec, s[10:11]
	s_and_saveexec_b64 s[10:11], s[18:19]
	s_cbranch_execz .LBB127_965
	s_branch .LBB127_920
.LBB127_276:
                                        ; implicit-def: $vgpr2
                                        ; implicit-def: $vgpr0
	s_andn2_b64 vcc, exec, s[2:3]
	s_cbranch_vccz .LBB127_283
	s_branch .LBB127_285
.LBB127_277:
	v_mov_b32_e32 v2, 0
	v_mov_b32_e32 v0, 0
	s_branch .LBB127_282
.LBB127_278:
	s_mov_b32 s66, 0
	v_mov_b32_e32 v2, 0
	v_mov_b32_e32 v0, 0
	;; [unrolled: 1-line block ×3, first 2 shown]
.LBB127_279:
	s_and_b32 s18, s67, 3
	s_cmp_eq_u32 s18, 0
	s_cbranch_scc1 .LBB127_282
; %bb.280:
	s_lshl_b32 s2, s66, 3
	s_add_u32 s2, s34, s2
	s_addc_u32 s3, s35, 0
	s_add_u32 s2, s2, 0xc4
	s_addc_u32 s3, s3, 0
	s_mul_i32 s16, s66, 12
	s_add_u32 s16, s34, s16
	s_addc_u32 s17, s35, 0
.LBB127_281:                            ; =>This Inner Loop Header: Depth=1
	s_load_dwordx2 s[20:21], s[16:17], 0x4
	s_load_dword s19, s[16:17], 0xc
	s_load_dwordx2 s[22:23], s[2:3], 0x0
	s_add_u32 s16, s16, 12
	s_addc_u32 s17, s17, 0
	s_waitcnt vmcnt(0) lgkmcnt(0)
	v_mul_hi_u32 v3, s21, v1
	s_add_u32 s2, s2, 8
	s_addc_u32 s3, s3, 0
	s_add_i32 s18, s18, -1
	v_add_u32_e32 v3, v1, v3
	v_lshrrev_b32_e32 v4, s19, v3
	v_mul_lo_u32 v3, v4, s20
	s_cmp_lg_u32 s18, 0
	v_sub_u32_e32 v1, v1, v3
	v_mad_u64_u32 v[2:3], s[20:21], v1, s22, v[2:3]
	v_mad_u64_u32 v[0:1], s[20:21], v1, s23, v[0:1]
	v_mov_b32_e32 v1, v4
	s_cbranch_scc1 .LBB127_281
.LBB127_282:
	s_cbranch_execnz .LBB127_285
.LBB127_283:
	v_mul_hi_u32 v0, s37, v10
	s_andn2_b64 vcc, exec, s[12:13]
	v_add_u32_e32 v0, v10, v0
	v_lshrrev_b32_e32 v1, s38, v0
	v_mul_lo_u32 v0, v1, s36
	v_sub_u32_e32 v0, v10, v0
	v_mul_lo_u32 v2, v0, s40
	v_mul_lo_u32 v0, v0, s41
	s_cbranch_vccnz .LBB127_285
; %bb.284:
	s_waitcnt vmcnt(0)
	v_mul_hi_u32 v3, s52, v1
	v_add_u32_e32 v3, v1, v3
	v_lshrrev_b32_e32 v3, s53, v3
	v_mul_lo_u32 v3, v3, s39
	v_sub_u32_e32 v1, v1, v3
	v_mad_u64_u32 v[2:3], s[2:3], v1, s42, v[2:3]
	v_mad_u64_u32 v[0:1], s[2:3], v1, s43, v[0:1]
.LBB127_285:
	v_mov_b32_e32 v1, s11
	s_and_b32 s22, 0xffff, s78
	v_add_co_u32_e32 v0, vcc, s10, v0
	s_cmp_lt_i32 s22, 11
	v_addc_co_u32_e32 v1, vcc, 0, v1, vcc
	s_cbranch_scc1 .LBB127_292
; %bb.286:
	s_cmp_gt_i32 s22, 25
	s_cbranch_scc0 .LBB127_301
; %bb.287:
	s_cmp_gt_i32 s22, 28
	s_cbranch_scc0 .LBB127_303
	;; [unrolled: 3-line block ×4, first 2 shown]
; %bb.290:
	s_cmp_eq_u32 s22, 46
	s_mov_b64 s[18:19], 0
	s_cbranch_scc0 .LBB127_313
; %bb.291:
	global_load_dword v3, v[0:1], off
	s_mov_b64 s[2:3], -1
	s_mov_b64 s[16:17], 0
	s_waitcnt vmcnt(0)
	v_lshlrev_b32_e32 v3, 16, v3
	v_cvt_f64_f32_e32 v[3:4], v3
	s_branch .LBB127_314
.LBB127_292:
	s_mov_b64 s[2:3], 0
                                        ; implicit-def: $vgpr3_vgpr4
	s_mov_b64 s[16:17], s[60:61]
	s_cbranch_execnz .LBB127_491
.LBB127_293:
	s_andn2_b64 vcc, exec, s[2:3]
	s_cbranch_vccnz .LBB127_539
.LBB127_294:
	v_mov_b32_e32 v0, s15
	s_waitcnt vmcnt(0)
	v_cndmask_b32_e64 v1, v0, v4, s[0:1]
	v_mov_b32_e32 v0, s14
	v_cndmask_b32_e64 v0, v0, v3, s[0:1]
	v_mov_b32_e32 v3, s9
	s_and_b32 s24, s77, 0xff
	v_add_co_u32_e32 v4, vcc, s8, v2
	s_cmp_lt_i32 s24, 11
	v_addc_co_u32_e32 v5, vcc, 0, v3, vcc
	s_cbranch_scc1 .LBB127_302
; %bb.295:
	s_and_b32 s25, 0xffff, s24
	s_cmp_gt_i32 s25, 25
	s_cbranch_scc0 .LBB127_304
; %bb.296:
	s_cmp_gt_i32 s25, 28
	s_cbranch_scc0 .LBB127_306
; %bb.297:
	;; [unrolled: 3-line block ×4, first 2 shown]
	s_mov_b64 s[20:21], 0
	s_mov_b64 s[2:3], -1
	s_cmp_eq_u32 s25, 46
	s_mov_b64 s[18:19], 0
	s_cbranch_scc0 .LBB127_318
; %bb.300:
	v_cvt_f32_f64_e32 v2, v[0:1]
	s_movk_i32 s2, 0x7fff
	v_mov_b32_e32 v3, 0x7fc0
	s_mov_b64 s[18:19], -1
	v_bfe_u32 v6, v2, 16, 1
	v_cmp_o_f32_e32 vcc, v2, v2
	v_add3_u32 v2, v2, v6, s2
	v_cndmask_b32_sdwa v2, v3, v2, vcc dst_sel:DWORD dst_unused:UNUSED_PAD src0_sel:DWORD src1_sel:WORD_1
	global_store_dword v[4:5], v2, off
	s_mov_b64 s[2:3], 0
	s_branch .LBB127_318
.LBB127_301:
	s_mov_b64 s[18:19], -1
	s_mov_b64 s[2:3], 0
	s_mov_b64 s[16:17], s[60:61]
                                        ; implicit-def: $vgpr3_vgpr4
	s_branch .LBB127_457
.LBB127_302:
	s_mov_b64 s[20:21], -1
	s_mov_b64 s[18:19], 0
	s_mov_b64 s[2:3], s[58:59]
	s_branch .LBB127_387
.LBB127_303:
	s_mov_b64 s[18:19], -1
	s_mov_b64 s[2:3], 0
	s_mov_b64 s[16:17], s[60:61]
                                        ; implicit-def: $vgpr3_vgpr4
	s_branch .LBB127_436
.LBB127_304:
	s_mov_b64 s[20:21], -1
	s_mov_b64 s[18:19], 0
	s_mov_b64 s[2:3], s[58:59]
	s_branch .LBB127_345
.LBB127_305:
	s_mov_b64 s[18:19], -1
	s_mov_b64 s[2:3], 0
	s_mov_b64 s[16:17], s[60:61]
                                        ; implicit-def: $vgpr3_vgpr4
	s_branch .LBB127_431
.LBB127_306:
	s_mov_b64 s[20:21], -1
	s_mov_b64 s[18:19], 0
	s_mov_b64 s[2:3], s[58:59]
	s_branch .LBB127_328
.LBB127_307:
	s_andn2_saveexec_b64 s[22:23], s[22:23]
	s_cbranch_execz .LBB127_68
.LBB127_308:
	s_mov_b32 s26, 0x46000000
	v_add_f32_e64 v3, |v2|, s26
	v_and_b32_e32 v3, 0xff, v3
	v_cmp_ne_u32_e32 vcc, 0, v3
	s_andn2_b64 s[20:21], s[20:21], exec
	s_and_b64 s[26:27], vcc, exec
	s_or_b64 s[20:21], s[20:21], s[26:27]
	s_or_b64 exec, exec, s[22:23]
	v_mov_b32_e32 v6, 0
	s_and_saveexec_b64 s[22:23], s[20:21]
	s_cbranch_execnz .LBB127_69
	s_branch .LBB127_70
.LBB127_309:
	s_mov_b64 s[18:19], -1
	s_mov_b64 s[2:3], 0
	s_mov_b64 s[16:17], s[60:61]
                                        ; implicit-def: $vgpr3_vgpr4
	s_branch .LBB127_314
.LBB127_310:
	s_mov_b64 s[20:21], -1
	s_mov_b64 s[18:19], 0
	s_mov_b64 s[2:3], s[58:59]
	s_branch .LBB127_324
.LBB127_311:
	s_andn2_saveexec_b64 s[22:23], s[22:23]
	s_cbranch_execz .LBB127_81
.LBB127_312:
	s_mov_b32 s26, 0x42800000
	v_add_f32_e64 v3, |v2|, s26
	v_and_b32_e32 v3, 0xff, v3
	v_cmp_ne_u32_e32 vcc, 0, v3
	s_andn2_b64 s[20:21], s[20:21], exec
	s_and_b64 s[26:27], vcc, exec
	s_or_b64 s[20:21], s[20:21], s[26:27]
	s_or_b64 exec, exec, s[22:23]
	v_mov_b32_e32 v6, 0
	s_and_saveexec_b64 s[22:23], s[20:21]
	s_cbranch_execnz .LBB127_82
	s_branch .LBB127_83
.LBB127_313:
	s_mov_b64 s[16:17], -1
                                        ; implicit-def: $vgpr3_vgpr4
	s_mov_b64 s[2:3], 0
.LBB127_314:
	s_and_b64 vcc, exec, s[18:19]
	s_cbranch_vccz .LBB127_430
; %bb.315:
	s_cmp_eq_u32 s22, 44
	s_cbranch_scc0 .LBB127_429
; %bb.316:
	global_load_ubyte v5, v[0:1], off
	s_movk_i32 s16, 0xff
	v_bfrev_b32_e32 v6, 4
	v_mov_b32_e32 v7, 0x7ff80000
	v_bfrev_b32_e32 v8, 28
	s_mov_b64 s[2:3], -1
	s_waitcnt vmcnt(0)
	v_lshlrev_b32_e32 v3, 23, v5
	v_cvt_f64_f32_e32 v[3:4], v3
	v_cmp_ne_u32_e32 vcc, s16, v5
	s_mov_b64 s[16:17], 0
	v_cndmask_b32_e32 v3, v6, v3, vcc
	v_cndmask_b32_e32 v4, v7, v4, vcc
	v_cmp_ne_u32_e32 vcc, 0, v5
	v_cndmask_b32_e32 v4, v8, v4, vcc
	v_cndmask_b32_e32 v3, 0, v3, vcc
	s_branch .LBB127_430
.LBB127_317:
	s_mov_b64 s[20:21], -1
	s_mov_b64 s[18:19], 0
	s_mov_b64 s[2:3], s[58:59]
.LBB127_318:
	s_and_b64 vcc, exec, s[20:21]
	s_cbranch_vccz .LBB127_323
; %bb.319:
	s_cmp_eq_u32 s25, 44
	s_mov_b64 s[2:3], -1
	s_cbranch_scc0 .LBB127_323
; %bb.320:
	v_cvt_f32_f64_e32 v2, v[0:1]
	s_movk_i32 s2, 0xff
	v_mov_b32_e32 v6, 0xff
	v_bfe_u32 v3, v2, 23, 8
	v_cmp_ne_u32_e32 vcc, s2, v3
	s_and_saveexec_b64 s[18:19], vcc
; %bb.321:
	s_mov_b32 s2, 0x3fffff
	v_lshrrev_b32_e32 v6, 23, v2
	v_and_b32_e32 v7, 0x400000, v2
	v_and_or_b32 v2, v2, s2, v3
	v_cmp_ne_u32_e32 vcc, 0, v7
	v_cmp_ne_u32_e64 s[2:3], 0, v2
	s_and_b64 s[2:3], vcc, s[2:3]
	v_cndmask_b32_e64 v2, 0, 1, s[2:3]
	v_add_u32_e32 v6, v6, v2
; %bb.322:
	s_or_b64 exec, exec, s[18:19]
	s_mov_b64 s[18:19], -1
	s_mov_b64 s[2:3], 0
	global_store_byte v[4:5], v6, off
.LBB127_323:
	s_mov_b64 s[20:21], 0
.LBB127_324:
	s_and_b64 vcc, exec, s[20:21]
	s_cbranch_vccz .LBB127_327
; %bb.325:
	s_cmp_eq_u32 s25, 29
	s_mov_b64 s[2:3], -1
	s_cbranch_scc0 .LBB127_327
; %bb.326:
	v_trunc_f64_e32 v[2:3], v[0:1]
	s_movk_i32 s2, 0xffe0
	s_mov_b64 s[18:19], -1
	s_mov_b64 s[20:21], 0
	v_ldexp_f64 v[6:7], v[2:3], s2
	s_mov_b32 s2, 0
	s_mov_b32 s3, 0xc1f00000
	v_floor_f64_e32 v[6:7], v[6:7]
	v_fma_f64 v[2:3], v[6:7], s[2:3], v[2:3]
	v_cvt_u32_f64_e32 v7, v[6:7]
	s_mov_b64 s[2:3], 0
	v_cvt_u32_f64_e32 v6, v[2:3]
	global_store_dwordx2 v[4:5], v[6:7], off
	s_branch .LBB127_328
.LBB127_327:
	s_mov_b64 s[20:21], 0
.LBB127_328:
	s_and_b64 vcc, exec, s[20:21]
	s_cbranch_vccz .LBB127_344
; %bb.329:
	s_cmp_lt_i32 s25, 27
	s_mov_b64 s[18:19], -1
	s_cbranch_scc1 .LBB127_335
; %bb.330:
	v_cvt_u32_f64_e32 v2, v[0:1]
	s_cmp_gt_i32 s25, 27
	s_cbranch_scc0 .LBB127_332
; %bb.331:
	s_mov_b64 s[18:19], 0
	global_store_dword v[4:5], v2, off
.LBB127_332:
	s_andn2_b64 vcc, exec, s[18:19]
	s_cbranch_vccnz .LBB127_334
; %bb.333:
	global_store_short v[4:5], v2, off
.LBB127_334:
	s_mov_b64 s[18:19], 0
.LBB127_335:
	s_andn2_b64 vcc, exec, s[18:19]
	s_cbranch_vccnz .LBB127_343
; %bb.336:
	v_cvt_f32_f64_e32 v2, v[0:1]
	s_mov_b32 s18, 0x43800000
	v_mov_b32_e32 v6, 0x80
	v_and_b32_e32 v3, 0x7fffffff, v2
	v_cmp_gt_u32_e32 vcc, s18, v3
	s_and_saveexec_b64 s[18:19], vcc
	s_cbranch_execz .LBB127_342
; %bb.337:
	s_mov_b32 s20, 0x3bffffff
	v_cmp_lt_u32_e32 vcc, s20, v3
	s_mov_b64 s[20:21], 0
                                        ; implicit-def: $vgpr3
	s_and_saveexec_b64 s[22:23], vcc
	s_xor_b64 s[22:23], exec, s[22:23]
	s_cbranch_execz .LBB127_570
; %bb.338:
	v_bfe_u32 v3, v2, 20, 1
	s_mov_b32 s26, 0x487ffff
	v_add3_u32 v3, v2, v3, s26
	s_mov_b64 s[20:21], exec
	v_lshrrev_b32_e32 v3, 20, v3
	s_andn2_saveexec_b64 s[22:23], s[22:23]
	s_cbranch_execnz .LBB127_571
.LBB127_339:
	s_or_b64 exec, exec, s[22:23]
	v_mov_b32_e32 v6, 0
	s_and_saveexec_b64 s[22:23], s[20:21]
.LBB127_340:
	v_lshrrev_b32_e32 v2, 24, v2
	s_movk_i32 s20, 0x80
	v_and_or_b32 v6, v2, s20, v3
.LBB127_341:
	s_or_b64 exec, exec, s[22:23]
.LBB127_342:
	s_or_b64 exec, exec, s[18:19]
	global_store_byte v[4:5], v6, off
.LBB127_343:
	s_mov_b64 s[18:19], -1
.LBB127_344:
	s_mov_b64 s[20:21], 0
.LBB127_345:
	s_and_b64 vcc, exec, s[20:21]
	s_cbranch_vccz .LBB127_386
; %bb.346:
	s_cmp_gt_i32 s25, 22
	s_mov_b64 s[20:21], -1
	s_cbranch_scc0 .LBB127_378
; %bb.347:
	s_cmp_lt_i32 s25, 24
	s_mov_b64 s[18:19], -1
	s_cbranch_scc1 .LBB127_367
; %bb.348:
	s_cmp_gt_i32 s25, 24
	s_cbranch_scc0 .LBB127_356
; %bb.349:
	v_cvt_f32_f64_e32 v2, v[0:1]
	s_mov_b32 s18, 0x47800000
	v_mov_b32_e32 v6, 0x80
	v_and_b32_e32 v3, 0x7fffffff, v2
	v_cmp_gt_u32_e32 vcc, s18, v3
	s_and_saveexec_b64 s[18:19], vcc
	s_cbranch_execz .LBB127_355
; %bb.350:
	s_mov_b32 s20, 0x37ffffff
	v_cmp_lt_u32_e32 vcc, s20, v3
	s_mov_b64 s[20:21], 0
                                        ; implicit-def: $vgpr3
	s_and_saveexec_b64 s[22:23], vcc
	s_xor_b64 s[22:23], exec, s[22:23]
	s_cbranch_execz .LBB127_573
; %bb.351:
	v_bfe_u32 v3, v2, 21, 1
	s_mov_b32 s26, 0x88fffff
	v_add3_u32 v3, v2, v3, s26
	s_mov_b64 s[20:21], exec
	v_lshrrev_b32_e32 v3, 21, v3
	s_andn2_saveexec_b64 s[22:23], s[22:23]
	s_cbranch_execnz .LBB127_574
.LBB127_352:
	s_or_b64 exec, exec, s[22:23]
	v_mov_b32_e32 v6, 0
	s_and_saveexec_b64 s[22:23], s[20:21]
.LBB127_353:
	v_lshrrev_b32_e32 v2, 24, v2
	s_movk_i32 s20, 0x80
	v_and_or_b32 v6, v2, s20, v3
.LBB127_354:
	s_or_b64 exec, exec, s[22:23]
.LBB127_355:
	s_or_b64 exec, exec, s[18:19]
	s_mov_b64 s[18:19], 0
	global_store_byte v[4:5], v6, off
.LBB127_356:
	s_and_b64 vcc, exec, s[18:19]
	s_cbranch_vccz .LBB127_366
; %bb.357:
	v_cvt_f32_f64_e32 v2, v[0:1]
	s_mov_b32 s18, 0x43f00000
                                        ; implicit-def: $vgpr3
	v_and_b32_e32 v6, 0x7fffffff, v2
	v_cmp_gt_u32_e32 vcc, s18, v6
	s_and_saveexec_b64 s[18:19], vcc
	s_xor_b64 s[18:19], exec, s[18:19]
	s_cbranch_execz .LBB127_363
; %bb.358:
	s_mov_b32 s20, 0x3c7fffff
	v_cmp_lt_u32_e32 vcc, s20, v6
                                        ; implicit-def: $vgpr3
	s_and_saveexec_b64 s[20:21], vcc
	s_xor_b64 s[20:21], exec, s[20:21]
; %bb.359:
	v_bfe_u32 v3, v2, 20, 1
	s_mov_b32 s22, 0x407ffff
	v_add3_u32 v3, v2, v3, s22
	v_lshrrev_b32_e32 v6, 20, v3
	v_and_b32_e32 v3, 0xff00000, v3
	s_mov_b32 s22, 0x7f00000
	v_mov_b32_e32 v7, 0x7e
	v_cmp_ne_u32_e32 vcc, s22, v3
	v_cndmask_b32_e32 v3, v7, v6, vcc
; %bb.360:
	s_andn2_saveexec_b64 s[20:21], s[20:21]
; %bb.361:
	s_mov_b32 s22, 0x46800000
	v_add_f32_e64 v3, |v2|, s22
; %bb.362:
	s_or_b64 exec, exec, s[20:21]
                                        ; implicit-def: $vgpr6
.LBB127_363:
	s_andn2_saveexec_b64 s[18:19], s[18:19]
; %bb.364:
	s_mov_b32 s20, 0x7f800000
	v_mov_b32_e32 v3, 0x7e
	v_mov_b32_e32 v7, 0x7f
	v_cmp_lt_u32_e32 vcc, s20, v6
	v_cndmask_b32_e32 v3, v3, v7, vcc
; %bb.365:
	s_or_b64 exec, exec, s[18:19]
	v_lshrrev_b32_e32 v2, 24, v2
	s_movk_i32 s18, 0x80
	v_and_or_b32 v2, v2, s18, v3
	global_store_byte v[4:5], v2, off
.LBB127_366:
	s_mov_b64 s[18:19], 0
.LBB127_367:
	s_andn2_b64 vcc, exec, s[18:19]
	s_cbranch_vccnz .LBB127_377
; %bb.368:
	v_cvt_f32_f64_e32 v2, v[0:1]
	s_mov_b32 s18, 0x47800000
                                        ; implicit-def: $vgpr3
	v_and_b32_e32 v6, 0x7fffffff, v2
	v_cmp_gt_u32_e32 vcc, s18, v6
	s_and_saveexec_b64 s[18:19], vcc
	s_xor_b64 s[18:19], exec, s[18:19]
	s_cbranch_execz .LBB127_374
; %bb.369:
	s_mov_b32 s20, 0x387fffff
	v_cmp_lt_u32_e32 vcc, s20, v6
                                        ; implicit-def: $vgpr3
	s_and_saveexec_b64 s[20:21], vcc
	s_xor_b64 s[20:21], exec, s[20:21]
; %bb.370:
	v_bfe_u32 v3, v2, 21, 1
	s_mov_b32 s22, 0x80fffff
	v_add3_u32 v3, v2, v3, s22
	v_lshrrev_b32_e32 v3, 21, v3
; %bb.371:
	s_andn2_saveexec_b64 s[20:21], s[20:21]
; %bb.372:
	s_mov_b32 s22, 0x43000000
	v_add_f32_e64 v3, |v2|, s22
; %bb.373:
	s_or_b64 exec, exec, s[20:21]
                                        ; implicit-def: $vgpr6
.LBB127_374:
	s_andn2_saveexec_b64 s[18:19], s[18:19]
; %bb.375:
	s_mov_b32 s20, 0x7f800000
	v_mov_b32_e32 v3, 0x7c
	v_mov_b32_e32 v7, 0x7f
	v_cmp_lt_u32_e32 vcc, s20, v6
	v_cndmask_b32_e32 v3, v3, v7, vcc
; %bb.376:
	s_or_b64 exec, exec, s[18:19]
	v_lshrrev_b32_e32 v2, 24, v2
	s_movk_i32 s18, 0x80
	v_and_or_b32 v2, v2, s18, v3
	global_store_byte v[4:5], v2, off
.LBB127_377:
	s_mov_b64 s[20:21], 0
	s_mov_b64 s[18:19], -1
.LBB127_378:
	s_andn2_b64 vcc, exec, s[20:21]
	s_cbranch_vccnz .LBB127_386
; %bb.379:
	s_cmp_gt_i32 s25, 14
	s_mov_b64 s[20:21], -1
	s_cbranch_scc0 .LBB127_383
; %bb.380:
	s_cmp_eq_u32 s25, 15
	s_mov_b64 s[2:3], -1
	s_cbranch_scc0 .LBB127_382
; %bb.381:
	v_cvt_f32_f64_e32 v2, v[0:1]
	s_movk_i32 s2, 0x7fff
	v_mov_b32_e32 v3, 0x7fc0
	s_mov_b64 s[18:19], -1
	v_bfe_u32 v6, v2, 16, 1
	v_cmp_o_f32_e32 vcc, v2, v2
	v_add3_u32 v2, v2, v6, s2
	v_cndmask_b32_sdwa v2, v3, v2, vcc dst_sel:DWORD dst_unused:UNUSED_PAD src0_sel:DWORD src1_sel:WORD_1
	global_store_short v[4:5], v2, off
	s_mov_b64 s[2:3], 0
.LBB127_382:
	s_mov_b64 s[20:21], 0
.LBB127_383:
	s_and_b64 vcc, exec, s[20:21]
	s_cbranch_vccz .LBB127_386
; %bb.384:
	s_cmp_eq_u32 s25, 11
	s_mov_b64 s[2:3], -1
	s_cbranch_scc0 .LBB127_386
; %bb.385:
	v_cmp_neq_f64_e32 vcc, 0, v[0:1]
	s_mov_b64 s[2:3], 0
	s_mov_b64 s[18:19], -1
	v_cndmask_b32_e64 v2, 0, 1, vcc
	global_store_byte v[4:5], v2, off
.LBB127_386:
	s_mov_b64 s[20:21], 0
.LBB127_387:
	s_and_b64 vcc, exec, s[20:21]
	s_cbranch_vccz .LBB127_426
; %bb.388:
	s_and_b32 s20, 0xffff, s24
	s_cmp_lt_i32 s20, 5
	s_mov_b64 s[18:19], -1
	s_cbranch_scc1 .LBB127_409
; %bb.389:
	s_cmp_lt_i32 s20, 8
	s_cbranch_scc1 .LBB127_399
; %bb.390:
	s_cmp_lt_i32 s20, 9
	s_cbranch_scc1 .LBB127_396
; %bb.391:
	s_cmp_gt_i32 s20, 9
	s_cbranch_scc0 .LBB127_393
; %bb.392:
	v_mov_b32_e32 v2, 0
	v_mov_b32_e32 v3, v2
	s_mov_b64 s[18:19], 0
	global_store_dwordx4 v[4:5], v[0:3], off
.LBB127_393:
	s_andn2_b64 vcc, exec, s[18:19]
	s_cbranch_vccnz .LBB127_395
; %bb.394:
	v_cvt_f32_f64_e32 v2, v[0:1]
	v_mov_b32_e32 v3, 0
	global_store_dwordx2 v[4:5], v[2:3], off
.LBB127_395:
	s_mov_b64 s[18:19], 0
.LBB127_396:
	s_andn2_b64 vcc, exec, s[18:19]
	s_cbranch_vccnz .LBB127_398
; %bb.397:
	s_movk_i32 s18, 0x1ff
	v_and_or_b32 v2, v1, s18, v0
	v_cmp_ne_u32_e32 vcc, 0, v2
	v_cndmask_b32_e64 v2, 0, 1, vcc
	v_lshrrev_b32_e32 v3, 8, v1
	s_movk_i32 s18, 0xffe
	v_bfe_u32 v6, v1, 20, 11
	v_and_or_b32 v2, v3, s18, v2
	v_sub_u32_e32 v7, 0x3f1, v6
	v_or_b32_e32 v3, 0x1000, v2
	v_med3_i32 v7, v7, 0, 13
	v_lshrrev_b32_e32 v8, v7, v3
	v_lshlrev_b32_e32 v7, v7, v8
	v_cmp_ne_u32_e32 vcc, v7, v3
	v_cndmask_b32_e64 v3, 0, 1, vcc
	v_add_u32_e32 v6, 0xfffffc10, v6
	v_or_b32_e32 v3, v8, v3
	v_lshl_or_b32 v7, v6, 12, v2
	v_cmp_gt_i32_e32 vcc, 1, v6
	v_cndmask_b32_e32 v3, v7, v3, vcc
	v_and_b32_e32 v7, 7, v3
	v_cmp_lt_i32_e32 vcc, 5, v7
	v_cndmask_b32_e64 v8, 0, 1, vcc
	v_cmp_eq_u32_e32 vcc, 3, v7
	v_cndmask_b32_e64 v7, 0, 1, vcc
	v_or_b32_e32 v7, v7, v8
	v_lshrrev_b32_e32 v3, 2, v3
	v_add_u32_e32 v3, v3, v7
	v_mov_b32_e32 v7, 0x7c00
	v_cmp_gt_i32_e32 vcc, 31, v6
	v_cndmask_b32_e32 v3, v7, v3, vcc
	v_mov_b32_e32 v8, 0x7e00
	v_cmp_ne_u32_e32 vcc, 0, v2
	s_movk_i32 s18, 0x40f
	v_cndmask_b32_e32 v2, v7, v8, vcc
	v_cmp_eq_u32_e32 vcc, s18, v6
	v_cndmask_b32_e32 v2, v3, v2, vcc
	v_lshrrev_b32_e32 v3, 16, v1
	s_mov_b32 s18, 0x8000
	v_and_or_b32 v2, v3, s18, v2
	v_and_b32_e32 v2, 0xffff, v2
	global_store_dword v[4:5], v2, off
.LBB127_398:
	s_mov_b64 s[18:19], 0
.LBB127_399:
	s_andn2_b64 vcc, exec, s[18:19]
	s_cbranch_vccnz .LBB127_408
; %bb.400:
	s_cmp_lt_i32 s20, 6
	s_mov_b64 s[18:19], -1
	s_cbranch_scc1 .LBB127_406
; %bb.401:
	s_cmp_gt_i32 s20, 6
	s_cbranch_scc0 .LBB127_403
; %bb.402:
	s_mov_b64 s[18:19], 0
	global_store_dwordx2 v[4:5], v[0:1], off
.LBB127_403:
	s_andn2_b64 vcc, exec, s[18:19]
	s_cbranch_vccnz .LBB127_405
; %bb.404:
	v_cvt_f32_f64_e32 v2, v[0:1]
	global_store_dword v[4:5], v2, off
.LBB127_405:
	s_mov_b64 s[18:19], 0
.LBB127_406:
	s_andn2_b64 vcc, exec, s[18:19]
	s_cbranch_vccnz .LBB127_408
; %bb.407:
	s_movk_i32 s18, 0x1ff
	v_and_or_b32 v2, v1, s18, v0
	v_cmp_ne_u32_e32 vcc, 0, v2
	v_cndmask_b32_e64 v2, 0, 1, vcc
	v_lshrrev_b32_e32 v3, 8, v1
	s_movk_i32 s18, 0xffe
	v_bfe_u32 v6, v1, 20, 11
	v_and_or_b32 v2, v3, s18, v2
	v_sub_u32_e32 v7, 0x3f1, v6
	v_or_b32_e32 v3, 0x1000, v2
	v_med3_i32 v7, v7, 0, 13
	v_lshrrev_b32_e32 v8, v7, v3
	v_lshlrev_b32_e32 v7, v7, v8
	v_cmp_ne_u32_e32 vcc, v7, v3
	v_cndmask_b32_e64 v3, 0, 1, vcc
	v_add_u32_e32 v6, 0xfffffc10, v6
	v_or_b32_e32 v3, v8, v3
	v_lshl_or_b32 v7, v6, 12, v2
	v_cmp_gt_i32_e32 vcc, 1, v6
	v_cndmask_b32_e32 v3, v7, v3, vcc
	v_and_b32_e32 v7, 7, v3
	v_cmp_lt_i32_e32 vcc, 5, v7
	v_cndmask_b32_e64 v8, 0, 1, vcc
	v_cmp_eq_u32_e32 vcc, 3, v7
	v_cndmask_b32_e64 v7, 0, 1, vcc
	v_or_b32_e32 v7, v7, v8
	v_lshrrev_b32_e32 v3, 2, v3
	v_add_u32_e32 v3, v3, v7
	v_mov_b32_e32 v7, 0x7c00
	v_cmp_gt_i32_e32 vcc, 31, v6
	v_cndmask_b32_e32 v3, v7, v3, vcc
	v_mov_b32_e32 v8, 0x7e00
	v_cmp_ne_u32_e32 vcc, 0, v2
	s_movk_i32 s18, 0x40f
	v_cndmask_b32_e32 v2, v7, v8, vcc
	v_cmp_eq_u32_e32 vcc, s18, v6
	v_cndmask_b32_e32 v2, v3, v2, vcc
	v_lshrrev_b32_e32 v3, 16, v1
	s_mov_b32 s18, 0x8000
	v_and_or_b32 v2, v3, s18, v2
	global_store_short v[4:5], v2, off
.LBB127_408:
	s_mov_b64 s[18:19], 0
.LBB127_409:
	s_andn2_b64 vcc, exec, s[18:19]
	s_cbranch_vccnz .LBB127_425
; %bb.410:
	s_cmp_lt_i32 s20, 2
	s_mov_b64 s[18:19], -1
	s_cbranch_scc1 .LBB127_420
; %bb.411:
	s_cmp_lt_i32 s20, 3
	s_cbranch_scc1 .LBB127_417
; %bb.412:
	s_cmp_gt_i32 s20, 3
	s_cbranch_scc0 .LBB127_414
; %bb.413:
	v_trunc_f64_e32 v[2:3], v[0:1]
	s_movk_i32 s18, 0xffe0
	v_ldexp_f64 v[6:7], v[2:3], s18
	s_mov_b32 s18, 0
	s_mov_b32 s19, 0xc1f00000
	v_floor_f64_e32 v[6:7], v[6:7]
	v_fma_f64 v[2:3], v[6:7], s[18:19], v[2:3]
	v_cvt_i32_f64_e32 v7, v[6:7]
	s_mov_b64 s[18:19], 0
	v_cvt_u32_f64_e32 v6, v[2:3]
	global_store_dwordx2 v[4:5], v[6:7], off
.LBB127_414:
	s_andn2_b64 vcc, exec, s[18:19]
	s_cbranch_vccnz .LBB127_416
; %bb.415:
	v_cvt_i32_f64_e32 v2, v[0:1]
	global_store_dword v[4:5], v2, off
.LBB127_416:
	s_mov_b64 s[18:19], 0
.LBB127_417:
	s_andn2_b64 vcc, exec, s[18:19]
	s_cbranch_vccnz .LBB127_419
; %bb.418:
	v_cvt_i32_f64_e32 v2, v[0:1]
	global_store_short v[4:5], v2, off
.LBB127_419:
	s_mov_b64 s[18:19], 0
.LBB127_420:
	s_andn2_b64 vcc, exec, s[18:19]
	s_cbranch_vccnz .LBB127_425
; %bb.421:
	s_cmp_gt_i32 s20, 0
	s_mov_b64 s[18:19], -1
	s_cbranch_scc0 .LBB127_423
; %bb.422:
	v_cvt_i32_f64_e32 v2, v[0:1]
	s_mov_b64 s[18:19], 0
	global_store_byte v[4:5], v2, off
.LBB127_423:
	s_andn2_b64 vcc, exec, s[18:19]
	s_cbranch_vccnz .LBB127_425
; %bb.424:
	v_trunc_f64_e32 v[0:1], v[0:1]
	s_movk_i32 s18, 0xffe0
	v_ldexp_f64 v[2:3], v[0:1], s18
	s_mov_b32 s18, 0
	s_mov_b32 s19, 0xc1f00000
	v_floor_f64_e32 v[2:3], v[2:3]
	v_fma_f64 v[0:1], v[2:3], s[18:19], v[0:1]
	v_cvt_u32_f64_e32 v0, v[0:1]
	global_store_byte v[4:5], v0, off
.LBB127_425:
	s_mov_b64 s[18:19], -1
.LBB127_426:
	s_andn2_b64 vcc, exec, s[18:19]
	s_cbranch_vccnz .LBB127_428
; %bb.427:
	v_add_u32_e32 v10, 0x80, v10
	s_mov_b64 s[18:19], -1
	s_branch .LBB127_541
.LBB127_428:
	s_mov_b64 s[18:19], 0
	s_branch .LBB127_540
.LBB127_429:
	s_mov_b64 s[16:17], -1
                                        ; implicit-def: $vgpr3_vgpr4
.LBB127_430:
	s_mov_b64 s[18:19], 0
.LBB127_431:
	s_and_b64 vcc, exec, s[18:19]
	s_cbranch_vccz .LBB127_435
; %bb.432:
	s_cmp_eq_u32 s22, 29
	s_cbranch_scc0 .LBB127_434
; %bb.433:
	global_load_dwordx2 v[3:4], v[0:1], off
	s_mov_b64 s[2:3], -1
	s_mov_b64 s[16:17], 0
	s_mov_b64 s[18:19], 0
	s_waitcnt vmcnt(0)
	v_cvt_f64_u32_e32 v[4:5], v4
	v_cvt_f64_u32_e32 v[6:7], v3
	v_ldexp_f64 v[4:5], v[4:5], 32
	v_add_f64 v[3:4], v[4:5], v[6:7]
	s_branch .LBB127_436
.LBB127_434:
	s_mov_b64 s[16:17], -1
                                        ; implicit-def: $vgpr3_vgpr4
.LBB127_435:
	s_mov_b64 s[18:19], 0
.LBB127_436:
	s_and_b64 vcc, exec, s[18:19]
	s_cbranch_vccz .LBB127_456
; %bb.437:
	s_cmp_lt_i32 s22, 27
	s_cbranch_scc1 .LBB127_440
; %bb.438:
	s_cmp_gt_i32 s22, 27
	s_cbranch_scc0 .LBB127_441
; %bb.439:
	global_load_dword v3, v[0:1], off
	s_mov_b64 s[2:3], 0
	s_waitcnt vmcnt(0)
	v_cvt_f64_u32_e32 v[3:4], v3
	s_branch .LBB127_442
.LBB127_440:
	s_mov_b64 s[2:3], -1
                                        ; implicit-def: $vgpr3_vgpr4
	s_branch .LBB127_445
.LBB127_441:
	s_mov_b64 s[2:3], -1
                                        ; implicit-def: $vgpr3_vgpr4
.LBB127_442:
	s_andn2_b64 vcc, exec, s[2:3]
	s_cbranch_vccnz .LBB127_444
; %bb.443:
	global_load_ushort v3, v[0:1], off
	s_waitcnt vmcnt(0)
	v_cvt_f64_u32_e32 v[3:4], v3
.LBB127_444:
	s_mov_b64 s[2:3], 0
.LBB127_445:
	s_andn2_b64 vcc, exec, s[2:3]
	s_cbranch_vccnz .LBB127_455
; %bb.446:
	global_load_ubyte v5, v[0:1], off
	s_movk_i32 s2, 0x7f
	s_waitcnt vmcnt(0)
	v_cmp_lt_i16_e32 vcc, s2, v5
	s_mov_b64 s[2:3], 0
	s_and_saveexec_b64 s[18:19], vcc
	s_xor_b64 s[18:19], exec, s[18:19]
	s_cbranch_execz .LBB127_450
; %bb.447:
	s_movk_i32 s2, 0x80
	v_cmp_eq_u16_e32 vcc, s2, v5
	s_mov_b64 s[2:3], -1
	s_and_saveexec_b64 s[20:21], vcc
; %bb.448:
	s_xor_b64 s[2:3], exec, -1
; %bb.449:
	s_or_b64 exec, exec, s[20:21]
	s_and_b64 s[2:3], s[2:3], exec
.LBB127_450:
	s_or_saveexec_b64 s[18:19], s[18:19]
	v_bfrev_b32_e32 v3, 4
	v_mov_b32_e32 v4, 0x7ff80000
	s_xor_b64 exec, exec, s[18:19]
; %bb.451:
	v_cmp_ne_u16_e32 vcc, 0, v5
	v_mov_b32_e32 v3, 0
	s_andn2_b64 s[2:3], s[2:3], exec
	s_and_b64 s[20:21], vcc, exec
	v_mov_b32_e32 v4, 0
	s_or_b64 s[2:3], s[2:3], s[20:21]
; %bb.452:
	s_or_b64 exec, exec, s[18:19]
	s_and_saveexec_b64 s[18:19], s[2:3]
	s_cbranch_execz .LBB127_454
; %bb.453:
	v_and_b32_e32 v4, 0xffff, v5
	v_lshlrev_b32_e32 v3, 24, v5
	v_and_b32_e32 v5, 7, v4
	v_ffbh_u32_e32 v7, v5
	v_min_u32_e32 v7, 32, v7
	v_subrev_u32_e32 v8, 28, v7
	v_bfe_u32 v6, v4, 3, 4
	v_lshlrev_b32_e32 v4, v8, v4
	v_sub_u32_e32 v7, 29, v7
	v_and_b32_e32 v4, 7, v4
	v_cmp_eq_u32_e32 vcc, 0, v6
	v_cndmask_b32_e32 v6, v6, v7, vcc
	v_cndmask_b32_e32 v4, v5, v4, vcc
	v_mov_b32_e32 v5, 0x3b800000
	v_lshlrev_b32_e32 v4, 20, v4
	v_and_b32_e32 v3, 0x80000000, v3
	v_lshl_add_u32 v5, v6, 23, v5
	v_or3_b32 v3, v3, v5, v4
	v_cvt_f64_f32_e32 v[3:4], v3
.LBB127_454:
	s_or_b64 exec, exec, s[18:19]
.LBB127_455:
	s_mov_b64 s[2:3], -1
.LBB127_456:
	s_mov_b64 s[18:19], 0
.LBB127_457:
	s_and_b64 vcc, exec, s[18:19]
	s_cbranch_vccz .LBB127_490
; %bb.458:
	s_cmp_gt_i32 s22, 22
	s_cbranch_scc0 .LBB127_470
; %bb.459:
	s_cmp_lt_i32 s22, 24
	s_cbranch_scc1 .LBB127_471
; %bb.460:
	s_cmp_gt_i32 s22, 24
	s_cbranch_scc0 .LBB127_472
; %bb.461:
	global_load_ubyte v5, v[0:1], off
	s_movk_i32 s2, 0x7f
	s_waitcnt vmcnt(0)
	v_cmp_lt_i16_e32 vcc, s2, v5
	s_mov_b64 s[2:3], 0
	s_and_saveexec_b64 s[18:19], vcc
	s_xor_b64 s[18:19], exec, s[18:19]
	s_cbranch_execz .LBB127_465
; %bb.462:
	s_movk_i32 s2, 0x80
	v_cmp_eq_u16_e32 vcc, s2, v5
	s_mov_b64 s[2:3], -1
	s_and_saveexec_b64 s[20:21], vcc
; %bb.463:
	s_xor_b64 s[2:3], exec, -1
; %bb.464:
	s_or_b64 exec, exec, s[20:21]
	s_and_b64 s[2:3], s[2:3], exec
.LBB127_465:
	s_or_saveexec_b64 s[18:19], s[18:19]
	v_bfrev_b32_e32 v3, 4
	v_mov_b32_e32 v4, 0x7ff80000
	s_xor_b64 exec, exec, s[18:19]
; %bb.466:
	v_cmp_ne_u16_e32 vcc, 0, v5
	v_mov_b32_e32 v3, 0
	s_andn2_b64 s[2:3], s[2:3], exec
	s_and_b64 s[20:21], vcc, exec
	v_mov_b32_e32 v4, 0
	s_or_b64 s[2:3], s[2:3], s[20:21]
; %bb.467:
	s_or_b64 exec, exec, s[18:19]
	s_and_saveexec_b64 s[18:19], s[2:3]
	s_cbranch_execz .LBB127_469
; %bb.468:
	v_and_b32_e32 v4, 0xffff, v5
	v_lshlrev_b32_e32 v3, 24, v5
	v_and_b32_e32 v5, 3, v4
	v_ffbh_u32_e32 v7, v5
	v_min_u32_e32 v7, 32, v7
	v_subrev_u32_e32 v8, 29, v7
	v_bfe_u32 v6, v4, 2, 5
	v_lshlrev_b32_e32 v4, v8, v4
	v_sub_u32_e32 v7, 30, v7
	v_and_b32_e32 v4, 3, v4
	v_cmp_eq_u32_e32 vcc, 0, v6
	v_cndmask_b32_e32 v6, v6, v7, vcc
	v_cndmask_b32_e32 v4, v5, v4, vcc
	v_mov_b32_e32 v5, 0x37800000
	v_lshlrev_b32_e32 v4, 21, v4
	v_and_b32_e32 v3, 0x80000000, v3
	v_lshl_add_u32 v5, v6, 23, v5
	v_or3_b32 v3, v3, v5, v4
	v_cvt_f64_f32_e32 v[3:4], v3
.LBB127_469:
	s_or_b64 exec, exec, s[18:19]
	s_mov_b64 s[2:3], 0
	s_branch .LBB127_473
.LBB127_470:
	s_mov_b64 s[18:19], -1
                                        ; implicit-def: $vgpr3_vgpr4
	s_branch .LBB127_479
.LBB127_471:
	s_mov_b64 s[2:3], -1
                                        ; implicit-def: $vgpr3_vgpr4
	s_branch .LBB127_476
.LBB127_472:
	s_mov_b64 s[2:3], -1
                                        ; implicit-def: $vgpr3_vgpr4
.LBB127_473:
	s_and_b64 vcc, exec, s[2:3]
	s_cbranch_vccz .LBB127_475
; %bb.474:
	global_load_ubyte v3, v[0:1], off
	s_mov_b32 s2, 0x7f800000
	s_waitcnt vmcnt(0)
	v_lshlrev_b32_e32 v3, 24, v3
	v_and_b32_e32 v4, 0x7f000000, v3
	v_ffbh_u32_e32 v5, v4
	v_min_u32_e32 v5, 32, v5
	v_sub_u32_e64 v5, v5, 4 clamp
	v_lshlrev_b32_e32 v7, v5, v4
	v_lshlrev_b32_e32 v5, 23, v5
	v_lshrrev_b32_e32 v7, 4, v7
	v_add_u32_e32 v6, 0x1000000, v4
	v_sub_u32_e32 v5, v7, v5
	v_ashrrev_i32_e32 v6, 8, v6
	v_add_u32_e32 v5, 0x3c000000, v5
	v_and_or_b32 v5, v6, s2, v5
	v_cmp_ne_u32_e32 vcc, 0, v4
	v_cndmask_b32_e32 v4, 0, v5, vcc
	s_brev_b32 s2, 1
	v_and_or_b32 v3, v3, s2, v4
	v_cvt_f64_f32_e32 v[3:4], v3
.LBB127_475:
	s_mov_b64 s[2:3], 0
.LBB127_476:
	s_andn2_b64 vcc, exec, s[2:3]
	s_cbranch_vccnz .LBB127_478
; %bb.477:
	global_load_ubyte v3, v[0:1], off
	s_movk_i32 s2, 0x7f00
	s_brev_b32 s3, 16
	s_waitcnt vmcnt(0)
	v_lshlrev_b16_e32 v4, 8, v3
	v_lshlrev_b32_e32 v3, 25, v3
	v_lshrrev_b32_e32 v5, 4, v3
	v_and_or_b32 v6, v4, s2, 0.5
	v_or_b32_e32 v5, 0x70000000, v5
	v_add_f32_e32 v6, -0.5, v6
	v_mul_f32_e32 v5, 0x7800000, v5
	v_cmp_gt_u32_e32 vcc, s3, v3
	v_bfe_i32 v4, v4, 0, 16
	v_cndmask_b32_e32 v3, v5, v6, vcc
	s_brev_b32 s2, 1
	v_and_or_b32 v3, v4, s2, v3
	v_cvt_f64_f32_e32 v[3:4], v3
.LBB127_478:
	s_mov_b64 s[18:19], 0
	s_mov_b64 s[2:3], -1
.LBB127_479:
	s_andn2_b64 vcc, exec, s[18:19]
	s_cbranch_vccnz .LBB127_490
; %bb.480:
	s_cmp_gt_i32 s22, 14
	s_cbranch_scc0 .LBB127_483
; %bb.481:
	s_cmp_eq_u32 s22, 15
	s_cbranch_scc0 .LBB127_484
; %bb.482:
	global_load_ushort v3, v[0:1], off
	s_mov_b64 s[2:3], -1
	s_mov_b64 s[16:17], 0
	s_waitcnt vmcnt(0)
	v_lshlrev_b32_e32 v3, 16, v3
	v_cvt_f64_f32_e32 v[3:4], v3
	s_branch .LBB127_485
.LBB127_483:
	s_mov_b64 s[18:19], -1
                                        ; implicit-def: $vgpr3_vgpr4
	s_branch .LBB127_486
.LBB127_484:
	s_mov_b64 s[16:17], -1
                                        ; implicit-def: $vgpr3_vgpr4
.LBB127_485:
	s_mov_b64 s[18:19], 0
.LBB127_486:
	s_and_b64 vcc, exec, s[18:19]
	s_cbranch_vccz .LBB127_490
; %bb.487:
	s_cmp_eq_u32 s22, 11
	s_cbranch_scc0 .LBB127_489
; %bb.488:
	global_load_ubyte v4, v[0:1], off
	v_mov_b32_e32 v5, 0x3ff00000
	s_waitcnt vmcnt(1)
	v_mov_b32_e32 v3, 0
	s_mov_b64 s[2:3], -1
	s_mov_b64 s[16:17], 0
	s_waitcnt vmcnt(0)
	v_cmp_ne_u16_e32 vcc, 0, v4
	v_cndmask_b32_e32 v4, 0, v5, vcc
	s_branch .LBB127_490
.LBB127_489:
	s_mov_b64 s[16:17], -1
                                        ; implicit-def: $vgpr3_vgpr4
.LBB127_490:
	s_branch .LBB127_293
.LBB127_491:
	s_cmp_lt_i32 s22, 5
	s_cbranch_scc1 .LBB127_496
; %bb.492:
	s_cmp_lt_i32 s22, 8
	s_cbranch_scc1 .LBB127_497
; %bb.493:
	;; [unrolled: 3-line block ×3, first 2 shown]
	s_cmp_gt_i32 s22, 9
	s_cbranch_scc0 .LBB127_499
; %bb.495:
	global_load_dwordx2 v[3:4], v[0:1], off
	s_mov_b64 s[2:3], 0
	s_branch .LBB127_500
.LBB127_496:
	s_mov_b64 s[2:3], -1
                                        ; implicit-def: $vgpr3_vgpr4
	s_branch .LBB127_518
.LBB127_497:
	s_mov_b64 s[2:3], -1
                                        ; implicit-def: $vgpr3_vgpr4
	s_branch .LBB127_506
.LBB127_498:
	s_mov_b64 s[2:3], -1
                                        ; implicit-def: $vgpr3_vgpr4
	s_branch .LBB127_503
.LBB127_499:
	s_mov_b64 s[2:3], -1
                                        ; implicit-def: $vgpr3_vgpr4
.LBB127_500:
	s_andn2_b64 vcc, exec, s[2:3]
	s_cbranch_vccnz .LBB127_502
; %bb.501:
	global_load_dword v3, v[0:1], off
	s_waitcnt vmcnt(0)
	v_cvt_f64_f32_e32 v[3:4], v3
.LBB127_502:
	s_mov_b64 s[2:3], 0
.LBB127_503:
	s_andn2_b64 vcc, exec, s[2:3]
	s_cbranch_vccnz .LBB127_505
; %bb.504:
	global_load_dword v3, v[0:1], off
	s_waitcnt vmcnt(0)
	v_cvt_f32_f16_e32 v3, v3
	v_cvt_f64_f32_e32 v[3:4], v3
.LBB127_505:
	s_mov_b64 s[2:3], 0
.LBB127_506:
	s_andn2_b64 vcc, exec, s[2:3]
	s_cbranch_vccnz .LBB127_517
; %bb.507:
	s_cmp_lt_i32 s22, 6
	s_cbranch_scc1 .LBB127_510
; %bb.508:
	s_cmp_gt_i32 s22, 6
	s_cbranch_scc0 .LBB127_511
; %bb.509:
	global_load_dwordx2 v[3:4], v[0:1], off
	s_mov_b64 s[2:3], 0
	s_branch .LBB127_512
.LBB127_510:
	s_mov_b64 s[2:3], -1
                                        ; implicit-def: $vgpr3_vgpr4
	s_branch .LBB127_515
.LBB127_511:
	s_mov_b64 s[2:3], -1
                                        ; implicit-def: $vgpr3_vgpr4
.LBB127_512:
	s_andn2_b64 vcc, exec, s[2:3]
	s_cbranch_vccnz .LBB127_514
; %bb.513:
	global_load_dword v3, v[0:1], off
	s_waitcnt vmcnt(0)
	v_cvt_f64_f32_e32 v[3:4], v3
.LBB127_514:
	s_mov_b64 s[2:3], 0
.LBB127_515:
	s_andn2_b64 vcc, exec, s[2:3]
	s_cbranch_vccnz .LBB127_517
; %bb.516:
	global_load_ushort v3, v[0:1], off
	s_waitcnt vmcnt(0)
	v_cvt_f32_f16_e32 v3, v3
	v_cvt_f64_f32_e32 v[3:4], v3
.LBB127_517:
	s_mov_b64 s[2:3], 0
.LBB127_518:
	s_andn2_b64 vcc, exec, s[2:3]
	s_cbranch_vccnz .LBB127_538
; %bb.519:
	s_cmp_lt_i32 s22, 2
	s_cbranch_scc1 .LBB127_523
; %bb.520:
	s_cmp_lt_i32 s22, 3
	s_cbranch_scc1 .LBB127_524
; %bb.521:
	s_cmp_gt_i32 s22, 3
	s_cbranch_scc0 .LBB127_525
; %bb.522:
	global_load_dwordx2 v[3:4], v[0:1], off
	s_mov_b64 s[2:3], 0
	s_waitcnt vmcnt(0)
	v_cvt_f64_i32_e32 v[4:5], v4
	v_cvt_f64_u32_e32 v[6:7], v3
	v_ldexp_f64 v[4:5], v[4:5], 32
	v_add_f64 v[3:4], v[4:5], v[6:7]
	s_branch .LBB127_526
.LBB127_523:
	s_mov_b64 s[2:3], -1
                                        ; implicit-def: $vgpr3_vgpr4
	s_branch .LBB127_532
.LBB127_524:
	s_mov_b64 s[2:3], -1
                                        ; implicit-def: $vgpr3_vgpr4
	s_branch .LBB127_529
.LBB127_525:
	s_mov_b64 s[2:3], -1
                                        ; implicit-def: $vgpr3_vgpr4
.LBB127_526:
	s_andn2_b64 vcc, exec, s[2:3]
	s_cbranch_vccnz .LBB127_528
; %bb.527:
	global_load_dword v3, v[0:1], off
	s_waitcnt vmcnt(0)
	v_cvt_f64_i32_e32 v[3:4], v3
.LBB127_528:
	s_mov_b64 s[2:3], 0
.LBB127_529:
	s_andn2_b64 vcc, exec, s[2:3]
	s_cbranch_vccnz .LBB127_531
; %bb.530:
	global_load_sshort v3, v[0:1], off
	s_waitcnt vmcnt(0)
	v_cvt_f64_i32_e32 v[3:4], v3
.LBB127_531:
	s_mov_b64 s[2:3], 0
.LBB127_532:
	s_andn2_b64 vcc, exec, s[2:3]
	s_cbranch_vccnz .LBB127_538
; %bb.533:
	s_cmp_gt_i32 s22, 0
	s_cbranch_scc0 .LBB127_535
; %bb.534:
	global_load_sbyte v3, v[0:1], off
	s_mov_b64 s[2:3], 0
	s_waitcnt vmcnt(0)
	v_cvt_f64_i32_e32 v[3:4], v3
	s_branch .LBB127_536
.LBB127_535:
	s_mov_b64 s[2:3], -1
                                        ; implicit-def: $vgpr3_vgpr4
.LBB127_536:
	s_andn2_b64 vcc, exec, s[2:3]
	s_cbranch_vccnz .LBB127_538
; %bb.537:
	global_load_ubyte v0, v[0:1], off
	s_waitcnt vmcnt(0)
	v_cvt_f64_u32_e32 v[3:4], v0
.LBB127_538:
	s_branch .LBB127_294
.LBB127_539:
	s_mov_b64 s[18:19], 0
	s_mov_b64 s[2:3], s[58:59]
.LBB127_540:
                                        ; implicit-def: $vgpr10
.LBB127_541:
	s_andn2_b64 s[20:21], s[58:59], exec
	s_and_b64 s[2:3], s[2:3], exec
	s_or_b64 s[66:67], s[20:21], s[2:3]
	s_andn2_b64 s[2:3], s[60:61], exec
	s_and_b64 s[16:17], s[16:17], exec
	s_or_b64 s[64:65], s[2:3], s[16:17]
	s_orn2_b64 s[2:3], s[18:19], exec
.LBB127_542:
	s_or_b64 exec, exec, s[68:69]
	s_mov_b64 s[20:21], 0
	s_mov_b64 s[18:19], 0
	;; [unrolled: 1-line block ×3, first 2 shown]
                                        ; implicit-def: $vgpr0_vgpr1
                                        ; implicit-def: $vgpr2
                                        ; implicit-def: $vgpr6_vgpr7
	s_and_saveexec_b64 s[68:69], s[2:3]
	s_cbranch_execz .LBB127_917
; %bb.543:
	v_cmp_gt_i32_e32 vcc, s74, v10
	s_mov_b64 s[22:23], -1
	s_mov_b64 s[2:3], s[64:65]
	s_mov_b64 s[72:73], s[66:67]
	s_and_saveexec_b64 s[70:71], vcc
	s_cbranch_execz .LBB127_817
; %bb.544:
	s_andn2_b64 vcc, exec, s[48:49]
	s_cbranch_vccnz .LBB127_549
; %bb.545:
	s_andn2_b64 vcc, exec, s[56:57]
	s_cbranch_vccnz .LBB127_550
; %bb.546:
	s_add_i32 s80, s79, 1
	s_cmp_eq_u32 s76, 2
	s_cbranch_scc1 .LBB127_551
; %bb.547:
	s_and_b32 s75, s80, 28
	v_mov_b32_e32 v0, 0
	s_mov_b32 s81, 0
	s_mov_b64 s[2:3], s[34:35]
	s_mov_b64 s[72:73], s[54:55]
	v_mov_b32_e32 v2, 0
	v_mov_b32_e32 v1, v10
.LBB127_548:                            ; =>This Inner Loop Header: Depth=1
	s_load_dwordx8 s[24:31], s[2:3], 0x4
	s_load_dwordx4 s[44:47], s[2:3], 0x24
	s_load_dwordx8 s[16:23], s[72:73], 0x0
	s_add_u32 s2, s2, 48
	s_addc_u32 s3, s3, 0
	s_waitcnt vmcnt(0) lgkmcnt(0)
	v_mul_hi_u32 v3, s25, v1
	s_add_i32 s81, s81, 4
	s_add_u32 s72, s72, 32
	s_addc_u32 s73, s73, 0
	v_add_u32_e32 v3, v1, v3
	v_lshrrev_b32_e32 v3, s26, v3
	v_mul_lo_u32 v4, v3, s24
	v_mul_hi_u32 v5, s28, v3
	s_cmp_eq_u32 s75, s81
	v_sub_u32_e32 v1, v1, v4
	v_add_u32_e32 v4, v3, v5
	v_mul_lo_u32 v5, v1, s16
	v_mul_lo_u32 v6, v1, s17
	v_lshrrev_b32_e32 v1, s29, v4
	v_mul_lo_u32 v4, v1, s27
	v_mul_hi_u32 v7, s31, v1
	v_sub_u32_e32 v3, v3, v4
	v_add_u32_e32 v4, v1, v7
	v_lshrrev_b32_e32 v4, s44, v4
	v_mul_hi_u32 v8, s46, v4
	v_mul_lo_u32 v9, v4, s30
	v_mul_lo_u32 v7, v3, s18
	;; [unrolled: 1-line block ×3, first 2 shown]
	v_sub_u32_e32 v9, v1, v9
	v_add_u32_e32 v1, v4, v8
	v_lshrrev_b32_e32 v1, s47, v1
	v_mul_lo_u32 v8, v1, s45
	v_mul_lo_u32 v11, v9, s20
	;; [unrolled: 1-line block ×3, first 2 shown]
	v_add3_u32 v2, v5, v2, v7
	v_sub_u32_e32 v4, v4, v8
	v_mul_lo_u32 v8, v4, s22
	v_mul_lo_u32 v4, v4, s23
	v_add3_u32 v0, v6, v0, v3
	v_add3_u32 v2, v11, v2, v8
	;; [unrolled: 1-line block ×3, first 2 shown]
	s_cbranch_scc0 .LBB127_548
	s_branch .LBB127_552
.LBB127_549:
	s_mov_b64 s[2:3], -1
                                        ; implicit-def: $vgpr2
                                        ; implicit-def: $vgpr0
	s_branch .LBB127_556
.LBB127_550:
	v_mov_b32_e32 v2, 0
	v_mov_b32_e32 v0, 0
	s_branch .LBB127_555
.LBB127_551:
	s_mov_b32 s75, 0
	v_mov_b32_e32 v2, 0
	v_mov_b32_e32 v0, 0
	;; [unrolled: 1-line block ×3, first 2 shown]
.LBB127_552:
	s_and_b32 s18, s80, 3
	s_cmp_eq_u32 s18, 0
	s_cbranch_scc1 .LBB127_555
; %bb.553:
	s_lshl_b32 s2, s75, 3
	s_add_u32 s2, s34, s2
	s_addc_u32 s3, s35, 0
	s_add_u32 s2, s2, 0xc4
	s_addc_u32 s3, s3, 0
	s_mul_i32 s16, s75, 12
	s_add_u32 s16, s34, s16
	s_addc_u32 s17, s35, 0
.LBB127_554:                            ; =>This Inner Loop Header: Depth=1
	s_load_dwordx2 s[20:21], s[16:17], 0x4
	s_load_dword s19, s[16:17], 0xc
	s_load_dwordx2 s[22:23], s[2:3], 0x0
	s_add_u32 s16, s16, 12
	s_addc_u32 s17, s17, 0
	s_waitcnt vmcnt(0) lgkmcnt(0)
	v_mul_hi_u32 v3, s21, v1
	s_add_u32 s2, s2, 8
	s_addc_u32 s3, s3, 0
	s_add_i32 s18, s18, -1
	v_add_u32_e32 v3, v1, v3
	v_lshrrev_b32_e32 v4, s19, v3
	v_mul_lo_u32 v3, v4, s20
	s_cmp_lg_u32 s18, 0
	v_sub_u32_e32 v1, v1, v3
	v_mad_u64_u32 v[2:3], s[20:21], v1, s22, v[2:3]
	v_mad_u64_u32 v[0:1], s[20:21], v1, s23, v[0:1]
	v_mov_b32_e32 v1, v4
	s_cbranch_scc1 .LBB127_554
.LBB127_555:
	s_mov_b64 s[2:3], 0
.LBB127_556:
	s_andn2_b64 vcc, exec, s[2:3]
	s_cbranch_vccnz .LBB127_559
; %bb.557:
	v_mul_hi_u32 v0, s37, v10
	s_andn2_b64 vcc, exec, s[12:13]
	v_add_u32_e32 v0, v10, v0
	v_lshrrev_b32_e32 v1, s38, v0
	v_mul_lo_u32 v0, v1, s36
	v_sub_u32_e32 v0, v10, v0
	v_mul_lo_u32 v2, v0, s40
	v_mul_lo_u32 v0, v0, s41
	s_cbranch_vccnz .LBB127_559
; %bb.558:
	s_waitcnt vmcnt(0)
	v_mul_hi_u32 v3, s52, v1
	v_add_u32_e32 v3, v1, v3
	v_lshrrev_b32_e32 v3, s53, v3
	v_mul_lo_u32 v3, v3, s39
	v_sub_u32_e32 v1, v1, v3
	v_mad_u64_u32 v[2:3], s[2:3], v1, s42, v[2:3]
	v_mad_u64_u32 v[0:1], s[2:3], v1, s43, v[0:1]
.LBB127_559:
	v_mov_b32_e32 v1, s11
	s_and_b32 s22, 0xffff, s78
	v_add_co_u32_e32 v0, vcc, s10, v0
	s_cmp_lt_i32 s22, 11
	v_addc_co_u32_e32 v1, vcc, 0, v1, vcc
	s_cbranch_scc1 .LBB127_566
; %bb.560:
	s_cmp_gt_i32 s22, 25
	s_cbranch_scc0 .LBB127_567
; %bb.561:
	s_cmp_gt_i32 s22, 28
	s_cbranch_scc0 .LBB127_568
	;; [unrolled: 3-line block ×4, first 2 shown]
; %bb.564:
	s_cmp_eq_u32 s22, 46
	s_mov_b64 s[18:19], 0
	s_cbranch_scc0 .LBB127_575
; %bb.565:
	global_load_dword v3, v[0:1], off
	s_mov_b64 s[2:3], -1
	s_mov_b64 s[16:17], 0
	s_waitcnt vmcnt(0)
	v_lshlrev_b32_e32 v3, 16, v3
	v_cvt_f64_f32_e32 v[3:4], v3
	s_branch .LBB127_576
.LBB127_566:
	s_mov_b64 s[18:19], -1
	s_mov_b64 s[2:3], 0
                                        ; implicit-def: $vgpr3_vgpr4
	s_mov_b64 s[16:17], s[64:65]
	s_branch .LBB127_641
.LBB127_567:
	s_mov_b64 s[18:19], -1
	s_mov_b64 s[2:3], 0
	s_mov_b64 s[16:17], s[64:65]
                                        ; implicit-def: $vgpr3_vgpr4
	s_branch .LBB127_607
.LBB127_568:
	s_mov_b64 s[18:19], -1
	s_mov_b64 s[2:3], 0
	s_mov_b64 s[16:17], s[64:65]
                                        ; implicit-def: $vgpr3_vgpr4
	s_branch .LBB127_586
.LBB127_569:
	s_mov_b64 s[18:19], -1
	s_mov_b64 s[2:3], 0
	s_mov_b64 s[16:17], s[64:65]
                                        ; implicit-def: $vgpr3_vgpr4
	s_branch .LBB127_581
.LBB127_570:
	s_andn2_saveexec_b64 s[22:23], s[22:23]
	s_cbranch_execz .LBB127_339
.LBB127_571:
	s_mov_b32 s26, 0x46000000
	v_add_f32_e64 v3, |v2|, s26
	v_and_b32_e32 v3, 0xff, v3
	v_cmp_ne_u32_e32 vcc, 0, v3
	s_andn2_b64 s[20:21], s[20:21], exec
	s_and_b64 s[26:27], vcc, exec
	s_or_b64 s[20:21], s[20:21], s[26:27]
	s_or_b64 exec, exec, s[22:23]
	v_mov_b32_e32 v6, 0
	s_and_saveexec_b64 s[22:23], s[20:21]
	s_cbranch_execnz .LBB127_340
	s_branch .LBB127_341
.LBB127_572:
	s_mov_b64 s[18:19], -1
	s_mov_b64 s[2:3], 0
	s_mov_b64 s[16:17], s[64:65]
                                        ; implicit-def: $vgpr3_vgpr4
	s_branch .LBB127_576
.LBB127_573:
	s_andn2_saveexec_b64 s[22:23], s[22:23]
	s_cbranch_execz .LBB127_352
.LBB127_574:
	s_mov_b32 s26, 0x42800000
	v_add_f32_e64 v3, |v2|, s26
	v_and_b32_e32 v3, 0xff, v3
	v_cmp_ne_u32_e32 vcc, 0, v3
	s_andn2_b64 s[20:21], s[20:21], exec
	s_and_b64 s[26:27], vcc, exec
	s_or_b64 s[20:21], s[20:21], s[26:27]
	s_or_b64 exec, exec, s[22:23]
	v_mov_b32_e32 v6, 0
	s_and_saveexec_b64 s[22:23], s[20:21]
	s_cbranch_execnz .LBB127_353
	s_branch .LBB127_354
.LBB127_575:
	s_mov_b64 s[16:17], -1
                                        ; implicit-def: $vgpr3_vgpr4
	s_mov_b64 s[2:3], 0
.LBB127_576:
	s_and_b64 vcc, exec, s[18:19]
	s_cbranch_vccz .LBB127_580
; %bb.577:
	s_cmp_eq_u32 s22, 44
	s_cbranch_scc0 .LBB127_579
; %bb.578:
	global_load_ubyte v5, v[0:1], off
	s_movk_i32 s16, 0xff
	v_bfrev_b32_e32 v6, 4
	v_mov_b32_e32 v7, 0x7ff80000
	v_bfrev_b32_e32 v8, 28
	s_mov_b64 s[2:3], -1
	s_waitcnt vmcnt(0)
	v_lshlrev_b32_e32 v3, 23, v5
	v_cvt_f64_f32_e32 v[3:4], v3
	v_cmp_ne_u32_e32 vcc, s16, v5
	s_mov_b64 s[16:17], 0
	v_cndmask_b32_e32 v3, v6, v3, vcc
	v_cndmask_b32_e32 v4, v7, v4, vcc
	v_cmp_ne_u32_e32 vcc, 0, v5
	v_cndmask_b32_e32 v4, v8, v4, vcc
	v_cndmask_b32_e32 v3, 0, v3, vcc
	s_branch .LBB127_580
.LBB127_579:
	s_mov_b64 s[16:17], -1
                                        ; implicit-def: $vgpr3_vgpr4
.LBB127_580:
	s_mov_b64 s[18:19], 0
.LBB127_581:
	s_and_b64 vcc, exec, s[18:19]
	s_cbranch_vccz .LBB127_585
; %bb.582:
	s_cmp_eq_u32 s22, 29
	s_cbranch_scc0 .LBB127_584
; %bb.583:
	global_load_dwordx2 v[3:4], v[0:1], off
	s_mov_b64 s[2:3], -1
	s_mov_b64 s[16:17], 0
	s_mov_b64 s[18:19], 0
	s_waitcnt vmcnt(0)
	v_cvt_f64_u32_e32 v[4:5], v4
	v_cvt_f64_u32_e32 v[6:7], v3
	v_ldexp_f64 v[4:5], v[4:5], 32
	v_add_f64 v[3:4], v[4:5], v[6:7]
	s_branch .LBB127_586
.LBB127_584:
	s_mov_b64 s[16:17], -1
                                        ; implicit-def: $vgpr3_vgpr4
.LBB127_585:
	s_mov_b64 s[18:19], 0
.LBB127_586:
	s_and_b64 vcc, exec, s[18:19]
	s_cbranch_vccz .LBB127_606
; %bb.587:
	s_cmp_lt_i32 s22, 27
	s_cbranch_scc1 .LBB127_590
; %bb.588:
	s_cmp_gt_i32 s22, 27
	s_cbranch_scc0 .LBB127_591
; %bb.589:
	global_load_dword v3, v[0:1], off
	s_mov_b64 s[2:3], 0
	s_waitcnt vmcnt(0)
	v_cvt_f64_u32_e32 v[3:4], v3
	s_branch .LBB127_592
.LBB127_590:
	s_mov_b64 s[2:3], -1
                                        ; implicit-def: $vgpr3_vgpr4
	s_branch .LBB127_595
.LBB127_591:
	s_mov_b64 s[2:3], -1
                                        ; implicit-def: $vgpr3_vgpr4
.LBB127_592:
	s_andn2_b64 vcc, exec, s[2:3]
	s_cbranch_vccnz .LBB127_594
; %bb.593:
	global_load_ushort v3, v[0:1], off
	s_waitcnt vmcnt(0)
	v_cvt_f64_u32_e32 v[3:4], v3
.LBB127_594:
	s_mov_b64 s[2:3], 0
.LBB127_595:
	s_andn2_b64 vcc, exec, s[2:3]
	s_cbranch_vccnz .LBB127_605
; %bb.596:
	global_load_ubyte v5, v[0:1], off
	s_movk_i32 s2, 0x7f
	s_waitcnt vmcnt(0)
	v_cmp_lt_i16_e32 vcc, s2, v5
	s_mov_b64 s[2:3], 0
	s_and_saveexec_b64 s[18:19], vcc
	s_xor_b64 s[18:19], exec, s[18:19]
	s_cbranch_execz .LBB127_600
; %bb.597:
	s_movk_i32 s2, 0x80
	v_cmp_eq_u16_e32 vcc, s2, v5
	s_mov_b64 s[2:3], -1
	s_and_saveexec_b64 s[20:21], vcc
; %bb.598:
	s_xor_b64 s[2:3], exec, -1
; %bb.599:
	s_or_b64 exec, exec, s[20:21]
	s_and_b64 s[2:3], s[2:3], exec
.LBB127_600:
	s_or_saveexec_b64 s[18:19], s[18:19]
	v_bfrev_b32_e32 v3, 4
	v_mov_b32_e32 v4, 0x7ff80000
	s_xor_b64 exec, exec, s[18:19]
; %bb.601:
	v_cmp_ne_u16_e32 vcc, 0, v5
	v_mov_b32_e32 v3, 0
	s_andn2_b64 s[2:3], s[2:3], exec
	s_and_b64 s[20:21], vcc, exec
	v_mov_b32_e32 v4, 0
	s_or_b64 s[2:3], s[2:3], s[20:21]
; %bb.602:
	s_or_b64 exec, exec, s[18:19]
	s_and_saveexec_b64 s[18:19], s[2:3]
	s_cbranch_execz .LBB127_604
; %bb.603:
	v_and_b32_e32 v4, 0xffff, v5
	v_lshlrev_b32_e32 v3, 24, v5
	v_and_b32_e32 v5, 7, v4
	v_ffbh_u32_e32 v7, v5
	v_min_u32_e32 v7, 32, v7
	v_subrev_u32_e32 v8, 28, v7
	v_bfe_u32 v6, v4, 3, 4
	v_lshlrev_b32_e32 v4, v8, v4
	v_sub_u32_e32 v7, 29, v7
	v_and_b32_e32 v4, 7, v4
	v_cmp_eq_u32_e32 vcc, 0, v6
	v_cndmask_b32_e32 v6, v6, v7, vcc
	v_cndmask_b32_e32 v4, v5, v4, vcc
	v_mov_b32_e32 v5, 0x3b800000
	v_lshlrev_b32_e32 v4, 20, v4
	v_and_b32_e32 v3, 0x80000000, v3
	v_lshl_add_u32 v5, v6, 23, v5
	v_or3_b32 v3, v3, v5, v4
	v_cvt_f64_f32_e32 v[3:4], v3
.LBB127_604:
	s_or_b64 exec, exec, s[18:19]
.LBB127_605:
	s_mov_b64 s[2:3], -1
.LBB127_606:
	s_mov_b64 s[18:19], 0
.LBB127_607:
	s_and_b64 vcc, exec, s[18:19]
	s_cbranch_vccz .LBB127_640
; %bb.608:
	s_cmp_gt_i32 s22, 22
	s_cbranch_scc0 .LBB127_620
; %bb.609:
	s_cmp_lt_i32 s22, 24
	s_cbranch_scc1 .LBB127_621
; %bb.610:
	s_cmp_gt_i32 s22, 24
	s_cbranch_scc0 .LBB127_622
; %bb.611:
	global_load_ubyte v5, v[0:1], off
	s_movk_i32 s2, 0x7f
	s_waitcnt vmcnt(0)
	v_cmp_lt_i16_e32 vcc, s2, v5
	s_mov_b64 s[2:3], 0
	s_and_saveexec_b64 s[18:19], vcc
	s_xor_b64 s[18:19], exec, s[18:19]
	s_cbranch_execz .LBB127_615
; %bb.612:
	s_movk_i32 s2, 0x80
	v_cmp_eq_u16_e32 vcc, s2, v5
	s_mov_b64 s[2:3], -1
	s_and_saveexec_b64 s[20:21], vcc
; %bb.613:
	s_xor_b64 s[2:3], exec, -1
; %bb.614:
	s_or_b64 exec, exec, s[20:21]
	s_and_b64 s[2:3], s[2:3], exec
.LBB127_615:
	s_or_saveexec_b64 s[18:19], s[18:19]
	v_bfrev_b32_e32 v3, 4
	v_mov_b32_e32 v4, 0x7ff80000
	s_xor_b64 exec, exec, s[18:19]
; %bb.616:
	v_cmp_ne_u16_e32 vcc, 0, v5
	v_mov_b32_e32 v3, 0
	s_andn2_b64 s[2:3], s[2:3], exec
	s_and_b64 s[20:21], vcc, exec
	v_mov_b32_e32 v4, 0
	s_or_b64 s[2:3], s[2:3], s[20:21]
; %bb.617:
	s_or_b64 exec, exec, s[18:19]
	s_and_saveexec_b64 s[18:19], s[2:3]
	s_cbranch_execz .LBB127_619
; %bb.618:
	v_and_b32_e32 v4, 0xffff, v5
	v_lshlrev_b32_e32 v3, 24, v5
	v_and_b32_e32 v5, 3, v4
	v_ffbh_u32_e32 v7, v5
	v_min_u32_e32 v7, 32, v7
	v_subrev_u32_e32 v8, 29, v7
	v_bfe_u32 v6, v4, 2, 5
	v_lshlrev_b32_e32 v4, v8, v4
	v_sub_u32_e32 v7, 30, v7
	v_and_b32_e32 v4, 3, v4
	v_cmp_eq_u32_e32 vcc, 0, v6
	v_cndmask_b32_e32 v6, v6, v7, vcc
	v_cndmask_b32_e32 v4, v5, v4, vcc
	v_mov_b32_e32 v5, 0x37800000
	v_lshlrev_b32_e32 v4, 21, v4
	v_and_b32_e32 v3, 0x80000000, v3
	v_lshl_add_u32 v5, v6, 23, v5
	v_or3_b32 v3, v3, v5, v4
	v_cvt_f64_f32_e32 v[3:4], v3
.LBB127_619:
	s_or_b64 exec, exec, s[18:19]
	s_mov_b64 s[2:3], 0
	s_branch .LBB127_623
.LBB127_620:
	s_mov_b64 s[18:19], -1
                                        ; implicit-def: $vgpr3_vgpr4
	s_branch .LBB127_629
.LBB127_621:
	s_mov_b64 s[2:3], -1
                                        ; implicit-def: $vgpr3_vgpr4
	s_branch .LBB127_626
.LBB127_622:
	s_mov_b64 s[2:3], -1
                                        ; implicit-def: $vgpr3_vgpr4
.LBB127_623:
	s_and_b64 vcc, exec, s[2:3]
	s_cbranch_vccz .LBB127_625
; %bb.624:
	global_load_ubyte v3, v[0:1], off
	s_mov_b32 s2, 0x7f800000
	s_waitcnt vmcnt(0)
	v_lshlrev_b32_e32 v3, 24, v3
	v_and_b32_e32 v4, 0x7f000000, v3
	v_ffbh_u32_e32 v5, v4
	v_min_u32_e32 v5, 32, v5
	v_sub_u32_e64 v5, v5, 4 clamp
	v_lshlrev_b32_e32 v7, v5, v4
	v_lshlrev_b32_e32 v5, 23, v5
	v_lshrrev_b32_e32 v7, 4, v7
	v_add_u32_e32 v6, 0x1000000, v4
	v_sub_u32_e32 v5, v7, v5
	v_ashrrev_i32_e32 v6, 8, v6
	v_add_u32_e32 v5, 0x3c000000, v5
	v_and_or_b32 v5, v6, s2, v5
	v_cmp_ne_u32_e32 vcc, 0, v4
	v_cndmask_b32_e32 v4, 0, v5, vcc
	s_brev_b32 s2, 1
	v_and_or_b32 v3, v3, s2, v4
	v_cvt_f64_f32_e32 v[3:4], v3
.LBB127_625:
	s_mov_b64 s[2:3], 0
.LBB127_626:
	s_andn2_b64 vcc, exec, s[2:3]
	s_cbranch_vccnz .LBB127_628
; %bb.627:
	global_load_ubyte v3, v[0:1], off
	s_movk_i32 s2, 0x7f00
	s_brev_b32 s3, 16
	s_waitcnt vmcnt(0)
	v_lshlrev_b16_e32 v4, 8, v3
	v_lshlrev_b32_e32 v3, 25, v3
	v_lshrrev_b32_e32 v5, 4, v3
	v_and_or_b32 v6, v4, s2, 0.5
	v_or_b32_e32 v5, 0x70000000, v5
	v_add_f32_e32 v6, -0.5, v6
	v_mul_f32_e32 v5, 0x7800000, v5
	v_cmp_gt_u32_e32 vcc, s3, v3
	v_bfe_i32 v4, v4, 0, 16
	v_cndmask_b32_e32 v3, v5, v6, vcc
	s_brev_b32 s2, 1
	v_and_or_b32 v3, v4, s2, v3
	v_cvt_f64_f32_e32 v[3:4], v3
.LBB127_628:
	s_mov_b64 s[18:19], 0
	s_mov_b64 s[2:3], -1
.LBB127_629:
	s_andn2_b64 vcc, exec, s[18:19]
	s_cbranch_vccnz .LBB127_640
; %bb.630:
	s_cmp_gt_i32 s22, 14
	s_cbranch_scc0 .LBB127_633
; %bb.631:
	s_cmp_eq_u32 s22, 15
	s_cbranch_scc0 .LBB127_634
; %bb.632:
	global_load_ushort v3, v[0:1], off
	s_mov_b64 s[2:3], -1
	s_mov_b64 s[16:17], 0
	s_waitcnt vmcnt(0)
	v_lshlrev_b32_e32 v3, 16, v3
	v_cvt_f64_f32_e32 v[3:4], v3
	s_branch .LBB127_635
.LBB127_633:
	s_mov_b64 s[18:19], -1
                                        ; implicit-def: $vgpr3_vgpr4
	s_branch .LBB127_636
.LBB127_634:
	s_mov_b64 s[16:17], -1
                                        ; implicit-def: $vgpr3_vgpr4
.LBB127_635:
	s_mov_b64 s[18:19], 0
.LBB127_636:
	s_and_b64 vcc, exec, s[18:19]
	s_cbranch_vccz .LBB127_640
; %bb.637:
	s_cmp_eq_u32 s22, 11
	s_cbranch_scc0 .LBB127_639
; %bb.638:
	global_load_ubyte v4, v[0:1], off
	v_mov_b32_e32 v5, 0x3ff00000
	s_waitcnt vmcnt(1)
	v_mov_b32_e32 v3, 0
	s_mov_b64 s[2:3], -1
	s_mov_b64 s[16:17], 0
	s_waitcnt vmcnt(0)
	v_cmp_ne_u16_e32 vcc, 0, v4
	v_cndmask_b32_e32 v4, 0, v5, vcc
	s_branch .LBB127_640
.LBB127_639:
	s_mov_b64 s[16:17], -1
                                        ; implicit-def: $vgpr3_vgpr4
.LBB127_640:
	s_mov_b64 s[18:19], 0
.LBB127_641:
	s_and_b64 vcc, exec, s[18:19]
	s_cbranch_vccz .LBB127_690
; %bb.642:
	s_cmp_lt_i32 s22, 5
	s_cbranch_scc1 .LBB127_647
; %bb.643:
	s_cmp_lt_i32 s22, 8
	s_cbranch_scc1 .LBB127_648
	;; [unrolled: 3-line block ×3, first 2 shown]
; %bb.645:
	s_cmp_gt_i32 s22, 9
	s_cbranch_scc0 .LBB127_650
; %bb.646:
	global_load_dwordx2 v[3:4], v[0:1], off
	s_mov_b64 s[2:3], 0
	s_branch .LBB127_651
.LBB127_647:
	s_mov_b64 s[2:3], -1
                                        ; implicit-def: $vgpr3_vgpr4
	s_branch .LBB127_669
.LBB127_648:
	s_mov_b64 s[2:3], -1
                                        ; implicit-def: $vgpr3_vgpr4
	s_branch .LBB127_657
.LBB127_649:
	s_mov_b64 s[2:3], -1
                                        ; implicit-def: $vgpr3_vgpr4
	s_branch .LBB127_654
.LBB127_650:
	s_mov_b64 s[2:3], -1
                                        ; implicit-def: $vgpr3_vgpr4
.LBB127_651:
	s_andn2_b64 vcc, exec, s[2:3]
	s_cbranch_vccnz .LBB127_653
; %bb.652:
	global_load_dword v3, v[0:1], off
	s_waitcnt vmcnt(0)
	v_cvt_f64_f32_e32 v[3:4], v3
.LBB127_653:
	s_mov_b64 s[2:3], 0
.LBB127_654:
	s_andn2_b64 vcc, exec, s[2:3]
	s_cbranch_vccnz .LBB127_656
; %bb.655:
	global_load_dword v3, v[0:1], off
	s_waitcnt vmcnt(0)
	v_cvt_f32_f16_e32 v3, v3
	v_cvt_f64_f32_e32 v[3:4], v3
.LBB127_656:
	s_mov_b64 s[2:3], 0
.LBB127_657:
	s_andn2_b64 vcc, exec, s[2:3]
	s_cbranch_vccnz .LBB127_668
; %bb.658:
	s_cmp_lt_i32 s22, 6
	s_cbranch_scc1 .LBB127_661
; %bb.659:
	s_cmp_gt_i32 s22, 6
	s_cbranch_scc0 .LBB127_662
; %bb.660:
	global_load_dwordx2 v[3:4], v[0:1], off
	s_mov_b64 s[2:3], 0
	s_branch .LBB127_663
.LBB127_661:
	s_mov_b64 s[2:3], -1
                                        ; implicit-def: $vgpr3_vgpr4
	s_branch .LBB127_666
.LBB127_662:
	s_mov_b64 s[2:3], -1
                                        ; implicit-def: $vgpr3_vgpr4
.LBB127_663:
	s_andn2_b64 vcc, exec, s[2:3]
	s_cbranch_vccnz .LBB127_665
; %bb.664:
	global_load_dword v3, v[0:1], off
	s_waitcnt vmcnt(0)
	v_cvt_f64_f32_e32 v[3:4], v3
.LBB127_665:
	s_mov_b64 s[2:3], 0
.LBB127_666:
	s_andn2_b64 vcc, exec, s[2:3]
	s_cbranch_vccnz .LBB127_668
; %bb.667:
	global_load_ushort v3, v[0:1], off
	s_waitcnt vmcnt(0)
	v_cvt_f32_f16_e32 v3, v3
	v_cvt_f64_f32_e32 v[3:4], v3
.LBB127_668:
	s_mov_b64 s[2:3], 0
.LBB127_669:
	s_andn2_b64 vcc, exec, s[2:3]
	s_cbranch_vccnz .LBB127_689
; %bb.670:
	s_cmp_lt_i32 s22, 2
	s_cbranch_scc1 .LBB127_674
; %bb.671:
	s_cmp_lt_i32 s22, 3
	s_cbranch_scc1 .LBB127_675
; %bb.672:
	s_cmp_gt_i32 s22, 3
	s_cbranch_scc0 .LBB127_676
; %bb.673:
	global_load_dwordx2 v[3:4], v[0:1], off
	s_mov_b64 s[2:3], 0
	s_waitcnt vmcnt(0)
	v_cvt_f64_i32_e32 v[4:5], v4
	v_cvt_f64_u32_e32 v[6:7], v3
	v_ldexp_f64 v[4:5], v[4:5], 32
	v_add_f64 v[3:4], v[4:5], v[6:7]
	s_branch .LBB127_677
.LBB127_674:
	s_mov_b64 s[2:3], -1
                                        ; implicit-def: $vgpr3_vgpr4
	s_branch .LBB127_683
.LBB127_675:
	s_mov_b64 s[2:3], -1
                                        ; implicit-def: $vgpr3_vgpr4
	s_branch .LBB127_680
.LBB127_676:
	s_mov_b64 s[2:3], -1
                                        ; implicit-def: $vgpr3_vgpr4
.LBB127_677:
	s_andn2_b64 vcc, exec, s[2:3]
	s_cbranch_vccnz .LBB127_679
; %bb.678:
	global_load_dword v3, v[0:1], off
	s_waitcnt vmcnt(0)
	v_cvt_f64_i32_e32 v[3:4], v3
.LBB127_679:
	s_mov_b64 s[2:3], 0
.LBB127_680:
	s_andn2_b64 vcc, exec, s[2:3]
	s_cbranch_vccnz .LBB127_682
; %bb.681:
	global_load_sshort v3, v[0:1], off
	s_waitcnt vmcnt(0)
	v_cvt_f64_i32_e32 v[3:4], v3
.LBB127_682:
	s_mov_b64 s[2:3], 0
.LBB127_683:
	s_andn2_b64 vcc, exec, s[2:3]
	s_cbranch_vccnz .LBB127_689
; %bb.684:
	s_cmp_gt_i32 s22, 0
	s_cbranch_scc0 .LBB127_686
; %bb.685:
	global_load_sbyte v3, v[0:1], off
	s_mov_b64 s[2:3], 0
	s_waitcnt vmcnt(0)
	v_cvt_f64_i32_e32 v[3:4], v3
	s_branch .LBB127_687
.LBB127_686:
	s_mov_b64 s[2:3], -1
                                        ; implicit-def: $vgpr3_vgpr4
.LBB127_687:
	s_andn2_b64 vcc, exec, s[2:3]
	s_cbranch_vccnz .LBB127_689
; %bb.688:
	global_load_ubyte v0, v[0:1], off
	s_waitcnt vmcnt(0)
	v_cvt_f64_u32_e32 v[3:4], v0
.LBB127_689:
	s_mov_b64 s[2:3], -1
.LBB127_690:
	s_andn2_b64 vcc, exec, s[2:3]
	s_cbranch_vccnz .LBB127_698
; %bb.691:
	v_mov_b32_e32 v0, s15
	s_waitcnt vmcnt(0)
	v_cndmask_b32_e64 v1, v0, v4, s[0:1]
	v_mov_b32_e32 v0, s14
	v_cndmask_b32_e64 v0, v0, v3, s[0:1]
	v_mov_b32_e32 v3, s9
	s_and_b32 s24, s77, 0xff
	v_add_co_u32_e32 v4, vcc, s8, v2
	s_cmp_lt_i32 s24, 11
	v_addc_co_u32_e32 v5, vcc, 0, v3, vcc
	s_cbranch_scc1 .LBB127_699
; %bb.692:
	s_and_b32 s25, 0xffff, s24
	s_cmp_gt_i32 s25, 25
	s_cbranch_scc0 .LBB127_700
; %bb.693:
	s_cmp_gt_i32 s25, 28
	s_cbranch_scc0 .LBB127_701
; %bb.694:
	;; [unrolled: 3-line block ×4, first 2 shown]
	s_mov_b64 s[20:21], 0
	s_mov_b64 s[2:3], -1
	s_cmp_eq_u32 s25, 46
	s_mov_b64 s[18:19], 0
	s_cbranch_scc0 .LBB127_704
; %bb.697:
	v_cvt_f32_f64_e32 v2, v[0:1]
	s_movk_i32 s2, 0x7fff
	v_mov_b32_e32 v3, 0x7fc0
	s_mov_b64 s[18:19], -1
	v_bfe_u32 v6, v2, 16, 1
	v_cmp_o_f32_e32 vcc, v2, v2
	v_add3_u32 v2, v2, v6, s2
	v_cndmask_b32_sdwa v2, v3, v2, vcc dst_sel:DWORD dst_unused:UNUSED_PAD src0_sel:DWORD src1_sel:WORD_1
	global_store_dword v[4:5], v2, off
	s_mov_b64 s[2:3], 0
	s_branch .LBB127_704
.LBB127_698:
	s_mov_b64 s[18:19], 0
	s_mov_b64 s[2:3], s[66:67]
	s_branch .LBB127_815
.LBB127_699:
	s_mov_b64 s[20:21], -1
	s_mov_b64 s[18:19], 0
	s_mov_b64 s[2:3], s[66:67]
	s_branch .LBB127_773
.LBB127_700:
	s_mov_b64 s[20:21], -1
	s_mov_b64 s[18:19], 0
	s_mov_b64 s[2:3], s[66:67]
	s_branch .LBB127_731
.LBB127_701:
	s_mov_b64 s[20:21], -1
	s_mov_b64 s[18:19], 0
	s_mov_b64 s[2:3], s[66:67]
	s_branch .LBB127_714
.LBB127_702:
	s_mov_b64 s[20:21], -1
	s_mov_b64 s[18:19], 0
	s_mov_b64 s[2:3], s[66:67]
	s_branch .LBB127_710
.LBB127_703:
	s_mov_b64 s[20:21], -1
	s_mov_b64 s[18:19], 0
	s_mov_b64 s[2:3], s[66:67]
.LBB127_704:
	s_and_b64 vcc, exec, s[20:21]
	s_cbranch_vccz .LBB127_709
; %bb.705:
	s_cmp_eq_u32 s25, 44
	s_mov_b64 s[2:3], -1
	s_cbranch_scc0 .LBB127_709
; %bb.706:
	v_cvt_f32_f64_e32 v2, v[0:1]
	s_movk_i32 s2, 0xff
	v_mov_b32_e32 v6, 0xff
	v_bfe_u32 v3, v2, 23, 8
	v_cmp_ne_u32_e32 vcc, s2, v3
	s_and_saveexec_b64 s[18:19], vcc
; %bb.707:
	s_mov_b32 s2, 0x3fffff
	v_lshrrev_b32_e32 v6, 23, v2
	v_and_b32_e32 v7, 0x400000, v2
	v_and_or_b32 v2, v2, s2, v3
	v_cmp_ne_u32_e32 vcc, 0, v7
	v_cmp_ne_u32_e64 s[2:3], 0, v2
	s_and_b64 s[2:3], vcc, s[2:3]
	v_cndmask_b32_e64 v2, 0, 1, s[2:3]
	v_add_u32_e32 v6, v6, v2
; %bb.708:
	s_or_b64 exec, exec, s[18:19]
	s_mov_b64 s[18:19], -1
	s_mov_b64 s[2:3], 0
	global_store_byte v[4:5], v6, off
.LBB127_709:
	s_mov_b64 s[20:21], 0
.LBB127_710:
	s_and_b64 vcc, exec, s[20:21]
	s_cbranch_vccz .LBB127_713
; %bb.711:
	s_cmp_eq_u32 s25, 29
	s_mov_b64 s[2:3], -1
	s_cbranch_scc0 .LBB127_713
; %bb.712:
	v_trunc_f64_e32 v[2:3], v[0:1]
	s_movk_i32 s2, 0xffe0
	s_mov_b64 s[18:19], -1
	s_mov_b64 s[20:21], 0
	v_ldexp_f64 v[6:7], v[2:3], s2
	s_mov_b32 s2, 0
	s_mov_b32 s3, 0xc1f00000
	v_floor_f64_e32 v[6:7], v[6:7]
	v_fma_f64 v[2:3], v[6:7], s[2:3], v[2:3]
	v_cvt_u32_f64_e32 v7, v[6:7]
	s_mov_b64 s[2:3], 0
	v_cvt_u32_f64_e32 v6, v[2:3]
	global_store_dwordx2 v[4:5], v[6:7], off
	s_branch .LBB127_714
.LBB127_713:
	s_mov_b64 s[20:21], 0
.LBB127_714:
	s_and_b64 vcc, exec, s[20:21]
	s_cbranch_vccz .LBB127_730
; %bb.715:
	s_cmp_lt_i32 s25, 27
	s_mov_b64 s[18:19], -1
	s_cbranch_scc1 .LBB127_721
; %bb.716:
	v_cvt_u32_f64_e32 v2, v[0:1]
	s_cmp_gt_i32 s25, 27
	s_cbranch_scc0 .LBB127_718
; %bb.717:
	s_mov_b64 s[18:19], 0
	global_store_dword v[4:5], v2, off
.LBB127_718:
	s_andn2_b64 vcc, exec, s[18:19]
	s_cbranch_vccnz .LBB127_720
; %bb.719:
	global_store_short v[4:5], v2, off
.LBB127_720:
	s_mov_b64 s[18:19], 0
.LBB127_721:
	s_andn2_b64 vcc, exec, s[18:19]
	s_cbranch_vccnz .LBB127_729
; %bb.722:
	v_cvt_f32_f64_e32 v2, v[0:1]
	s_mov_b32 s18, 0x43800000
	v_mov_b32_e32 v6, 0x80
	v_and_b32_e32 v3, 0x7fffffff, v2
	v_cmp_gt_u32_e32 vcc, s18, v3
	s_and_saveexec_b64 s[18:19], vcc
	s_cbranch_execz .LBB127_728
; %bb.723:
	s_mov_b32 s20, 0x3bffffff
	v_cmp_lt_u32_e32 vcc, s20, v3
	s_mov_b64 s[20:21], 0
                                        ; implicit-def: $vgpr3
	s_and_saveexec_b64 s[22:23], vcc
	s_xor_b64 s[22:23], exec, s[22:23]
	s_cbranch_execz .LBB127_845
; %bb.724:
	v_bfe_u32 v3, v2, 20, 1
	s_mov_b32 s26, 0x487ffff
	v_add3_u32 v3, v2, v3, s26
	s_mov_b64 s[20:21], exec
	v_lshrrev_b32_e32 v3, 20, v3
	s_andn2_saveexec_b64 s[22:23], s[22:23]
	s_cbranch_execnz .LBB127_846
.LBB127_725:
	s_or_b64 exec, exec, s[22:23]
	v_mov_b32_e32 v6, 0
	s_and_saveexec_b64 s[22:23], s[20:21]
.LBB127_726:
	v_lshrrev_b32_e32 v2, 24, v2
	s_movk_i32 s20, 0x80
	v_and_or_b32 v6, v2, s20, v3
.LBB127_727:
	s_or_b64 exec, exec, s[22:23]
.LBB127_728:
	s_or_b64 exec, exec, s[18:19]
	global_store_byte v[4:5], v6, off
.LBB127_729:
	s_mov_b64 s[18:19], -1
.LBB127_730:
	s_mov_b64 s[20:21], 0
.LBB127_731:
	s_and_b64 vcc, exec, s[20:21]
	s_cbranch_vccz .LBB127_772
; %bb.732:
	s_cmp_gt_i32 s25, 22
	s_mov_b64 s[20:21], -1
	s_cbranch_scc0 .LBB127_764
; %bb.733:
	s_cmp_lt_i32 s25, 24
	s_mov_b64 s[18:19], -1
	s_cbranch_scc1 .LBB127_753
; %bb.734:
	s_cmp_gt_i32 s25, 24
	s_cbranch_scc0 .LBB127_742
; %bb.735:
	v_cvt_f32_f64_e32 v2, v[0:1]
	s_mov_b32 s18, 0x47800000
	v_mov_b32_e32 v6, 0x80
	v_and_b32_e32 v3, 0x7fffffff, v2
	v_cmp_gt_u32_e32 vcc, s18, v3
	s_and_saveexec_b64 s[18:19], vcc
	s_cbranch_execz .LBB127_741
; %bb.736:
	s_mov_b32 s20, 0x37ffffff
	v_cmp_lt_u32_e32 vcc, s20, v3
	s_mov_b64 s[20:21], 0
                                        ; implicit-def: $vgpr3
	s_and_saveexec_b64 s[22:23], vcc
	s_xor_b64 s[22:23], exec, s[22:23]
	s_cbranch_execz .LBB127_848
; %bb.737:
	v_bfe_u32 v3, v2, 21, 1
	s_mov_b32 s26, 0x88fffff
	v_add3_u32 v3, v2, v3, s26
	s_mov_b64 s[20:21], exec
	v_lshrrev_b32_e32 v3, 21, v3
	s_andn2_saveexec_b64 s[22:23], s[22:23]
	s_cbranch_execnz .LBB127_849
.LBB127_738:
	s_or_b64 exec, exec, s[22:23]
	v_mov_b32_e32 v6, 0
	s_and_saveexec_b64 s[22:23], s[20:21]
.LBB127_739:
	v_lshrrev_b32_e32 v2, 24, v2
	s_movk_i32 s20, 0x80
	v_and_or_b32 v6, v2, s20, v3
.LBB127_740:
	s_or_b64 exec, exec, s[22:23]
.LBB127_741:
	s_or_b64 exec, exec, s[18:19]
	s_mov_b64 s[18:19], 0
	global_store_byte v[4:5], v6, off
.LBB127_742:
	s_and_b64 vcc, exec, s[18:19]
	s_cbranch_vccz .LBB127_752
; %bb.743:
	v_cvt_f32_f64_e32 v2, v[0:1]
	s_mov_b32 s18, 0x43f00000
                                        ; implicit-def: $vgpr3
	v_and_b32_e32 v6, 0x7fffffff, v2
	v_cmp_gt_u32_e32 vcc, s18, v6
	s_and_saveexec_b64 s[18:19], vcc
	s_xor_b64 s[18:19], exec, s[18:19]
	s_cbranch_execz .LBB127_749
; %bb.744:
	s_mov_b32 s20, 0x3c7fffff
	v_cmp_lt_u32_e32 vcc, s20, v6
                                        ; implicit-def: $vgpr3
	s_and_saveexec_b64 s[20:21], vcc
	s_xor_b64 s[20:21], exec, s[20:21]
; %bb.745:
	v_bfe_u32 v3, v2, 20, 1
	s_mov_b32 s22, 0x407ffff
	v_add3_u32 v3, v2, v3, s22
	v_lshrrev_b32_e32 v6, 20, v3
	v_and_b32_e32 v3, 0xff00000, v3
	s_mov_b32 s22, 0x7f00000
	v_mov_b32_e32 v7, 0x7e
	v_cmp_ne_u32_e32 vcc, s22, v3
	v_cndmask_b32_e32 v3, v7, v6, vcc
; %bb.746:
	s_andn2_saveexec_b64 s[20:21], s[20:21]
; %bb.747:
	s_mov_b32 s22, 0x46800000
	v_add_f32_e64 v3, |v2|, s22
; %bb.748:
	s_or_b64 exec, exec, s[20:21]
                                        ; implicit-def: $vgpr6
.LBB127_749:
	s_andn2_saveexec_b64 s[18:19], s[18:19]
; %bb.750:
	s_mov_b32 s20, 0x7f800000
	v_mov_b32_e32 v3, 0x7e
	v_mov_b32_e32 v7, 0x7f
	v_cmp_lt_u32_e32 vcc, s20, v6
	v_cndmask_b32_e32 v3, v3, v7, vcc
; %bb.751:
	s_or_b64 exec, exec, s[18:19]
	v_lshrrev_b32_e32 v2, 24, v2
	s_movk_i32 s18, 0x80
	v_and_or_b32 v2, v2, s18, v3
	global_store_byte v[4:5], v2, off
.LBB127_752:
	s_mov_b64 s[18:19], 0
.LBB127_753:
	s_andn2_b64 vcc, exec, s[18:19]
	s_cbranch_vccnz .LBB127_763
; %bb.754:
	v_cvt_f32_f64_e32 v2, v[0:1]
	s_mov_b32 s18, 0x47800000
                                        ; implicit-def: $vgpr3
	v_and_b32_e32 v6, 0x7fffffff, v2
	v_cmp_gt_u32_e32 vcc, s18, v6
	s_and_saveexec_b64 s[18:19], vcc
	s_xor_b64 s[18:19], exec, s[18:19]
	s_cbranch_execz .LBB127_760
; %bb.755:
	s_mov_b32 s20, 0x387fffff
	v_cmp_lt_u32_e32 vcc, s20, v6
                                        ; implicit-def: $vgpr3
	s_and_saveexec_b64 s[20:21], vcc
	s_xor_b64 s[20:21], exec, s[20:21]
; %bb.756:
	v_bfe_u32 v3, v2, 21, 1
	s_mov_b32 s22, 0x80fffff
	v_add3_u32 v3, v2, v3, s22
	v_lshrrev_b32_e32 v3, 21, v3
; %bb.757:
	s_andn2_saveexec_b64 s[20:21], s[20:21]
; %bb.758:
	s_mov_b32 s22, 0x43000000
	v_add_f32_e64 v3, |v2|, s22
; %bb.759:
	s_or_b64 exec, exec, s[20:21]
                                        ; implicit-def: $vgpr6
.LBB127_760:
	s_andn2_saveexec_b64 s[18:19], s[18:19]
; %bb.761:
	s_mov_b32 s20, 0x7f800000
	v_mov_b32_e32 v3, 0x7c
	v_mov_b32_e32 v7, 0x7f
	v_cmp_lt_u32_e32 vcc, s20, v6
	v_cndmask_b32_e32 v3, v3, v7, vcc
; %bb.762:
	s_or_b64 exec, exec, s[18:19]
	v_lshrrev_b32_e32 v2, 24, v2
	s_movk_i32 s18, 0x80
	v_and_or_b32 v2, v2, s18, v3
	global_store_byte v[4:5], v2, off
.LBB127_763:
	s_mov_b64 s[20:21], 0
	s_mov_b64 s[18:19], -1
.LBB127_764:
	s_andn2_b64 vcc, exec, s[20:21]
	s_cbranch_vccnz .LBB127_772
; %bb.765:
	s_cmp_gt_i32 s25, 14
	s_mov_b64 s[20:21], -1
	s_cbranch_scc0 .LBB127_769
; %bb.766:
	s_cmp_eq_u32 s25, 15
	s_mov_b64 s[2:3], -1
	s_cbranch_scc0 .LBB127_768
; %bb.767:
	v_cvt_f32_f64_e32 v2, v[0:1]
	s_movk_i32 s2, 0x7fff
	v_mov_b32_e32 v3, 0x7fc0
	s_mov_b64 s[18:19], -1
	v_bfe_u32 v6, v2, 16, 1
	v_cmp_o_f32_e32 vcc, v2, v2
	v_add3_u32 v2, v2, v6, s2
	v_cndmask_b32_sdwa v2, v3, v2, vcc dst_sel:DWORD dst_unused:UNUSED_PAD src0_sel:DWORD src1_sel:WORD_1
	global_store_short v[4:5], v2, off
	s_mov_b64 s[2:3], 0
.LBB127_768:
	s_mov_b64 s[20:21], 0
.LBB127_769:
	s_and_b64 vcc, exec, s[20:21]
	s_cbranch_vccz .LBB127_772
; %bb.770:
	s_cmp_eq_u32 s25, 11
	s_mov_b64 s[2:3], -1
	s_cbranch_scc0 .LBB127_772
; %bb.771:
	v_cmp_neq_f64_e32 vcc, 0, v[0:1]
	s_mov_b64 s[2:3], 0
	s_mov_b64 s[18:19], -1
	v_cndmask_b32_e64 v2, 0, 1, vcc
	global_store_byte v[4:5], v2, off
.LBB127_772:
	s_mov_b64 s[20:21], 0
.LBB127_773:
	s_and_b64 vcc, exec, s[20:21]
	s_cbranch_vccz .LBB127_812
; %bb.774:
	s_and_b32 s20, 0xffff, s24
	s_cmp_lt_i32 s20, 5
	s_mov_b64 s[18:19], -1
	s_cbranch_scc1 .LBB127_795
; %bb.775:
	s_cmp_lt_i32 s20, 8
	s_cbranch_scc1 .LBB127_785
; %bb.776:
	s_cmp_lt_i32 s20, 9
	s_cbranch_scc1 .LBB127_782
; %bb.777:
	s_cmp_gt_i32 s20, 9
	s_cbranch_scc0 .LBB127_779
; %bb.778:
	v_mov_b32_e32 v2, 0
	v_mov_b32_e32 v3, v2
	s_mov_b64 s[18:19], 0
	global_store_dwordx4 v[4:5], v[0:3], off
.LBB127_779:
	s_andn2_b64 vcc, exec, s[18:19]
	s_cbranch_vccnz .LBB127_781
; %bb.780:
	v_cvt_f32_f64_e32 v2, v[0:1]
	v_mov_b32_e32 v3, 0
	global_store_dwordx2 v[4:5], v[2:3], off
.LBB127_781:
	s_mov_b64 s[18:19], 0
.LBB127_782:
	s_andn2_b64 vcc, exec, s[18:19]
	s_cbranch_vccnz .LBB127_784
; %bb.783:
	s_movk_i32 s18, 0x1ff
	v_and_or_b32 v2, v1, s18, v0
	v_cmp_ne_u32_e32 vcc, 0, v2
	v_cndmask_b32_e64 v2, 0, 1, vcc
	v_lshrrev_b32_e32 v3, 8, v1
	s_movk_i32 s18, 0xffe
	v_bfe_u32 v6, v1, 20, 11
	v_and_or_b32 v2, v3, s18, v2
	v_sub_u32_e32 v7, 0x3f1, v6
	v_or_b32_e32 v3, 0x1000, v2
	v_med3_i32 v7, v7, 0, 13
	v_lshrrev_b32_e32 v8, v7, v3
	v_lshlrev_b32_e32 v7, v7, v8
	v_cmp_ne_u32_e32 vcc, v7, v3
	v_cndmask_b32_e64 v3, 0, 1, vcc
	v_add_u32_e32 v6, 0xfffffc10, v6
	v_or_b32_e32 v3, v8, v3
	v_lshl_or_b32 v7, v6, 12, v2
	v_cmp_gt_i32_e32 vcc, 1, v6
	v_cndmask_b32_e32 v3, v7, v3, vcc
	v_and_b32_e32 v7, 7, v3
	v_cmp_lt_i32_e32 vcc, 5, v7
	v_cndmask_b32_e64 v8, 0, 1, vcc
	v_cmp_eq_u32_e32 vcc, 3, v7
	v_cndmask_b32_e64 v7, 0, 1, vcc
	v_or_b32_e32 v7, v7, v8
	v_lshrrev_b32_e32 v3, 2, v3
	v_add_u32_e32 v3, v3, v7
	v_mov_b32_e32 v7, 0x7c00
	v_cmp_gt_i32_e32 vcc, 31, v6
	v_cndmask_b32_e32 v3, v7, v3, vcc
	v_mov_b32_e32 v8, 0x7e00
	v_cmp_ne_u32_e32 vcc, 0, v2
	s_movk_i32 s18, 0x40f
	v_cndmask_b32_e32 v2, v7, v8, vcc
	v_cmp_eq_u32_e32 vcc, s18, v6
	v_cndmask_b32_e32 v2, v3, v2, vcc
	v_lshrrev_b32_e32 v3, 16, v1
	s_mov_b32 s18, 0x8000
	v_and_or_b32 v2, v3, s18, v2
	v_and_b32_e32 v2, 0xffff, v2
	global_store_dword v[4:5], v2, off
.LBB127_784:
	s_mov_b64 s[18:19], 0
.LBB127_785:
	s_andn2_b64 vcc, exec, s[18:19]
	s_cbranch_vccnz .LBB127_794
; %bb.786:
	s_cmp_lt_i32 s20, 6
	s_mov_b64 s[18:19], -1
	s_cbranch_scc1 .LBB127_792
; %bb.787:
	s_cmp_gt_i32 s20, 6
	s_cbranch_scc0 .LBB127_789
; %bb.788:
	s_mov_b64 s[18:19], 0
	global_store_dwordx2 v[4:5], v[0:1], off
.LBB127_789:
	s_andn2_b64 vcc, exec, s[18:19]
	s_cbranch_vccnz .LBB127_791
; %bb.790:
	v_cvt_f32_f64_e32 v2, v[0:1]
	global_store_dword v[4:5], v2, off
.LBB127_791:
	s_mov_b64 s[18:19], 0
.LBB127_792:
	s_andn2_b64 vcc, exec, s[18:19]
	s_cbranch_vccnz .LBB127_794
; %bb.793:
	s_movk_i32 s18, 0x1ff
	v_and_or_b32 v2, v1, s18, v0
	v_cmp_ne_u32_e32 vcc, 0, v2
	v_cndmask_b32_e64 v2, 0, 1, vcc
	v_lshrrev_b32_e32 v3, 8, v1
	s_movk_i32 s18, 0xffe
	v_bfe_u32 v6, v1, 20, 11
	v_and_or_b32 v2, v3, s18, v2
	v_sub_u32_e32 v7, 0x3f1, v6
	v_or_b32_e32 v3, 0x1000, v2
	v_med3_i32 v7, v7, 0, 13
	v_lshrrev_b32_e32 v8, v7, v3
	v_lshlrev_b32_e32 v7, v7, v8
	v_cmp_ne_u32_e32 vcc, v7, v3
	v_cndmask_b32_e64 v3, 0, 1, vcc
	v_add_u32_e32 v6, 0xfffffc10, v6
	v_or_b32_e32 v3, v8, v3
	v_lshl_or_b32 v7, v6, 12, v2
	v_cmp_gt_i32_e32 vcc, 1, v6
	v_cndmask_b32_e32 v3, v7, v3, vcc
	v_and_b32_e32 v7, 7, v3
	v_cmp_lt_i32_e32 vcc, 5, v7
	v_cndmask_b32_e64 v8, 0, 1, vcc
	v_cmp_eq_u32_e32 vcc, 3, v7
	v_cndmask_b32_e64 v7, 0, 1, vcc
	v_or_b32_e32 v7, v7, v8
	v_lshrrev_b32_e32 v3, 2, v3
	v_add_u32_e32 v3, v3, v7
	v_mov_b32_e32 v7, 0x7c00
	v_cmp_gt_i32_e32 vcc, 31, v6
	v_cndmask_b32_e32 v3, v7, v3, vcc
	v_mov_b32_e32 v8, 0x7e00
	v_cmp_ne_u32_e32 vcc, 0, v2
	s_movk_i32 s18, 0x40f
	v_cndmask_b32_e32 v2, v7, v8, vcc
	v_cmp_eq_u32_e32 vcc, s18, v6
	v_cndmask_b32_e32 v2, v3, v2, vcc
	v_lshrrev_b32_e32 v3, 16, v1
	s_mov_b32 s18, 0x8000
	v_and_or_b32 v2, v3, s18, v2
	global_store_short v[4:5], v2, off
.LBB127_794:
	s_mov_b64 s[18:19], 0
.LBB127_795:
	s_andn2_b64 vcc, exec, s[18:19]
	s_cbranch_vccnz .LBB127_811
; %bb.796:
	s_cmp_lt_i32 s20, 2
	s_mov_b64 s[18:19], -1
	s_cbranch_scc1 .LBB127_806
; %bb.797:
	s_cmp_lt_i32 s20, 3
	s_cbranch_scc1 .LBB127_803
; %bb.798:
	s_cmp_gt_i32 s20, 3
	s_cbranch_scc0 .LBB127_800
; %bb.799:
	v_trunc_f64_e32 v[2:3], v[0:1]
	s_movk_i32 s18, 0xffe0
	v_ldexp_f64 v[6:7], v[2:3], s18
	s_mov_b32 s18, 0
	s_mov_b32 s19, 0xc1f00000
	v_floor_f64_e32 v[6:7], v[6:7]
	v_fma_f64 v[2:3], v[6:7], s[18:19], v[2:3]
	v_cvt_i32_f64_e32 v7, v[6:7]
	s_mov_b64 s[18:19], 0
	v_cvt_u32_f64_e32 v6, v[2:3]
	global_store_dwordx2 v[4:5], v[6:7], off
.LBB127_800:
	s_andn2_b64 vcc, exec, s[18:19]
	s_cbranch_vccnz .LBB127_802
; %bb.801:
	v_cvt_i32_f64_e32 v2, v[0:1]
	global_store_dword v[4:5], v2, off
.LBB127_802:
	s_mov_b64 s[18:19], 0
.LBB127_803:
	s_andn2_b64 vcc, exec, s[18:19]
	s_cbranch_vccnz .LBB127_805
; %bb.804:
	v_cvt_i32_f64_e32 v2, v[0:1]
	global_store_short v[4:5], v2, off
.LBB127_805:
	s_mov_b64 s[18:19], 0
.LBB127_806:
	s_andn2_b64 vcc, exec, s[18:19]
	s_cbranch_vccnz .LBB127_811
; %bb.807:
	s_cmp_gt_i32 s20, 0
	s_mov_b64 s[18:19], -1
	s_cbranch_scc0 .LBB127_809
; %bb.808:
	v_cvt_i32_f64_e32 v2, v[0:1]
	s_mov_b64 s[18:19], 0
	global_store_byte v[4:5], v2, off
.LBB127_809:
	s_andn2_b64 vcc, exec, s[18:19]
	s_cbranch_vccnz .LBB127_811
; %bb.810:
	v_trunc_f64_e32 v[0:1], v[0:1]
	s_movk_i32 s18, 0xffe0
	v_ldexp_f64 v[2:3], v[0:1], s18
	s_mov_b32 s18, 0
	s_mov_b32 s19, 0xc1f00000
	v_floor_f64_e32 v[2:3], v[2:3]
	v_fma_f64 v[0:1], v[2:3], s[18:19], v[0:1]
	v_cvt_u32_f64_e32 v0, v[0:1]
	global_store_byte v[4:5], v0, off
.LBB127_811:
	s_mov_b64 s[18:19], -1
.LBB127_812:
	s_andn2_b64 vcc, exec, s[18:19]
	s_cbranch_vccnz .LBB127_814
; %bb.813:
	v_add_u32_e32 v10, 0x80, v10
	s_mov_b64 s[18:19], -1
	s_branch .LBB127_816
.LBB127_814:
	s_mov_b64 s[18:19], 0
.LBB127_815:
                                        ; implicit-def: $vgpr10
.LBB127_816:
	s_andn2_b64 s[20:21], s[66:67], exec
	s_and_b64 s[2:3], s[2:3], exec
	s_or_b64 s[72:73], s[20:21], s[2:3]
	s_andn2_b64 s[2:3], s[64:65], exec
	s_and_b64 s[16:17], s[16:17], exec
	s_or_b64 s[2:3], s[2:3], s[16:17]
	s_orn2_b64 s[22:23], s[18:19], exec
.LBB127_817:
	s_or_b64 exec, exec, s[70:71]
	s_mov_b64 s[16:17], 0
	s_mov_b64 s[18:19], 0
	;; [unrolled: 1-line block ×3, first 2 shown]
                                        ; implicit-def: $vgpr0_vgpr1
                                        ; implicit-def: $vgpr2
                                        ; implicit-def: $vgpr6_vgpr7
	s_and_saveexec_b64 s[70:71], s[22:23]
	s_cbranch_execz .LBB127_916
; %bb.818:
	v_cmp_gt_i32_e32 vcc, s74, v10
	s_mov_b64 s[22:23], s[2:3]
                                        ; implicit-def: $vgpr0_vgpr1
                                        ; implicit-def: $vgpr2
                                        ; implicit-def: $vgpr6_vgpr7
	s_and_saveexec_b64 s[74:75], vcc
	s_cbranch_execz .LBB127_915
; %bb.819:
	s_andn2_b64 vcc, exec, s[48:49]
	s_cbranch_vccnz .LBB127_824
; %bb.820:
	s_andn2_b64 vcc, exec, s[56:57]
	s_cbranch_vccnz .LBB127_825
; %bb.821:
	s_add_i32 s80, s79, 1
	s_cmp_eq_u32 s76, 2
	s_cbranch_scc1 .LBB127_826
; %bb.822:
	s_and_b32 s79, s80, 28
	v_mov_b32_e32 v0, 0
	s_mov_b32 s81, 0
	s_mov_b64 s[56:57], s[34:35]
	v_mov_b32_e32 v2, 0
	v_mov_b32_e32 v1, v10
.LBB127_823:                            ; =>This Inner Loop Header: Depth=1
	s_load_dwordx8 s[24:31], s[56:57], 0x4
	s_load_dwordx4 s[44:47], s[56:57], 0x24
	s_load_dwordx8 s[16:23], s[54:55], 0x0
	s_add_u32 s56, s56, 48
	s_addc_u32 s57, s57, 0
	s_waitcnt vmcnt(0) lgkmcnt(0)
	v_mul_hi_u32 v3, s25, v1
	s_add_i32 s81, s81, 4
	s_add_u32 s54, s54, 32
	s_addc_u32 s55, s55, 0
	v_add_u32_e32 v3, v1, v3
	v_lshrrev_b32_e32 v3, s26, v3
	v_mul_lo_u32 v4, v3, s24
	v_mul_hi_u32 v5, s28, v3
	s_cmp_eq_u32 s79, s81
	v_sub_u32_e32 v1, v1, v4
	v_add_u32_e32 v4, v3, v5
	v_mul_lo_u32 v5, v1, s16
	v_mul_lo_u32 v6, v1, s17
	v_lshrrev_b32_e32 v1, s29, v4
	v_mul_lo_u32 v4, v1, s27
	v_mul_hi_u32 v7, s31, v1
	v_sub_u32_e32 v3, v3, v4
	v_add_u32_e32 v4, v1, v7
	v_lshrrev_b32_e32 v4, s44, v4
	v_mul_hi_u32 v8, s46, v4
	v_mul_lo_u32 v9, v4, s30
	v_mul_lo_u32 v7, v3, s18
	;; [unrolled: 1-line block ×3, first 2 shown]
	v_sub_u32_e32 v9, v1, v9
	v_add_u32_e32 v1, v4, v8
	v_lshrrev_b32_e32 v1, s47, v1
	v_mul_lo_u32 v8, v1, s45
	v_mul_lo_u32 v11, v9, s20
	v_mul_lo_u32 v9, v9, s21
	v_add3_u32 v2, v5, v2, v7
	v_sub_u32_e32 v4, v4, v8
	v_mul_lo_u32 v8, v4, s22
	v_mul_lo_u32 v4, v4, s23
	v_add3_u32 v0, v6, v0, v3
	v_add3_u32 v2, v11, v2, v8
	;; [unrolled: 1-line block ×3, first 2 shown]
	s_cbranch_scc0 .LBB127_823
	s_branch .LBB127_827
.LBB127_824:
	s_mov_b64 s[16:17], -1
                                        ; implicit-def: $vgpr2
                                        ; implicit-def: $vgpr0
	s_branch .LBB127_831
.LBB127_825:
	v_mov_b32_e32 v2, 0
	v_mov_b32_e32 v0, 0
	s_branch .LBB127_830
.LBB127_826:
	s_mov_b32 s79, 0
	v_mov_b32_e32 v2, 0
	v_mov_b32_e32 v0, 0
	;; [unrolled: 1-line block ×3, first 2 shown]
.LBB127_827:
	s_and_b32 s20, s80, 3
	s_cmp_eq_u32 s20, 0
	s_cbranch_scc1 .LBB127_830
; %bb.828:
	s_lshl_b32 s16, s79, 3
	s_add_u32 s16, s34, s16
	s_addc_u32 s17, s35, 0
	s_add_u32 s16, s16, 0xc4
	s_addc_u32 s17, s17, 0
	s_mul_i32 s18, s79, 12
	s_add_u32 s18, s34, s18
	s_addc_u32 s19, s35, 0
.LBB127_829:                            ; =>This Inner Loop Header: Depth=1
	s_load_dwordx2 s[22:23], s[18:19], 0x4
	s_load_dword s21, s[18:19], 0xc
	s_load_dwordx2 s[24:25], s[16:17], 0x0
	s_add_u32 s18, s18, 12
	s_addc_u32 s19, s19, 0
	s_waitcnt vmcnt(0) lgkmcnt(0)
	v_mul_hi_u32 v3, s23, v1
	s_add_u32 s16, s16, 8
	s_addc_u32 s17, s17, 0
	s_add_i32 s20, s20, -1
	v_add_u32_e32 v3, v1, v3
	v_lshrrev_b32_e32 v4, s21, v3
	v_mul_lo_u32 v3, v4, s22
	s_cmp_lg_u32 s20, 0
	v_sub_u32_e32 v1, v1, v3
	v_mad_u64_u32 v[2:3], s[22:23], v1, s24, v[2:3]
	v_mad_u64_u32 v[0:1], s[22:23], v1, s25, v[0:1]
	v_mov_b32_e32 v1, v4
	s_cbranch_scc1 .LBB127_829
.LBB127_830:
	s_mov_b64 s[16:17], 0
.LBB127_831:
	s_andn2_b64 vcc, exec, s[16:17]
	s_cbranch_vccnz .LBB127_834
; %bb.832:
	v_mul_hi_u32 v0, s37, v10
	s_andn2_b64 vcc, exec, s[12:13]
	v_add_u32_e32 v0, v10, v0
	v_lshrrev_b32_e32 v1, s38, v0
	v_mul_lo_u32 v0, v1, s36
	v_sub_u32_e32 v0, v10, v0
	v_mul_lo_u32 v2, v0, s40
	v_mul_lo_u32 v0, v0, s41
	s_cbranch_vccnz .LBB127_834
; %bb.833:
	s_waitcnt vmcnt(0)
	v_mul_hi_u32 v3, s52, v1
	v_add_u32_e32 v3, v1, v3
	v_lshrrev_b32_e32 v3, s53, v3
	v_mul_lo_u32 v3, v3, s39
	v_sub_u32_e32 v1, v1, v3
	v_mad_u64_u32 v[2:3], s[12:13], v1, s42, v[2:3]
	v_mad_u64_u32 v[0:1], s[12:13], v1, s43, v[0:1]
.LBB127_834:
	v_mov_b32_e32 v1, s11
	s_and_b32 s22, 0xffff, s78
	v_add_co_u32_e32 v0, vcc, s10, v0
	s_cmp_lt_i32 s22, 11
	v_addc_co_u32_e32 v1, vcc, 0, v1, vcc
	s_cbranch_scc1 .LBB127_841
; %bb.835:
	s_cmp_gt_i32 s22, 25
	s_mov_b64 s[12:13], 0
	s_cbranch_scc0 .LBB127_842
; %bb.836:
	s_cmp_gt_i32 s22, 28
	s_cbranch_scc0 .LBB127_843
; %bb.837:
	s_cmp_gt_i32 s22, 43
	;; [unrolled: 3-line block ×3, first 2 shown]
	s_cbranch_scc0 .LBB127_847
; %bb.839:
	s_cmp_eq_u32 s22, 46
	s_mov_b64 s[18:19], 0
	s_cbranch_scc0 .LBB127_850
; %bb.840:
	global_load_dword v3, v[0:1], off
	s_mov_b64 s[10:11], 0
	s_mov_b64 s[16:17], -1
	s_waitcnt vmcnt(0)
	v_lshlrev_b32_e32 v3, 16, v3
	v_cvt_f64_f32_e32 v[6:7], v3
	s_branch .LBB127_851
.LBB127_841:
	s_mov_b64 s[18:19], -1
	s_mov_b64 s[16:17], 0
	s_mov_b64 s[12:13], 0
	;; [unrolled: 1-line block ×3, first 2 shown]
                                        ; implicit-def: $vgpr6_vgpr7
	s_branch .LBB127_914
.LBB127_842:
	s_mov_b64 s[18:19], -1
	s_mov_b64 s[16:17], 0
	s_mov_b64 s[10:11], s[2:3]
                                        ; implicit-def: $vgpr6_vgpr7
	s_branch .LBB127_882
.LBB127_843:
	s_mov_b64 s[18:19], -1
	s_mov_b64 s[16:17], 0
	s_mov_b64 s[10:11], s[2:3]
                                        ; implicit-def: $vgpr6_vgpr7
	s_branch .LBB127_861
.LBB127_844:
	s_mov_b64 s[18:19], -1
	s_mov_b64 s[16:17], 0
	s_mov_b64 s[10:11], s[2:3]
                                        ; implicit-def: $vgpr6_vgpr7
	s_branch .LBB127_856
.LBB127_845:
	s_andn2_saveexec_b64 s[22:23], s[22:23]
	s_cbranch_execz .LBB127_725
.LBB127_846:
	s_mov_b32 s26, 0x46000000
	v_add_f32_e64 v3, |v2|, s26
	v_and_b32_e32 v3, 0xff, v3
	v_cmp_ne_u32_e32 vcc, 0, v3
	s_andn2_b64 s[20:21], s[20:21], exec
	s_and_b64 s[26:27], vcc, exec
	s_or_b64 s[20:21], s[20:21], s[26:27]
	s_or_b64 exec, exec, s[22:23]
	v_mov_b32_e32 v6, 0
	s_and_saveexec_b64 s[22:23], s[20:21]
	s_cbranch_execnz .LBB127_726
	s_branch .LBB127_727
.LBB127_847:
	s_mov_b64 s[18:19], -1
	s_mov_b64 s[16:17], 0
	s_mov_b64 s[10:11], s[2:3]
                                        ; implicit-def: $vgpr6_vgpr7
	s_branch .LBB127_851
.LBB127_848:
	s_andn2_saveexec_b64 s[22:23], s[22:23]
	s_cbranch_execz .LBB127_738
.LBB127_849:
	s_mov_b32 s26, 0x42800000
	v_add_f32_e64 v3, |v2|, s26
	v_and_b32_e32 v3, 0xff, v3
	v_cmp_ne_u32_e32 vcc, 0, v3
	s_andn2_b64 s[20:21], s[20:21], exec
	s_and_b64 s[26:27], vcc, exec
	s_or_b64 s[20:21], s[20:21], s[26:27]
	s_or_b64 exec, exec, s[22:23]
	v_mov_b32_e32 v6, 0
	s_and_saveexec_b64 s[22:23], s[20:21]
	s_cbranch_execnz .LBB127_739
	s_branch .LBB127_740
.LBB127_850:
	s_mov_b64 s[10:11], -1
                                        ; implicit-def: $vgpr6_vgpr7
	s_mov_b64 s[16:17], 0
.LBB127_851:
	s_and_b64 vcc, exec, s[18:19]
	s_cbranch_vccz .LBB127_855
; %bb.852:
	s_cmp_eq_u32 s22, 44
	s_cbranch_scc0 .LBB127_854
; %bb.853:
	global_load_ubyte v5, v[0:1], off
	s_movk_i32 s16, 0xff
	v_bfrev_b32_e32 v6, 4
	v_mov_b32_e32 v7, 0x7ff80000
	v_bfrev_b32_e32 v8, 28
	s_mov_b64 s[10:11], 0
	s_waitcnt vmcnt(0)
	v_lshlrev_b32_e32 v3, 23, v5
	v_cvt_f64_f32_e32 v[3:4], v3
	v_cmp_ne_u32_e32 vcc, s16, v5
	s_mov_b64 s[16:17], -1
	v_cndmask_b32_e32 v3, v6, v3, vcc
	v_cndmask_b32_e32 v4, v7, v4, vcc
	v_cmp_ne_u32_e32 vcc, 0, v5
	v_cndmask_b32_e32 v7, v8, v4, vcc
	v_cndmask_b32_e32 v6, 0, v3, vcc
	s_branch .LBB127_855
.LBB127_854:
	s_mov_b64 s[10:11], -1
                                        ; implicit-def: $vgpr6_vgpr7
.LBB127_855:
	s_mov_b64 s[18:19], 0
.LBB127_856:
	s_and_b64 vcc, exec, s[18:19]
	s_cbranch_vccz .LBB127_860
; %bb.857:
	s_cmp_eq_u32 s22, 29
	s_cbranch_scc0 .LBB127_859
; %bb.858:
	global_load_dwordx2 v[3:4], v[0:1], off
	s_mov_b64 s[10:11], 0
	s_mov_b64 s[16:17], -1
	s_mov_b64 s[18:19], 0
	s_waitcnt vmcnt(0)
	v_cvt_f64_u32_e32 v[4:5], v4
	v_cvt_f64_u32_e32 v[6:7], v3
	v_ldexp_f64 v[4:5], v[4:5], 32
	v_add_f64 v[6:7], v[4:5], v[6:7]
	s_branch .LBB127_861
.LBB127_859:
	s_mov_b64 s[10:11], -1
                                        ; implicit-def: $vgpr6_vgpr7
.LBB127_860:
	s_mov_b64 s[18:19], 0
.LBB127_861:
	s_and_b64 vcc, exec, s[18:19]
	s_cbranch_vccz .LBB127_881
; %bb.862:
	s_cmp_lt_i32 s22, 27
	s_cbranch_scc1 .LBB127_865
; %bb.863:
	s_cmp_gt_i32 s22, 27
	s_cbranch_scc0 .LBB127_866
; %bb.864:
	global_load_dword v3, v[0:1], off
	s_mov_b64 s[16:17], 0
	s_waitcnt vmcnt(0)
	v_cvt_f64_u32_e32 v[6:7], v3
	s_branch .LBB127_867
.LBB127_865:
	s_mov_b64 s[16:17], -1
                                        ; implicit-def: $vgpr6_vgpr7
	s_branch .LBB127_870
.LBB127_866:
	s_mov_b64 s[16:17], -1
                                        ; implicit-def: $vgpr6_vgpr7
.LBB127_867:
	s_andn2_b64 vcc, exec, s[16:17]
	s_cbranch_vccnz .LBB127_869
; %bb.868:
	global_load_ushort v3, v[0:1], off
	s_waitcnt vmcnt(0)
	v_cvt_f64_u32_e32 v[6:7], v3
.LBB127_869:
	s_mov_b64 s[16:17], 0
.LBB127_870:
	s_andn2_b64 vcc, exec, s[16:17]
	s_cbranch_vccnz .LBB127_880
; %bb.871:
	global_load_ubyte v3, v[0:1], off
	s_movk_i32 s16, 0x7f
	s_waitcnt vmcnt(0)
	v_cmp_lt_i16_e32 vcc, s16, v3
	s_mov_b64 s[16:17], 0
	s_and_saveexec_b64 s[18:19], vcc
	s_xor_b64 s[18:19], exec, s[18:19]
	s_cbranch_execz .LBB127_875
; %bb.872:
	s_movk_i32 s16, 0x80
	v_cmp_eq_u16_e32 vcc, s16, v3
	s_mov_b64 s[16:17], -1
	s_and_saveexec_b64 s[20:21], vcc
; %bb.873:
	s_xor_b64 s[16:17], exec, -1
; %bb.874:
	s_or_b64 exec, exec, s[20:21]
	s_and_b64 s[16:17], s[16:17], exec
.LBB127_875:
	s_or_saveexec_b64 s[18:19], s[18:19]
	v_bfrev_b32_e32 v6, 4
	v_mov_b32_e32 v7, 0x7ff80000
	s_xor_b64 exec, exec, s[18:19]
; %bb.876:
	v_cmp_ne_u16_e32 vcc, 0, v3
	v_mov_b32_e32 v6, 0
	s_andn2_b64 s[16:17], s[16:17], exec
	s_and_b64 s[20:21], vcc, exec
	v_mov_b32_e32 v7, 0
	s_or_b64 s[16:17], s[16:17], s[20:21]
; %bb.877:
	s_or_b64 exec, exec, s[18:19]
	s_and_saveexec_b64 s[18:19], s[16:17]
	s_cbranch_execz .LBB127_879
; %bb.878:
	v_lshlrev_b32_e32 v4, 24, v3
	v_and_b32_e32 v3, 0xffff, v3
	v_and_b32_e32 v5, 7, v3
	v_ffbh_u32_e32 v7, v5
	v_min_u32_e32 v7, 32, v7
	v_subrev_u32_e32 v8, 28, v7
	v_bfe_u32 v6, v3, 3, 4
	v_lshlrev_b32_e32 v3, v8, v3
	v_sub_u32_e32 v7, 29, v7
	v_and_b32_e32 v3, 7, v3
	v_cmp_eq_u32_e32 vcc, 0, v6
	v_cndmask_b32_e32 v6, v6, v7, vcc
	v_cndmask_b32_e32 v3, v5, v3, vcc
	v_mov_b32_e32 v5, 0x3b800000
	v_lshlrev_b32_e32 v3, 20, v3
	v_and_b32_e32 v4, 0x80000000, v4
	v_lshl_add_u32 v5, v6, 23, v5
	v_or3_b32 v3, v4, v5, v3
	v_cvt_f64_f32_e32 v[6:7], v3
.LBB127_879:
	s_or_b64 exec, exec, s[18:19]
.LBB127_880:
	s_mov_b64 s[16:17], -1
.LBB127_881:
	s_mov_b64 s[18:19], 0
.LBB127_882:
	s_and_b64 vcc, exec, s[18:19]
	s_cbranch_vccz .LBB127_913
; %bb.883:
	s_cmp_gt_i32 s22, 22
	s_cbranch_scc0 .LBB127_895
; %bb.884:
	s_cmp_lt_i32 s22, 24
	s_cbranch_scc1 .LBB127_896
; %bb.885:
	s_cmp_gt_i32 s22, 24
	s_cbranch_scc0 .LBB127_897
; %bb.886:
	global_load_ubyte v3, v[0:1], off
	s_movk_i32 s12, 0x7f
	s_waitcnt vmcnt(0)
	v_cmp_lt_i16_e32 vcc, s12, v3
	s_mov_b64 s[12:13], 0
	s_and_saveexec_b64 s[16:17], vcc
	s_xor_b64 s[16:17], exec, s[16:17]
	s_cbranch_execz .LBB127_890
; %bb.887:
	s_movk_i32 s12, 0x80
	v_cmp_eq_u16_e32 vcc, s12, v3
	s_mov_b64 s[12:13], -1
	s_and_saveexec_b64 s[18:19], vcc
; %bb.888:
	s_xor_b64 s[12:13], exec, -1
; %bb.889:
	s_or_b64 exec, exec, s[18:19]
	s_and_b64 s[12:13], s[12:13], exec
.LBB127_890:
	s_or_saveexec_b64 s[16:17], s[16:17]
	v_bfrev_b32_e32 v6, 4
	v_mov_b32_e32 v7, 0x7ff80000
	s_xor_b64 exec, exec, s[16:17]
; %bb.891:
	v_cmp_ne_u16_e32 vcc, 0, v3
	v_mov_b32_e32 v6, 0
	s_andn2_b64 s[12:13], s[12:13], exec
	s_and_b64 s[18:19], vcc, exec
	v_mov_b32_e32 v7, 0
	s_or_b64 s[12:13], s[12:13], s[18:19]
; %bb.892:
	s_or_b64 exec, exec, s[16:17]
	s_and_saveexec_b64 s[16:17], s[12:13]
	s_cbranch_execz .LBB127_894
; %bb.893:
	v_lshlrev_b32_e32 v4, 24, v3
	v_and_b32_e32 v3, 0xffff, v3
	v_and_b32_e32 v5, 3, v3
	v_ffbh_u32_e32 v7, v5
	v_min_u32_e32 v7, 32, v7
	v_subrev_u32_e32 v8, 29, v7
	v_bfe_u32 v6, v3, 2, 5
	v_lshlrev_b32_e32 v3, v8, v3
	v_sub_u32_e32 v7, 30, v7
	v_and_b32_e32 v3, 3, v3
	v_cmp_eq_u32_e32 vcc, 0, v6
	v_cndmask_b32_e32 v6, v6, v7, vcc
	v_cndmask_b32_e32 v3, v5, v3, vcc
	v_mov_b32_e32 v5, 0x37800000
	v_lshlrev_b32_e32 v3, 21, v3
	v_and_b32_e32 v4, 0x80000000, v4
	v_lshl_add_u32 v5, v6, 23, v5
	v_or3_b32 v3, v4, v5, v3
	v_cvt_f64_f32_e32 v[6:7], v3
.LBB127_894:
	s_or_b64 exec, exec, s[16:17]
	s_mov_b64 s[12:13], 0
	s_branch .LBB127_898
.LBB127_895:
	s_mov_b64 s[12:13], -1
                                        ; implicit-def: $vgpr6_vgpr7
	s_branch .LBB127_904
.LBB127_896:
	s_mov_b64 s[12:13], -1
                                        ; implicit-def: $vgpr6_vgpr7
	s_branch .LBB127_901
.LBB127_897:
	s_mov_b64 s[12:13], -1
                                        ; implicit-def: $vgpr6_vgpr7
.LBB127_898:
	s_and_b64 vcc, exec, s[12:13]
	s_cbranch_vccz .LBB127_900
; %bb.899:
	global_load_ubyte v3, v[0:1], off
	s_mov_b32 s12, 0x7f800000
	s_waitcnt vmcnt(0)
	v_lshlrev_b32_e32 v3, 24, v3
	v_and_b32_e32 v4, 0x7f000000, v3
	v_ffbh_u32_e32 v5, v4
	v_min_u32_e32 v5, 32, v5
	v_sub_u32_e64 v5, v5, 4 clamp
	v_lshlrev_b32_e32 v7, v5, v4
	v_lshlrev_b32_e32 v5, 23, v5
	v_lshrrev_b32_e32 v7, 4, v7
	v_add_u32_e32 v6, 0x1000000, v4
	v_sub_u32_e32 v5, v7, v5
	v_ashrrev_i32_e32 v6, 8, v6
	v_add_u32_e32 v5, 0x3c000000, v5
	v_and_or_b32 v5, v6, s12, v5
	v_cmp_ne_u32_e32 vcc, 0, v4
	v_cndmask_b32_e32 v4, 0, v5, vcc
	s_brev_b32 s12, 1
	v_and_or_b32 v3, v3, s12, v4
	v_cvt_f64_f32_e32 v[6:7], v3
.LBB127_900:
	s_mov_b64 s[12:13], 0
.LBB127_901:
	s_andn2_b64 vcc, exec, s[12:13]
	s_cbranch_vccnz .LBB127_903
; %bb.902:
	global_load_ubyte v3, v[0:1], off
	s_movk_i32 s12, 0x7f00
	s_brev_b32 s13, 16
	s_waitcnt vmcnt(0)
	v_lshlrev_b16_e32 v4, 8, v3
	v_lshlrev_b32_e32 v3, 25, v3
	v_lshrrev_b32_e32 v5, 4, v3
	v_and_or_b32 v6, v4, s12, 0.5
	v_or_b32_e32 v5, 0x70000000, v5
	v_add_f32_e32 v6, -0.5, v6
	v_mul_f32_e32 v5, 0x7800000, v5
	v_cmp_gt_u32_e32 vcc, s13, v3
	v_bfe_i32 v4, v4, 0, 16
	v_cndmask_b32_e32 v3, v5, v6, vcc
	s_brev_b32 s12, 1
	v_and_or_b32 v3, v4, s12, v3
	v_cvt_f64_f32_e32 v[6:7], v3
.LBB127_903:
	s_mov_b64 s[12:13], 0
	s_mov_b64 s[16:17], -1
.LBB127_904:
	s_andn2_b64 vcc, exec, s[12:13]
	s_mov_b64 s[12:13], 0
	s_cbranch_vccnz .LBB127_913
; %bb.905:
	s_cmp_gt_i32 s22, 14
	s_cbranch_scc0 .LBB127_908
; %bb.906:
	s_cmp_eq_u32 s22, 15
	s_cbranch_scc0 .LBB127_909
; %bb.907:
	global_load_ushort v3, v[0:1], off
	s_mov_b64 s[10:11], 0
	s_mov_b64 s[16:17], -1
	s_waitcnt vmcnt(0)
	v_lshlrev_b32_e32 v3, 16, v3
	v_cvt_f64_f32_e32 v[6:7], v3
	s_branch .LBB127_910
.LBB127_908:
	s_mov_b64 s[18:19], -1
                                        ; implicit-def: $vgpr6_vgpr7
	s_branch .LBB127_911
.LBB127_909:
	s_mov_b64 s[10:11], -1
                                        ; implicit-def: $vgpr6_vgpr7
.LBB127_910:
	s_mov_b64 s[18:19], 0
.LBB127_911:
	s_and_b64 vcc, exec, s[18:19]
	s_cbranch_vccz .LBB127_913
; %bb.912:
	s_cmp_lg_u32 s22, 11
	s_cselect_b64 s[18:19], -1, 0
	s_andn2_b64 s[10:11], s[10:11], exec
	s_and_b64 s[18:19], s[18:19], exec
	s_mov_b64 s[12:13], -1
	s_or_b64 s[10:11], s[10:11], s[18:19]
.LBB127_913:
	s_mov_b64 s[18:19], 0
.LBB127_914:
	s_and_b64 s[20:21], s[16:17], exec
	s_and_b64 s[16:17], s[12:13], exec
	s_andn2_b64 s[12:13], s[2:3], exec
	s_and_b64 s[10:11], s[10:11], exec
	s_and_b64 s[18:19], s[18:19], exec
	s_or_b64 s[22:23], s[12:13], s[10:11]
.LBB127_915:
	s_or_b64 exec, exec, s[74:75]
	s_andn2_b64 s[2:3], s[2:3], exec
	s_and_b64 s[10:11], s[22:23], exec
	s_and_b64 s[20:21], s[20:21], exec
	;; [unrolled: 1-line block ×4, first 2 shown]
	s_or_b64 s[2:3], s[2:3], s[10:11]
.LBB127_916:
	s_or_b64 exec, exec, s[70:71]
	s_andn2_b64 s[10:11], s[66:67], exec
	s_and_b64 s[12:13], s[72:73], exec
	s_or_b64 s[66:67], s[10:11], s[12:13]
	s_andn2_b64 s[10:11], s[64:65], exec
	s_and_b64 s[2:3], s[2:3], exec
	s_and_b64 s[22:23], s[20:21], exec
	;; [unrolled: 1-line block ×4, first 2 shown]
	s_or_b64 s[64:65], s[10:11], s[2:3]
.LBB127_917:
	s_or_b64 exec, exec, s[68:69]
	s_andn2_b64 s[2:3], s[58:59], exec
	s_and_b64 s[10:11], s[66:67], exec
	s_or_b64 s[58:59], s[2:3], s[10:11]
	s_andn2_b64 s[2:3], s[60:61], exec
	s_and_b64 s[10:11], s[64:65], exec
	s_and_b64 s[16:17], s[22:23], exec
	;; [unrolled: 1-line block ×4, first 2 shown]
	s_or_b64 s[60:61], s[2:3], s[10:11]
	s_or_b64 exec, exec, s[62:63]
	s_mov_b64 s[2:3], 0
	s_and_saveexec_b64 s[10:11], s[60:61]
	s_cbranch_execz .LBB127_274
.LBB127_918:
	s_mov_b64 s[2:3], exec
	s_andn2_b64 s[66:67], s[66:67], exec
	s_trap 2
	s_or_b64 exec, exec, s[10:11]
	s_and_saveexec_b64 s[10:11], s[66:67]
	s_xor_b64 s[10:11], exec, s[10:11]
	s_cbranch_execnz .LBB127_275
.LBB127_919:
	s_or_b64 exec, exec, s[10:11]
	s_and_saveexec_b64 s[10:11], s[18:19]
	s_cbranch_execz .LBB127_965
.LBB127_920:
	s_sext_i32_i16 s12, s78
	s_cmp_lt_i32 s12, 5
	s_cbranch_scc1 .LBB127_925
; %bb.921:
	s_cmp_lt_i32 s12, 8
	s_cbranch_scc1 .LBB127_926
; %bb.922:
	;; [unrolled: 3-line block ×3, first 2 shown]
	s_cmp_gt_i32 s12, 9
	s_cbranch_scc0 .LBB127_928
; %bb.924:
	global_load_dwordx2 v[6:7], v[0:1], off
	s_mov_b64 s[12:13], 0
	s_branch .LBB127_929
.LBB127_925:
                                        ; implicit-def: $vgpr6_vgpr7
	s_branch .LBB127_946
.LBB127_926:
                                        ; implicit-def: $vgpr6_vgpr7
	s_branch .LBB127_935
.LBB127_927:
	s_mov_b64 s[12:13], -1
                                        ; implicit-def: $vgpr6_vgpr7
	s_branch .LBB127_932
.LBB127_928:
	s_mov_b64 s[12:13], -1
                                        ; implicit-def: $vgpr6_vgpr7
.LBB127_929:
	s_andn2_b64 vcc, exec, s[12:13]
	s_cbranch_vccnz .LBB127_931
; %bb.930:
	global_load_dword v3, v[0:1], off
	s_waitcnt vmcnt(0)
	v_cvt_f64_f32_e32 v[6:7], v3
.LBB127_931:
	s_mov_b64 s[12:13], 0
.LBB127_932:
	s_andn2_b64 vcc, exec, s[12:13]
	s_cbranch_vccnz .LBB127_934
; %bb.933:
	global_load_dword v3, v[0:1], off
	s_waitcnt vmcnt(0)
	v_cvt_f32_f16_e32 v3, v3
	v_cvt_f64_f32_e32 v[6:7], v3
.LBB127_934:
	s_cbranch_execnz .LBB127_945
.LBB127_935:
	s_sext_i32_i16 s12, s78
	s_cmp_lt_i32 s12, 6
	s_cbranch_scc1 .LBB127_938
; %bb.936:
	s_cmp_gt_i32 s12, 6
	s_cbranch_scc0 .LBB127_939
; %bb.937:
	global_load_dwordx2 v[6:7], v[0:1], off
	s_mov_b64 s[12:13], 0
	s_branch .LBB127_940
.LBB127_938:
	s_mov_b64 s[12:13], -1
                                        ; implicit-def: $vgpr6_vgpr7
	s_branch .LBB127_943
.LBB127_939:
	s_mov_b64 s[12:13], -1
                                        ; implicit-def: $vgpr6_vgpr7
.LBB127_940:
	s_andn2_b64 vcc, exec, s[12:13]
	s_cbranch_vccnz .LBB127_942
; %bb.941:
	global_load_dword v3, v[0:1], off
	s_waitcnt vmcnt(0)
	v_cvt_f64_f32_e32 v[6:7], v3
.LBB127_942:
	s_mov_b64 s[12:13], 0
.LBB127_943:
	s_andn2_b64 vcc, exec, s[12:13]
	s_cbranch_vccnz .LBB127_945
; %bb.944:
	global_load_ushort v3, v[0:1], off
	s_waitcnt vmcnt(0)
	v_cvt_f32_f16_e32 v3, v3
	v_cvt_f64_f32_e32 v[6:7], v3
.LBB127_945:
	s_cbranch_execnz .LBB127_964
.LBB127_946:
	s_sext_i32_i16 s12, s78
	s_cmp_lt_i32 s12, 2
	s_cbranch_scc1 .LBB127_950
; %bb.947:
	s_cmp_lt_i32 s12, 3
	s_cbranch_scc1 .LBB127_951
; %bb.948:
	s_cmp_gt_i32 s12, 3
	s_cbranch_scc0 .LBB127_952
; %bb.949:
	global_load_dwordx2 v[3:4], v[0:1], off
	s_mov_b64 s[12:13], 0
	s_waitcnt vmcnt(0)
	v_cvt_f64_i32_e32 v[4:5], v4
	v_cvt_f64_u32_e32 v[6:7], v3
	v_ldexp_f64 v[4:5], v[4:5], 32
	v_add_f64 v[6:7], v[4:5], v[6:7]
	s_branch .LBB127_953
.LBB127_950:
                                        ; implicit-def: $vgpr6_vgpr7
	s_branch .LBB127_959
.LBB127_951:
	s_mov_b64 s[12:13], -1
                                        ; implicit-def: $vgpr6_vgpr7
	s_branch .LBB127_956
.LBB127_952:
	s_mov_b64 s[12:13], -1
                                        ; implicit-def: $vgpr6_vgpr7
.LBB127_953:
	s_andn2_b64 vcc, exec, s[12:13]
	s_cbranch_vccnz .LBB127_955
; %bb.954:
	global_load_dword v3, v[0:1], off
	s_waitcnt vmcnt(0)
	v_cvt_f64_i32_e32 v[6:7], v3
.LBB127_955:
	s_mov_b64 s[12:13], 0
.LBB127_956:
	s_andn2_b64 vcc, exec, s[12:13]
	s_cbranch_vccnz .LBB127_958
; %bb.957:
	global_load_sshort v3, v[0:1], off
	s_waitcnt vmcnt(0)
	v_cvt_f64_i32_e32 v[6:7], v3
.LBB127_958:
	s_cbranch_execnz .LBB127_964
.LBB127_959:
	s_sext_i32_i16 s12, s78
	s_cmp_gt_i32 s12, 0
	s_cbranch_scc0 .LBB127_961
; %bb.960:
	global_load_sbyte v3, v[0:1], off
	s_mov_b64 s[12:13], 0
	s_waitcnt vmcnt(0)
	v_cvt_f64_i32_e32 v[6:7], v3
	s_branch .LBB127_962
.LBB127_961:
	s_mov_b64 s[12:13], -1
                                        ; implicit-def: $vgpr6_vgpr7
.LBB127_962:
	s_andn2_b64 vcc, exec, s[12:13]
	s_cbranch_vccnz .LBB127_964
; %bb.963:
	global_load_ubyte v0, v[0:1], off
	s_waitcnt vmcnt(0)
	v_cvt_f64_u32_e32 v[6:7], v0
.LBB127_964:
	s_or_b64 s[16:17], s[16:17], exec
.LBB127_965:
	s_or_b64 exec, exec, s[10:11]
	s_mov_b64 s[18:19], 0
	s_mov_b64 s[12:13], 0
                                        ; implicit-def: $sgpr20
                                        ; implicit-def: $vgpr4_vgpr5
                                        ; implicit-def: $vgpr0_vgpr1
	s_and_saveexec_b64 s[10:11], s[16:17]
	s_cbranch_execz .LBB127_973
; %bb.966:
	v_mov_b32_e32 v0, s15
	s_waitcnt vmcnt(0)
	v_cndmask_b32_e64 v1, v0, v7, s[0:1]
	v_mov_b32_e32 v0, s14
	v_mov_b32_e32 v3, s9
	s_and_b32 s20, s77, 0xff
	v_add_co_u32_e32 v4, vcc, s8, v2
	v_cndmask_b32_e64 v0, v0, v6, s[0:1]
	s_cmp_lt_i32 s20, 11
	v_addc_co_u32_e32 v5, vcc, 0, v3, vcc
	s_cbranch_scc1 .LBB127_976
; %bb.967:
	s_and_b32 s18, 0xffff, s20
	s_mov_b64 s[12:13], -1
	s_cmp_gt_i32 s18, 25
	s_mov_b64 s[0:1], s[58:59]
	s_cbranch_scc0 .LBB127_1004
; %bb.968:
	s_mov_b64 s[8:9], -1
	s_cmp_gt_i32 s18, 28
	s_mov_b64 s[0:1], s[58:59]
	s_cbranch_scc0 .LBB127_988
; %bb.969:
	s_cmp_gt_i32 s18, 43
	s_mov_b64 s[0:1], s[58:59]
	s_cbranch_scc0 .LBB127_984
; %bb.970:
	;; [unrolled: 4-line block ×3, first 2 shown]
	s_cmp_eq_u32 s18, 46
	s_mov_b64 s[0:1], -1
	s_cbranch_scc0 .LBB127_977
; %bb.972:
	v_cvt_f32_f64_e32 v2, v[0:1]
	s_movk_i32 s0, 0x7fff
	v_mov_b32_e32 v3, 0x7fc0
	s_mov_b64 s[8:9], 0
	v_bfe_u32 v6, v2, 16, 1
	v_cmp_o_f32_e32 vcc, v2, v2
	v_add3_u32 v2, v2, v6, s0
	v_cndmask_b32_sdwa v2, v3, v2, vcc dst_sel:DWORD dst_unused:UNUSED_PAD src0_sel:DWORD src1_sel:WORD_1
	global_store_dword v[4:5], v2, off
	s_mov_b64 s[0:1], 0
	s_branch .LBB127_978
.LBB127_973:
	s_or_b64 exec, exec, s[10:11]
	s_and_saveexec_b64 s[0:1], s[58:59]
	s_cbranch_execnz .LBB127_1046
.LBB127_974:
	s_or_b64 exec, exec, s[0:1]
	s_and_saveexec_b64 s[0:1], s[18:19]
	s_xor_b64 s[0:1], exec, s[0:1]
	s_cbranch_execz .LBB127_1047
.LBB127_975:
	v_cmp_neq_f64_e32 vcc, 0, v[0:1]
	v_cndmask_b32_e64 v2, 0, 1, vcc
	s_waitcnt vmcnt(0)
	global_store_byte v[4:5], v2, off
	s_or_b64 exec, exec, s[0:1]
	s_and_saveexec_b64 s[0:1], s[12:13]
	s_xor_b64 s[0:1], exec, s[0:1]
	s_cbranch_execz .LBB127_1085
	s_branch .LBB127_1048
.LBB127_976:
	s_mov_b64 s[14:15], 0
	s_mov_b64 s[8:9], -1
	s_mov_b64 s[0:1], s[58:59]
	s_branch .LBB127_1045
.LBB127_977:
	s_mov_b64 s[8:9], 0
.LBB127_978:
	s_and_b64 vcc, exec, s[8:9]
	s_cbranch_vccz .LBB127_983
; %bb.979:
	s_cmp_eq_u32 s18, 44
	s_mov_b64 s[0:1], -1
	s_cbranch_scc0 .LBB127_983
; %bb.980:
	v_cvt_f32_f64_e32 v2, v[0:1]
	s_movk_i32 s0, 0xff
	v_mov_b32_e32 v6, 0xff
	v_bfe_u32 v3, v2, 23, 8
	v_cmp_ne_u32_e32 vcc, s0, v3
	s_and_saveexec_b64 s[8:9], vcc
; %bb.981:
	s_mov_b32 s0, 0x3fffff
	v_lshrrev_b32_e32 v6, 23, v2
	v_and_b32_e32 v7, 0x400000, v2
	v_and_or_b32 v2, v2, s0, v3
	v_cmp_ne_u32_e32 vcc, 0, v7
	v_cmp_ne_u32_e64 s[0:1], 0, v2
	s_and_b64 s[0:1], vcc, s[0:1]
	v_cndmask_b32_e64 v2, 0, 1, s[0:1]
	v_add_u32_e32 v6, v6, v2
; %bb.982:
	s_or_b64 exec, exec, s[8:9]
	s_mov_b64 s[0:1], 0
	global_store_byte v[4:5], v6, off
.LBB127_983:
	s_mov_b64 s[8:9], 0
.LBB127_984:
	s_and_b64 vcc, exec, s[8:9]
	s_cbranch_vccz .LBB127_987
; %bb.985:
	s_cmp_eq_u32 s18, 29
	s_mov_b64 s[0:1], -1
	s_cbranch_scc0 .LBB127_987
; %bb.986:
	v_trunc_f64_e32 v[2:3], v[0:1]
	s_movk_i32 s0, 0xffe0
	s_mov_b64 s[8:9], 0
	v_ldexp_f64 v[6:7], v[2:3], s0
	s_mov_b32 s0, 0
	s_mov_b32 s1, 0xc1f00000
	v_floor_f64_e32 v[6:7], v[6:7]
	v_fma_f64 v[2:3], v[6:7], s[0:1], v[2:3]
	v_cvt_u32_f64_e32 v7, v[6:7]
	s_mov_b64 s[0:1], 0
	v_cvt_u32_f64_e32 v6, v[2:3]
	global_store_dwordx2 v[4:5], v[6:7], off
	s_branch .LBB127_988
.LBB127_987:
	s_mov_b64 s[8:9], 0
.LBB127_988:
	s_and_b64 vcc, exec, s[8:9]
	s_cbranch_vccz .LBB127_1003
; %bb.989:
	s_cmp_lt_i32 s18, 27
	s_mov_b64 s[8:9], -1
	s_cbranch_scc1 .LBB127_995
; %bb.990:
	s_cmp_gt_i32 s18, 27
	s_cbranch_scc0 .LBB127_992
; %bb.991:
	v_cvt_u32_f64_e32 v2, v[0:1]
	s_mov_b64 s[8:9], 0
	global_store_dword v[4:5], v2, off
.LBB127_992:
	s_andn2_b64 vcc, exec, s[8:9]
	s_cbranch_vccnz .LBB127_994
; %bb.993:
	v_cvt_u32_f64_e32 v2, v[0:1]
	global_store_short v[4:5], v2, off
.LBB127_994:
	s_mov_b64 s[8:9], 0
.LBB127_995:
	s_andn2_b64 vcc, exec, s[8:9]
	s_cbranch_vccnz .LBB127_1003
; %bb.996:
	v_cvt_f32_f64_e32 v2, v[0:1]
	s_mov_b32 s8, 0x43800000
	v_mov_b32_e32 v6, 0x80
	v_and_b32_e32 v3, 0x7fffffff, v2
	v_cmp_gt_u32_e32 vcc, s8, v3
	s_and_saveexec_b64 s[8:9], vcc
	s_cbranch_execz .LBB127_1002
; %bb.997:
	s_mov_b32 s12, 0x3bffffff
	v_cmp_lt_u32_e32 vcc, s12, v3
	s_mov_b64 s[12:13], 0
                                        ; implicit-def: $vgpr3
	s_and_saveexec_b64 s[14:15], vcc
	s_xor_b64 s[14:15], exec, s[14:15]
	s_cbranch_execz .LBB127_1156
; %bb.998:
	v_bfe_u32 v3, v2, 20, 1
	s_mov_b32 s16, 0x487ffff
	v_add3_u32 v3, v2, v3, s16
	s_mov_b64 s[12:13], exec
	v_lshrrev_b32_e32 v3, 20, v3
	s_andn2_saveexec_b64 s[14:15], s[14:15]
	s_cbranch_execnz .LBB127_1157
.LBB127_999:
	s_or_b64 exec, exec, s[14:15]
	v_mov_b32_e32 v6, 0
	s_and_saveexec_b64 s[14:15], s[12:13]
.LBB127_1000:
	v_lshrrev_b32_e32 v2, 24, v2
	s_movk_i32 s12, 0x80
	v_and_or_b32 v6, v2, s12, v3
.LBB127_1001:
	s_or_b64 exec, exec, s[14:15]
.LBB127_1002:
	s_or_b64 exec, exec, s[8:9]
	global_store_byte v[4:5], v6, off
.LBB127_1003:
	s_mov_b64 s[12:13], 0
.LBB127_1004:
	s_mov_b64 s[8:9], 0
	s_and_b64 vcc, exec, s[12:13]
	s_cbranch_vccz .LBB127_1044
; %bb.1005:
	s_cmp_gt_i32 s18, 22
	s_mov_b64 s[12:13], -1
	s_cbranch_scc0 .LBB127_1037
; %bb.1006:
	s_cmp_lt_i32 s18, 24
	s_cbranch_scc1 .LBB127_1026
; %bb.1007:
	s_cmp_gt_i32 s18, 24
	s_cbranch_scc0 .LBB127_1015
; %bb.1008:
	v_cvt_f32_f64_e32 v2, v[0:1]
	s_mov_b32 s12, 0x47800000
	v_mov_b32_e32 v6, 0x80
	v_and_b32_e32 v3, 0x7fffffff, v2
	v_cmp_gt_u32_e32 vcc, s12, v3
	s_and_saveexec_b64 s[12:13], vcc
	s_cbranch_execz .LBB127_1014
; %bb.1009:
	s_mov_b32 s14, 0x37ffffff
	v_cmp_lt_u32_e32 vcc, s14, v3
	s_mov_b64 s[14:15], 0
                                        ; implicit-def: $vgpr3
	s_and_saveexec_b64 s[16:17], vcc
	s_xor_b64 s[16:17], exec, s[16:17]
	s_cbranch_execz .LBB127_1281
; %bb.1010:
	v_bfe_u32 v3, v2, 21, 1
	s_mov_b32 s19, 0x88fffff
	v_add3_u32 v3, v2, v3, s19
	s_mov_b64 s[14:15], exec
	v_lshrrev_b32_e32 v3, 21, v3
	s_andn2_saveexec_b64 s[16:17], s[16:17]
	s_cbranch_execnz .LBB127_1282
.LBB127_1011:
	s_or_b64 exec, exec, s[16:17]
	v_mov_b32_e32 v6, 0
	s_and_saveexec_b64 s[16:17], s[14:15]
.LBB127_1012:
	v_lshrrev_b32_e32 v2, 24, v2
	s_movk_i32 s14, 0x80
	v_and_or_b32 v6, v2, s14, v3
.LBB127_1013:
	s_or_b64 exec, exec, s[16:17]
.LBB127_1014:
	s_or_b64 exec, exec, s[12:13]
	s_mov_b64 s[12:13], 0
	global_store_byte v[4:5], v6, off
.LBB127_1015:
	s_and_b64 vcc, exec, s[12:13]
	s_cbranch_vccz .LBB127_1025
; %bb.1016:
	v_cvt_f32_f64_e32 v2, v[0:1]
	s_mov_b32 s12, 0x43f00000
                                        ; implicit-def: $vgpr3
	v_and_b32_e32 v6, 0x7fffffff, v2
	v_cmp_gt_u32_e32 vcc, s12, v6
	s_and_saveexec_b64 s[12:13], vcc
	s_xor_b64 s[12:13], exec, s[12:13]
	s_cbranch_execz .LBB127_1022
; %bb.1017:
	s_mov_b32 s14, 0x3c7fffff
	v_cmp_lt_u32_e32 vcc, s14, v6
                                        ; implicit-def: $vgpr3
	s_and_saveexec_b64 s[14:15], vcc
	s_xor_b64 s[14:15], exec, s[14:15]
; %bb.1018:
	v_bfe_u32 v3, v2, 20, 1
	s_mov_b32 s16, 0x407ffff
	v_add3_u32 v3, v2, v3, s16
	v_lshrrev_b32_e32 v6, 20, v3
	v_and_b32_e32 v3, 0xff00000, v3
	s_mov_b32 s16, 0x7f00000
	v_mov_b32_e32 v7, 0x7e
	v_cmp_ne_u32_e32 vcc, s16, v3
	v_cndmask_b32_e32 v3, v7, v6, vcc
; %bb.1019:
	s_andn2_saveexec_b64 s[14:15], s[14:15]
; %bb.1020:
	s_mov_b32 s16, 0x46800000
	v_add_f32_e64 v3, |v2|, s16
; %bb.1021:
	s_or_b64 exec, exec, s[14:15]
                                        ; implicit-def: $vgpr6
.LBB127_1022:
	s_andn2_saveexec_b64 s[12:13], s[12:13]
; %bb.1023:
	s_mov_b32 s14, 0x7f800000
	v_mov_b32_e32 v3, 0x7e
	v_mov_b32_e32 v7, 0x7f
	v_cmp_lt_u32_e32 vcc, s14, v6
	v_cndmask_b32_e32 v3, v3, v7, vcc
; %bb.1024:
	s_or_b64 exec, exec, s[12:13]
	v_lshrrev_b32_e32 v2, 24, v2
	s_movk_i32 s12, 0x80
	v_and_or_b32 v2, v2, s12, v3
	global_store_byte v[4:5], v2, off
.LBB127_1025:
	s_mov_b64 s[12:13], 0
.LBB127_1026:
	s_andn2_b64 vcc, exec, s[12:13]
	s_cbranch_vccnz .LBB127_1036
; %bb.1027:
	v_cvt_f32_f64_e32 v2, v[0:1]
	s_mov_b32 s12, 0x47800000
                                        ; implicit-def: $vgpr3
	v_and_b32_e32 v6, 0x7fffffff, v2
	v_cmp_gt_u32_e32 vcc, s12, v6
	s_and_saveexec_b64 s[12:13], vcc
	s_xor_b64 s[12:13], exec, s[12:13]
	s_cbranch_execz .LBB127_1033
; %bb.1028:
	s_mov_b32 s14, 0x387fffff
	v_cmp_lt_u32_e32 vcc, s14, v6
                                        ; implicit-def: $vgpr3
	s_and_saveexec_b64 s[14:15], vcc
	s_xor_b64 s[14:15], exec, s[14:15]
; %bb.1029:
	v_bfe_u32 v3, v2, 21, 1
	s_mov_b32 s16, 0x80fffff
	v_add3_u32 v3, v2, v3, s16
	v_lshrrev_b32_e32 v3, 21, v3
; %bb.1030:
	s_andn2_saveexec_b64 s[14:15], s[14:15]
; %bb.1031:
	s_mov_b32 s16, 0x43000000
	v_add_f32_e64 v3, |v2|, s16
; %bb.1032:
	s_or_b64 exec, exec, s[14:15]
                                        ; implicit-def: $vgpr6
.LBB127_1033:
	s_andn2_saveexec_b64 s[12:13], s[12:13]
; %bb.1034:
	s_mov_b32 s14, 0x7f800000
	v_mov_b32_e32 v3, 0x7c
	v_mov_b32_e32 v7, 0x7f
	v_cmp_lt_u32_e32 vcc, s14, v6
	v_cndmask_b32_e32 v3, v3, v7, vcc
; %bb.1035:
	s_or_b64 exec, exec, s[12:13]
	v_lshrrev_b32_e32 v2, 24, v2
	s_movk_i32 s12, 0x80
	v_and_or_b32 v2, v2, s12, v3
	global_store_byte v[4:5], v2, off
.LBB127_1036:
	s_mov_b64 s[12:13], 0
.LBB127_1037:
	s_andn2_b64 vcc, exec, s[12:13]
	s_mov_b64 s[14:15], 0
	s_cbranch_vccnz .LBB127_1045
; %bb.1038:
	s_cmp_gt_i32 s18, 14
	s_mov_b64 s[12:13], -1
	s_cbranch_scc0 .LBB127_1042
; %bb.1039:
	s_cmp_eq_u32 s18, 15
	s_mov_b64 s[0:1], -1
	s_cbranch_scc0 .LBB127_1041
; %bb.1040:
	v_cvt_f32_f64_e32 v2, v[0:1]
	s_movk_i32 s0, 0x7fff
	v_mov_b32_e32 v3, 0x7fc0
	v_bfe_u32 v6, v2, 16, 1
	v_cmp_o_f32_e32 vcc, v2, v2
	v_add3_u32 v2, v2, v6, s0
	v_cndmask_b32_sdwa v2, v3, v2, vcc dst_sel:DWORD dst_unused:UNUSED_PAD src0_sel:DWORD src1_sel:WORD_1
	global_store_short v[4:5], v2, off
	s_mov_b64 s[0:1], 0
.LBB127_1041:
	s_mov_b64 s[12:13], 0
.LBB127_1042:
	s_and_b64 vcc, exec, s[12:13]
	s_cbranch_vccz .LBB127_1045
; %bb.1043:
	s_cmp_lg_u32 s18, 11
	s_cselect_b64 s[12:13], -1, 0
	s_andn2_b64 s[0:1], s[0:1], exec
	s_and_b64 s[12:13], s[12:13], exec
	s_mov_b64 s[14:15], -1
	s_or_b64 s[0:1], s[0:1], s[12:13]
	s_branch .LBB127_1045
.LBB127_1044:
	s_mov_b64 s[14:15], 0
.LBB127_1045:
	s_and_b64 s[12:13], s[8:9], exec
	s_andn2_b64 s[8:9], s[58:59], exec
	s_and_b64 s[0:1], s[0:1], exec
	s_and_b64 s[18:19], s[14:15], exec
	s_or_b64 s[58:59], s[8:9], s[0:1]
	s_or_b64 exec, exec, s[10:11]
	s_and_saveexec_b64 s[0:1], s[58:59]
	s_cbranch_execz .LBB127_974
.LBB127_1046:
	s_or_b64 s[2:3], s[2:3], exec
	s_andn2_b64 s[18:19], s[18:19], exec
	s_trap 2
	s_or_b64 exec, exec, s[0:1]
	s_and_saveexec_b64 s[0:1], s[18:19]
	s_xor_b64 s[0:1], exec, s[0:1]
	s_cbranch_execnz .LBB127_975
.LBB127_1047:
	s_or_b64 exec, exec, s[0:1]
	s_and_saveexec_b64 s[0:1], s[12:13]
	s_xor_b64 s[0:1], exec, s[0:1]
	s_cbranch_execz .LBB127_1085
.LBB127_1048:
	s_sext_i32_i16 s10, s20
	s_cmp_lt_i32 s10, 5
	s_mov_b64 s[8:9], -1
	s_cbranch_scc1 .LBB127_1069
; %bb.1049:
	s_cmp_lt_i32 s10, 8
	s_cbranch_scc1 .LBB127_1059
; %bb.1050:
	s_cmp_lt_i32 s10, 9
	s_cbranch_scc1 .LBB127_1056
; %bb.1051:
	s_cmp_gt_i32 s10, 9
	s_cbranch_scc0 .LBB127_1053
; %bb.1052:
	v_mov_b32_e32 v2, 0
	s_waitcnt vmcnt(0)
	v_mov_b32_e32 v3, v2
	s_mov_b64 s[8:9], 0
	global_store_dwordx4 v[4:5], v[0:3], off
.LBB127_1053:
	s_andn2_b64 vcc, exec, s[8:9]
	s_cbranch_vccnz .LBB127_1055
; %bb.1054:
	v_cvt_f32_f64_e32 v2, v[0:1]
	s_waitcnt vmcnt(0)
	v_mov_b32_e32 v3, 0
	global_store_dwordx2 v[4:5], v[2:3], off
.LBB127_1055:
	s_mov_b64 s[8:9], 0
.LBB127_1056:
	s_andn2_b64 vcc, exec, s[8:9]
	s_cbranch_vccnz .LBB127_1058
; %bb.1057:
	s_movk_i32 s8, 0x1ff
	v_and_or_b32 v2, v1, s8, v0
	v_cmp_ne_u32_e32 vcc, 0, v2
	v_cndmask_b32_e64 v2, 0, 1, vcc
	s_waitcnt vmcnt(0)
	v_lshrrev_b32_e32 v3, 8, v1
	s_movk_i32 s8, 0xffe
	v_bfe_u32 v6, v1, 20, 11
	v_and_or_b32 v2, v3, s8, v2
	v_sub_u32_e32 v7, 0x3f1, v6
	v_or_b32_e32 v3, 0x1000, v2
	v_med3_i32 v7, v7, 0, 13
	v_lshrrev_b32_e32 v8, v7, v3
	v_lshlrev_b32_e32 v7, v7, v8
	v_cmp_ne_u32_e32 vcc, v7, v3
	v_cndmask_b32_e64 v3, 0, 1, vcc
	v_add_u32_e32 v6, 0xfffffc10, v6
	v_or_b32_e32 v3, v8, v3
	v_lshl_or_b32 v7, v6, 12, v2
	v_cmp_gt_i32_e32 vcc, 1, v6
	v_cndmask_b32_e32 v3, v7, v3, vcc
	v_and_b32_e32 v7, 7, v3
	v_cmp_lt_i32_e32 vcc, 5, v7
	v_cndmask_b32_e64 v8, 0, 1, vcc
	v_cmp_eq_u32_e32 vcc, 3, v7
	v_cndmask_b32_e64 v7, 0, 1, vcc
	v_or_b32_e32 v7, v7, v8
	v_lshrrev_b32_e32 v3, 2, v3
	v_add_u32_e32 v3, v3, v7
	v_mov_b32_e32 v7, 0x7c00
	v_cmp_gt_i32_e32 vcc, 31, v6
	v_cndmask_b32_e32 v3, v7, v3, vcc
	v_mov_b32_e32 v8, 0x7e00
	v_cmp_ne_u32_e32 vcc, 0, v2
	s_movk_i32 s8, 0x40f
	v_cndmask_b32_e32 v2, v7, v8, vcc
	v_cmp_eq_u32_e32 vcc, s8, v6
	v_cndmask_b32_e32 v2, v3, v2, vcc
	v_lshrrev_b32_e32 v3, 16, v1
	s_mov_b32 s8, 0x8000
	v_and_or_b32 v2, v3, s8, v2
	v_and_b32_e32 v2, 0xffff, v2
	global_store_dword v[4:5], v2, off
.LBB127_1058:
	s_mov_b64 s[8:9], 0
.LBB127_1059:
	s_andn2_b64 vcc, exec, s[8:9]
	s_cbranch_vccnz .LBB127_1068
; %bb.1060:
	s_sext_i32_i16 s10, s20
	s_cmp_lt_i32 s10, 6
	s_mov_b64 s[8:9], -1
	s_cbranch_scc1 .LBB127_1066
; %bb.1061:
	s_cmp_gt_i32 s10, 6
	s_cbranch_scc0 .LBB127_1063
; %bb.1062:
	s_mov_b64 s[8:9], 0
	s_waitcnt vmcnt(0)
	global_store_dwordx2 v[4:5], v[0:1], off
.LBB127_1063:
	s_andn2_b64 vcc, exec, s[8:9]
	s_cbranch_vccnz .LBB127_1065
; %bb.1064:
	v_cvt_f32_f64_e32 v2, v[0:1]
	s_waitcnt vmcnt(0)
	global_store_dword v[4:5], v2, off
.LBB127_1065:
	s_mov_b64 s[8:9], 0
.LBB127_1066:
	s_andn2_b64 vcc, exec, s[8:9]
	s_cbranch_vccnz .LBB127_1068
; %bb.1067:
	s_movk_i32 s8, 0x1ff
	v_and_or_b32 v2, v1, s8, v0
	v_cmp_ne_u32_e32 vcc, 0, v2
	v_cndmask_b32_e64 v2, 0, 1, vcc
	s_waitcnt vmcnt(0)
	v_lshrrev_b32_e32 v3, 8, v1
	s_movk_i32 s8, 0xffe
	v_bfe_u32 v6, v1, 20, 11
	v_and_or_b32 v2, v3, s8, v2
	v_sub_u32_e32 v7, 0x3f1, v6
	v_or_b32_e32 v3, 0x1000, v2
	v_med3_i32 v7, v7, 0, 13
	v_lshrrev_b32_e32 v8, v7, v3
	v_lshlrev_b32_e32 v7, v7, v8
	v_cmp_ne_u32_e32 vcc, v7, v3
	v_cndmask_b32_e64 v3, 0, 1, vcc
	v_add_u32_e32 v6, 0xfffffc10, v6
	v_or_b32_e32 v3, v8, v3
	v_lshl_or_b32 v7, v6, 12, v2
	v_cmp_gt_i32_e32 vcc, 1, v6
	v_cndmask_b32_e32 v3, v7, v3, vcc
	v_and_b32_e32 v7, 7, v3
	v_cmp_lt_i32_e32 vcc, 5, v7
	v_cndmask_b32_e64 v8, 0, 1, vcc
	v_cmp_eq_u32_e32 vcc, 3, v7
	v_cndmask_b32_e64 v7, 0, 1, vcc
	v_or_b32_e32 v7, v7, v8
	v_lshrrev_b32_e32 v3, 2, v3
	v_add_u32_e32 v3, v3, v7
	v_mov_b32_e32 v7, 0x7c00
	v_cmp_gt_i32_e32 vcc, 31, v6
	v_cndmask_b32_e32 v3, v7, v3, vcc
	v_mov_b32_e32 v8, 0x7e00
	v_cmp_ne_u32_e32 vcc, 0, v2
	s_movk_i32 s8, 0x40f
	v_cndmask_b32_e32 v2, v7, v8, vcc
	v_cmp_eq_u32_e32 vcc, s8, v6
	v_cndmask_b32_e32 v2, v3, v2, vcc
	v_lshrrev_b32_e32 v3, 16, v1
	s_mov_b32 s8, 0x8000
	v_and_or_b32 v2, v3, s8, v2
	global_store_short v[4:5], v2, off
.LBB127_1068:
	s_mov_b64 s[8:9], 0
.LBB127_1069:
	s_andn2_b64 vcc, exec, s[8:9]
	s_cbranch_vccnz .LBB127_1085
; %bb.1070:
	s_sext_i32_i16 s10, s20
	s_cmp_lt_i32 s10, 2
	s_mov_b64 s[8:9], -1
	s_cbranch_scc1 .LBB127_1080
; %bb.1071:
	s_cmp_lt_i32 s10, 3
	s_cbranch_scc1 .LBB127_1077
; %bb.1072:
	s_cmp_gt_i32 s10, 3
	s_cbranch_scc0 .LBB127_1074
; %bb.1073:
	s_waitcnt vmcnt(0)
	v_trunc_f64_e32 v[2:3], v[0:1]
	s_movk_i32 s8, 0xffe0
	v_ldexp_f64 v[6:7], v[2:3], s8
	s_mov_b32 s8, 0
	s_mov_b32 s9, 0xc1f00000
	v_floor_f64_e32 v[6:7], v[6:7]
	v_fma_f64 v[2:3], v[6:7], s[8:9], v[2:3]
	v_cvt_i32_f64_e32 v7, v[6:7]
	s_mov_b64 s[8:9], 0
	v_cvt_u32_f64_e32 v6, v[2:3]
	global_store_dwordx2 v[4:5], v[6:7], off
.LBB127_1074:
	s_andn2_b64 vcc, exec, s[8:9]
	s_cbranch_vccnz .LBB127_1076
; %bb.1075:
	v_cvt_i32_f64_e32 v2, v[0:1]
	s_waitcnt vmcnt(0)
	global_store_dword v[4:5], v2, off
.LBB127_1076:
	s_mov_b64 s[8:9], 0
.LBB127_1077:
	s_andn2_b64 vcc, exec, s[8:9]
	s_cbranch_vccnz .LBB127_1079
; %bb.1078:
	v_cvt_i32_f64_e32 v2, v[0:1]
	s_waitcnt vmcnt(0)
	global_store_short v[4:5], v2, off
.LBB127_1079:
	s_mov_b64 s[8:9], 0
.LBB127_1080:
	s_andn2_b64 vcc, exec, s[8:9]
	s_cbranch_vccnz .LBB127_1085
; %bb.1081:
	s_sext_i32_i16 s8, s20
	s_cmp_gt_i32 s8, 0
	s_mov_b64 s[8:9], -1
	s_cbranch_scc0 .LBB127_1083
; %bb.1082:
	v_cvt_i32_f64_e32 v2, v[0:1]
	s_mov_b64 s[8:9], 0
	s_waitcnt vmcnt(0)
	global_store_byte v[4:5], v2, off
.LBB127_1083:
	s_andn2_b64 vcc, exec, s[8:9]
	s_cbranch_vccnz .LBB127_1085
; %bb.1084:
	v_trunc_f64_e32 v[0:1], v[0:1]
	s_movk_i32 s8, 0xffe0
	s_waitcnt vmcnt(0)
	v_ldexp_f64 v[2:3], v[0:1], s8
	s_mov_b32 s8, 0
	s_mov_b32 s9, 0xc1f00000
	v_floor_f64_e32 v[2:3], v[2:3]
	v_fma_f64 v[0:1], v[2:3], s[8:9], v[0:1]
	v_cvt_u32_f64_e32 v0, v[0:1]
	global_store_byte v[4:5], v0, off
.LBB127_1085:
	s_or_b64 exec, exec, s[0:1]
	s_and_b64 s[28:29], s[2:3], exec
                                        ; implicit-def: $vgpr13
                                        ; implicit-def: $vgpr10
.LBB127_1086:
	s_or_saveexec_b64 s[30:31], s[50:51]
	s_mov_b64 s[0:1], 0
                                        ; implicit-def: $vgpr4_vgpr5
                                        ; implicit-def: $sgpr18
                                        ; implicit-def: $vgpr0_vgpr1
	s_xor_b64 exec, exec, s[30:31]
	s_cbranch_execz .LBB127_2090
; %bb.1087:
	v_cndmask_b32_e64 v0, 0, 1, s[48:49]
	v_cmp_ne_u32_e64 s[0:1], 1, v0
	s_andn2_b64 vcc, exec, s[48:49]
	s_cbranch_vccnz .LBB127_1093
; %bb.1088:
	s_cmp_lg_u32 s33, 0
	s_mov_b32 s36, 0
	s_cbranch_scc0 .LBB127_1094
; %bb.1089:
	s_min_u32 s37, s76, 15
	s_add_i32 s37, s37, 1
	s_cmp_eq_u32 s76, 2
	s_cbranch_scc1 .LBB127_1095
; %bb.1090:
	s_and_b32 s36, s37, 28
	s_add_u32 s2, s34, 0xc4
	s_addc_u32 s3, s35, 0
	v_mov_b32_e32 v0, 0
	s_mov_b32 s38, 0
	s_mov_b64 s[6:7], s[34:35]
	v_mov_b32_e32 v2, 0
	v_mov_b32_e32 v1, v10
.LBB127_1091:                           ; =>This Inner Loop Header: Depth=1
	s_load_dwordx8 s[16:23], s[6:7], 0x4
	s_load_dwordx4 s[24:27], s[6:7], 0x24
	s_load_dwordx8 s[8:15], s[2:3], 0x0
	s_add_u32 s6, s6, 48
	s_addc_u32 s7, s7, 0
	s_waitcnt vmcnt(0) lgkmcnt(0)
	v_mul_hi_u32 v3, s17, v1
	s_add_i32 s38, s38, 4
	s_add_u32 s2, s2, 32
	s_addc_u32 s3, s3, 0
	v_add_u32_e32 v3, v1, v3
	v_lshrrev_b32_e32 v3, s18, v3
	v_mul_lo_u32 v4, v3, s16
	v_mul_hi_u32 v5, s20, v3
	s_cmp_lg_u32 s36, s38
	v_sub_u32_e32 v1, v1, v4
	v_add_u32_e32 v4, v3, v5
	v_mul_lo_u32 v5, v1, s8
	v_mul_lo_u32 v6, v1, s9
	v_lshrrev_b32_e32 v1, s21, v4
	v_mul_lo_u32 v4, v1, s19
	v_mul_hi_u32 v7, s23, v1
	v_sub_u32_e32 v3, v3, v4
	v_add_u32_e32 v4, v1, v7
	v_lshrrev_b32_e32 v4, s24, v4
	v_mul_hi_u32 v8, s26, v4
	v_mul_lo_u32 v9, v4, s22
	v_mul_lo_u32 v7, v3, s10
	;; [unrolled: 1-line block ×3, first 2 shown]
	v_sub_u32_e32 v9, v1, v9
	v_add_u32_e32 v1, v4, v8
	v_lshrrev_b32_e32 v1, s27, v1
	v_mul_lo_u32 v8, v1, s25
	v_mul_lo_u32 v11, v9, s12
	v_mul_lo_u32 v9, v9, s13
	v_add3_u32 v2, v5, v2, v7
	v_sub_u32_e32 v4, v4, v8
	v_mul_lo_u32 v8, v4, s14
	v_mul_lo_u32 v4, v4, s15
	v_add3_u32 v0, v6, v0, v3
	v_add3_u32 v2, v11, v2, v8
	;; [unrolled: 1-line block ×3, first 2 shown]
	s_cbranch_scc1 .LBB127_1091
; %bb.1092:
	s_and_b32 s8, s37, 3
	s_cmp_eq_u32 s8, 0
	s_cbranch_scc0 .LBB127_1096
	s_branch .LBB127_1098
.LBB127_1093:
                                        ; implicit-def: $vgpr2
                                        ; implicit-def: $vgpr0
	s_branch .LBB127_1099
.LBB127_1094:
	v_mov_b32_e32 v2, 0
	v_mov_b32_e32 v0, 0
	s_branch .LBB127_1098
.LBB127_1095:
	v_mov_b32_e32 v2, 0
	v_mov_b32_e32 v0, 0
	;; [unrolled: 1-line block ×3, first 2 shown]
	s_and_b32 s8, s37, 3
	s_cmp_eq_u32 s8, 0
	s_cbranch_scc1 .LBB127_1098
.LBB127_1096:
	s_lshl_b32 s2, s36, 3
	s_add_u32 s2, s34, s2
	s_addc_u32 s3, s35, 0
	s_add_u32 s2, s2, 0xc4
	s_addc_u32 s3, s3, 0
	s_mul_i32 s6, s36, 12
	s_add_u32 s6, s34, s6
	s_addc_u32 s7, s35, 0
.LBB127_1097:                           ; =>This Inner Loop Header: Depth=1
	s_load_dwordx2 s[10:11], s[6:7], 0x4
	s_load_dword s9, s[6:7], 0xc
	s_load_dwordx2 s[12:13], s[2:3], 0x0
	s_add_u32 s6, s6, 12
	s_addc_u32 s7, s7, 0
	s_waitcnt vmcnt(0) lgkmcnt(0)
	v_mul_hi_u32 v3, s11, v1
	s_add_u32 s2, s2, 8
	s_addc_u32 s3, s3, 0
	s_add_i32 s8, s8, -1
	v_add_u32_e32 v3, v1, v3
	v_lshrrev_b32_e32 v4, s9, v3
	v_mul_lo_u32 v3, v4, s10
	s_cmp_lg_u32 s8, 0
	v_sub_u32_e32 v1, v1, v3
	v_mad_u64_u32 v[2:3], s[10:11], v1, s12, v[2:3]
	v_mad_u64_u32 v[0:1], s[10:11], v1, s13, v[0:1]
	v_mov_b32_e32 v1, v4
	s_cbranch_scc1 .LBB127_1097
.LBB127_1098:
	s_cbranch_execnz .LBB127_1101
.LBB127_1099:
	s_load_dwordx4 s[8:11], s[34:35], 0x4
	s_load_dwordx2 s[2:3], s[34:35], 0xc4
	s_cmp_lt_u32 s33, 2
	s_waitcnt lgkmcnt(0)
	v_mul_hi_u32 v0, s9, v10
	v_add_u32_e32 v0, v10, v0
	v_lshrrev_b32_e32 v1, s10, v0
	v_mul_lo_u32 v0, v1, s8
	v_sub_u32_e32 v0, v10, v0
	v_mul_lo_u32 v2, v0, s2
	v_mul_lo_u32 v0, v0, s3
	s_cbranch_scc1 .LBB127_1101
; %bb.1100:
	s_load_dwordx4 s[8:11], s[34:35], 0x10
	s_load_dwordx2 s[2:3], s[34:35], 0xcc
	s_waitcnt vmcnt(0) lgkmcnt(0)
	v_mul_hi_u32 v3, s9, v1
	v_add_u32_e32 v3, v1, v3
	v_lshrrev_b32_e32 v3, s10, v3
	v_mul_lo_u32 v3, v3, s8
	v_sub_u32_e32 v1, v1, v3
	v_mad_u64_u32 v[2:3], s[6:7], v1, s2, v[2:3]
	v_mad_u64_u32 v[0:1], s[2:3], v1, s3, v[0:1]
.LBB127_1101:
	s_and_b64 vcc, exec, s[0:1]
	v_add_u32_e32 v1, 0x80, v10
	s_cbranch_vccnz .LBB127_1107
; %bb.1102:
	s_cmp_lg_u32 s33, 0
	s_mov_b32 s36, 0
	s_cbranch_scc0 .LBB127_1108
; %bb.1103:
	s_min_u32 s37, s76, 15
	s_add_i32 s37, s37, 1
	s_cmp_eq_u32 s76, 2
	s_cbranch_scc1 .LBB127_1109
; %bb.1104:
	s_and_b32 s36, s37, 28
	s_add_u32 s2, s34, 0xc4
	s_addc_u32 s3, s35, 0
	v_mov_b32_e32 v11, 0
	s_mov_b32 s38, 0
	s_mov_b64 s[6:7], s[34:35]
	v_mov_b32_e32 v8, 0
	s_waitcnt vmcnt(0)
	v_mov_b32_e32 v3, v1
.LBB127_1105:                           ; =>This Inner Loop Header: Depth=1
	s_load_dwordx8 s[16:23], s[6:7], 0x4
	s_load_dwordx4 s[24:27], s[6:7], 0x24
	s_load_dwordx8 s[8:15], s[2:3], 0x0
	s_add_u32 s6, s6, 48
	s_addc_u32 s7, s7, 0
	s_waitcnt lgkmcnt(0)
	v_mul_hi_u32 v4, s17, v3
	s_add_i32 s38, s38, 4
	s_add_u32 s2, s2, 32
	s_addc_u32 s3, s3, 0
	v_add_u32_e32 v4, v3, v4
	v_lshrrev_b32_e32 v4, s18, v4
	v_mul_lo_u32 v5, v4, s16
	v_mul_hi_u32 v6, s20, v4
	s_cmp_lg_u32 s36, s38
	v_sub_u32_e32 v3, v3, v5
	v_add_u32_e32 v5, v4, v6
	v_mul_lo_u32 v6, v3, s8
	v_mul_lo_u32 v7, v3, s9
	v_lshrrev_b32_e32 v3, s21, v5
	v_mul_lo_u32 v5, v3, s19
	v_mul_hi_u32 v9, s23, v3
	v_sub_u32_e32 v4, v4, v5
	v_add_u32_e32 v5, v3, v9
	v_lshrrev_b32_e32 v5, s24, v5
	v_mul_hi_u32 v12, s26, v5
	v_mul_lo_u32 v14, v5, s22
	v_mul_lo_u32 v9, v4, s10
	;; [unrolled: 1-line block ×3, first 2 shown]
	v_sub_u32_e32 v14, v3, v14
	v_add_u32_e32 v3, v5, v12
	v_lshrrev_b32_e32 v3, s27, v3
	v_mul_lo_u32 v12, v3, s25
	v_mul_lo_u32 v15, v14, s12
	;; [unrolled: 1-line block ×3, first 2 shown]
	v_add3_u32 v6, v6, v8, v9
	v_sub_u32_e32 v5, v5, v12
	v_mul_lo_u32 v12, v5, s14
	v_mul_lo_u32 v5, v5, s15
	v_add3_u32 v4, v7, v11, v4
	v_add3_u32 v8, v15, v6, v12
	;; [unrolled: 1-line block ×3, first 2 shown]
	s_cbranch_scc1 .LBB127_1105
; %bb.1106:
	s_and_b32 s8, s37, 3
	s_cmp_eq_u32 s8, 0
	s_cbranch_scc0 .LBB127_1110
	s_branch .LBB127_1112
.LBB127_1107:
                                        ; implicit-def: $vgpr8
                                        ; implicit-def: $vgpr11
	s_branch .LBB127_1113
.LBB127_1108:
	v_mov_b32_e32 v8, 0
	v_mov_b32_e32 v11, 0
	s_branch .LBB127_1112
.LBB127_1109:
	v_mov_b32_e32 v8, 0
	v_mov_b32_e32 v11, 0
	s_waitcnt vmcnt(0)
	v_mov_b32_e32 v3, v1
	s_and_b32 s8, s37, 3
	s_cmp_eq_u32 s8, 0
	s_cbranch_scc1 .LBB127_1112
.LBB127_1110:
	s_lshl_b32 s2, s36, 3
	s_add_u32 s2, s34, s2
	s_addc_u32 s3, s35, 0
	s_add_u32 s2, s2, 0xc4
	s_addc_u32 s3, s3, 0
	s_mul_i32 s6, s36, 12
	s_add_u32 s6, s34, s6
	s_addc_u32 s7, s35, 0
.LBB127_1111:                           ; =>This Inner Loop Header: Depth=1
	s_load_dwordx2 s[10:11], s[6:7], 0x4
	s_load_dword s9, s[6:7], 0xc
	s_load_dwordx2 s[12:13], s[2:3], 0x0
	s_add_u32 s6, s6, 12
	s_addc_u32 s7, s7, 0
	s_waitcnt lgkmcnt(0)
	v_mul_hi_u32 v4, s11, v3
	s_add_u32 s2, s2, 8
	s_addc_u32 s3, s3, 0
	s_add_i32 s8, s8, -1
	v_add_u32_e32 v4, v3, v4
	v_lshrrev_b32_e32 v4, s9, v4
	v_mul_lo_u32 v5, v4, s10
	s_cmp_lg_u32 s8, 0
	v_sub_u32_e32 v3, v3, v5
	v_mad_u64_u32 v[8:9], s[10:11], v3, s12, v[8:9]
	v_mad_u64_u32 v[11:12], s[10:11], v3, s13, v[11:12]
	v_mov_b32_e32 v3, v4
	s_cbranch_scc1 .LBB127_1111
.LBB127_1112:
	s_cbranch_execnz .LBB127_1115
.LBB127_1113:
	s_load_dwordx4 s[8:11], s[34:35], 0x4
	s_load_dwordx2 s[2:3], s[34:35], 0xc4
	s_cmp_lt_u32 s33, 2
	s_waitcnt vmcnt(0) lgkmcnt(0)
	v_mul_hi_u32 v3, s9, v1
	v_add_u32_e32 v3, v1, v3
	v_lshrrev_b32_e32 v3, s10, v3
	v_mul_lo_u32 v4, v3, s8
	v_sub_u32_e32 v1, v1, v4
	v_mul_lo_u32 v8, v1, s2
	v_mul_lo_u32 v11, v1, s3
	s_cbranch_scc1 .LBB127_1115
; %bb.1114:
	s_load_dwordx4 s[8:11], s[34:35], 0x10
	s_load_dwordx2 s[2:3], s[34:35], 0xcc
	s_waitcnt lgkmcnt(0)
	v_mul_hi_u32 v1, s9, v3
	v_add_u32_e32 v1, v3, v1
	v_lshrrev_b32_e32 v1, s10, v1
	v_mul_lo_u32 v1, v1, s8
	v_sub_u32_e32 v1, v3, v1
	v_mad_u64_u32 v[8:9], s[6:7], v1, s2, v[8:9]
	v_mad_u64_u32 v[11:12], s[2:3], v1, s3, v[11:12]
.LBB127_1115:
	s_and_b64 vcc, exec, s[0:1]
	v_add_u32_e32 v1, 0x100, v10
	s_cbranch_vccnz .LBB127_1121
; %bb.1116:
	s_cmp_lg_u32 s33, 0
	s_mov_b32 s36, 0
	s_cbranch_scc0 .LBB127_1122
; %bb.1117:
	s_min_u32 s37, s76, 15
	s_add_i32 s37, s37, 1
	s_cmp_eq_u32 s76, 2
	s_cbranch_scc1 .LBB127_1123
; %bb.1118:
	s_and_b32 s36, s37, 28
	s_add_u32 s2, s34, 0xc4
	s_addc_u32 s3, s35, 0
	s_waitcnt vmcnt(0)
	v_mov_b32_e32 v3, 0
	s_mov_b32 s38, 0
	s_mov_b64 s[6:7], s[34:35]
	v_mov_b32_e32 v6, 0
	v_mov_b32_e32 v4, v1
.LBB127_1119:                           ; =>This Inner Loop Header: Depth=1
	s_load_dwordx8 s[16:23], s[6:7], 0x4
	s_load_dwordx4 s[24:27], s[6:7], 0x24
	s_load_dwordx8 s[8:15], s[2:3], 0x0
	s_add_u32 s6, s6, 48
	s_addc_u32 s7, s7, 0
	s_waitcnt lgkmcnt(0)
	v_mul_hi_u32 v5, s17, v4
	s_add_i32 s38, s38, 4
	s_add_u32 s2, s2, 32
	s_addc_u32 s3, s3, 0
	v_add_u32_e32 v5, v4, v5
	v_lshrrev_b32_e32 v5, s18, v5
	v_mul_lo_u32 v7, v5, s16
	v_mul_hi_u32 v9, s20, v5
	s_cmp_lg_u32 s36, s38
	v_sub_u32_e32 v4, v4, v7
	v_add_u32_e32 v7, v5, v9
	v_mul_lo_u32 v9, v4, s8
	v_mul_lo_u32 v10, v4, s9
	v_lshrrev_b32_e32 v4, s21, v7
	v_mul_lo_u32 v7, v4, s19
	v_mul_hi_u32 v12, s23, v4
	v_sub_u32_e32 v5, v5, v7
	v_add_u32_e32 v7, v4, v12
	v_lshrrev_b32_e32 v7, s24, v7
	v_mul_hi_u32 v14, s26, v7
	v_mul_lo_u32 v15, v7, s22
	v_mul_lo_u32 v12, v5, s10
	;; [unrolled: 1-line block ×3, first 2 shown]
	v_sub_u32_e32 v15, v4, v15
	v_add_u32_e32 v4, v7, v14
	v_lshrrev_b32_e32 v4, s27, v4
	v_mul_lo_u32 v14, v4, s25
	v_mul_lo_u32 v16, v15, s12
	;; [unrolled: 1-line block ×3, first 2 shown]
	v_add3_u32 v6, v9, v6, v12
	v_sub_u32_e32 v7, v7, v14
	v_mul_lo_u32 v14, v7, s14
	v_mul_lo_u32 v7, v7, s15
	v_add3_u32 v3, v10, v3, v5
	v_add3_u32 v6, v16, v6, v14
	;; [unrolled: 1-line block ×3, first 2 shown]
	s_cbranch_scc1 .LBB127_1119
; %bb.1120:
	s_and_b32 s8, s37, 3
	s_cmp_eq_u32 s8, 0
	s_cbranch_scc0 .LBB127_1124
	s_branch .LBB127_1126
.LBB127_1121:
                                        ; implicit-def: $vgpr6
                                        ; implicit-def: $vgpr3
	s_branch .LBB127_1127
.LBB127_1122:
	s_waitcnt vmcnt(0)
	v_mov_b32_e32 v6, 0
	v_mov_b32_e32 v3, 0
	s_branch .LBB127_1126
.LBB127_1123:
	s_waitcnt vmcnt(0)
	v_mov_b32_e32 v6, 0
	v_mov_b32_e32 v3, 0
	;; [unrolled: 1-line block ×3, first 2 shown]
	s_and_b32 s8, s37, 3
	s_cmp_eq_u32 s8, 0
	s_cbranch_scc1 .LBB127_1126
.LBB127_1124:
	s_lshl_b32 s2, s36, 3
	s_add_u32 s2, s34, s2
	s_addc_u32 s3, s35, 0
	s_add_u32 s2, s2, 0xc4
	s_addc_u32 s3, s3, 0
	s_mul_i32 s6, s36, 12
	s_add_u32 s6, s34, s6
	s_addc_u32 s7, s35, 0
.LBB127_1125:                           ; =>This Inner Loop Header: Depth=1
	s_load_dwordx2 s[10:11], s[6:7], 0x4
	s_load_dword s9, s[6:7], 0xc
	s_load_dwordx2 s[12:13], s[2:3], 0x0
	s_add_u32 s6, s6, 12
	s_addc_u32 s7, s7, 0
	s_waitcnt lgkmcnt(0)
	v_mul_hi_u32 v5, s11, v4
	s_add_u32 s2, s2, 8
	s_addc_u32 s3, s3, 0
	s_add_i32 s8, s8, -1
	v_add_u32_e32 v5, v4, v5
	v_lshrrev_b32_e32 v5, s9, v5
	v_mul_lo_u32 v7, v5, s10
	s_cmp_lg_u32 s8, 0
	v_sub_u32_e32 v4, v4, v7
	v_mad_u64_u32 v[6:7], s[10:11], v4, s12, v[6:7]
	v_mad_u64_u32 v[3:4], s[10:11], v4, s13, v[3:4]
	v_mov_b32_e32 v4, v5
	s_cbranch_scc1 .LBB127_1125
.LBB127_1126:
	s_cbranch_execnz .LBB127_1129
.LBB127_1127:
	s_load_dwordx4 s[8:11], s[34:35], 0x4
	s_load_dwordx2 s[2:3], s[34:35], 0xc4
	s_cmp_lt_u32 s33, 2
	s_waitcnt vmcnt(0) lgkmcnt(0)
	v_mul_hi_u32 v3, s9, v1
	v_add_u32_e32 v3, v1, v3
	v_lshrrev_b32_e32 v4, s10, v3
	v_mul_lo_u32 v3, v4, s8
	v_sub_u32_e32 v1, v1, v3
	v_mul_lo_u32 v6, v1, s2
	v_mul_lo_u32 v3, v1, s3
	s_cbranch_scc1 .LBB127_1129
; %bb.1128:
	s_load_dwordx4 s[8:11], s[34:35], 0x10
	s_load_dwordx2 s[2:3], s[34:35], 0xcc
	s_waitcnt lgkmcnt(0)
	v_mul_hi_u32 v1, s9, v4
	v_add_u32_e32 v1, v4, v1
	v_lshrrev_b32_e32 v1, s10, v1
	v_mul_lo_u32 v1, v1, s8
	v_sub_u32_e32 v1, v4, v1
	v_mad_u64_u32 v[6:7], s[6:7], v1, s2, v[6:7]
	v_mad_u64_u32 v[3:4], s[2:3], v1, s3, v[3:4]
.LBB127_1129:
	s_and_b64 vcc, exec, s[0:1]
	s_cbranch_vccnz .LBB127_1135
; %bb.1130:
	s_cmp_lg_u32 s33, 0
	s_mov_b32 s26, 0
	s_cbranch_scc0 .LBB127_1136
; %bb.1131:
	s_min_u32 s27, s76, 15
	s_add_i32 s27, s27, 1
	s_cmp_eq_u32 s76, 2
	s_cbranch_scc1 .LBB127_1137
; %bb.1132:
	s_and_b32 s26, s27, 28
	s_add_u32 s6, s34, 0xc4
	s_addc_u32 s7, s35, 0
	v_mov_b32_e32 v9, 0
	s_mov_b32 s36, 0
	s_mov_b64 s[24:25], s[34:35]
	s_waitcnt vmcnt(0)
	v_mov_b32_e32 v4, 0
	v_mov_b32_e32 v1, v13
.LBB127_1133:                           ; =>This Inner Loop Header: Depth=1
	s_load_dwordx8 s[16:23], s[24:25], 0x4
	s_load_dwordx4 s[0:3], s[24:25], 0x24
	s_load_dwordx8 s[8:15], s[6:7], 0x0
	s_add_u32 s24, s24, 48
	s_addc_u32 s25, s25, 0
	s_waitcnt lgkmcnt(0)
	v_mul_hi_u32 v5, s17, v1
	s_add_i32 s36, s36, 4
	s_add_u32 s6, s6, 32
	s_addc_u32 s7, s7, 0
	v_add_u32_e32 v5, v1, v5
	v_lshrrev_b32_e32 v5, s18, v5
	v_mul_lo_u32 v7, v5, s16
	v_mul_hi_u32 v10, s20, v5
	s_cmp_lg_u32 s26, s36
	v_sub_u32_e32 v1, v1, v7
	v_add_u32_e32 v7, v5, v10
	v_mul_lo_u32 v10, v1, s8
	v_mul_lo_u32 v12, v1, s9
	v_lshrrev_b32_e32 v1, s21, v7
	v_mul_lo_u32 v7, v1, s19
	v_mul_hi_u32 v14, s23, v1
	v_sub_u32_e32 v5, v5, v7
	v_add_u32_e32 v7, v1, v14
	v_lshrrev_b32_e32 v7, s0, v7
	v_mul_hi_u32 v15, s2, v7
	v_mul_lo_u32 v16, v7, s22
	v_mul_lo_u32 v14, v5, s10
	;; [unrolled: 1-line block ×3, first 2 shown]
	v_sub_u32_e32 v16, v1, v16
	v_add_u32_e32 v1, v7, v15
	v_lshrrev_b32_e32 v1, s3, v1
	v_mul_lo_u32 v15, v1, s1
	v_mul_lo_u32 v17, v16, s12
	v_mul_lo_u32 v16, v16, s13
	v_add3_u32 v4, v10, v4, v14
	v_sub_u32_e32 v7, v7, v15
	v_mul_lo_u32 v15, v7, s14
	v_mul_lo_u32 v7, v7, s15
	v_add3_u32 v5, v12, v9, v5
	v_add3_u32 v4, v17, v4, v15
	;; [unrolled: 1-line block ×3, first 2 shown]
	s_cbranch_scc1 .LBB127_1133
; %bb.1134:
	s_and_b32 s6, s27, 3
	s_cmp_eq_u32 s6, 0
	s_cbranch_scc0 .LBB127_1138
	s_branch .LBB127_1140
.LBB127_1135:
                                        ; implicit-def: $vgpr4
                                        ; implicit-def: $vgpr9
	s_branch .LBB127_1141
.LBB127_1136:
	s_waitcnt vmcnt(0)
	v_mov_b32_e32 v4, 0
	v_mov_b32_e32 v9, 0
	s_branch .LBB127_1140
.LBB127_1137:
	s_waitcnt vmcnt(0)
	v_mov_b32_e32 v4, 0
	v_mov_b32_e32 v9, 0
	;; [unrolled: 1-line block ×3, first 2 shown]
	s_and_b32 s6, s27, 3
	s_cmp_eq_u32 s6, 0
	s_cbranch_scc1 .LBB127_1140
.LBB127_1138:
	s_lshl_b32 s0, s26, 3
	s_add_u32 s0, s34, s0
	s_addc_u32 s1, s35, 0
	s_add_u32 s0, s0, 0xc4
	s_addc_u32 s1, s1, 0
	s_mul_i32 s2, s26, 12
	s_add_u32 s2, s34, s2
	s_addc_u32 s3, s35, 0
.LBB127_1139:                           ; =>This Inner Loop Header: Depth=1
	s_load_dwordx2 s[8:9], s[2:3], 0x4
	s_load_dword s7, s[2:3], 0xc
	s_load_dwordx2 s[10:11], s[0:1], 0x0
	s_add_u32 s2, s2, 12
	s_addc_u32 s3, s3, 0
	s_waitcnt lgkmcnt(0)
	v_mul_hi_u32 v5, s9, v1
	s_add_u32 s0, s0, 8
	s_addc_u32 s1, s1, 0
	s_add_i32 s6, s6, -1
	v_add_u32_e32 v5, v1, v5
	v_lshrrev_b32_e32 v7, s7, v5
	v_mul_lo_u32 v5, v7, s8
	s_cmp_lg_u32 s6, 0
	v_sub_u32_e32 v1, v1, v5
	v_mad_u64_u32 v[4:5], s[8:9], v1, s10, v[4:5]
	v_mad_u64_u32 v[9:10], s[8:9], v1, s11, v[9:10]
	v_mov_b32_e32 v1, v7
	s_cbranch_scc1 .LBB127_1139
.LBB127_1140:
	s_cbranch_execnz .LBB127_1143
.LBB127_1141:
	s_load_dwordx4 s[0:3], s[34:35], 0x4
	s_load_dwordx2 s[6:7], s[34:35], 0xc4
	s_cmp_lt_u32 s33, 2
	s_waitcnt lgkmcnt(0)
	v_mul_hi_u32 v1, s1, v13
	v_add_u32_e32 v1, v13, v1
	v_lshrrev_b32_e32 v1, s2, v1
	s_waitcnt vmcnt(0)
	v_mul_lo_u32 v4, v1, s0
	v_sub_u32_e32 v5, v13, v4
	v_mul_lo_u32 v4, v5, s6
	v_mul_lo_u32 v9, v5, s7
	s_cbranch_scc1 .LBB127_1143
; %bb.1142:
	s_load_dwordx4 s[0:3], s[34:35], 0x10
	s_load_dwordx2 s[6:7], s[34:35], 0xcc
	s_waitcnt lgkmcnt(0)
	v_mul_hi_u32 v5, s1, v1
	v_add_u32_e32 v5, v1, v5
	v_lshrrev_b32_e32 v5, s2, v5
	v_mul_lo_u32 v5, v5, s0
	v_sub_u32_e32 v1, v1, v5
	v_mad_u64_u32 v[4:5], s[0:1], v1, s6, v[4:5]
	v_mad_u64_u32 v[9:10], s[0:1], v1, s7, v[9:10]
.LBB127_1143:
	s_load_dwordx4 s[8:11], s[34:35], 0x148
	s_load_dword s14, s[4:5], 0x178
	s_waitcnt lgkmcnt(0)
	v_mov_b32_e32 v1, s11
	s_bfe_u32 s15, s14, 0x80008
	v_add_co_u32_e32 v12, vcc, s10, v0
	s_cmp_lt_i32 s15, 11
	v_addc_co_u32_e32 v13, vcc, 0, v1, vcc
	s_cbranch_scc1 .LBB127_1150
; %bb.1144:
	s_and_b32 s16, 0xffff, s15
	s_cmp_gt_i32 s16, 25
	s_mov_b64 s[2:3], 0
	s_cbranch_scc0 .LBB127_1152
; %bb.1145:
	s_cmp_gt_i32 s16, 28
	s_cbranch_scc0 .LBB127_1153
; %bb.1146:
	s_cmp_gt_i32 s16, 43
	;; [unrolled: 3-line block ×3, first 2 shown]
	s_cbranch_scc0 .LBB127_1155
; %bb.1148:
	s_cmp_eq_u32 s16, 46
	s_mov_b64 s[6:7], 0
	s_cbranch_scc0 .LBB127_1158
; %bb.1149:
	global_load_dword v0, v[12:13], off
	s_mov_b64 s[0:1], 0
	s_mov_b64 s[4:5], -1
	s_waitcnt vmcnt(0)
	v_lshlrev_b32_e32 v0, 16, v0
	v_cvt_f64_f32_e32 v[0:1], v0
	s_branch .LBB127_1159
.LBB127_1150:
	s_mov_b64 s[4:5], 0
                                        ; implicit-def: $vgpr0_vgpr1
	s_mov_b64 s[12:13], s[28:29]
	s_cbranch_execnz .LBB127_1222
.LBB127_1151:
	s_andn2_b64 vcc, exec, s[4:5]
	s_cbranch_vccz .LBB127_1267
	s_branch .LBB127_2088
.LBB127_1152:
	s_mov_b64 s[4:5], 0
	s_mov_b64 s[0:1], 0
                                        ; implicit-def: $vgpr0_vgpr1
	s_cbranch_execnz .LBB127_1189
	s_branch .LBB127_1218
.LBB127_1153:
	s_mov_b64 s[6:7], -1
	s_mov_b64 s[4:5], 0
	s_mov_b64 s[0:1], 0
                                        ; implicit-def: $vgpr0_vgpr1
	s_branch .LBB127_1168
.LBB127_1154:
	s_mov_b64 s[4:5], 0
	s_mov_b64 s[0:1], 0
                                        ; implicit-def: $vgpr0_vgpr1
	s_cbranch_execnz .LBB127_1164
	s_branch .LBB127_1167
.LBB127_1155:
	s_mov_b64 s[6:7], -1
	s_mov_b64 s[4:5], 0
	s_mov_b64 s[0:1], 0
                                        ; implicit-def: $vgpr0_vgpr1
	s_branch .LBB127_1159
.LBB127_1156:
	s_andn2_saveexec_b64 s[14:15], s[14:15]
	s_cbranch_execz .LBB127_999
.LBB127_1157:
	s_mov_b32 s16, 0x46000000
	v_add_f32_e64 v3, |v2|, s16
	v_and_b32_e32 v3, 0xff, v3
	v_cmp_ne_u32_e32 vcc, 0, v3
	s_andn2_b64 s[12:13], s[12:13], exec
	s_and_b64 s[16:17], vcc, exec
	s_or_b64 s[12:13], s[12:13], s[16:17]
	s_or_b64 exec, exec, s[14:15]
	v_mov_b32_e32 v6, 0
	s_and_saveexec_b64 s[14:15], s[12:13]
	s_cbranch_execnz .LBB127_1000
	s_branch .LBB127_1001
.LBB127_1158:
	s_mov_b64 s[0:1], -1
                                        ; implicit-def: $vgpr0_vgpr1
	s_mov_b64 s[4:5], 0
.LBB127_1159:
	s_and_b64 vcc, exec, s[6:7]
	s_cbranch_vccz .LBB127_1162
; %bb.1160:
	s_cmp_eq_u32 s16, 44
	s_cbranch_scc0 .LBB127_1163
; %bb.1161:
	global_load_ubyte v5, v[12:13], off
	s_movk_i32 s4, 0xff
	s_waitcnt vmcnt(1)
	v_bfrev_b32_e32 v7, 4
	v_mov_b32_e32 v10, 0x7ff80000
	v_bfrev_b32_e32 v14, 28
	s_mov_b64 s[0:1], 0
	s_waitcnt vmcnt(0)
	v_lshlrev_b32_e32 v0, 23, v5
	v_cvt_f64_f32_e32 v[0:1], v0
	v_cmp_ne_u32_e32 vcc, s4, v5
	s_mov_b64 s[4:5], -1
	v_cndmask_b32_e32 v0, v7, v0, vcc
	v_cndmask_b32_e32 v1, v10, v1, vcc
	v_cmp_ne_u32_e32 vcc, 0, v5
	v_cndmask_b32_e32 v1, v14, v1, vcc
	v_cndmask_b32_e32 v0, 0, v0, vcc
.LBB127_1162:
	s_branch .LBB127_1167
.LBB127_1163:
	s_mov_b64 s[0:1], -1
                                        ; implicit-def: $vgpr0_vgpr1
	s_branch .LBB127_1167
.LBB127_1164:
	s_cmp_eq_u32 s16, 29
	s_cbranch_scc0 .LBB127_1166
; %bb.1165:
	global_load_dwordx2 v[0:1], v[12:13], off
	s_mov_b64 s[0:1], 0
	s_mov_b64 s[4:5], -1
	s_mov_b64 s[6:7], 0
	s_waitcnt vmcnt(0)
	v_cvt_f64_u32_e32 v[14:15], v1
	v_cvt_f64_u32_e32 v[0:1], v0
	v_ldexp_f64 v[14:15], v[14:15], 32
	v_add_f64 v[0:1], v[14:15], v[0:1]
	s_branch .LBB127_1168
.LBB127_1166:
	s_mov_b64 s[0:1], -1
                                        ; implicit-def: $vgpr0_vgpr1
.LBB127_1167:
	s_mov_b64 s[6:7], 0
.LBB127_1168:
	s_and_b64 vcc, exec, s[6:7]
	s_cbranch_vccz .LBB127_1188
; %bb.1169:
	s_cmp_lt_i32 s16, 27
	s_cbranch_scc1 .LBB127_1172
; %bb.1170:
	s_cmp_gt_i32 s16, 27
	s_cbranch_scc0 .LBB127_1173
; %bb.1171:
	global_load_dword v0, v[12:13], off
	s_mov_b64 s[4:5], 0
	s_waitcnt vmcnt(0)
	v_cvt_f64_u32_e32 v[0:1], v0
	s_branch .LBB127_1174
.LBB127_1172:
	s_mov_b64 s[4:5], -1
                                        ; implicit-def: $vgpr0_vgpr1
	s_branch .LBB127_1177
.LBB127_1173:
	s_mov_b64 s[4:5], -1
                                        ; implicit-def: $vgpr0_vgpr1
.LBB127_1174:
	s_andn2_b64 vcc, exec, s[4:5]
	s_cbranch_vccnz .LBB127_1176
; %bb.1175:
	global_load_ushort v0, v[12:13], off
	s_waitcnt vmcnt(0)
	v_cvt_f64_u32_e32 v[0:1], v0
.LBB127_1176:
	s_mov_b64 s[4:5], 0
.LBB127_1177:
	s_andn2_b64 vcc, exec, s[4:5]
	s_cbranch_vccnz .LBB127_1187
; %bb.1178:
	global_load_ubyte v5, v[12:13], off
	s_movk_i32 s4, 0x7f
	s_waitcnt vmcnt(0)
	v_cmp_lt_i16_e32 vcc, s4, v5
	s_mov_b64 s[4:5], 0
	s_and_saveexec_b64 s[6:7], vcc
	s_xor_b64 s[6:7], exec, s[6:7]
	s_cbranch_execz .LBB127_1182
; %bb.1179:
	s_movk_i32 s4, 0x80
	v_cmp_eq_u16_e32 vcc, s4, v5
	s_mov_b64 s[4:5], -1
	s_and_saveexec_b64 s[12:13], vcc
; %bb.1180:
	s_xor_b64 s[4:5], exec, -1
; %bb.1181:
	s_or_b64 exec, exec, s[12:13]
	s_and_b64 s[4:5], s[4:5], exec
.LBB127_1182:
	s_or_saveexec_b64 s[6:7], s[6:7]
	v_bfrev_b32_e32 v0, 4
	v_mov_b32_e32 v1, 0x7ff80000
	s_xor_b64 exec, exec, s[6:7]
; %bb.1183:
	v_cmp_ne_u16_e32 vcc, 0, v5
	v_mov_b32_e32 v0, 0
	s_andn2_b64 s[4:5], s[4:5], exec
	s_and_b64 s[12:13], vcc, exec
	v_mov_b32_e32 v1, 0
	s_or_b64 s[4:5], s[4:5], s[12:13]
; %bb.1184:
	s_or_b64 exec, exec, s[6:7]
	s_and_saveexec_b64 s[6:7], s[4:5]
	s_cbranch_execz .LBB127_1186
; %bb.1185:
	v_and_b32_e32 v1, 0xffff, v5
	v_lshlrev_b32_e32 v0, 24, v5
	v_and_b32_e32 v5, 7, v1
	v_ffbh_u32_e32 v10, v5
	v_min_u32_e32 v10, 32, v10
	v_subrev_u32_e32 v14, 28, v10
	v_bfe_u32 v7, v1, 3, 4
	v_lshlrev_b32_e32 v1, v14, v1
	v_sub_u32_e32 v10, 29, v10
	v_and_b32_e32 v1, 7, v1
	v_cmp_eq_u32_e32 vcc, 0, v7
	v_cndmask_b32_e32 v7, v7, v10, vcc
	v_cndmask_b32_e32 v1, v5, v1, vcc
	v_mov_b32_e32 v5, 0x3b800000
	v_lshlrev_b32_e32 v1, 20, v1
	v_and_b32_e32 v0, 0x80000000, v0
	v_lshl_add_u32 v5, v7, 23, v5
	v_or3_b32 v0, v0, v5, v1
	v_cvt_f64_f32_e32 v[0:1], v0
.LBB127_1186:
	s_or_b64 exec, exec, s[6:7]
.LBB127_1187:
	s_mov_b64 s[4:5], -1
.LBB127_1188:
	s_branch .LBB127_1218
.LBB127_1189:
	s_cmp_gt_i32 s16, 22
	s_cbranch_scc0 .LBB127_1201
; %bb.1190:
	s_cmp_lt_i32 s16, 24
	s_cbranch_scc1 .LBB127_1202
; %bb.1191:
	s_cmp_gt_i32 s16, 24
	s_cbranch_scc0 .LBB127_1203
; %bb.1192:
	global_load_ubyte v5, v[12:13], off
	s_movk_i32 s2, 0x7f
	s_waitcnt vmcnt(0)
	v_cmp_lt_i16_e32 vcc, s2, v5
	s_mov_b64 s[2:3], 0
	s_and_saveexec_b64 s[4:5], vcc
	s_xor_b64 s[4:5], exec, s[4:5]
	s_cbranch_execz .LBB127_1196
; %bb.1193:
	s_movk_i32 s2, 0x80
	v_cmp_eq_u16_e32 vcc, s2, v5
	s_mov_b64 s[2:3], -1
	s_and_saveexec_b64 s[6:7], vcc
; %bb.1194:
	s_xor_b64 s[2:3], exec, -1
; %bb.1195:
	s_or_b64 exec, exec, s[6:7]
	s_and_b64 s[2:3], s[2:3], exec
.LBB127_1196:
	s_or_saveexec_b64 s[4:5], s[4:5]
	v_bfrev_b32_e32 v0, 4
	v_mov_b32_e32 v1, 0x7ff80000
	s_xor_b64 exec, exec, s[4:5]
; %bb.1197:
	v_cmp_ne_u16_e32 vcc, 0, v5
	v_mov_b32_e32 v0, 0
	s_andn2_b64 s[2:3], s[2:3], exec
	s_and_b64 s[6:7], vcc, exec
	v_mov_b32_e32 v1, 0
	s_or_b64 s[2:3], s[2:3], s[6:7]
; %bb.1198:
	s_or_b64 exec, exec, s[4:5]
	s_and_saveexec_b64 s[4:5], s[2:3]
	s_cbranch_execz .LBB127_1200
; %bb.1199:
	v_and_b32_e32 v1, 0xffff, v5
	v_lshlrev_b32_e32 v0, 24, v5
	v_and_b32_e32 v5, 3, v1
	v_ffbh_u32_e32 v10, v5
	v_min_u32_e32 v10, 32, v10
	v_subrev_u32_e32 v14, 29, v10
	v_bfe_u32 v7, v1, 2, 5
	v_lshlrev_b32_e32 v1, v14, v1
	v_sub_u32_e32 v10, 30, v10
	v_and_b32_e32 v1, 3, v1
	v_cmp_eq_u32_e32 vcc, 0, v7
	v_cndmask_b32_e32 v7, v7, v10, vcc
	v_cndmask_b32_e32 v1, v5, v1, vcc
	v_mov_b32_e32 v5, 0x37800000
	v_lshlrev_b32_e32 v1, 21, v1
	v_and_b32_e32 v0, 0x80000000, v0
	v_lshl_add_u32 v5, v7, 23, v5
	v_or3_b32 v0, v0, v5, v1
	v_cvt_f64_f32_e32 v[0:1], v0
.LBB127_1200:
	s_or_b64 exec, exec, s[4:5]
	s_mov_b64 s[2:3], 0
	s_branch .LBB127_1204
.LBB127_1201:
                                        ; implicit-def: $vgpr0_vgpr1
	s_mov_b64 s[2:3], 0
	s_branch .LBB127_1210
.LBB127_1202:
	s_mov_b64 s[2:3], -1
                                        ; implicit-def: $vgpr0_vgpr1
	s_branch .LBB127_1207
.LBB127_1203:
	s_mov_b64 s[2:3], -1
                                        ; implicit-def: $vgpr0_vgpr1
.LBB127_1204:
	s_and_b64 vcc, exec, s[2:3]
	s_cbranch_vccz .LBB127_1206
; %bb.1205:
	global_load_ubyte v0, v[12:13], off
	s_mov_b32 s2, 0x7f800000
	s_waitcnt vmcnt(0)
	v_lshlrev_b32_e32 v0, 24, v0
	v_and_b32_e32 v1, 0x7f000000, v0
	v_ffbh_u32_e32 v5, v1
	v_min_u32_e32 v5, 32, v5
	v_sub_u32_e64 v5, v5, 4 clamp
	v_lshlrev_b32_e32 v10, v5, v1
	v_lshlrev_b32_e32 v5, 23, v5
	v_lshrrev_b32_e32 v10, 4, v10
	v_add_u32_e32 v7, 0x1000000, v1
	v_sub_u32_e32 v5, v10, v5
	v_ashrrev_i32_e32 v7, 8, v7
	v_add_u32_e32 v5, 0x3c000000, v5
	v_and_or_b32 v5, v7, s2, v5
	v_cmp_ne_u32_e32 vcc, 0, v1
	v_cndmask_b32_e32 v1, 0, v5, vcc
	s_brev_b32 s2, 1
	v_and_or_b32 v0, v0, s2, v1
	v_cvt_f64_f32_e32 v[0:1], v0
.LBB127_1206:
	s_mov_b64 s[2:3], 0
.LBB127_1207:
	s_andn2_b64 vcc, exec, s[2:3]
	s_cbranch_vccnz .LBB127_1209
; %bb.1208:
	global_load_ubyte v0, v[12:13], off
	s_movk_i32 s2, 0x7f00
	s_brev_b32 s3, 16
	s_waitcnt vmcnt(0)
	v_lshlrev_b16_e32 v1, 8, v0
	v_lshlrev_b32_e32 v0, 25, v0
	v_lshrrev_b32_e32 v5, 4, v0
	v_and_or_b32 v7, v1, s2, 0.5
	v_or_b32_e32 v5, 0x70000000, v5
	v_add_f32_e32 v7, -0.5, v7
	v_mul_f32_e32 v5, 0x7800000, v5
	v_cmp_gt_u32_e32 vcc, s3, v0
	v_bfe_i32 v1, v1, 0, 16
	v_cndmask_b32_e32 v0, v5, v7, vcc
	s_brev_b32 s2, 1
	v_and_or_b32 v0, v1, s2, v0
	v_cvt_f64_f32_e32 v[0:1], v0
.LBB127_1209:
	s_mov_b64 s[4:5], -1
	s_mov_b64 s[2:3], 0
	s_cbranch_execnz .LBB127_1218
.LBB127_1210:
	s_cmp_gt_i32 s16, 14
	s_cbranch_scc0 .LBB127_1213
; %bb.1211:
	s_cmp_eq_u32 s16, 15
	s_cbranch_scc0 .LBB127_1214
; %bb.1212:
	global_load_ushort v0, v[12:13], off
	s_mov_b64 s[0:1], 0
	s_mov_b64 s[4:5], -1
	s_waitcnt vmcnt(0)
	v_lshlrev_b32_e32 v0, 16, v0
	v_cvt_f64_f32_e32 v[0:1], v0
	s_branch .LBB127_1215
.LBB127_1213:
	s_mov_b64 s[6:7], -1
                                        ; implicit-def: $vgpr0_vgpr1
	s_branch .LBB127_1216
.LBB127_1214:
	s_mov_b64 s[0:1], -1
                                        ; implicit-def: $vgpr0_vgpr1
.LBB127_1215:
	s_mov_b64 s[6:7], 0
.LBB127_1216:
	s_and_b64 vcc, exec, s[6:7]
	s_cbranch_vccz .LBB127_1218
; %bb.1217:
	s_cmp_lg_u32 s16, 11
	s_mov_b64 s[2:3], -1
	s_cselect_b64 s[0:1], -1, 0
.LBB127_1218:
	s_and_b64 vcc, exec, s[0:1]
	s_mov_b64 s[12:13], s[28:29]
	s_cbranch_vccnz .LBB127_1279
; %bb.1219:
	s_andn2_b64 vcc, exec, s[2:3]
	s_cbranch_vccnz .LBB127_1221
.LBB127_1220:
	global_load_ubyte v1, v[12:13], off
	v_mov_b32_e32 v5, 0x3ff00000
	v_mov_b32_e32 v0, 0
	s_mov_b64 s[4:5], -1
	s_waitcnt vmcnt(0)
	v_cmp_ne_u16_e32 vcc, 0, v1
	v_cndmask_b32_e32 v1, 0, v5, vcc
.LBB127_1221:
	s_branch .LBB127_1151
.LBB127_1222:
	s_and_b32 s2, 0xffff, s15
	s_cmp_lt_i32 s2, 5
	s_cbranch_scc1 .LBB127_1227
; %bb.1223:
	s_cmp_lt_i32 s2, 8
	s_cbranch_scc1 .LBB127_1228
; %bb.1224:
	;; [unrolled: 3-line block ×3, first 2 shown]
	s_cmp_gt_i32 s2, 9
	s_cbranch_scc0 .LBB127_1230
; %bb.1226:
	global_load_dwordx2 v[0:1], v[12:13], off
	s_mov_b64 s[0:1], 0
	s_branch .LBB127_1231
.LBB127_1227:
                                        ; implicit-def: $vgpr0_vgpr1
	s_branch .LBB127_1248
.LBB127_1228:
                                        ; implicit-def: $vgpr0_vgpr1
	s_branch .LBB127_1237
.LBB127_1229:
	s_mov_b64 s[0:1], -1
                                        ; implicit-def: $vgpr0_vgpr1
	s_branch .LBB127_1234
.LBB127_1230:
	s_mov_b64 s[0:1], -1
                                        ; implicit-def: $vgpr0_vgpr1
.LBB127_1231:
	s_andn2_b64 vcc, exec, s[0:1]
	s_cbranch_vccnz .LBB127_1233
; %bb.1232:
	global_load_dword v0, v[12:13], off
	s_waitcnt vmcnt(0)
	v_cvt_f64_f32_e32 v[0:1], v0
.LBB127_1233:
	s_mov_b64 s[0:1], 0
.LBB127_1234:
	s_andn2_b64 vcc, exec, s[0:1]
	s_cbranch_vccnz .LBB127_1236
; %bb.1235:
	global_load_dword v0, v[12:13], off
	s_waitcnt vmcnt(0)
	v_cvt_f32_f16_e32 v0, v0
	v_cvt_f64_f32_e32 v[0:1], v0
.LBB127_1236:
	s_cbranch_execnz .LBB127_1247
.LBB127_1237:
	s_cmp_lt_i32 s2, 6
	s_cbranch_scc1 .LBB127_1240
; %bb.1238:
	s_cmp_gt_i32 s2, 6
	s_cbranch_scc0 .LBB127_1241
; %bb.1239:
	global_load_dwordx2 v[0:1], v[12:13], off
	s_mov_b64 s[0:1], 0
	s_branch .LBB127_1242
.LBB127_1240:
	s_mov_b64 s[0:1], -1
                                        ; implicit-def: $vgpr0_vgpr1
	s_branch .LBB127_1245
.LBB127_1241:
	s_mov_b64 s[0:1], -1
                                        ; implicit-def: $vgpr0_vgpr1
.LBB127_1242:
	s_andn2_b64 vcc, exec, s[0:1]
	s_cbranch_vccnz .LBB127_1244
; %bb.1243:
	global_load_dword v0, v[12:13], off
	s_waitcnt vmcnt(0)
	v_cvt_f64_f32_e32 v[0:1], v0
.LBB127_1244:
	s_mov_b64 s[0:1], 0
.LBB127_1245:
	s_andn2_b64 vcc, exec, s[0:1]
	s_cbranch_vccnz .LBB127_1247
; %bb.1246:
	global_load_ushort v0, v[12:13], off
	s_waitcnt vmcnt(0)
	v_cvt_f32_f16_e32 v0, v0
	v_cvt_f64_f32_e32 v[0:1], v0
.LBB127_1247:
	s_cbranch_execnz .LBB127_1266
.LBB127_1248:
	s_cmp_lt_i32 s2, 2
	s_cbranch_scc1 .LBB127_1252
; %bb.1249:
	s_cmp_lt_i32 s2, 3
	s_cbranch_scc1 .LBB127_1253
; %bb.1250:
	s_cmp_gt_i32 s2, 3
	s_cbranch_scc0 .LBB127_1254
; %bb.1251:
	global_load_dwordx2 v[0:1], v[12:13], off
	s_mov_b64 s[0:1], 0
	s_waitcnt vmcnt(0)
	v_cvt_f64_i32_e32 v[14:15], v1
	v_cvt_f64_u32_e32 v[0:1], v0
	v_ldexp_f64 v[14:15], v[14:15], 32
	v_add_f64 v[0:1], v[14:15], v[0:1]
	s_branch .LBB127_1255
.LBB127_1252:
                                        ; implicit-def: $vgpr0_vgpr1
	s_branch .LBB127_1261
.LBB127_1253:
	s_mov_b64 s[0:1], -1
                                        ; implicit-def: $vgpr0_vgpr1
	s_branch .LBB127_1258
.LBB127_1254:
	s_mov_b64 s[0:1], -1
                                        ; implicit-def: $vgpr0_vgpr1
.LBB127_1255:
	s_andn2_b64 vcc, exec, s[0:1]
	s_cbranch_vccnz .LBB127_1257
; %bb.1256:
	global_load_dword v0, v[12:13], off
	s_waitcnt vmcnt(0)
	v_cvt_f64_i32_e32 v[0:1], v0
.LBB127_1257:
	s_mov_b64 s[0:1], 0
.LBB127_1258:
	s_andn2_b64 vcc, exec, s[0:1]
	s_cbranch_vccnz .LBB127_1260
; %bb.1259:
	global_load_sshort v0, v[12:13], off
	s_waitcnt vmcnt(0)
	v_cvt_f64_i32_e32 v[0:1], v0
.LBB127_1260:
	s_cbranch_execnz .LBB127_1266
.LBB127_1261:
	s_cmp_gt_i32 s2, 0
	s_cbranch_scc0 .LBB127_1263
; %bb.1262:
	global_load_sbyte v0, v[12:13], off
	s_mov_b64 s[0:1], 0
	s_waitcnt vmcnt(0)
	v_cvt_f64_i32_e32 v[0:1], v0
	s_branch .LBB127_1264
.LBB127_1263:
	s_mov_b64 s[0:1], -1
                                        ; implicit-def: $vgpr0_vgpr1
.LBB127_1264:
	s_andn2_b64 vcc, exec, s[0:1]
	s_cbranch_vccnz .LBB127_1266
; %bb.1265:
	global_load_ubyte v0, v[12:13], off
	s_waitcnt vmcnt(0)
	v_cvt_f64_u32_e32 v[0:1], v0
.LBB127_1266:
.LBB127_1267:
	s_lshr_b32 s0, s14, 8
	v_mov_b32_e32 v5, s11
	s_and_b32 s16, s0, 0xff
	v_add_co_u32_e32 v10, vcc, s10, v11
	s_cmp_lt_i32 s16, 11
	v_addc_co_u32_e32 v11, vcc, 0, v5, vcc
	s_cbranch_scc1 .LBB127_1274
; %bb.1268:
	s_and_b32 s17, 0xffff, s16
	s_cmp_gt_i32 s17, 25
	s_mov_b64 s[2:3], 0
	s_cbranch_scc0 .LBB127_1276
; %bb.1269:
	s_cmp_gt_i32 s17, 28
	s_cbranch_scc0 .LBB127_1277
; %bb.1270:
	s_cmp_gt_i32 s17, 43
	s_cbranch_scc0 .LBB127_1278
; %bb.1271:
	s_cmp_gt_i32 s17, 45
	s_cbranch_scc0 .LBB127_1280
; %bb.1272:
	s_cmp_eq_u32 s17, 46
	s_mov_b64 s[6:7], 0
	s_cbranch_scc0 .LBB127_1283
; %bb.1273:
	global_load_dword v5, v[10:11], off
	s_mov_b64 s[0:1], 0
	s_mov_b64 s[4:5], -1
	s_waitcnt vmcnt(0)
	v_lshlrev_b32_e32 v5, 16, v5
	v_cvt_f64_f32_e32 v[13:14], v5
	s_branch .LBB127_1284
.LBB127_1274:
	s_mov_b64 s[4:5], 0
                                        ; implicit-def: $vgpr13_vgpr14
	s_cbranch_execnz .LBB127_1349
.LBB127_1275:
	s_andn2_b64 vcc, exec, s[4:5]
	s_cbranch_vccnz .LBB127_2088
	s_branch .LBB127_1396
.LBB127_1276:
	s_mov_b64 s[4:5], 0
	s_mov_b64 s[0:1], 0
                                        ; implicit-def: $vgpr13_vgpr14
	s_cbranch_execnz .LBB127_1315
	s_branch .LBB127_1345
.LBB127_1277:
	s_mov_b64 s[6:7], -1
	s_mov_b64 s[4:5], 0
	s_mov_b64 s[0:1], 0
                                        ; implicit-def: $vgpr13_vgpr14
	s_branch .LBB127_1294
.LBB127_1278:
	s_mov_b64 s[6:7], -1
	s_mov_b64 s[4:5], 0
	s_mov_b64 s[0:1], 0
                                        ; implicit-def: $vgpr13_vgpr14
	s_branch .LBB127_1289
.LBB127_1279:
	s_or_b64 s[12:13], s[28:29], exec
	s_trap 2
	s_cbranch_execz .LBB127_1220
	s_branch .LBB127_1221
.LBB127_1280:
	s_mov_b64 s[6:7], -1
	s_mov_b64 s[4:5], 0
	s_mov_b64 s[0:1], 0
                                        ; implicit-def: $vgpr13_vgpr14
	s_branch .LBB127_1284
.LBB127_1281:
	s_andn2_saveexec_b64 s[16:17], s[16:17]
	s_cbranch_execz .LBB127_1011
.LBB127_1282:
	s_mov_b32 s19, 0x42800000
	v_add_f32_e64 v3, |v2|, s19
	v_and_b32_e32 v3, 0xff, v3
	v_cmp_ne_u32_e32 vcc, 0, v3
	s_andn2_b64 s[14:15], s[14:15], exec
	s_and_b64 s[22:23], vcc, exec
	s_or_b64 s[14:15], s[14:15], s[22:23]
	s_or_b64 exec, exec, s[16:17]
	v_mov_b32_e32 v6, 0
	s_and_saveexec_b64 s[16:17], s[14:15]
	s_cbranch_execnz .LBB127_1012
	s_branch .LBB127_1013
.LBB127_1283:
	s_mov_b64 s[0:1], -1
                                        ; implicit-def: $vgpr13_vgpr14
	s_mov_b64 s[4:5], 0
.LBB127_1284:
	s_and_b64 vcc, exec, s[6:7]
	s_cbranch_vccz .LBB127_1288
; %bb.1285:
	s_cmp_eq_u32 s17, 44
	s_cbranch_scc0 .LBB127_1287
; %bb.1286:
	global_load_ubyte v5, v[10:11], off
	s_movk_i32 s4, 0xff
	s_waitcnt vmcnt(1)
	v_bfrev_b32_e32 v7, 4
	v_mov_b32_e32 v14, 0x7ff80000
	v_bfrev_b32_e32 v15, 28
	s_mov_b64 s[0:1], 0
	s_waitcnt vmcnt(0)
	v_lshlrev_b32_e32 v12, 23, v5
	v_cvt_f64_f32_e32 v[12:13], v12
	v_cmp_ne_u32_e32 vcc, s4, v5
	s_mov_b64 s[4:5], -1
	v_cndmask_b32_e32 v7, v7, v12, vcc
	v_cndmask_b32_e32 v12, v14, v13, vcc
	v_cmp_ne_u32_e32 vcc, 0, v5
	v_cndmask_b32_e32 v14, v15, v12, vcc
	v_cndmask_b32_e32 v13, 0, v7, vcc
	s_branch .LBB127_1288
.LBB127_1287:
	s_mov_b64 s[0:1], -1
                                        ; implicit-def: $vgpr13_vgpr14
.LBB127_1288:
	s_mov_b64 s[6:7], 0
.LBB127_1289:
	s_and_b64 vcc, exec, s[6:7]
	s_cbranch_vccz .LBB127_1293
; %bb.1290:
	s_cmp_eq_u32 s17, 29
	s_cbranch_scc0 .LBB127_1292
; %bb.1291:
	global_load_dwordx2 v[12:13], v[10:11], off
	s_mov_b64 s[0:1], 0
	s_mov_b64 s[4:5], -1
	s_mov_b64 s[6:7], 0
	s_waitcnt vmcnt(0)
	v_cvt_f64_u32_e32 v[13:14], v13
	v_cvt_f64_u32_e32 v[15:16], v12
	v_ldexp_f64 v[13:14], v[13:14], 32
	v_add_f64 v[13:14], v[13:14], v[15:16]
	s_branch .LBB127_1294
.LBB127_1292:
	s_mov_b64 s[0:1], -1
                                        ; implicit-def: $vgpr13_vgpr14
.LBB127_1293:
	s_mov_b64 s[6:7], 0
.LBB127_1294:
	s_and_b64 vcc, exec, s[6:7]
	s_cbranch_vccz .LBB127_1314
; %bb.1295:
	s_cmp_lt_i32 s17, 27
	s_cbranch_scc1 .LBB127_1298
; %bb.1296:
	s_cmp_gt_i32 s17, 27
	s_cbranch_scc0 .LBB127_1299
; %bb.1297:
	global_load_dword v5, v[10:11], off
	s_mov_b64 s[4:5], 0
	s_waitcnt vmcnt(0)
	v_cvt_f64_u32_e32 v[13:14], v5
	s_branch .LBB127_1300
.LBB127_1298:
	s_mov_b64 s[4:5], -1
                                        ; implicit-def: $vgpr13_vgpr14
	s_branch .LBB127_1303
.LBB127_1299:
	s_mov_b64 s[4:5], -1
                                        ; implicit-def: $vgpr13_vgpr14
.LBB127_1300:
	s_andn2_b64 vcc, exec, s[4:5]
	s_cbranch_vccnz .LBB127_1302
; %bb.1301:
	global_load_ushort v5, v[10:11], off
	s_waitcnt vmcnt(0)
	v_cvt_f64_u32_e32 v[13:14], v5
.LBB127_1302:
	s_mov_b64 s[4:5], 0
.LBB127_1303:
	s_andn2_b64 vcc, exec, s[4:5]
	s_cbranch_vccnz .LBB127_1313
; %bb.1304:
	global_load_ubyte v5, v[10:11], off
	s_movk_i32 s4, 0x7f
	s_waitcnt vmcnt(0)
	v_cmp_lt_i16_e32 vcc, s4, v5
	s_mov_b64 s[4:5], 0
	s_and_saveexec_b64 s[6:7], vcc
	s_xor_b64 s[6:7], exec, s[6:7]
	s_cbranch_execz .LBB127_1308
; %bb.1305:
	s_movk_i32 s4, 0x80
	v_cmp_eq_u16_e32 vcc, s4, v5
	s_mov_b64 s[4:5], -1
	s_and_saveexec_b64 s[14:15], vcc
; %bb.1306:
	s_xor_b64 s[4:5], exec, -1
; %bb.1307:
	s_or_b64 exec, exec, s[14:15]
	s_and_b64 s[4:5], s[4:5], exec
.LBB127_1308:
	s_or_saveexec_b64 s[6:7], s[6:7]
	v_bfrev_b32_e32 v13, 4
	v_mov_b32_e32 v14, 0x7ff80000
	s_xor_b64 exec, exec, s[6:7]
; %bb.1309:
	v_cmp_ne_u16_e32 vcc, 0, v5
	v_mov_b32_e32 v13, 0
	s_andn2_b64 s[4:5], s[4:5], exec
	s_and_b64 s[14:15], vcc, exec
	v_mov_b32_e32 v14, 0
	s_or_b64 s[4:5], s[4:5], s[14:15]
; %bb.1310:
	s_or_b64 exec, exec, s[6:7]
	s_and_saveexec_b64 s[6:7], s[4:5]
	s_cbranch_execz .LBB127_1312
; %bb.1311:
	v_lshlrev_b32_e32 v7, 24, v5
	v_and_b32_e32 v5, 0xffff, v5
	v_and_b32_e32 v12, 7, v5
	v_ffbh_u32_e32 v14, v12
	v_min_u32_e32 v14, 32, v14
	v_subrev_u32_e32 v15, 28, v14
	v_bfe_u32 v13, v5, 3, 4
	v_lshlrev_b32_e32 v5, v15, v5
	v_sub_u32_e32 v14, 29, v14
	v_and_b32_e32 v5, 7, v5
	v_cmp_eq_u32_e32 vcc, 0, v13
	v_cndmask_b32_e32 v13, v13, v14, vcc
	v_cndmask_b32_e32 v5, v12, v5, vcc
	v_mov_b32_e32 v12, 0x3b800000
	v_lshlrev_b32_e32 v5, 20, v5
	v_and_b32_e32 v7, 0x80000000, v7
	v_lshl_add_u32 v12, v13, 23, v12
	v_or3_b32 v5, v7, v12, v5
	v_cvt_f64_f32_e32 v[13:14], v5
.LBB127_1312:
	s_or_b64 exec, exec, s[6:7]
.LBB127_1313:
	s_mov_b64 s[4:5], -1
.LBB127_1314:
	s_branch .LBB127_1345
.LBB127_1315:
	s_cmp_gt_i32 s17, 22
	s_cbranch_scc0 .LBB127_1327
; %bb.1316:
	s_cmp_lt_i32 s17, 24
	s_cbranch_scc1 .LBB127_1328
; %bb.1317:
	s_cmp_gt_i32 s17, 24
	s_cbranch_scc0 .LBB127_1329
; %bb.1318:
	global_load_ubyte v5, v[10:11], off
	s_movk_i32 s2, 0x7f
	s_waitcnt vmcnt(0)
	v_cmp_lt_i16_e32 vcc, s2, v5
	s_mov_b64 s[2:3], 0
	s_and_saveexec_b64 s[4:5], vcc
	s_xor_b64 s[4:5], exec, s[4:5]
	s_cbranch_execz .LBB127_1322
; %bb.1319:
	s_movk_i32 s2, 0x80
	v_cmp_eq_u16_e32 vcc, s2, v5
	s_mov_b64 s[2:3], -1
	s_and_saveexec_b64 s[6:7], vcc
; %bb.1320:
	s_xor_b64 s[2:3], exec, -1
; %bb.1321:
	s_or_b64 exec, exec, s[6:7]
	s_and_b64 s[2:3], s[2:3], exec
.LBB127_1322:
	s_or_saveexec_b64 s[4:5], s[4:5]
	v_bfrev_b32_e32 v13, 4
	v_mov_b32_e32 v14, 0x7ff80000
	s_xor_b64 exec, exec, s[4:5]
; %bb.1323:
	v_cmp_ne_u16_e32 vcc, 0, v5
	v_mov_b32_e32 v13, 0
	s_andn2_b64 s[2:3], s[2:3], exec
	s_and_b64 s[6:7], vcc, exec
	v_mov_b32_e32 v14, 0
	s_or_b64 s[2:3], s[2:3], s[6:7]
; %bb.1324:
	s_or_b64 exec, exec, s[4:5]
	s_and_saveexec_b64 s[4:5], s[2:3]
	s_cbranch_execz .LBB127_1326
; %bb.1325:
	v_lshlrev_b32_e32 v7, 24, v5
	v_and_b32_e32 v5, 0xffff, v5
	v_and_b32_e32 v12, 3, v5
	v_ffbh_u32_e32 v14, v12
	v_min_u32_e32 v14, 32, v14
	v_subrev_u32_e32 v15, 29, v14
	v_bfe_u32 v13, v5, 2, 5
	v_lshlrev_b32_e32 v5, v15, v5
	v_sub_u32_e32 v14, 30, v14
	v_and_b32_e32 v5, 3, v5
	v_cmp_eq_u32_e32 vcc, 0, v13
	v_cndmask_b32_e32 v13, v13, v14, vcc
	v_cndmask_b32_e32 v5, v12, v5, vcc
	v_mov_b32_e32 v12, 0x37800000
	v_lshlrev_b32_e32 v5, 21, v5
	v_and_b32_e32 v7, 0x80000000, v7
	v_lshl_add_u32 v12, v13, 23, v12
	v_or3_b32 v5, v7, v12, v5
	v_cvt_f64_f32_e32 v[13:14], v5
.LBB127_1326:
	s_or_b64 exec, exec, s[4:5]
	s_mov_b64 s[2:3], 0
	s_branch .LBB127_1330
.LBB127_1327:
	s_mov_b64 s[2:3], -1
                                        ; implicit-def: $vgpr13_vgpr14
	s_branch .LBB127_1336
.LBB127_1328:
	s_mov_b64 s[2:3], -1
                                        ; implicit-def: $vgpr13_vgpr14
	s_branch .LBB127_1333
.LBB127_1329:
	s_mov_b64 s[2:3], -1
                                        ; implicit-def: $vgpr13_vgpr14
.LBB127_1330:
	s_and_b64 vcc, exec, s[2:3]
	s_cbranch_vccz .LBB127_1332
; %bb.1331:
	global_load_ubyte v5, v[10:11], off
	s_mov_b32 s2, 0x7f800000
	s_waitcnt vmcnt(0)
	v_lshlrev_b32_e32 v5, 24, v5
	v_and_b32_e32 v7, 0x7f000000, v5
	v_ffbh_u32_e32 v12, v7
	v_min_u32_e32 v12, 32, v12
	v_sub_u32_e64 v12, v12, 4 clamp
	v_lshlrev_b32_e32 v14, v12, v7
	v_lshlrev_b32_e32 v12, 23, v12
	v_lshrrev_b32_e32 v14, 4, v14
	v_add_u32_e32 v13, 0x1000000, v7
	v_sub_u32_e32 v12, v14, v12
	v_ashrrev_i32_e32 v13, 8, v13
	v_add_u32_e32 v12, 0x3c000000, v12
	v_and_or_b32 v12, v13, s2, v12
	v_cmp_ne_u32_e32 vcc, 0, v7
	v_cndmask_b32_e32 v7, 0, v12, vcc
	s_brev_b32 s2, 1
	v_and_or_b32 v5, v5, s2, v7
	v_cvt_f64_f32_e32 v[13:14], v5
.LBB127_1332:
	s_mov_b64 s[2:3], 0
.LBB127_1333:
	s_andn2_b64 vcc, exec, s[2:3]
	s_cbranch_vccnz .LBB127_1335
; %bb.1334:
	global_load_ubyte v5, v[10:11], off
	s_movk_i32 s2, 0x7f00
	s_brev_b32 s3, 16
	s_waitcnt vmcnt(0)
	v_lshlrev_b16_e32 v7, 8, v5
	v_lshlrev_b32_e32 v5, 25, v5
	v_lshrrev_b32_e32 v12, 4, v5
	v_and_or_b32 v13, v7, s2, 0.5
	v_or_b32_e32 v12, 0x70000000, v12
	v_add_f32_e32 v13, -0.5, v13
	v_mul_f32_e32 v12, 0x7800000, v12
	v_cmp_gt_u32_e32 vcc, s3, v5
	v_bfe_i32 v7, v7, 0, 16
	v_cndmask_b32_e32 v5, v12, v13, vcc
	s_brev_b32 s2, 1
	v_and_or_b32 v5, v7, s2, v5
	v_cvt_f64_f32_e32 v[13:14], v5
.LBB127_1335:
	s_mov_b64 s[2:3], 0
	s_mov_b64 s[4:5], -1
.LBB127_1336:
	s_andn2_b64 vcc, exec, s[2:3]
	s_mov_b64 s[2:3], 0
	s_cbranch_vccnz .LBB127_1345
; %bb.1337:
	s_cmp_gt_i32 s17, 14
	s_cbranch_scc0 .LBB127_1340
; %bb.1338:
	s_cmp_eq_u32 s17, 15
	s_cbranch_scc0 .LBB127_1341
; %bb.1339:
	global_load_ushort v5, v[10:11], off
	s_mov_b64 s[0:1], 0
	s_mov_b64 s[4:5], -1
	s_waitcnt vmcnt(0)
	v_lshlrev_b32_e32 v5, 16, v5
	v_cvt_f64_f32_e32 v[13:14], v5
	s_branch .LBB127_1342
.LBB127_1340:
	s_mov_b64 s[6:7], -1
                                        ; implicit-def: $vgpr13_vgpr14
	s_branch .LBB127_1343
.LBB127_1341:
	s_mov_b64 s[0:1], -1
                                        ; implicit-def: $vgpr13_vgpr14
.LBB127_1342:
	s_mov_b64 s[6:7], 0
.LBB127_1343:
	s_and_b64 vcc, exec, s[6:7]
	s_cbranch_vccz .LBB127_1345
; %bb.1344:
	s_cmp_lg_u32 s17, 11
	s_mov_b64 s[2:3], -1
	s_cselect_b64 s[0:1], -1, 0
.LBB127_1345:
	s_and_b64 vcc, exec, s[0:1]
	s_cbranch_vccnz .LBB127_1408
; %bb.1346:
	s_andn2_b64 vcc, exec, s[2:3]
	s_cbranch_vccnz .LBB127_1348
.LBB127_1347:
	global_load_ubyte v5, v[10:11], off
	s_waitcnt vmcnt(1)
	v_mov_b32_e32 v7, 0x3ff00000
	v_mov_b32_e32 v13, 0
	s_mov_b64 s[4:5], -1
	s_waitcnt vmcnt(0)
	v_cmp_ne_u16_e32 vcc, 0, v5
	v_cndmask_b32_e32 v14, 0, v7, vcc
.LBB127_1348:
	s_branch .LBB127_1275
.LBB127_1349:
	s_and_b32 s2, 0xffff, s16
	s_cmp_lt_i32 s2, 5
	s_cbranch_scc1 .LBB127_1354
; %bb.1350:
	s_cmp_lt_i32 s2, 8
	s_cbranch_scc1 .LBB127_1355
; %bb.1351:
	;; [unrolled: 3-line block ×3, first 2 shown]
	s_cmp_gt_i32 s2, 9
	s_cbranch_scc0 .LBB127_1357
; %bb.1353:
	global_load_dwordx2 v[13:14], v[10:11], off
	s_mov_b64 s[0:1], 0
	s_branch .LBB127_1358
.LBB127_1354:
                                        ; implicit-def: $vgpr13_vgpr14
	s_branch .LBB127_1376
.LBB127_1355:
	s_mov_b64 s[0:1], -1
                                        ; implicit-def: $vgpr13_vgpr14
	s_branch .LBB127_1364
.LBB127_1356:
	s_mov_b64 s[0:1], -1
                                        ; implicit-def: $vgpr13_vgpr14
	s_branch .LBB127_1361
.LBB127_1357:
	s_mov_b64 s[0:1], -1
                                        ; implicit-def: $vgpr13_vgpr14
.LBB127_1358:
	s_andn2_b64 vcc, exec, s[0:1]
	s_cbranch_vccnz .LBB127_1360
; %bb.1359:
	global_load_dword v5, v[10:11], off
	s_waitcnt vmcnt(0)
	v_cvt_f64_f32_e32 v[13:14], v5
.LBB127_1360:
	s_mov_b64 s[0:1], 0
.LBB127_1361:
	s_andn2_b64 vcc, exec, s[0:1]
	s_cbranch_vccnz .LBB127_1363
; %bb.1362:
	global_load_dword v5, v[10:11], off
	s_waitcnt vmcnt(0)
	v_cvt_f32_f16_e32 v5, v5
	v_cvt_f64_f32_e32 v[13:14], v5
.LBB127_1363:
	s_mov_b64 s[0:1], 0
.LBB127_1364:
	s_andn2_b64 vcc, exec, s[0:1]
	s_cbranch_vccnz .LBB127_1375
; %bb.1365:
	s_cmp_lt_i32 s2, 6
	s_cbranch_scc1 .LBB127_1368
; %bb.1366:
	s_cmp_gt_i32 s2, 6
	s_cbranch_scc0 .LBB127_1369
; %bb.1367:
	global_load_dwordx2 v[13:14], v[10:11], off
	s_mov_b64 s[0:1], 0
	s_branch .LBB127_1370
.LBB127_1368:
	s_mov_b64 s[0:1], -1
                                        ; implicit-def: $vgpr13_vgpr14
	s_branch .LBB127_1373
.LBB127_1369:
	s_mov_b64 s[0:1], -1
                                        ; implicit-def: $vgpr13_vgpr14
.LBB127_1370:
	s_andn2_b64 vcc, exec, s[0:1]
	s_cbranch_vccnz .LBB127_1372
; %bb.1371:
	global_load_dword v5, v[10:11], off
	s_waitcnt vmcnt(0)
	v_cvt_f64_f32_e32 v[13:14], v5
.LBB127_1372:
	s_mov_b64 s[0:1], 0
.LBB127_1373:
	s_andn2_b64 vcc, exec, s[0:1]
	s_cbranch_vccnz .LBB127_1375
; %bb.1374:
	global_load_ushort v5, v[10:11], off
	s_waitcnt vmcnt(0)
	v_cvt_f32_f16_e32 v5, v5
	v_cvt_f64_f32_e32 v[13:14], v5
.LBB127_1375:
	s_cbranch_execnz .LBB127_1395
.LBB127_1376:
	s_cmp_lt_i32 s2, 2
	s_cbranch_scc1 .LBB127_1380
; %bb.1377:
	s_cmp_lt_i32 s2, 3
	s_cbranch_scc1 .LBB127_1381
; %bb.1378:
	s_cmp_gt_i32 s2, 3
	s_cbranch_scc0 .LBB127_1382
; %bb.1379:
	global_load_dwordx2 v[12:13], v[10:11], off
	s_mov_b64 s[0:1], 0
	s_waitcnt vmcnt(0)
	v_cvt_f64_i32_e32 v[13:14], v13
	v_cvt_f64_u32_e32 v[15:16], v12
	v_ldexp_f64 v[13:14], v[13:14], 32
	v_add_f64 v[13:14], v[13:14], v[15:16]
	s_branch .LBB127_1383
.LBB127_1380:
	s_mov_b64 s[0:1], -1
                                        ; implicit-def: $vgpr13_vgpr14
	s_branch .LBB127_1389
.LBB127_1381:
	s_mov_b64 s[0:1], -1
                                        ; implicit-def: $vgpr13_vgpr14
	s_branch .LBB127_1386
.LBB127_1382:
	s_mov_b64 s[0:1], -1
                                        ; implicit-def: $vgpr13_vgpr14
.LBB127_1383:
	s_andn2_b64 vcc, exec, s[0:1]
	s_cbranch_vccnz .LBB127_1385
; %bb.1384:
	global_load_dword v5, v[10:11], off
	s_waitcnt vmcnt(0)
	v_cvt_f64_i32_e32 v[13:14], v5
.LBB127_1385:
	s_mov_b64 s[0:1], 0
.LBB127_1386:
	s_andn2_b64 vcc, exec, s[0:1]
	s_cbranch_vccnz .LBB127_1388
; %bb.1387:
	global_load_sshort v5, v[10:11], off
	s_waitcnt vmcnt(0)
	v_cvt_f64_i32_e32 v[13:14], v5
.LBB127_1388:
	s_mov_b64 s[0:1], 0
.LBB127_1389:
	s_andn2_b64 vcc, exec, s[0:1]
	s_cbranch_vccnz .LBB127_1395
; %bb.1390:
	s_cmp_gt_i32 s2, 0
	s_cbranch_scc0 .LBB127_1392
; %bb.1391:
	global_load_sbyte v5, v[10:11], off
	s_mov_b64 s[0:1], 0
	s_waitcnt vmcnt(0)
	v_cvt_f64_i32_e32 v[13:14], v5
	s_branch .LBB127_1393
.LBB127_1392:
	s_mov_b64 s[0:1], -1
                                        ; implicit-def: $vgpr13_vgpr14
.LBB127_1393:
	s_andn2_b64 vcc, exec, s[0:1]
	s_cbranch_vccnz .LBB127_1395
; %bb.1394:
	global_load_ubyte v5, v[10:11], off
	s_waitcnt vmcnt(0)
	v_cvt_f64_u32_e32 v[13:14], v5
.LBB127_1395:
.LBB127_1396:
	v_mov_b32_e32 v5, s11
	s_waitcnt vmcnt(0)
	v_add_co_u32_e32 v15, vcc, s10, v3
	s_cmp_lt_i32 s16, 11
	v_addc_co_u32_e32 v16, vcc, 0, v5, vcc
	s_cbranch_scc1 .LBB127_1403
; %bb.1397:
	s_and_b32 s17, 0xffff, s16
	s_cmp_gt_i32 s17, 25
	s_mov_b64 s[2:3], 0
	s_cbranch_scc0 .LBB127_1405
; %bb.1398:
	s_cmp_gt_i32 s17, 28
	s_cbranch_scc0 .LBB127_1406
; %bb.1399:
	s_cmp_gt_i32 s17, 43
	s_cbranch_scc0 .LBB127_1407
; %bb.1400:
	s_cmp_gt_i32 s17, 45
	s_cbranch_scc0 .LBB127_1409
; %bb.1401:
	s_cmp_eq_u32 s17, 46
	s_mov_b64 s[6:7], 0
	s_cbranch_scc0 .LBB127_1410
; %bb.1402:
	global_load_dword v3, v[15:16], off
	s_mov_b64 s[0:1], 0
	s_mov_b64 s[4:5], -1
	s_waitcnt vmcnt(0)
	v_lshlrev_b32_e32 v3, 16, v3
	v_cvt_f64_f32_e32 v[11:12], v3
	s_branch .LBB127_1411
.LBB127_1403:
	s_mov_b64 s[4:5], 0
                                        ; implicit-def: $vgpr11_vgpr12
	s_cbranch_execnz .LBB127_1477
.LBB127_1404:
	s_andn2_b64 vcc, exec, s[4:5]
	s_cbranch_vccnz .LBB127_2088
	s_branch .LBB127_1525
.LBB127_1405:
	s_mov_b64 s[6:7], -1
	s_mov_b64 s[4:5], 0
	s_mov_b64 s[0:1], 0
                                        ; implicit-def: $vgpr11_vgpr12
	s_branch .LBB127_1442
.LBB127_1406:
	s_mov_b64 s[6:7], -1
	s_mov_b64 s[4:5], 0
	s_mov_b64 s[0:1], 0
                                        ; implicit-def: $vgpr11_vgpr12
	s_branch .LBB127_1421
.LBB127_1407:
	s_mov_b64 s[6:7], -1
	s_mov_b64 s[4:5], 0
	s_mov_b64 s[0:1], 0
                                        ; implicit-def: $vgpr11_vgpr12
	s_branch .LBB127_1416
.LBB127_1408:
	s_trap 2
	s_or_b64 s[12:13], s[12:13], exec
	s_cbranch_execz .LBB127_1347
	s_branch .LBB127_1348
.LBB127_1409:
	s_mov_b64 s[6:7], -1
	s_mov_b64 s[4:5], 0
	s_mov_b64 s[0:1], 0
                                        ; implicit-def: $vgpr11_vgpr12
	s_branch .LBB127_1411
.LBB127_1410:
	s_mov_b64 s[0:1], -1
                                        ; implicit-def: $vgpr11_vgpr12
	s_mov_b64 s[4:5], 0
.LBB127_1411:
	s_and_b64 vcc, exec, s[6:7]
	s_cbranch_vccz .LBB127_1415
; %bb.1412:
	s_cmp_eq_u32 s17, 44
	s_cbranch_scc0 .LBB127_1414
; %bb.1413:
	global_load_ubyte v3, v[15:16], off
	s_movk_i32 s4, 0xff
	v_bfrev_b32_e32 v5, 4
	v_mov_b32_e32 v7, 0x7ff80000
	v_bfrev_b32_e32 v12, 28
	s_mov_b64 s[0:1], 0
	s_waitcnt vmcnt(0)
	v_lshlrev_b32_e32 v10, 23, v3
	v_cvt_f64_f32_e32 v[10:11], v10
	v_cmp_ne_u32_e32 vcc, s4, v3
	s_mov_b64 s[4:5], -1
	v_cndmask_b32_e32 v5, v5, v10, vcc
	v_cndmask_b32_e32 v7, v7, v11, vcc
	v_cmp_ne_u32_e32 vcc, 0, v3
	v_cndmask_b32_e32 v12, v12, v7, vcc
	v_cndmask_b32_e32 v11, 0, v5, vcc
	s_branch .LBB127_1415
.LBB127_1414:
	s_mov_b64 s[0:1], -1
                                        ; implicit-def: $vgpr11_vgpr12
.LBB127_1415:
	s_mov_b64 s[6:7], 0
.LBB127_1416:
	s_and_b64 vcc, exec, s[6:7]
	s_cbranch_vccz .LBB127_1420
; %bb.1417:
	s_cmp_eq_u32 s17, 29
	s_cbranch_scc0 .LBB127_1419
; %bb.1418:
	global_load_dwordx2 v[10:11], v[15:16], off
	s_mov_b64 s[0:1], 0
	s_mov_b64 s[4:5], -1
	s_mov_b64 s[6:7], 0
	s_waitcnt vmcnt(0)
	v_cvt_f64_u32_e32 v[11:12], v11
	v_cvt_f64_u32_e32 v[17:18], v10
	v_ldexp_f64 v[11:12], v[11:12], 32
	v_add_f64 v[11:12], v[11:12], v[17:18]
	s_branch .LBB127_1421
.LBB127_1419:
	s_mov_b64 s[0:1], -1
                                        ; implicit-def: $vgpr11_vgpr12
.LBB127_1420:
	s_mov_b64 s[6:7], 0
.LBB127_1421:
	s_and_b64 vcc, exec, s[6:7]
	s_cbranch_vccz .LBB127_1441
; %bb.1422:
	s_cmp_lt_i32 s17, 27
	s_cbranch_scc1 .LBB127_1425
; %bb.1423:
	s_cmp_gt_i32 s17, 27
	s_cbranch_scc0 .LBB127_1426
; %bb.1424:
	global_load_dword v3, v[15:16], off
	s_mov_b64 s[4:5], 0
	s_waitcnt vmcnt(0)
	v_cvt_f64_u32_e32 v[11:12], v3
	s_branch .LBB127_1427
.LBB127_1425:
	s_mov_b64 s[4:5], -1
                                        ; implicit-def: $vgpr11_vgpr12
	s_branch .LBB127_1430
.LBB127_1426:
	s_mov_b64 s[4:5], -1
                                        ; implicit-def: $vgpr11_vgpr12
.LBB127_1427:
	s_andn2_b64 vcc, exec, s[4:5]
	s_cbranch_vccnz .LBB127_1429
; %bb.1428:
	global_load_ushort v3, v[15:16], off
	s_waitcnt vmcnt(0)
	v_cvt_f64_u32_e32 v[11:12], v3
.LBB127_1429:
	s_mov_b64 s[4:5], 0
.LBB127_1430:
	s_andn2_b64 vcc, exec, s[4:5]
	s_cbranch_vccnz .LBB127_1440
; %bb.1431:
	global_load_ubyte v3, v[15:16], off
	s_movk_i32 s4, 0x7f
	s_waitcnt vmcnt(0)
	v_cmp_lt_i16_e32 vcc, s4, v3
	s_mov_b64 s[4:5], 0
	s_and_saveexec_b64 s[6:7], vcc
	s_xor_b64 s[6:7], exec, s[6:7]
	s_cbranch_execz .LBB127_1435
; %bb.1432:
	s_movk_i32 s4, 0x80
	v_cmp_eq_u16_e32 vcc, s4, v3
	s_mov_b64 s[4:5], -1
	s_and_saveexec_b64 s[14:15], vcc
; %bb.1433:
	s_xor_b64 s[4:5], exec, -1
; %bb.1434:
	s_or_b64 exec, exec, s[14:15]
	s_and_b64 s[4:5], s[4:5], exec
.LBB127_1435:
	s_or_saveexec_b64 s[6:7], s[6:7]
	v_bfrev_b32_e32 v11, 4
	v_mov_b32_e32 v12, 0x7ff80000
	s_xor_b64 exec, exec, s[6:7]
; %bb.1436:
	v_cmp_ne_u16_e32 vcc, 0, v3
	v_mov_b32_e32 v11, 0
	s_andn2_b64 s[4:5], s[4:5], exec
	s_and_b64 s[14:15], vcc, exec
	v_mov_b32_e32 v12, 0
	s_or_b64 s[4:5], s[4:5], s[14:15]
; %bb.1437:
	s_or_b64 exec, exec, s[6:7]
	s_and_saveexec_b64 s[6:7], s[4:5]
	s_cbranch_execz .LBB127_1439
; %bb.1438:
	v_lshlrev_b32_e32 v5, 24, v3
	v_and_b32_e32 v3, 0xffff, v3
	v_and_b32_e32 v7, 7, v3
	v_ffbh_u32_e32 v11, v7
	v_min_u32_e32 v11, 32, v11
	v_subrev_u32_e32 v12, 28, v11
	v_bfe_u32 v10, v3, 3, 4
	v_lshlrev_b32_e32 v3, v12, v3
	v_sub_u32_e32 v11, 29, v11
	v_and_b32_e32 v3, 7, v3
	v_cmp_eq_u32_e32 vcc, 0, v10
	v_cndmask_b32_e32 v10, v10, v11, vcc
	v_cndmask_b32_e32 v3, v7, v3, vcc
	v_mov_b32_e32 v7, 0x3b800000
	v_lshlrev_b32_e32 v3, 20, v3
	v_and_b32_e32 v5, 0x80000000, v5
	v_lshl_add_u32 v7, v10, 23, v7
	v_or3_b32 v3, v5, v7, v3
	v_cvt_f64_f32_e32 v[11:12], v3
.LBB127_1439:
	s_or_b64 exec, exec, s[6:7]
.LBB127_1440:
	s_mov_b64 s[4:5], -1
.LBB127_1441:
	s_mov_b64 s[6:7], 0
.LBB127_1442:
	s_and_b64 vcc, exec, s[6:7]
	s_cbranch_vccz .LBB127_1473
; %bb.1443:
	s_cmp_gt_i32 s17, 22
	s_cbranch_scc0 .LBB127_1455
; %bb.1444:
	s_cmp_lt_i32 s17, 24
	s_cbranch_scc1 .LBB127_1456
; %bb.1445:
	s_cmp_gt_i32 s17, 24
	s_cbranch_scc0 .LBB127_1457
; %bb.1446:
	global_load_ubyte v3, v[15:16], off
	s_movk_i32 s2, 0x7f
	s_waitcnt vmcnt(0)
	v_cmp_lt_i16_e32 vcc, s2, v3
	s_mov_b64 s[2:3], 0
	s_and_saveexec_b64 s[4:5], vcc
	s_xor_b64 s[4:5], exec, s[4:5]
	s_cbranch_execz .LBB127_1450
; %bb.1447:
	s_movk_i32 s2, 0x80
	v_cmp_eq_u16_e32 vcc, s2, v3
	s_mov_b64 s[2:3], -1
	s_and_saveexec_b64 s[6:7], vcc
; %bb.1448:
	s_xor_b64 s[2:3], exec, -1
; %bb.1449:
	s_or_b64 exec, exec, s[6:7]
	s_and_b64 s[2:3], s[2:3], exec
.LBB127_1450:
	s_or_saveexec_b64 s[4:5], s[4:5]
	v_bfrev_b32_e32 v11, 4
	v_mov_b32_e32 v12, 0x7ff80000
	s_xor_b64 exec, exec, s[4:5]
; %bb.1451:
	v_cmp_ne_u16_e32 vcc, 0, v3
	v_mov_b32_e32 v11, 0
	s_andn2_b64 s[2:3], s[2:3], exec
	s_and_b64 s[6:7], vcc, exec
	v_mov_b32_e32 v12, 0
	s_or_b64 s[2:3], s[2:3], s[6:7]
; %bb.1452:
	s_or_b64 exec, exec, s[4:5]
	s_and_saveexec_b64 s[4:5], s[2:3]
	s_cbranch_execz .LBB127_1454
; %bb.1453:
	v_lshlrev_b32_e32 v5, 24, v3
	v_and_b32_e32 v3, 0xffff, v3
	v_and_b32_e32 v7, 3, v3
	v_ffbh_u32_e32 v11, v7
	v_min_u32_e32 v11, 32, v11
	v_subrev_u32_e32 v12, 29, v11
	v_bfe_u32 v10, v3, 2, 5
	v_lshlrev_b32_e32 v3, v12, v3
	v_sub_u32_e32 v11, 30, v11
	v_and_b32_e32 v3, 3, v3
	v_cmp_eq_u32_e32 vcc, 0, v10
	v_cndmask_b32_e32 v10, v10, v11, vcc
	v_cndmask_b32_e32 v3, v7, v3, vcc
	v_mov_b32_e32 v7, 0x37800000
	v_lshlrev_b32_e32 v3, 21, v3
	v_and_b32_e32 v5, 0x80000000, v5
	v_lshl_add_u32 v7, v10, 23, v7
	v_or3_b32 v3, v5, v7, v3
	v_cvt_f64_f32_e32 v[11:12], v3
.LBB127_1454:
	s_or_b64 exec, exec, s[4:5]
	s_mov_b64 s[2:3], 0
	s_branch .LBB127_1458
.LBB127_1455:
	s_mov_b64 s[2:3], -1
                                        ; implicit-def: $vgpr11_vgpr12
	s_branch .LBB127_1464
.LBB127_1456:
	s_mov_b64 s[2:3], -1
                                        ; implicit-def: $vgpr11_vgpr12
	s_branch .LBB127_1461
.LBB127_1457:
	s_mov_b64 s[2:3], -1
                                        ; implicit-def: $vgpr11_vgpr12
.LBB127_1458:
	s_and_b64 vcc, exec, s[2:3]
	s_cbranch_vccz .LBB127_1460
; %bb.1459:
	global_load_ubyte v3, v[15:16], off
	s_mov_b32 s2, 0x7f800000
	s_waitcnt vmcnt(0)
	v_lshlrev_b32_e32 v3, 24, v3
	v_and_b32_e32 v5, 0x7f000000, v3
	v_ffbh_u32_e32 v7, v5
	v_min_u32_e32 v7, 32, v7
	v_sub_u32_e64 v7, v7, 4 clamp
	v_lshlrev_b32_e32 v11, v7, v5
	v_lshlrev_b32_e32 v7, 23, v7
	v_lshrrev_b32_e32 v11, 4, v11
	v_add_u32_e32 v10, 0x1000000, v5
	v_sub_u32_e32 v7, v11, v7
	v_ashrrev_i32_e32 v10, 8, v10
	v_add_u32_e32 v7, 0x3c000000, v7
	v_and_or_b32 v7, v10, s2, v7
	v_cmp_ne_u32_e32 vcc, 0, v5
	v_cndmask_b32_e32 v5, 0, v7, vcc
	s_brev_b32 s2, 1
	v_and_or_b32 v3, v3, s2, v5
	v_cvt_f64_f32_e32 v[11:12], v3
.LBB127_1460:
	s_mov_b64 s[2:3], 0
.LBB127_1461:
	s_andn2_b64 vcc, exec, s[2:3]
	s_cbranch_vccnz .LBB127_1463
; %bb.1462:
	global_load_ubyte v3, v[15:16], off
	s_movk_i32 s2, 0x7f00
	s_brev_b32 s3, 16
	s_waitcnt vmcnt(0)
	v_lshlrev_b16_e32 v5, 8, v3
	v_lshlrev_b32_e32 v3, 25, v3
	v_lshrrev_b32_e32 v7, 4, v3
	v_and_or_b32 v10, v5, s2, 0.5
	v_or_b32_e32 v7, 0x70000000, v7
	v_add_f32_e32 v10, -0.5, v10
	v_mul_f32_e32 v7, 0x7800000, v7
	v_cmp_gt_u32_e32 vcc, s3, v3
	v_bfe_i32 v5, v5, 0, 16
	v_cndmask_b32_e32 v3, v7, v10, vcc
	s_brev_b32 s2, 1
	v_and_or_b32 v3, v5, s2, v3
	v_cvt_f64_f32_e32 v[11:12], v3
.LBB127_1463:
	s_mov_b64 s[2:3], 0
	s_mov_b64 s[4:5], -1
.LBB127_1464:
	s_andn2_b64 vcc, exec, s[2:3]
	s_mov_b64 s[2:3], 0
	s_cbranch_vccnz .LBB127_1473
; %bb.1465:
	s_cmp_gt_i32 s17, 14
	s_cbranch_scc0 .LBB127_1468
; %bb.1466:
	s_cmp_eq_u32 s17, 15
	s_cbranch_scc0 .LBB127_1469
; %bb.1467:
	global_load_ushort v3, v[15:16], off
	s_mov_b64 s[0:1], 0
	s_mov_b64 s[4:5], -1
	s_waitcnt vmcnt(0)
	v_lshlrev_b32_e32 v3, 16, v3
	v_cvt_f64_f32_e32 v[11:12], v3
	s_branch .LBB127_1470
.LBB127_1468:
	s_mov_b64 s[6:7], -1
                                        ; implicit-def: $vgpr11_vgpr12
	s_branch .LBB127_1471
.LBB127_1469:
	s_mov_b64 s[0:1], -1
                                        ; implicit-def: $vgpr11_vgpr12
.LBB127_1470:
	s_mov_b64 s[6:7], 0
.LBB127_1471:
	s_and_b64 vcc, exec, s[6:7]
	s_cbranch_vccz .LBB127_1473
; %bb.1472:
	s_cmp_lg_u32 s17, 11
	s_mov_b64 s[2:3], -1
	s_cselect_b64 s[0:1], -1, 0
.LBB127_1473:
	s_and_b64 vcc, exec, s[0:1]
	s_cbranch_vccnz .LBB127_1536
; %bb.1474:
	s_andn2_b64 vcc, exec, s[2:3]
	s_cbranch_vccnz .LBB127_1476
.LBB127_1475:
	global_load_ubyte v3, v[15:16], off
	v_mov_b32_e32 v5, 0x3ff00000
	v_mov_b32_e32 v11, 0
	s_mov_b64 s[4:5], -1
	s_waitcnt vmcnt(0)
	v_cmp_ne_u16_e32 vcc, 0, v3
	v_cndmask_b32_e32 v12, 0, v5, vcc
.LBB127_1476:
	s_branch .LBB127_1404
.LBB127_1477:
	s_and_b32 s2, 0xffff, s16
	s_cmp_lt_i32 s2, 5
	s_cbranch_scc1 .LBB127_1482
; %bb.1478:
	s_cmp_lt_i32 s2, 8
	s_cbranch_scc1 .LBB127_1483
; %bb.1479:
	;; [unrolled: 3-line block ×3, first 2 shown]
	s_cmp_gt_i32 s2, 9
	s_cbranch_scc0 .LBB127_1485
; %bb.1481:
	global_load_dwordx2 v[11:12], v[15:16], off
	s_mov_b64 s[0:1], 0
	s_branch .LBB127_1486
.LBB127_1482:
	s_mov_b64 s[0:1], -1
                                        ; implicit-def: $vgpr11_vgpr12
	s_branch .LBB127_1504
.LBB127_1483:
	s_mov_b64 s[0:1], -1
                                        ; implicit-def: $vgpr11_vgpr12
	s_branch .LBB127_1492
.LBB127_1484:
	s_mov_b64 s[0:1], -1
                                        ; implicit-def: $vgpr11_vgpr12
	s_branch .LBB127_1489
.LBB127_1485:
	s_mov_b64 s[0:1], -1
                                        ; implicit-def: $vgpr11_vgpr12
.LBB127_1486:
	s_andn2_b64 vcc, exec, s[0:1]
	s_cbranch_vccnz .LBB127_1488
; %bb.1487:
	global_load_dword v3, v[15:16], off
	s_waitcnt vmcnt(0)
	v_cvt_f64_f32_e32 v[11:12], v3
.LBB127_1488:
	s_mov_b64 s[0:1], 0
.LBB127_1489:
	s_andn2_b64 vcc, exec, s[0:1]
	s_cbranch_vccnz .LBB127_1491
; %bb.1490:
	global_load_dword v3, v[15:16], off
	s_waitcnt vmcnt(0)
	v_cvt_f32_f16_e32 v3, v3
	v_cvt_f64_f32_e32 v[11:12], v3
.LBB127_1491:
	s_mov_b64 s[0:1], 0
.LBB127_1492:
	s_andn2_b64 vcc, exec, s[0:1]
	s_cbranch_vccnz .LBB127_1503
; %bb.1493:
	s_cmp_lt_i32 s2, 6
	s_cbranch_scc1 .LBB127_1496
; %bb.1494:
	s_cmp_gt_i32 s2, 6
	s_cbranch_scc0 .LBB127_1497
; %bb.1495:
	global_load_dwordx2 v[11:12], v[15:16], off
	s_mov_b64 s[0:1], 0
	s_branch .LBB127_1498
.LBB127_1496:
	s_mov_b64 s[0:1], -1
                                        ; implicit-def: $vgpr11_vgpr12
	s_branch .LBB127_1501
.LBB127_1497:
	s_mov_b64 s[0:1], -1
                                        ; implicit-def: $vgpr11_vgpr12
.LBB127_1498:
	s_andn2_b64 vcc, exec, s[0:1]
	s_cbranch_vccnz .LBB127_1500
; %bb.1499:
	global_load_dword v3, v[15:16], off
	s_waitcnt vmcnt(0)
	v_cvt_f64_f32_e32 v[11:12], v3
.LBB127_1500:
	s_mov_b64 s[0:1], 0
.LBB127_1501:
	s_andn2_b64 vcc, exec, s[0:1]
	s_cbranch_vccnz .LBB127_1503
; %bb.1502:
	global_load_ushort v3, v[15:16], off
	s_waitcnt vmcnt(0)
	v_cvt_f32_f16_e32 v3, v3
	v_cvt_f64_f32_e32 v[11:12], v3
.LBB127_1503:
	s_mov_b64 s[0:1], 0
.LBB127_1504:
	s_andn2_b64 vcc, exec, s[0:1]
	s_cbranch_vccnz .LBB127_1524
; %bb.1505:
	s_cmp_lt_i32 s2, 2
	s_cbranch_scc1 .LBB127_1509
; %bb.1506:
	s_cmp_lt_i32 s2, 3
	s_cbranch_scc1 .LBB127_1510
; %bb.1507:
	s_cmp_gt_i32 s2, 3
	s_cbranch_scc0 .LBB127_1511
; %bb.1508:
	global_load_dwordx2 v[10:11], v[15:16], off
	s_mov_b64 s[0:1], 0
	s_waitcnt vmcnt(0)
	v_cvt_f64_i32_e32 v[11:12], v11
	v_cvt_f64_u32_e32 v[17:18], v10
	v_ldexp_f64 v[11:12], v[11:12], 32
	v_add_f64 v[11:12], v[11:12], v[17:18]
	s_branch .LBB127_1512
.LBB127_1509:
	s_mov_b64 s[0:1], -1
                                        ; implicit-def: $vgpr11_vgpr12
	s_branch .LBB127_1518
.LBB127_1510:
	s_mov_b64 s[0:1], -1
                                        ; implicit-def: $vgpr11_vgpr12
	s_branch .LBB127_1515
.LBB127_1511:
	s_mov_b64 s[0:1], -1
                                        ; implicit-def: $vgpr11_vgpr12
.LBB127_1512:
	s_andn2_b64 vcc, exec, s[0:1]
	s_cbranch_vccnz .LBB127_1514
; %bb.1513:
	global_load_dword v3, v[15:16], off
	s_waitcnt vmcnt(0)
	v_cvt_f64_i32_e32 v[11:12], v3
.LBB127_1514:
	s_mov_b64 s[0:1], 0
.LBB127_1515:
	s_andn2_b64 vcc, exec, s[0:1]
	s_cbranch_vccnz .LBB127_1517
; %bb.1516:
	global_load_sshort v3, v[15:16], off
	s_waitcnt vmcnt(0)
	v_cvt_f64_i32_e32 v[11:12], v3
.LBB127_1517:
	s_mov_b64 s[0:1], 0
.LBB127_1518:
	s_andn2_b64 vcc, exec, s[0:1]
	s_cbranch_vccnz .LBB127_1524
; %bb.1519:
	s_cmp_gt_i32 s2, 0
	s_cbranch_scc0 .LBB127_1521
; %bb.1520:
	global_load_sbyte v3, v[15:16], off
	s_mov_b64 s[0:1], 0
	s_waitcnt vmcnt(0)
	v_cvt_f64_i32_e32 v[11:12], v3
	s_branch .LBB127_1522
.LBB127_1521:
	s_mov_b64 s[0:1], -1
                                        ; implicit-def: $vgpr11_vgpr12
.LBB127_1522:
	s_andn2_b64 vcc, exec, s[0:1]
	s_cbranch_vccnz .LBB127_1524
; %bb.1523:
	global_load_ubyte v3, v[15:16], off
	s_waitcnt vmcnt(0)
	v_cvt_f64_u32_e32 v[11:12], v3
.LBB127_1524:
.LBB127_1525:
	v_mov_b32_e32 v3, s11
	v_add_co_u32_e32 v15, vcc, s10, v9
	s_cmp_lt_i32 s16, 11
	v_addc_co_u32_e32 v16, vcc, 0, v3, vcc
	s_cbranch_scc1 .LBB127_1532
; %bb.1526:
	s_and_b32 s14, 0xffff, s16
	s_cmp_gt_i32 s14, 25
	s_mov_b64 s[2:3], 0
	s_cbranch_scc0 .LBB127_1533
; %bb.1527:
	s_cmp_gt_i32 s14, 28
	s_cbranch_scc0 .LBB127_1534
; %bb.1528:
	s_cmp_gt_i32 s14, 43
	;; [unrolled: 3-line block ×3, first 2 shown]
	s_cbranch_scc0 .LBB127_1537
; %bb.1530:
	s_cmp_eq_u32 s14, 46
	s_mov_b64 s[6:7], 0
	s_cbranch_scc0 .LBB127_1538
; %bb.1531:
	global_load_dword v3, v[15:16], off
	s_mov_b64 s[0:1], 0
	s_mov_b64 s[4:5], -1
	s_waitcnt vmcnt(0)
	v_lshlrev_b32_e32 v3, 16, v3
	v_cvt_f64_f32_e32 v[9:10], v3
	s_branch .LBB127_1539
.LBB127_1532:
	s_mov_b64 s[0:1], -1
	s_mov_b64 s[4:5], 0
                                        ; implicit-def: $vgpr9_vgpr10
	s_branch .LBB127_1605
.LBB127_1533:
	s_mov_b64 s[6:7], -1
	s_mov_b64 s[4:5], 0
	s_mov_b64 s[0:1], 0
                                        ; implicit-def: $vgpr9_vgpr10
	s_branch .LBB127_1570
.LBB127_1534:
	s_mov_b64 s[6:7], -1
	s_mov_b64 s[4:5], 0
	s_mov_b64 s[0:1], 0
                                        ; implicit-def: $vgpr9_vgpr10
	s_branch .LBB127_1549
.LBB127_1535:
	s_mov_b64 s[6:7], -1
	s_mov_b64 s[4:5], 0
	s_mov_b64 s[0:1], 0
                                        ; implicit-def: $vgpr9_vgpr10
	s_branch .LBB127_1544
.LBB127_1536:
	s_trap 2
	s_or_b64 s[12:13], s[12:13], exec
	s_cbranch_execz .LBB127_1475
	s_branch .LBB127_1476
.LBB127_1537:
	s_mov_b64 s[6:7], -1
	s_mov_b64 s[4:5], 0
	s_mov_b64 s[0:1], 0
                                        ; implicit-def: $vgpr9_vgpr10
	s_branch .LBB127_1539
.LBB127_1538:
	s_mov_b64 s[0:1], -1
                                        ; implicit-def: $vgpr9_vgpr10
	s_mov_b64 s[4:5], 0
.LBB127_1539:
	s_and_b64 vcc, exec, s[6:7]
	s_cbranch_vccz .LBB127_1543
; %bb.1540:
	s_cmp_eq_u32 s14, 44
	s_cbranch_scc0 .LBB127_1542
; %bb.1541:
	global_load_ubyte v3, v[15:16], off
	s_movk_i32 s4, 0xff
	v_bfrev_b32_e32 v5, 4
	v_mov_b32_e32 v7, 0x7ff80000
	v_bfrev_b32_e32 v17, 28
	s_mov_b64 s[0:1], 0
	s_waitcnt vmcnt(0)
	v_lshlrev_b32_e32 v9, 23, v3
	v_cvt_f64_f32_e32 v[9:10], v9
	v_cmp_ne_u32_e32 vcc, s4, v3
	s_mov_b64 s[4:5], -1
	v_cndmask_b32_e32 v5, v5, v9, vcc
	v_cndmask_b32_e32 v7, v7, v10, vcc
	v_cmp_ne_u32_e32 vcc, 0, v3
	v_cndmask_b32_e32 v10, v17, v7, vcc
	v_cndmask_b32_e32 v9, 0, v5, vcc
	s_branch .LBB127_1543
.LBB127_1542:
	s_mov_b64 s[0:1], -1
                                        ; implicit-def: $vgpr9_vgpr10
.LBB127_1543:
	s_mov_b64 s[6:7], 0
.LBB127_1544:
	s_and_b64 vcc, exec, s[6:7]
	s_cbranch_vccz .LBB127_1548
; %bb.1545:
	s_cmp_eq_u32 s14, 29
	s_cbranch_scc0 .LBB127_1547
; %bb.1546:
	global_load_dwordx2 v[9:10], v[15:16], off
	s_mov_b64 s[0:1], 0
	s_mov_b64 s[4:5], -1
	s_mov_b64 s[6:7], 0
	s_waitcnt vmcnt(0)
	v_cvt_f64_u32_e32 v[17:18], v10
	v_cvt_f64_u32_e32 v[9:10], v9
	v_ldexp_f64 v[17:18], v[17:18], 32
	v_add_f64 v[9:10], v[17:18], v[9:10]
	s_branch .LBB127_1549
.LBB127_1547:
	s_mov_b64 s[0:1], -1
                                        ; implicit-def: $vgpr9_vgpr10
.LBB127_1548:
	s_mov_b64 s[6:7], 0
.LBB127_1549:
	s_and_b64 vcc, exec, s[6:7]
	s_cbranch_vccz .LBB127_1569
; %bb.1550:
	s_cmp_lt_i32 s14, 27
	s_cbranch_scc1 .LBB127_1553
; %bb.1551:
	s_cmp_gt_i32 s14, 27
	s_cbranch_scc0 .LBB127_1554
; %bb.1552:
	global_load_dword v3, v[15:16], off
	s_mov_b64 s[4:5], 0
	s_waitcnt vmcnt(0)
	v_cvt_f64_u32_e32 v[9:10], v3
	s_branch .LBB127_1555
.LBB127_1553:
	s_mov_b64 s[4:5], -1
                                        ; implicit-def: $vgpr9_vgpr10
	s_branch .LBB127_1558
.LBB127_1554:
	s_mov_b64 s[4:5], -1
                                        ; implicit-def: $vgpr9_vgpr10
.LBB127_1555:
	s_andn2_b64 vcc, exec, s[4:5]
	s_cbranch_vccnz .LBB127_1557
; %bb.1556:
	global_load_ushort v3, v[15:16], off
	s_waitcnt vmcnt(0)
	v_cvt_f64_u32_e32 v[9:10], v3
.LBB127_1557:
	s_mov_b64 s[4:5], 0
.LBB127_1558:
	s_andn2_b64 vcc, exec, s[4:5]
	s_cbranch_vccnz .LBB127_1568
; %bb.1559:
	global_load_ubyte v3, v[15:16], off
	s_movk_i32 s4, 0x7f
	s_waitcnt vmcnt(0)
	v_cmp_lt_i16_e32 vcc, s4, v3
	s_mov_b64 s[4:5], 0
	s_and_saveexec_b64 s[6:7], vcc
	s_xor_b64 s[6:7], exec, s[6:7]
	s_cbranch_execz .LBB127_1563
; %bb.1560:
	s_movk_i32 s4, 0x80
	v_cmp_eq_u16_e32 vcc, s4, v3
	s_mov_b64 s[4:5], -1
	s_and_saveexec_b64 s[10:11], vcc
; %bb.1561:
	s_xor_b64 s[4:5], exec, -1
; %bb.1562:
	s_or_b64 exec, exec, s[10:11]
	s_and_b64 s[4:5], s[4:5], exec
.LBB127_1563:
	s_or_saveexec_b64 s[6:7], s[6:7]
	v_bfrev_b32_e32 v9, 4
	v_mov_b32_e32 v10, 0x7ff80000
	s_xor_b64 exec, exec, s[6:7]
; %bb.1564:
	v_cmp_ne_u16_e32 vcc, 0, v3
	v_mov_b32_e32 v9, 0
	s_andn2_b64 s[4:5], s[4:5], exec
	s_and_b64 s[10:11], vcc, exec
	v_mov_b32_e32 v10, 0
	s_or_b64 s[4:5], s[4:5], s[10:11]
; %bb.1565:
	s_or_b64 exec, exec, s[6:7]
	s_and_saveexec_b64 s[6:7], s[4:5]
	s_cbranch_execz .LBB127_1567
; %bb.1566:
	v_lshlrev_b32_e32 v5, 24, v3
	v_and_b32_e32 v3, 0xffff, v3
	v_and_b32_e32 v7, 7, v3
	v_ffbh_u32_e32 v10, v7
	v_min_u32_e32 v10, 32, v10
	v_subrev_u32_e32 v17, 28, v10
	v_bfe_u32 v9, v3, 3, 4
	v_lshlrev_b32_e32 v3, v17, v3
	v_sub_u32_e32 v10, 29, v10
	v_and_b32_e32 v3, 7, v3
	v_cmp_eq_u32_e32 vcc, 0, v9
	v_cndmask_b32_e32 v9, v9, v10, vcc
	v_cndmask_b32_e32 v3, v7, v3, vcc
	v_mov_b32_e32 v7, 0x3b800000
	v_lshlrev_b32_e32 v3, 20, v3
	v_and_b32_e32 v5, 0x80000000, v5
	v_lshl_add_u32 v7, v9, 23, v7
	v_or3_b32 v3, v5, v7, v3
	v_cvt_f64_f32_e32 v[9:10], v3
.LBB127_1567:
	s_or_b64 exec, exec, s[6:7]
.LBB127_1568:
	s_mov_b64 s[4:5], -1
.LBB127_1569:
	s_mov_b64 s[6:7], 0
.LBB127_1570:
	s_and_b64 vcc, exec, s[6:7]
	s_cbranch_vccz .LBB127_1601
; %bb.1571:
	s_cmp_gt_i32 s14, 22
	s_cbranch_scc0 .LBB127_1583
; %bb.1572:
	s_cmp_lt_i32 s14, 24
	s_cbranch_scc1 .LBB127_1584
; %bb.1573:
	s_cmp_gt_i32 s14, 24
	s_cbranch_scc0 .LBB127_1585
; %bb.1574:
	global_load_ubyte v3, v[15:16], off
	s_movk_i32 s2, 0x7f
	s_waitcnt vmcnt(0)
	v_cmp_lt_i16_e32 vcc, s2, v3
	s_mov_b64 s[2:3], 0
	s_and_saveexec_b64 s[4:5], vcc
	s_xor_b64 s[4:5], exec, s[4:5]
	s_cbranch_execz .LBB127_1578
; %bb.1575:
	s_movk_i32 s2, 0x80
	v_cmp_eq_u16_e32 vcc, s2, v3
	s_mov_b64 s[2:3], -1
	s_and_saveexec_b64 s[6:7], vcc
; %bb.1576:
	s_xor_b64 s[2:3], exec, -1
; %bb.1577:
	s_or_b64 exec, exec, s[6:7]
	s_and_b64 s[2:3], s[2:3], exec
.LBB127_1578:
	s_or_saveexec_b64 s[4:5], s[4:5]
	v_bfrev_b32_e32 v9, 4
	v_mov_b32_e32 v10, 0x7ff80000
	s_xor_b64 exec, exec, s[4:5]
; %bb.1579:
	v_cmp_ne_u16_e32 vcc, 0, v3
	v_mov_b32_e32 v9, 0
	s_andn2_b64 s[2:3], s[2:3], exec
	s_and_b64 s[6:7], vcc, exec
	v_mov_b32_e32 v10, 0
	s_or_b64 s[2:3], s[2:3], s[6:7]
; %bb.1580:
	s_or_b64 exec, exec, s[4:5]
	s_and_saveexec_b64 s[4:5], s[2:3]
	s_cbranch_execz .LBB127_1582
; %bb.1581:
	v_lshlrev_b32_e32 v5, 24, v3
	v_and_b32_e32 v3, 0xffff, v3
	v_and_b32_e32 v7, 3, v3
	v_ffbh_u32_e32 v10, v7
	v_min_u32_e32 v10, 32, v10
	v_subrev_u32_e32 v17, 29, v10
	v_bfe_u32 v9, v3, 2, 5
	v_lshlrev_b32_e32 v3, v17, v3
	v_sub_u32_e32 v10, 30, v10
	v_and_b32_e32 v3, 3, v3
	v_cmp_eq_u32_e32 vcc, 0, v9
	v_cndmask_b32_e32 v9, v9, v10, vcc
	v_cndmask_b32_e32 v3, v7, v3, vcc
	v_mov_b32_e32 v7, 0x37800000
	v_lshlrev_b32_e32 v3, 21, v3
	v_and_b32_e32 v5, 0x80000000, v5
	v_lshl_add_u32 v7, v9, 23, v7
	v_or3_b32 v3, v5, v7, v3
	v_cvt_f64_f32_e32 v[9:10], v3
.LBB127_1582:
	s_or_b64 exec, exec, s[4:5]
	s_mov_b64 s[2:3], 0
	s_branch .LBB127_1586
.LBB127_1583:
	s_mov_b64 s[2:3], -1
                                        ; implicit-def: $vgpr9_vgpr10
	s_branch .LBB127_1592
.LBB127_1584:
	s_mov_b64 s[2:3], -1
                                        ; implicit-def: $vgpr9_vgpr10
	s_branch .LBB127_1589
.LBB127_1585:
	s_mov_b64 s[2:3], -1
                                        ; implicit-def: $vgpr9_vgpr10
.LBB127_1586:
	s_and_b64 vcc, exec, s[2:3]
	s_cbranch_vccz .LBB127_1588
; %bb.1587:
	global_load_ubyte v3, v[15:16], off
	s_mov_b32 s2, 0x7f800000
	s_waitcnt vmcnt(0)
	v_lshlrev_b32_e32 v3, 24, v3
	v_and_b32_e32 v5, 0x7f000000, v3
	v_ffbh_u32_e32 v7, v5
	v_min_u32_e32 v7, 32, v7
	v_sub_u32_e64 v7, v7, 4 clamp
	v_lshlrev_b32_e32 v10, v7, v5
	v_lshlrev_b32_e32 v7, 23, v7
	v_lshrrev_b32_e32 v10, 4, v10
	v_add_u32_e32 v9, 0x1000000, v5
	v_sub_u32_e32 v7, v10, v7
	v_ashrrev_i32_e32 v9, 8, v9
	v_add_u32_e32 v7, 0x3c000000, v7
	v_and_or_b32 v7, v9, s2, v7
	v_cmp_ne_u32_e32 vcc, 0, v5
	v_cndmask_b32_e32 v5, 0, v7, vcc
	s_brev_b32 s2, 1
	v_and_or_b32 v3, v3, s2, v5
	v_cvt_f64_f32_e32 v[9:10], v3
.LBB127_1588:
	s_mov_b64 s[2:3], 0
.LBB127_1589:
	s_andn2_b64 vcc, exec, s[2:3]
	s_cbranch_vccnz .LBB127_1591
; %bb.1590:
	global_load_ubyte v3, v[15:16], off
	s_movk_i32 s2, 0x7f00
	s_brev_b32 s3, 16
	s_waitcnt vmcnt(0)
	v_lshlrev_b16_e32 v5, 8, v3
	v_lshlrev_b32_e32 v3, 25, v3
	v_lshrrev_b32_e32 v7, 4, v3
	v_and_or_b32 v9, v5, s2, 0.5
	v_or_b32_e32 v7, 0x70000000, v7
	v_add_f32_e32 v9, -0.5, v9
	v_mul_f32_e32 v7, 0x7800000, v7
	v_cmp_gt_u32_e32 vcc, s3, v3
	v_bfe_i32 v5, v5, 0, 16
	v_cndmask_b32_e32 v3, v7, v9, vcc
	s_brev_b32 s2, 1
	v_and_or_b32 v3, v5, s2, v3
	v_cvt_f64_f32_e32 v[9:10], v3
.LBB127_1591:
	s_mov_b64 s[2:3], 0
	s_mov_b64 s[4:5], -1
.LBB127_1592:
	s_andn2_b64 vcc, exec, s[2:3]
	s_mov_b64 s[2:3], 0
	s_cbranch_vccnz .LBB127_1601
; %bb.1593:
	s_cmp_gt_i32 s14, 14
	s_cbranch_scc0 .LBB127_1596
; %bb.1594:
	s_cmp_eq_u32 s14, 15
	s_cbranch_scc0 .LBB127_1597
; %bb.1595:
	global_load_ushort v3, v[15:16], off
	s_mov_b64 s[0:1], 0
	s_mov_b64 s[4:5], -1
	s_waitcnt vmcnt(0)
	v_lshlrev_b32_e32 v3, 16, v3
	v_cvt_f64_f32_e32 v[9:10], v3
	s_branch .LBB127_1598
.LBB127_1596:
	s_mov_b64 s[6:7], -1
                                        ; implicit-def: $vgpr9_vgpr10
	s_branch .LBB127_1599
.LBB127_1597:
	s_mov_b64 s[0:1], -1
                                        ; implicit-def: $vgpr9_vgpr10
.LBB127_1598:
	s_mov_b64 s[6:7], 0
.LBB127_1599:
	s_and_b64 vcc, exec, s[6:7]
	s_cbranch_vccz .LBB127_1601
; %bb.1600:
	s_cmp_lg_u32 s14, 11
	s_mov_b64 s[2:3], -1
	s_cselect_b64 s[0:1], -1, 0
.LBB127_1601:
	s_and_b64 vcc, exec, s[0:1]
	s_cbranch_vccnz .LBB127_2134
; %bb.1602:
	s_andn2_b64 vcc, exec, s[2:3]
	s_cbranch_vccnz .LBB127_1604
.LBB127_1603:
	global_load_ubyte v3, v[15:16], off
	v_mov_b32_e32 v5, 0x3ff00000
	v_mov_b32_e32 v9, 0
	s_mov_b64 s[4:5], -1
	s_waitcnt vmcnt(0)
	v_cmp_ne_u16_e32 vcc, 0, v3
	v_cndmask_b32_e32 v10, 0, v5, vcc
.LBB127_1604:
	s_mov_b64 s[0:1], 0
.LBB127_1605:
	s_and_b64 vcc, exec, s[0:1]
	s_cbranch_vccz .LBB127_1654
; %bb.1606:
	s_and_b32 s2, 0xffff, s16
	s_cmp_lt_i32 s2, 5
	s_cbranch_scc1 .LBB127_1611
; %bb.1607:
	s_cmp_lt_i32 s2, 8
	s_cbranch_scc1 .LBB127_1612
; %bb.1608:
	;; [unrolled: 3-line block ×3, first 2 shown]
	s_cmp_gt_i32 s2, 9
	s_cbranch_scc0 .LBB127_1614
; %bb.1610:
	global_load_dwordx2 v[9:10], v[15:16], off
	s_mov_b64 s[0:1], 0
	s_branch .LBB127_1615
.LBB127_1611:
	s_mov_b64 s[0:1], -1
                                        ; implicit-def: $vgpr9_vgpr10
	s_branch .LBB127_1633
.LBB127_1612:
	s_mov_b64 s[0:1], -1
                                        ; implicit-def: $vgpr9_vgpr10
	s_branch .LBB127_1621
.LBB127_1613:
	s_mov_b64 s[0:1], -1
                                        ; implicit-def: $vgpr9_vgpr10
	s_branch .LBB127_1618
.LBB127_1614:
	s_mov_b64 s[0:1], -1
                                        ; implicit-def: $vgpr9_vgpr10
.LBB127_1615:
	s_andn2_b64 vcc, exec, s[0:1]
	s_cbranch_vccnz .LBB127_1617
; %bb.1616:
	global_load_dword v3, v[15:16], off
	s_waitcnt vmcnt(0)
	v_cvt_f64_f32_e32 v[9:10], v3
.LBB127_1617:
	s_mov_b64 s[0:1], 0
.LBB127_1618:
	s_andn2_b64 vcc, exec, s[0:1]
	s_cbranch_vccnz .LBB127_1620
; %bb.1619:
	global_load_dword v3, v[15:16], off
	s_waitcnt vmcnt(0)
	v_cvt_f32_f16_e32 v3, v3
	v_cvt_f64_f32_e32 v[9:10], v3
.LBB127_1620:
	s_mov_b64 s[0:1], 0
.LBB127_1621:
	s_andn2_b64 vcc, exec, s[0:1]
	s_cbranch_vccnz .LBB127_1632
; %bb.1622:
	s_cmp_lt_i32 s2, 6
	s_cbranch_scc1 .LBB127_1625
; %bb.1623:
	s_cmp_gt_i32 s2, 6
	s_cbranch_scc0 .LBB127_1626
; %bb.1624:
	global_load_dwordx2 v[9:10], v[15:16], off
	s_mov_b64 s[0:1], 0
	s_branch .LBB127_1627
.LBB127_1625:
	s_mov_b64 s[0:1], -1
                                        ; implicit-def: $vgpr9_vgpr10
	s_branch .LBB127_1630
.LBB127_1626:
	s_mov_b64 s[0:1], -1
                                        ; implicit-def: $vgpr9_vgpr10
.LBB127_1627:
	s_andn2_b64 vcc, exec, s[0:1]
	s_cbranch_vccnz .LBB127_1629
; %bb.1628:
	global_load_dword v3, v[15:16], off
	s_waitcnt vmcnt(0)
	v_cvt_f64_f32_e32 v[9:10], v3
.LBB127_1629:
	s_mov_b64 s[0:1], 0
.LBB127_1630:
	s_andn2_b64 vcc, exec, s[0:1]
	s_cbranch_vccnz .LBB127_1632
; %bb.1631:
	global_load_ushort v3, v[15:16], off
	s_waitcnt vmcnt(0)
	v_cvt_f32_f16_e32 v3, v3
	v_cvt_f64_f32_e32 v[9:10], v3
.LBB127_1632:
	s_mov_b64 s[0:1], 0
.LBB127_1633:
	s_andn2_b64 vcc, exec, s[0:1]
	s_cbranch_vccnz .LBB127_1653
; %bb.1634:
	s_cmp_lt_i32 s2, 2
	s_cbranch_scc1 .LBB127_1638
; %bb.1635:
	s_cmp_lt_i32 s2, 3
	s_cbranch_scc1 .LBB127_1639
; %bb.1636:
	s_cmp_gt_i32 s2, 3
	s_cbranch_scc0 .LBB127_1640
; %bb.1637:
	global_load_dwordx2 v[9:10], v[15:16], off
	s_mov_b64 s[0:1], 0
	s_waitcnt vmcnt(0)
	v_cvt_f64_i32_e32 v[17:18], v10
	v_cvt_f64_u32_e32 v[9:10], v9
	v_ldexp_f64 v[17:18], v[17:18], 32
	v_add_f64 v[9:10], v[17:18], v[9:10]
	s_branch .LBB127_1641
.LBB127_1638:
	s_mov_b64 s[0:1], -1
                                        ; implicit-def: $vgpr9_vgpr10
	s_branch .LBB127_1647
.LBB127_1639:
	s_mov_b64 s[0:1], -1
                                        ; implicit-def: $vgpr9_vgpr10
	s_branch .LBB127_1644
.LBB127_1640:
	s_mov_b64 s[0:1], -1
                                        ; implicit-def: $vgpr9_vgpr10
.LBB127_1641:
	s_andn2_b64 vcc, exec, s[0:1]
	s_cbranch_vccnz .LBB127_1643
; %bb.1642:
	global_load_dword v3, v[15:16], off
	s_waitcnt vmcnt(0)
	v_cvt_f64_i32_e32 v[9:10], v3
.LBB127_1643:
	s_mov_b64 s[0:1], 0
.LBB127_1644:
	s_andn2_b64 vcc, exec, s[0:1]
	s_cbranch_vccnz .LBB127_1646
; %bb.1645:
	global_load_sshort v3, v[15:16], off
	s_waitcnt vmcnt(0)
	v_cvt_f64_i32_e32 v[9:10], v3
.LBB127_1646:
	s_mov_b64 s[0:1], 0
.LBB127_1647:
	s_andn2_b64 vcc, exec, s[0:1]
	s_cbranch_vccnz .LBB127_1653
; %bb.1648:
	s_cmp_gt_i32 s2, 0
	s_cbranch_scc0 .LBB127_1650
; %bb.1649:
	global_load_sbyte v3, v[15:16], off
	s_mov_b64 s[0:1], 0
	s_waitcnt vmcnt(0)
	v_cvt_f64_i32_e32 v[9:10], v3
	s_branch .LBB127_1651
.LBB127_1650:
	s_mov_b64 s[0:1], -1
                                        ; implicit-def: $vgpr9_vgpr10
.LBB127_1651:
	s_andn2_b64 vcc, exec, s[0:1]
	s_cbranch_vccnz .LBB127_1653
; %bb.1652:
	global_load_ubyte v3, v[15:16], off
	s_waitcnt vmcnt(0)
	v_cvt_f64_u32_e32 v[9:10], v3
.LBB127_1653:
	s_mov_b64 s[4:5], -1
.LBB127_1654:
	s_andn2_b64 vcc, exec, s[4:5]
	s_cbranch_vccnz .LBB127_2088
; %bb.1655:
	s_load_dwordx4 s[4:7], s[34:35], 0x158
	s_load_dwordx2 s[0:1], s[34:35], 0x168
	s_load_dword s2, s[34:35], 0x170
	v_mov_b32_e32 v5, s9
	s_waitcnt lgkmcnt(0)
	v_mov_b32_e32 v15, s4
	v_mov_b32_e32 v16, s5
	v_cmp_nle_f64_e64 s[0:1], s[0:1], v[15:16]
	v_mov_b32_e32 v3, s7
	s_and_b32 s18, s2, 0xff
	v_mov_b32_e32 v7, s6
	v_add_co_u32_e32 v15, vcc, s8, v2
	s_cmp_lt_i32 s18, 11
	v_addc_co_u32_e32 v16, vcc, 0, v5, vcc
	v_cndmask_b32_e64 v1, v3, v1, s[0:1]
	v_cndmask_b32_e64 v0, v7, v0, s[0:1]
	s_cbranch_scc1 .LBB127_1733
; %bb.1656:
	s_and_b32 s19, 0xffff, s18
	s_mov_b64 s[14:15], -1
	s_mov_b64 s[4:5], 0
	s_cmp_gt_i32 s19, 25
	s_mov_b64 s[10:11], 0
	s_mov_b64 s[2:3], 0
	s_cbranch_scc0 .LBB127_1689
; %bb.1657:
	s_cmp_gt_i32 s19, 28
	s_cbranch_scc0 .LBB127_1672
; %bb.1658:
	s_cmp_gt_i32 s19, 43
	;; [unrolled: 3-line block ×3, first 2 shown]
	s_cbranch_scc0 .LBB127_1662
; %bb.1660:
	s_mov_b64 s[2:3], -1
	s_mov_b64 s[14:15], 0
	s_cmp_eq_u32 s19, 46
	s_cbranch_scc0 .LBB127_1662
; %bb.1661:
	v_cvt_f32_f64_e32 v2, v[0:1]
	s_movk_i32 s2, 0x7fff
	v_mov_b32_e32 v3, 0x7fc0
	s_mov_b64 s[10:11], -1
	v_bfe_u32 v5, v2, 16, 1
	v_cmp_o_f32_e32 vcc, v2, v2
	v_add3_u32 v2, v2, v5, s2
	v_cndmask_b32_sdwa v2, v3, v2, vcc dst_sel:DWORD dst_unused:UNUSED_PAD src0_sel:DWORD src1_sel:WORD_1
	global_store_dword v[15:16], v2, off
	s_mov_b64 s[2:3], 0
.LBB127_1662:
	s_and_b64 vcc, exec, s[14:15]
	s_cbranch_vccz .LBB127_1667
; %bb.1663:
	s_cmp_eq_u32 s19, 44
	s_mov_b64 s[2:3], -1
	s_cbranch_scc0 .LBB127_1667
; %bb.1664:
	v_cvt_f32_f64_e32 v2, v[0:1]
	s_movk_i32 s2, 0xff
	v_mov_b32_e32 v5, 0xff
	v_bfe_u32 v3, v2, 23, 8
	v_cmp_ne_u32_e32 vcc, s2, v3
	s_and_saveexec_b64 s[10:11], vcc
; %bb.1665:
	s_mov_b32 s2, 0x3fffff
	v_lshrrev_b32_e32 v5, 23, v2
	v_and_b32_e32 v7, 0x400000, v2
	v_and_or_b32 v2, v2, s2, v3
	v_cmp_ne_u32_e32 vcc, 0, v7
	v_cmp_ne_u32_e64 s[2:3], 0, v2
	s_and_b64 s[2:3], vcc, s[2:3]
	v_cndmask_b32_e64 v2, 0, 1, s[2:3]
	v_add_u32_e32 v5, v5, v2
; %bb.1666:
	s_or_b64 exec, exec, s[10:11]
	s_mov_b64 s[2:3], 0
	s_mov_b64 s[10:11], -1
	global_store_byte v[15:16], v5, off
.LBB127_1667:
	s_mov_b64 s[14:15], 0
.LBB127_1668:
	s_and_b64 vcc, exec, s[14:15]
	s_cbranch_vccz .LBB127_1671
; %bb.1669:
	s_cmp_eq_u32 s19, 29
	s_mov_b64 s[2:3], -1
	s_cbranch_scc0 .LBB127_1671
; %bb.1670:
	v_trunc_f64_e32 v[2:3], v[0:1]
	s_movk_i32 s2, 0xffe0
	s_mov_b64 s[10:11], -1
	v_ldexp_f64 v[17:18], v[2:3], s2
	s_mov_b32 s2, 0
	s_mov_b32 s3, 0xc1f00000
	v_floor_f64_e32 v[17:18], v[17:18]
	v_fma_f64 v[2:3], v[17:18], s[2:3], v[2:3]
	v_cvt_u32_f64_e32 v18, v[17:18]
	s_mov_b64 s[2:3], 0
	v_cvt_u32_f64_e32 v17, v[2:3]
	global_store_dwordx2 v[15:16], v[17:18], off
.LBB127_1671:
	s_mov_b64 s[14:15], 0
.LBB127_1672:
	s_and_b64 vcc, exec, s[14:15]
	s_cbranch_vccz .LBB127_1688
; %bb.1673:
	s_cmp_lt_i32 s19, 27
	s_mov_b64 s[10:11], -1
	s_cbranch_scc1 .LBB127_1679
; %bb.1674:
	v_cvt_u32_f64_e32 v2, v[0:1]
	s_cmp_gt_i32 s19, 27
	s_cbranch_scc0 .LBB127_1676
; %bb.1675:
	s_mov_b64 s[10:11], 0
	global_store_dword v[15:16], v2, off
.LBB127_1676:
	s_andn2_b64 vcc, exec, s[10:11]
	s_cbranch_vccnz .LBB127_1678
; %bb.1677:
	global_store_short v[15:16], v2, off
.LBB127_1678:
	s_mov_b64 s[10:11], 0
.LBB127_1679:
	s_andn2_b64 vcc, exec, s[10:11]
	s_cbranch_vccnz .LBB127_1687
; %bb.1680:
	v_cvt_f32_f64_e32 v2, v[0:1]
	s_mov_b32 s10, 0x43800000
	v_mov_b32_e32 v5, 0x80
	v_and_b32_e32 v3, 0x7fffffff, v2
	v_cmp_gt_u32_e32 vcc, s10, v3
	s_and_saveexec_b64 s[10:11], vcc
	s_cbranch_execz .LBB127_1686
; %bb.1681:
	s_mov_b32 s14, 0x3bffffff
	v_cmp_lt_u32_e32 vcc, s14, v3
	s_mov_b64 s[14:15], 0
                                        ; implicit-def: $vgpr3
	s_and_saveexec_b64 s[16:17], vcc
	s_xor_b64 s[16:17], exec, s[16:17]
	s_cbranch_execz .LBB127_2135
; %bb.1682:
	v_bfe_u32 v3, v2, 20, 1
	s_mov_b32 s20, 0x487ffff
	v_add3_u32 v3, v2, v3, s20
	s_mov_b64 s[14:15], exec
	v_lshrrev_b32_e32 v3, 20, v3
	s_andn2_saveexec_b64 s[16:17], s[16:17]
	s_cbranch_execnz .LBB127_2136
.LBB127_1683:
	s_or_b64 exec, exec, s[16:17]
	v_mov_b32_e32 v5, 0
	s_and_saveexec_b64 s[16:17], s[14:15]
.LBB127_1684:
	v_lshrrev_b32_e32 v2, 24, v2
	s_movk_i32 s14, 0x80
	v_and_or_b32 v5, v2, s14, v3
.LBB127_1685:
	s_or_b64 exec, exec, s[16:17]
.LBB127_1686:
	s_or_b64 exec, exec, s[10:11]
	global_store_byte v[15:16], v5, off
.LBB127_1687:
	s_mov_b64 s[10:11], -1
.LBB127_1688:
	s_mov_b64 s[14:15], 0
.LBB127_1689:
	s_and_b64 vcc, exec, s[14:15]
	s_cbranch_vccz .LBB127_1729
; %bb.1690:
	s_cmp_gt_i32 s19, 22
	s_mov_b64 s[4:5], -1
	s_cbranch_scc0 .LBB127_1722
; %bb.1691:
	s_cmp_lt_i32 s19, 24
	s_cbranch_scc1 .LBB127_1711
; %bb.1692:
	s_cmp_gt_i32 s19, 24
	s_cbranch_scc0 .LBB127_1700
; %bb.1693:
	v_cvt_f32_f64_e32 v2, v[0:1]
	s_mov_b32 s4, 0x47800000
	v_mov_b32_e32 v5, 0x80
	v_and_b32_e32 v3, 0x7fffffff, v2
	v_cmp_gt_u32_e32 vcc, s4, v3
	s_and_saveexec_b64 s[4:5], vcc
	s_cbranch_execz .LBB127_1699
; %bb.1694:
	s_mov_b32 s10, 0x37ffffff
	v_cmp_lt_u32_e32 vcc, s10, v3
	s_mov_b64 s[10:11], 0
                                        ; implicit-def: $vgpr3
	s_and_saveexec_b64 s[14:15], vcc
	s_xor_b64 s[14:15], exec, s[14:15]
	s_cbranch_execz .LBB127_2138
; %bb.1695:
	v_bfe_u32 v3, v2, 21, 1
	s_mov_b32 s16, 0x88fffff
	v_add3_u32 v3, v2, v3, s16
	s_mov_b64 s[10:11], exec
	v_lshrrev_b32_e32 v3, 21, v3
	s_andn2_saveexec_b64 s[14:15], s[14:15]
	s_cbranch_execnz .LBB127_2139
.LBB127_1696:
	s_or_b64 exec, exec, s[14:15]
	v_mov_b32_e32 v5, 0
	s_and_saveexec_b64 s[14:15], s[10:11]
.LBB127_1697:
	v_lshrrev_b32_e32 v2, 24, v2
	s_movk_i32 s10, 0x80
	v_and_or_b32 v5, v2, s10, v3
.LBB127_1698:
	s_or_b64 exec, exec, s[14:15]
.LBB127_1699:
	s_or_b64 exec, exec, s[4:5]
	s_mov_b64 s[4:5], 0
	global_store_byte v[15:16], v5, off
.LBB127_1700:
	s_and_b64 vcc, exec, s[4:5]
	s_cbranch_vccz .LBB127_1710
; %bb.1701:
	v_cvt_f32_f64_e32 v2, v[0:1]
	s_mov_b32 s4, 0x43f00000
                                        ; implicit-def: $vgpr3
	v_and_b32_e32 v5, 0x7fffffff, v2
	v_cmp_gt_u32_e32 vcc, s4, v5
	s_and_saveexec_b64 s[4:5], vcc
	s_xor_b64 s[4:5], exec, s[4:5]
	s_cbranch_execz .LBB127_1707
; %bb.1702:
	s_mov_b32 s10, 0x3c7fffff
	v_cmp_lt_u32_e32 vcc, s10, v5
                                        ; implicit-def: $vgpr3
	s_and_saveexec_b64 s[10:11], vcc
	s_xor_b64 s[10:11], exec, s[10:11]
; %bb.1703:
	v_bfe_u32 v3, v2, 20, 1
	s_mov_b32 s14, 0x407ffff
	v_add3_u32 v3, v2, v3, s14
	v_lshrrev_b32_e32 v5, 20, v3
	v_and_b32_e32 v3, 0xff00000, v3
	s_mov_b32 s14, 0x7f00000
	v_mov_b32_e32 v7, 0x7e
	v_cmp_ne_u32_e32 vcc, s14, v3
	v_cndmask_b32_e32 v3, v7, v5, vcc
; %bb.1704:
	s_andn2_saveexec_b64 s[10:11], s[10:11]
; %bb.1705:
	s_mov_b32 s14, 0x46800000
	v_add_f32_e64 v3, |v2|, s14
; %bb.1706:
	s_or_b64 exec, exec, s[10:11]
                                        ; implicit-def: $vgpr5
.LBB127_1707:
	s_andn2_saveexec_b64 s[4:5], s[4:5]
; %bb.1708:
	s_mov_b32 s10, 0x7f800000
	v_mov_b32_e32 v3, 0x7e
	v_mov_b32_e32 v7, 0x7f
	v_cmp_lt_u32_e32 vcc, s10, v5
	v_cndmask_b32_e32 v3, v3, v7, vcc
; %bb.1709:
	s_or_b64 exec, exec, s[4:5]
	v_lshrrev_b32_e32 v2, 24, v2
	s_movk_i32 s4, 0x80
	v_and_or_b32 v2, v2, s4, v3
	global_store_byte v[15:16], v2, off
.LBB127_1710:
	s_mov_b64 s[4:5], 0
.LBB127_1711:
	s_andn2_b64 vcc, exec, s[4:5]
	s_cbranch_vccnz .LBB127_1721
; %bb.1712:
	v_cvt_f32_f64_e32 v2, v[0:1]
	s_mov_b32 s4, 0x47800000
                                        ; implicit-def: $vgpr3
	v_and_b32_e32 v5, 0x7fffffff, v2
	v_cmp_gt_u32_e32 vcc, s4, v5
	s_and_saveexec_b64 s[4:5], vcc
	s_xor_b64 s[4:5], exec, s[4:5]
	s_cbranch_execz .LBB127_1718
; %bb.1713:
	s_mov_b32 s10, 0x387fffff
	v_cmp_lt_u32_e32 vcc, s10, v5
                                        ; implicit-def: $vgpr3
	s_and_saveexec_b64 s[10:11], vcc
	s_xor_b64 s[10:11], exec, s[10:11]
; %bb.1714:
	v_bfe_u32 v3, v2, 21, 1
	s_mov_b32 s14, 0x80fffff
	v_add3_u32 v3, v2, v3, s14
	v_lshrrev_b32_e32 v3, 21, v3
; %bb.1715:
	s_andn2_saveexec_b64 s[10:11], s[10:11]
; %bb.1716:
	s_mov_b32 s14, 0x43000000
	v_add_f32_e64 v3, |v2|, s14
; %bb.1717:
	s_or_b64 exec, exec, s[10:11]
                                        ; implicit-def: $vgpr5
.LBB127_1718:
	s_andn2_saveexec_b64 s[4:5], s[4:5]
; %bb.1719:
	s_mov_b32 s10, 0x7f800000
	v_mov_b32_e32 v3, 0x7c
	v_mov_b32_e32 v7, 0x7f
	v_cmp_lt_u32_e32 vcc, s10, v5
	v_cndmask_b32_e32 v3, v3, v7, vcc
; %bb.1720:
	s_or_b64 exec, exec, s[4:5]
	v_lshrrev_b32_e32 v2, 24, v2
	s_movk_i32 s4, 0x80
	v_and_or_b32 v2, v2, s4, v3
	global_store_byte v[15:16], v2, off
.LBB127_1721:
	s_mov_b64 s[4:5], 0
	s_mov_b64 s[10:11], -1
.LBB127_1722:
	s_andn2_b64 vcc, exec, s[4:5]
	s_mov_b64 s[4:5], 0
	s_cbranch_vccnz .LBB127_1729
; %bb.1723:
	s_cmp_gt_i32 s19, 14
	s_mov_b64 s[14:15], -1
	s_cbranch_scc0 .LBB127_1727
; %bb.1724:
	s_cmp_eq_u32 s19, 15
	s_mov_b64 s[2:3], -1
	s_cbranch_scc0 .LBB127_1726
; %bb.1725:
	v_cvt_f32_f64_e32 v2, v[0:1]
	s_movk_i32 s2, 0x7fff
	v_mov_b32_e32 v3, 0x7fc0
	s_mov_b64 s[10:11], -1
	v_bfe_u32 v5, v2, 16, 1
	v_cmp_o_f32_e32 vcc, v2, v2
	v_add3_u32 v2, v2, v5, s2
	v_cndmask_b32_sdwa v2, v3, v2, vcc dst_sel:DWORD dst_unused:UNUSED_PAD src0_sel:DWORD src1_sel:WORD_1
	global_store_short v[15:16], v2, off
	s_mov_b64 s[2:3], 0
.LBB127_1726:
	s_mov_b64 s[14:15], 0
.LBB127_1727:
	s_and_b64 vcc, exec, s[14:15]
	s_cbranch_vccz .LBB127_1729
; %bb.1728:
	s_cmp_lg_u32 s19, 11
	s_mov_b64 s[4:5], -1
	s_cselect_b64 s[2:3], -1, 0
.LBB127_1729:
	s_and_b64 vcc, exec, s[2:3]
	s_cbranch_vccnz .LBB127_2137
; %bb.1730:
	s_andn2_b64 vcc, exec, s[4:5]
	s_cbranch_vccnz .LBB127_1732
.LBB127_1731:
	v_cmp_neq_f64_e32 vcc, 0, v[0:1]
	s_mov_b64 s[10:11], -1
	v_cndmask_b32_e64 v2, 0, 1, vcc
	global_store_byte v[15:16], v2, off
.LBB127_1732:
	s_mov_b64 s[2:3], 0
	s_branch .LBB127_1734
.LBB127_1733:
	s_mov_b64 s[2:3], -1
	s_mov_b64 s[10:11], 0
.LBB127_1734:
	s_and_b64 vcc, exec, s[2:3]
	s_cbranch_vccz .LBB127_1773
; %bb.1735:
	s_and_b32 s4, 0xffff, s18
	s_cmp_lt_i32 s4, 5
	s_mov_b64 s[2:3], -1
	s_cbranch_scc1 .LBB127_1756
; %bb.1736:
	s_cmp_lt_i32 s4, 8
	s_cbranch_scc1 .LBB127_1746
; %bb.1737:
	s_cmp_lt_i32 s4, 9
	s_cbranch_scc1 .LBB127_1743
; %bb.1738:
	s_cmp_gt_i32 s4, 9
	s_cbranch_scc0 .LBB127_1740
; %bb.1739:
	v_mov_b32_e32 v2, 0
	v_mov_b32_e32 v3, v2
	global_store_dwordx4 v[15:16], v[0:3], off
	s_mov_b64 s[2:3], 0
.LBB127_1740:
	s_andn2_b64 vcc, exec, s[2:3]
	s_cbranch_vccnz .LBB127_1742
; %bb.1741:
	v_cvt_f32_f64_e32 v2, v[0:1]
	v_mov_b32_e32 v3, 0
	global_store_dwordx2 v[15:16], v[2:3], off
.LBB127_1742:
	s_mov_b64 s[2:3], 0
.LBB127_1743:
	s_andn2_b64 vcc, exec, s[2:3]
	s_cbranch_vccnz .LBB127_1745
; %bb.1744:
	s_movk_i32 s2, 0x1ff
	v_and_or_b32 v2, v1, s2, v0
	v_cmp_ne_u32_e32 vcc, 0, v2
	v_cndmask_b32_e64 v2, 0, 1, vcc
	v_lshrrev_b32_e32 v3, 8, v1
	s_movk_i32 s2, 0xffe
	v_bfe_u32 v5, v1, 20, 11
	v_and_or_b32 v2, v3, s2, v2
	v_sub_u32_e32 v7, 0x3f1, v5
	v_or_b32_e32 v3, 0x1000, v2
	v_med3_i32 v7, v7, 0, 13
	v_lshrrev_b32_e32 v17, v7, v3
	v_lshlrev_b32_e32 v7, v7, v17
	v_cmp_ne_u32_e32 vcc, v7, v3
	v_cndmask_b32_e64 v3, 0, 1, vcc
	v_add_u32_e32 v5, 0xfffffc10, v5
	v_or_b32_e32 v3, v17, v3
	v_lshl_or_b32 v7, v5, 12, v2
	v_cmp_gt_i32_e32 vcc, 1, v5
	v_cndmask_b32_e32 v3, v7, v3, vcc
	v_and_b32_e32 v7, 7, v3
	v_cmp_lt_i32_e32 vcc, 5, v7
	v_cndmask_b32_e64 v17, 0, 1, vcc
	v_cmp_eq_u32_e32 vcc, 3, v7
	v_cndmask_b32_e64 v7, 0, 1, vcc
	v_or_b32_e32 v7, v7, v17
	v_lshrrev_b32_e32 v3, 2, v3
	v_add_u32_e32 v3, v3, v7
	v_mov_b32_e32 v7, 0x7c00
	v_cmp_gt_i32_e32 vcc, 31, v5
	v_cndmask_b32_e32 v3, v7, v3, vcc
	v_mov_b32_e32 v17, 0x7e00
	v_cmp_ne_u32_e32 vcc, 0, v2
	s_movk_i32 s2, 0x40f
	v_cndmask_b32_e32 v2, v7, v17, vcc
	v_cmp_eq_u32_e32 vcc, s2, v5
	v_cndmask_b32_e32 v2, v3, v2, vcc
	v_lshrrev_b32_e32 v3, 16, v1
	s_mov_b32 s2, 0x8000
	v_and_or_b32 v2, v3, s2, v2
	v_and_b32_e32 v2, 0xffff, v2
	global_store_dword v[15:16], v2, off
.LBB127_1745:
	s_mov_b64 s[2:3], 0
.LBB127_1746:
	s_andn2_b64 vcc, exec, s[2:3]
	s_cbranch_vccnz .LBB127_1755
; %bb.1747:
	s_cmp_lt_i32 s4, 6
	s_mov_b64 s[2:3], -1
	s_cbranch_scc1 .LBB127_1753
; %bb.1748:
	s_cmp_gt_i32 s4, 6
	s_cbranch_scc0 .LBB127_1750
; %bb.1749:
	global_store_dwordx2 v[15:16], v[0:1], off
	s_mov_b64 s[2:3], 0
.LBB127_1750:
	s_andn2_b64 vcc, exec, s[2:3]
	s_cbranch_vccnz .LBB127_1752
; %bb.1751:
	v_cvt_f32_f64_e32 v2, v[0:1]
	global_store_dword v[15:16], v2, off
.LBB127_1752:
	s_mov_b64 s[2:3], 0
.LBB127_1753:
	s_andn2_b64 vcc, exec, s[2:3]
	s_cbranch_vccnz .LBB127_1755
; %bb.1754:
	s_movk_i32 s2, 0x1ff
	v_and_or_b32 v2, v1, s2, v0
	v_cmp_ne_u32_e32 vcc, 0, v2
	v_cndmask_b32_e64 v2, 0, 1, vcc
	v_lshrrev_b32_e32 v3, 8, v1
	s_movk_i32 s2, 0xffe
	v_bfe_u32 v5, v1, 20, 11
	v_and_or_b32 v2, v3, s2, v2
	v_sub_u32_e32 v7, 0x3f1, v5
	v_or_b32_e32 v3, 0x1000, v2
	v_med3_i32 v7, v7, 0, 13
	v_lshrrev_b32_e32 v17, v7, v3
	v_lshlrev_b32_e32 v7, v7, v17
	v_cmp_ne_u32_e32 vcc, v7, v3
	v_cndmask_b32_e64 v3, 0, 1, vcc
	v_add_u32_e32 v5, 0xfffffc10, v5
	v_or_b32_e32 v3, v17, v3
	v_lshl_or_b32 v7, v5, 12, v2
	v_cmp_gt_i32_e32 vcc, 1, v5
	v_cndmask_b32_e32 v3, v7, v3, vcc
	v_and_b32_e32 v7, 7, v3
	v_cmp_lt_i32_e32 vcc, 5, v7
	v_cndmask_b32_e64 v17, 0, 1, vcc
	v_cmp_eq_u32_e32 vcc, 3, v7
	v_cndmask_b32_e64 v7, 0, 1, vcc
	v_or_b32_e32 v7, v7, v17
	v_lshrrev_b32_e32 v3, 2, v3
	v_add_u32_e32 v3, v3, v7
	v_mov_b32_e32 v7, 0x7c00
	v_cmp_gt_i32_e32 vcc, 31, v5
	v_cndmask_b32_e32 v3, v7, v3, vcc
	v_mov_b32_e32 v17, 0x7e00
	v_cmp_ne_u32_e32 vcc, 0, v2
	s_movk_i32 s2, 0x40f
	v_cndmask_b32_e32 v2, v7, v17, vcc
	v_cmp_eq_u32_e32 vcc, s2, v5
	v_cndmask_b32_e32 v2, v3, v2, vcc
	v_lshrrev_b32_e32 v3, 16, v1
	s_mov_b32 s2, 0x8000
	v_and_or_b32 v2, v3, s2, v2
	global_store_short v[15:16], v2, off
.LBB127_1755:
	s_mov_b64 s[2:3], 0
.LBB127_1756:
	s_andn2_b64 vcc, exec, s[2:3]
	s_cbranch_vccnz .LBB127_1772
; %bb.1757:
	s_cmp_lt_i32 s4, 2
	s_mov_b64 s[2:3], -1
	s_cbranch_scc1 .LBB127_1767
; %bb.1758:
	s_cmp_lt_i32 s4, 3
	s_cbranch_scc1 .LBB127_1764
; %bb.1759:
	s_cmp_gt_i32 s4, 3
	s_cbranch_scc0 .LBB127_1761
; %bb.1760:
	v_trunc_f64_e32 v[2:3], v[0:1]
	s_movk_i32 s2, 0xffe0
	v_ldexp_f64 v[17:18], v[2:3], s2
	s_mov_b32 s2, 0
	s_mov_b32 s3, 0xc1f00000
	v_floor_f64_e32 v[17:18], v[17:18]
	v_fma_f64 v[2:3], v[17:18], s[2:3], v[2:3]
	v_cvt_i32_f64_e32 v18, v[17:18]
	s_mov_b64 s[2:3], 0
	v_cvt_u32_f64_e32 v17, v[2:3]
	global_store_dwordx2 v[15:16], v[17:18], off
.LBB127_1761:
	s_andn2_b64 vcc, exec, s[2:3]
	s_cbranch_vccnz .LBB127_1763
; %bb.1762:
	v_cvt_i32_f64_e32 v2, v[0:1]
	global_store_dword v[15:16], v2, off
.LBB127_1763:
	s_mov_b64 s[2:3], 0
.LBB127_1764:
	s_andn2_b64 vcc, exec, s[2:3]
	s_cbranch_vccnz .LBB127_1766
; %bb.1765:
	v_cvt_i32_f64_e32 v2, v[0:1]
	global_store_short v[15:16], v2, off
.LBB127_1766:
	s_mov_b64 s[2:3], 0
.LBB127_1767:
	s_andn2_b64 vcc, exec, s[2:3]
	s_cbranch_vccnz .LBB127_1772
; %bb.1768:
	s_cmp_gt_i32 s4, 0
	s_mov_b64 s[2:3], -1
	s_cbranch_scc0 .LBB127_1770
; %bb.1769:
	v_cvt_i32_f64_e32 v2, v[0:1]
	s_mov_b64 s[2:3], 0
	global_store_byte v[15:16], v2, off
.LBB127_1770:
	s_andn2_b64 vcc, exec, s[2:3]
	s_cbranch_vccnz .LBB127_1772
; %bb.1771:
	v_trunc_f64_e32 v[0:1], v[0:1]
	s_movk_i32 s2, 0xffe0
	v_ldexp_f64 v[2:3], v[0:1], s2
	s_mov_b32 s2, 0
	s_mov_b32 s3, 0xc1f00000
	v_floor_f64_e32 v[2:3], v[2:3]
	v_fma_f64 v[0:1], v[2:3], s[2:3], v[0:1]
	v_cvt_u32_f64_e32 v0, v[0:1]
	global_store_byte v[15:16], v0, off
.LBB127_1772:
	s_mov_b64 s[10:11], -1
.LBB127_1773:
	s_andn2_b64 vcc, exec, s[10:11]
	s_cbranch_vccnz .LBB127_2088
; %bb.1774:
	v_mov_b32_e32 v0, s7
	v_cndmask_b32_e64 v1, v0, v14, s[0:1]
	v_mov_b32_e32 v0, s6
	v_mov_b32_e32 v2, s9
	s_and_b32 s19, 0xffff, s18
	v_add_co_u32_e32 v7, vcc, s8, v8
	v_cndmask_b32_e64 v0, v0, v13, s[0:1]
	s_cmp_lt_i32 s19, 11
	v_addc_co_u32_e32 v8, vcc, 0, v2, vcc
	s_cbranch_scc1 .LBB127_1852
; %bb.1775:
	s_mov_b64 s[14:15], -1
	s_mov_b64 s[4:5], 0
	s_cmp_gt_i32 s19, 25
	s_mov_b64 s[10:11], 0
	s_mov_b64 s[2:3], 0
	s_cbranch_scc0 .LBB127_1808
; %bb.1776:
	s_cmp_gt_i32 s19, 28
	s_cbranch_scc0 .LBB127_1791
; %bb.1777:
	s_cmp_gt_i32 s19, 43
	;; [unrolled: 3-line block ×3, first 2 shown]
	s_cbranch_scc0 .LBB127_1781
; %bb.1779:
	s_mov_b64 s[2:3], -1
	s_mov_b64 s[14:15], 0
	s_cmp_eq_u32 s19, 46
	s_cbranch_scc0 .LBB127_1781
; %bb.1780:
	v_cvt_f32_f64_e32 v2, v[0:1]
	s_movk_i32 s2, 0x7fff
	v_mov_b32_e32 v3, 0x7fc0
	s_mov_b64 s[10:11], -1
	v_bfe_u32 v5, v2, 16, 1
	v_cmp_o_f32_e32 vcc, v2, v2
	v_add3_u32 v2, v2, v5, s2
	v_cndmask_b32_sdwa v2, v3, v2, vcc dst_sel:DWORD dst_unused:UNUSED_PAD src0_sel:DWORD src1_sel:WORD_1
	global_store_dword v[7:8], v2, off
	s_mov_b64 s[2:3], 0
.LBB127_1781:
	s_and_b64 vcc, exec, s[14:15]
	s_cbranch_vccz .LBB127_1786
; %bb.1782:
	s_cmp_eq_u32 s19, 44
	s_mov_b64 s[2:3], -1
	s_cbranch_scc0 .LBB127_1786
; %bb.1783:
	v_cvt_f32_f64_e32 v2, v[0:1]
	s_movk_i32 s2, 0xff
	v_mov_b32_e32 v5, 0xff
	v_bfe_u32 v3, v2, 23, 8
	v_cmp_ne_u32_e32 vcc, s2, v3
	s_and_saveexec_b64 s[10:11], vcc
; %bb.1784:
	s_mov_b32 s2, 0x3fffff
	v_lshrrev_b32_e32 v5, 23, v2
	v_and_b32_e32 v13, 0x400000, v2
	v_and_or_b32 v2, v2, s2, v3
	v_cmp_ne_u32_e32 vcc, 0, v13
	v_cmp_ne_u32_e64 s[2:3], 0, v2
	s_and_b64 s[2:3], vcc, s[2:3]
	v_cndmask_b32_e64 v2, 0, 1, s[2:3]
	v_add_u32_e32 v5, v5, v2
; %bb.1785:
	s_or_b64 exec, exec, s[10:11]
	s_mov_b64 s[2:3], 0
	s_mov_b64 s[10:11], -1
	global_store_byte v[7:8], v5, off
.LBB127_1786:
	s_mov_b64 s[14:15], 0
.LBB127_1787:
	s_and_b64 vcc, exec, s[14:15]
	s_cbranch_vccz .LBB127_1790
; %bb.1788:
	s_cmp_eq_u32 s19, 29
	s_mov_b64 s[2:3], -1
	s_cbranch_scc0 .LBB127_1790
; %bb.1789:
	v_trunc_f64_e32 v[2:3], v[0:1]
	s_movk_i32 s2, 0xffe0
	s_mov_b64 s[10:11], -1
	v_ldexp_f64 v[13:14], v[2:3], s2
	s_mov_b32 s2, 0
	s_mov_b32 s3, 0xc1f00000
	v_floor_f64_e32 v[13:14], v[13:14]
	v_fma_f64 v[2:3], v[13:14], s[2:3], v[2:3]
	v_cvt_u32_f64_e32 v14, v[13:14]
	s_mov_b64 s[2:3], 0
	v_cvt_u32_f64_e32 v13, v[2:3]
	global_store_dwordx2 v[7:8], v[13:14], off
.LBB127_1790:
	s_mov_b64 s[14:15], 0
.LBB127_1791:
	s_and_b64 vcc, exec, s[14:15]
	s_cbranch_vccz .LBB127_1807
; %bb.1792:
	s_cmp_lt_i32 s19, 27
	s_mov_b64 s[10:11], -1
	s_cbranch_scc1 .LBB127_1798
; %bb.1793:
	s_cmp_gt_i32 s19, 27
	s_cbranch_scc0 .LBB127_1795
; %bb.1794:
	v_cvt_u32_f64_e32 v2, v[0:1]
	s_mov_b64 s[10:11], 0
	global_store_dword v[7:8], v2, off
.LBB127_1795:
	s_andn2_b64 vcc, exec, s[10:11]
	s_cbranch_vccnz .LBB127_1797
; %bb.1796:
	v_cvt_u32_f64_e32 v2, v[0:1]
	global_store_short v[7:8], v2, off
.LBB127_1797:
	s_mov_b64 s[10:11], 0
.LBB127_1798:
	s_andn2_b64 vcc, exec, s[10:11]
	s_cbranch_vccnz .LBB127_1806
; %bb.1799:
	v_cvt_f32_f64_e32 v2, v[0:1]
	s_mov_b32 s10, 0x43800000
	v_mov_b32_e32 v5, 0x80
	v_and_b32_e32 v3, 0x7fffffff, v2
	v_cmp_gt_u32_e32 vcc, s10, v3
	s_and_saveexec_b64 s[10:11], vcc
	s_cbranch_execz .LBB127_1805
; %bb.1800:
	s_mov_b32 s14, 0x3bffffff
	v_cmp_lt_u32_e32 vcc, s14, v3
	s_mov_b64 s[14:15], 0
                                        ; implicit-def: $vgpr3
	s_and_saveexec_b64 s[16:17], vcc
	s_xor_b64 s[16:17], exec, s[16:17]
	s_cbranch_execz .LBB127_2140
; %bb.1801:
	v_bfe_u32 v3, v2, 20, 1
	s_mov_b32 s20, 0x487ffff
	v_add3_u32 v3, v2, v3, s20
	s_mov_b64 s[14:15], exec
	v_lshrrev_b32_e32 v3, 20, v3
	s_andn2_saveexec_b64 s[16:17], s[16:17]
	s_cbranch_execnz .LBB127_2141
.LBB127_1802:
	s_or_b64 exec, exec, s[16:17]
	v_mov_b32_e32 v5, 0
	s_and_saveexec_b64 s[16:17], s[14:15]
.LBB127_1803:
	v_lshrrev_b32_e32 v2, 24, v2
	s_movk_i32 s14, 0x80
	v_and_or_b32 v5, v2, s14, v3
.LBB127_1804:
	s_or_b64 exec, exec, s[16:17]
.LBB127_1805:
	s_or_b64 exec, exec, s[10:11]
	global_store_byte v[7:8], v5, off
.LBB127_1806:
	s_mov_b64 s[10:11], -1
.LBB127_1807:
	s_mov_b64 s[14:15], 0
.LBB127_1808:
	s_and_b64 vcc, exec, s[14:15]
	s_cbranch_vccz .LBB127_1848
; %bb.1809:
	s_cmp_gt_i32 s19, 22
	s_mov_b64 s[4:5], -1
	s_cbranch_scc0 .LBB127_1841
; %bb.1810:
	s_cmp_lt_i32 s19, 24
	s_cbranch_scc1 .LBB127_1830
; %bb.1811:
	s_cmp_gt_i32 s19, 24
	s_cbranch_scc0 .LBB127_1819
; %bb.1812:
	v_cvt_f32_f64_e32 v2, v[0:1]
	s_mov_b32 s4, 0x47800000
	v_mov_b32_e32 v5, 0x80
	v_and_b32_e32 v3, 0x7fffffff, v2
	v_cmp_gt_u32_e32 vcc, s4, v3
	s_and_saveexec_b64 s[4:5], vcc
	s_cbranch_execz .LBB127_1818
; %bb.1813:
	s_mov_b32 s10, 0x37ffffff
	v_cmp_lt_u32_e32 vcc, s10, v3
	s_mov_b64 s[10:11], 0
                                        ; implicit-def: $vgpr3
	s_and_saveexec_b64 s[14:15], vcc
	s_xor_b64 s[14:15], exec, s[14:15]
	s_cbranch_execz .LBB127_2143
; %bb.1814:
	v_bfe_u32 v3, v2, 21, 1
	s_mov_b32 s16, 0x88fffff
	v_add3_u32 v3, v2, v3, s16
	s_mov_b64 s[10:11], exec
	v_lshrrev_b32_e32 v3, 21, v3
	s_andn2_saveexec_b64 s[14:15], s[14:15]
	s_cbranch_execnz .LBB127_2144
.LBB127_1815:
	s_or_b64 exec, exec, s[14:15]
	v_mov_b32_e32 v5, 0
	s_and_saveexec_b64 s[14:15], s[10:11]
.LBB127_1816:
	v_lshrrev_b32_e32 v2, 24, v2
	s_movk_i32 s10, 0x80
	v_and_or_b32 v5, v2, s10, v3
.LBB127_1817:
	s_or_b64 exec, exec, s[14:15]
.LBB127_1818:
	s_or_b64 exec, exec, s[4:5]
	s_mov_b64 s[4:5], 0
	global_store_byte v[7:8], v5, off
.LBB127_1819:
	s_and_b64 vcc, exec, s[4:5]
	s_cbranch_vccz .LBB127_1829
; %bb.1820:
	v_cvt_f32_f64_e32 v2, v[0:1]
	s_mov_b32 s4, 0x43f00000
                                        ; implicit-def: $vgpr3
	v_and_b32_e32 v5, 0x7fffffff, v2
	v_cmp_gt_u32_e32 vcc, s4, v5
	s_and_saveexec_b64 s[4:5], vcc
	s_xor_b64 s[4:5], exec, s[4:5]
	s_cbranch_execz .LBB127_1826
; %bb.1821:
	s_mov_b32 s10, 0x3c7fffff
	v_cmp_lt_u32_e32 vcc, s10, v5
                                        ; implicit-def: $vgpr3
	s_and_saveexec_b64 s[10:11], vcc
	s_xor_b64 s[10:11], exec, s[10:11]
; %bb.1822:
	v_bfe_u32 v3, v2, 20, 1
	s_mov_b32 s14, 0x407ffff
	v_add3_u32 v3, v2, v3, s14
	v_lshrrev_b32_e32 v5, 20, v3
	v_and_b32_e32 v3, 0xff00000, v3
	s_mov_b32 s14, 0x7f00000
	v_mov_b32_e32 v13, 0x7e
	v_cmp_ne_u32_e32 vcc, s14, v3
	v_cndmask_b32_e32 v3, v13, v5, vcc
; %bb.1823:
	s_andn2_saveexec_b64 s[10:11], s[10:11]
; %bb.1824:
	s_mov_b32 s14, 0x46800000
	v_add_f32_e64 v3, |v2|, s14
; %bb.1825:
	s_or_b64 exec, exec, s[10:11]
                                        ; implicit-def: $vgpr5
.LBB127_1826:
	s_andn2_saveexec_b64 s[4:5], s[4:5]
; %bb.1827:
	s_mov_b32 s10, 0x7f800000
	v_mov_b32_e32 v3, 0x7e
	v_mov_b32_e32 v13, 0x7f
	v_cmp_lt_u32_e32 vcc, s10, v5
	v_cndmask_b32_e32 v3, v3, v13, vcc
; %bb.1828:
	s_or_b64 exec, exec, s[4:5]
	v_lshrrev_b32_e32 v2, 24, v2
	s_movk_i32 s4, 0x80
	v_and_or_b32 v2, v2, s4, v3
	global_store_byte v[7:8], v2, off
.LBB127_1829:
	s_mov_b64 s[4:5], 0
.LBB127_1830:
	s_andn2_b64 vcc, exec, s[4:5]
	s_cbranch_vccnz .LBB127_1840
; %bb.1831:
	v_cvt_f32_f64_e32 v2, v[0:1]
	s_mov_b32 s4, 0x47800000
                                        ; implicit-def: $vgpr3
	v_and_b32_e32 v5, 0x7fffffff, v2
	v_cmp_gt_u32_e32 vcc, s4, v5
	s_and_saveexec_b64 s[4:5], vcc
	s_xor_b64 s[4:5], exec, s[4:5]
	s_cbranch_execz .LBB127_1837
; %bb.1832:
	s_mov_b32 s10, 0x387fffff
	v_cmp_lt_u32_e32 vcc, s10, v5
                                        ; implicit-def: $vgpr3
	s_and_saveexec_b64 s[10:11], vcc
	s_xor_b64 s[10:11], exec, s[10:11]
; %bb.1833:
	v_bfe_u32 v3, v2, 21, 1
	s_mov_b32 s14, 0x80fffff
	v_add3_u32 v3, v2, v3, s14
	v_lshrrev_b32_e32 v3, 21, v3
; %bb.1834:
	s_andn2_saveexec_b64 s[10:11], s[10:11]
; %bb.1835:
	s_mov_b32 s14, 0x43000000
	v_add_f32_e64 v3, |v2|, s14
; %bb.1836:
	s_or_b64 exec, exec, s[10:11]
                                        ; implicit-def: $vgpr5
.LBB127_1837:
	s_andn2_saveexec_b64 s[4:5], s[4:5]
; %bb.1838:
	s_mov_b32 s10, 0x7f800000
	v_mov_b32_e32 v3, 0x7c
	v_mov_b32_e32 v13, 0x7f
	v_cmp_lt_u32_e32 vcc, s10, v5
	v_cndmask_b32_e32 v3, v3, v13, vcc
; %bb.1839:
	s_or_b64 exec, exec, s[4:5]
	v_lshrrev_b32_e32 v2, 24, v2
	s_movk_i32 s4, 0x80
	v_and_or_b32 v2, v2, s4, v3
	global_store_byte v[7:8], v2, off
.LBB127_1840:
	s_mov_b64 s[4:5], 0
	s_mov_b64 s[10:11], -1
.LBB127_1841:
	s_andn2_b64 vcc, exec, s[4:5]
	s_mov_b64 s[4:5], 0
	s_cbranch_vccnz .LBB127_1848
; %bb.1842:
	s_cmp_gt_i32 s19, 14
	s_mov_b64 s[14:15], -1
	s_cbranch_scc0 .LBB127_1846
; %bb.1843:
	s_cmp_eq_u32 s19, 15
	s_mov_b64 s[2:3], -1
	s_cbranch_scc0 .LBB127_1845
; %bb.1844:
	v_cvt_f32_f64_e32 v2, v[0:1]
	s_movk_i32 s2, 0x7fff
	v_mov_b32_e32 v3, 0x7fc0
	s_mov_b64 s[10:11], -1
	v_bfe_u32 v5, v2, 16, 1
	v_cmp_o_f32_e32 vcc, v2, v2
	v_add3_u32 v2, v2, v5, s2
	v_cndmask_b32_sdwa v2, v3, v2, vcc dst_sel:DWORD dst_unused:UNUSED_PAD src0_sel:DWORD src1_sel:WORD_1
	global_store_short v[7:8], v2, off
	s_mov_b64 s[2:3], 0
.LBB127_1845:
	s_mov_b64 s[14:15], 0
.LBB127_1846:
	s_and_b64 vcc, exec, s[14:15]
	s_cbranch_vccz .LBB127_1848
; %bb.1847:
	s_cmp_lg_u32 s19, 11
	s_mov_b64 s[4:5], -1
	s_cselect_b64 s[2:3], -1, 0
.LBB127_1848:
	s_and_b64 vcc, exec, s[2:3]
	s_cbranch_vccnz .LBB127_2142
; %bb.1849:
	s_andn2_b64 vcc, exec, s[4:5]
	s_cbranch_vccnz .LBB127_1851
.LBB127_1850:
	v_cmp_neq_f64_e32 vcc, 0, v[0:1]
	s_mov_b64 s[10:11], -1
	v_cndmask_b32_e64 v2, 0, 1, vcc
	global_store_byte v[7:8], v2, off
.LBB127_1851:
	s_mov_b64 s[2:3], 0
	s_branch .LBB127_1853
.LBB127_1852:
	s_mov_b64 s[2:3], -1
	s_mov_b64 s[10:11], 0
.LBB127_1853:
	s_and_b64 vcc, exec, s[2:3]
	s_cbranch_vccz .LBB127_1892
; %bb.1854:
	s_cmp_lt_i32 s19, 5
	s_mov_b64 s[2:3], -1
	s_cbranch_scc1 .LBB127_1875
; %bb.1855:
	s_cmp_lt_i32 s19, 8
	s_cbranch_scc1 .LBB127_1865
; %bb.1856:
	s_cmp_lt_i32 s19, 9
	s_cbranch_scc1 .LBB127_1862
; %bb.1857:
	s_cmp_gt_i32 s19, 9
	s_cbranch_scc0 .LBB127_1859
; %bb.1858:
	v_mov_b32_e32 v2, 0
	v_mov_b32_e32 v3, v2
	global_store_dwordx4 v[7:8], v[0:3], off
	s_mov_b64 s[2:3], 0
.LBB127_1859:
	s_andn2_b64 vcc, exec, s[2:3]
	s_cbranch_vccnz .LBB127_1861
; %bb.1860:
	v_cvt_f32_f64_e32 v2, v[0:1]
	v_mov_b32_e32 v3, 0
	global_store_dwordx2 v[7:8], v[2:3], off
.LBB127_1861:
	s_mov_b64 s[2:3], 0
.LBB127_1862:
	s_andn2_b64 vcc, exec, s[2:3]
	s_cbranch_vccnz .LBB127_1864
; %bb.1863:
	s_movk_i32 s2, 0x1ff
	v_and_or_b32 v2, v1, s2, v0
	v_cmp_ne_u32_e32 vcc, 0, v2
	v_cndmask_b32_e64 v2, 0, 1, vcc
	v_lshrrev_b32_e32 v3, 8, v1
	s_movk_i32 s2, 0xffe
	v_bfe_u32 v5, v1, 20, 11
	v_and_or_b32 v2, v3, s2, v2
	v_sub_u32_e32 v13, 0x3f1, v5
	v_or_b32_e32 v3, 0x1000, v2
	v_med3_i32 v13, v13, 0, 13
	v_lshrrev_b32_e32 v14, v13, v3
	v_lshlrev_b32_e32 v13, v13, v14
	v_cmp_ne_u32_e32 vcc, v13, v3
	v_cndmask_b32_e64 v3, 0, 1, vcc
	v_add_u32_e32 v5, 0xfffffc10, v5
	v_or_b32_e32 v3, v14, v3
	v_lshl_or_b32 v13, v5, 12, v2
	v_cmp_gt_i32_e32 vcc, 1, v5
	v_cndmask_b32_e32 v3, v13, v3, vcc
	v_and_b32_e32 v13, 7, v3
	v_cmp_lt_i32_e32 vcc, 5, v13
	v_cndmask_b32_e64 v14, 0, 1, vcc
	v_cmp_eq_u32_e32 vcc, 3, v13
	v_cndmask_b32_e64 v13, 0, 1, vcc
	v_or_b32_e32 v13, v13, v14
	v_lshrrev_b32_e32 v3, 2, v3
	v_add_u32_e32 v3, v3, v13
	v_mov_b32_e32 v13, 0x7c00
	v_cmp_gt_i32_e32 vcc, 31, v5
	v_cndmask_b32_e32 v3, v13, v3, vcc
	v_mov_b32_e32 v14, 0x7e00
	v_cmp_ne_u32_e32 vcc, 0, v2
	s_movk_i32 s2, 0x40f
	v_cndmask_b32_e32 v2, v13, v14, vcc
	v_cmp_eq_u32_e32 vcc, s2, v5
	v_cndmask_b32_e32 v2, v3, v2, vcc
	v_lshrrev_b32_e32 v3, 16, v1
	s_mov_b32 s2, 0x8000
	v_and_or_b32 v2, v3, s2, v2
	v_and_b32_e32 v2, 0xffff, v2
	global_store_dword v[7:8], v2, off
.LBB127_1864:
	s_mov_b64 s[2:3], 0
.LBB127_1865:
	s_andn2_b64 vcc, exec, s[2:3]
	s_cbranch_vccnz .LBB127_1874
; %bb.1866:
	s_cmp_lt_i32 s19, 6
	s_mov_b64 s[2:3], -1
	s_cbranch_scc1 .LBB127_1872
; %bb.1867:
	s_cmp_gt_i32 s19, 6
	s_cbranch_scc0 .LBB127_1869
; %bb.1868:
	global_store_dwordx2 v[7:8], v[0:1], off
	s_mov_b64 s[2:3], 0
.LBB127_1869:
	s_andn2_b64 vcc, exec, s[2:3]
	s_cbranch_vccnz .LBB127_1871
; %bb.1870:
	v_cvt_f32_f64_e32 v2, v[0:1]
	global_store_dword v[7:8], v2, off
.LBB127_1871:
	s_mov_b64 s[2:3], 0
.LBB127_1872:
	s_andn2_b64 vcc, exec, s[2:3]
	s_cbranch_vccnz .LBB127_1874
; %bb.1873:
	s_movk_i32 s2, 0x1ff
	v_and_or_b32 v2, v1, s2, v0
	v_cmp_ne_u32_e32 vcc, 0, v2
	v_cndmask_b32_e64 v2, 0, 1, vcc
	v_lshrrev_b32_e32 v3, 8, v1
	s_movk_i32 s2, 0xffe
	v_bfe_u32 v5, v1, 20, 11
	v_and_or_b32 v2, v3, s2, v2
	v_sub_u32_e32 v13, 0x3f1, v5
	v_or_b32_e32 v3, 0x1000, v2
	v_med3_i32 v13, v13, 0, 13
	v_lshrrev_b32_e32 v14, v13, v3
	v_lshlrev_b32_e32 v13, v13, v14
	v_cmp_ne_u32_e32 vcc, v13, v3
	v_cndmask_b32_e64 v3, 0, 1, vcc
	v_add_u32_e32 v5, 0xfffffc10, v5
	v_or_b32_e32 v3, v14, v3
	v_lshl_or_b32 v13, v5, 12, v2
	v_cmp_gt_i32_e32 vcc, 1, v5
	v_cndmask_b32_e32 v3, v13, v3, vcc
	v_and_b32_e32 v13, 7, v3
	v_cmp_lt_i32_e32 vcc, 5, v13
	v_cndmask_b32_e64 v14, 0, 1, vcc
	v_cmp_eq_u32_e32 vcc, 3, v13
	v_cndmask_b32_e64 v13, 0, 1, vcc
	v_or_b32_e32 v13, v13, v14
	v_lshrrev_b32_e32 v3, 2, v3
	v_add_u32_e32 v3, v3, v13
	v_mov_b32_e32 v13, 0x7c00
	v_cmp_gt_i32_e32 vcc, 31, v5
	v_cndmask_b32_e32 v3, v13, v3, vcc
	v_mov_b32_e32 v14, 0x7e00
	v_cmp_ne_u32_e32 vcc, 0, v2
	s_movk_i32 s2, 0x40f
	v_cndmask_b32_e32 v2, v13, v14, vcc
	v_cmp_eq_u32_e32 vcc, s2, v5
	v_cndmask_b32_e32 v2, v3, v2, vcc
	v_lshrrev_b32_e32 v3, 16, v1
	s_mov_b32 s2, 0x8000
	v_and_or_b32 v2, v3, s2, v2
	global_store_short v[7:8], v2, off
.LBB127_1874:
	s_mov_b64 s[2:3], 0
.LBB127_1875:
	s_andn2_b64 vcc, exec, s[2:3]
	s_cbranch_vccnz .LBB127_1891
; %bb.1876:
	s_cmp_lt_i32 s19, 2
	s_mov_b64 s[2:3], -1
	s_cbranch_scc1 .LBB127_1886
; %bb.1877:
	s_cmp_lt_i32 s19, 3
	s_cbranch_scc1 .LBB127_1883
; %bb.1878:
	s_cmp_gt_i32 s19, 3
	s_cbranch_scc0 .LBB127_1880
; %bb.1879:
	v_trunc_f64_e32 v[2:3], v[0:1]
	s_movk_i32 s2, 0xffe0
	v_ldexp_f64 v[13:14], v[2:3], s2
	s_mov_b32 s2, 0
	s_mov_b32 s3, 0xc1f00000
	v_floor_f64_e32 v[13:14], v[13:14]
	v_fma_f64 v[2:3], v[13:14], s[2:3], v[2:3]
	v_cvt_i32_f64_e32 v14, v[13:14]
	s_mov_b64 s[2:3], 0
	v_cvt_u32_f64_e32 v13, v[2:3]
	global_store_dwordx2 v[7:8], v[13:14], off
.LBB127_1880:
	s_andn2_b64 vcc, exec, s[2:3]
	s_cbranch_vccnz .LBB127_1882
; %bb.1881:
	v_cvt_i32_f64_e32 v2, v[0:1]
	global_store_dword v[7:8], v2, off
.LBB127_1882:
	s_mov_b64 s[2:3], 0
.LBB127_1883:
	s_andn2_b64 vcc, exec, s[2:3]
	s_cbranch_vccnz .LBB127_1885
; %bb.1884:
	v_cvt_i32_f64_e32 v2, v[0:1]
	global_store_short v[7:8], v2, off
.LBB127_1885:
	s_mov_b64 s[2:3], 0
.LBB127_1886:
	s_andn2_b64 vcc, exec, s[2:3]
	s_cbranch_vccnz .LBB127_1891
; %bb.1887:
	s_cmp_gt_i32 s19, 0
	s_mov_b64 s[2:3], -1
	s_cbranch_scc0 .LBB127_1889
; %bb.1888:
	v_cvt_i32_f64_e32 v2, v[0:1]
	s_mov_b64 s[2:3], 0
	global_store_byte v[7:8], v2, off
.LBB127_1889:
	s_andn2_b64 vcc, exec, s[2:3]
	s_cbranch_vccnz .LBB127_1891
; %bb.1890:
	v_trunc_f64_e32 v[0:1], v[0:1]
	s_movk_i32 s2, 0xffe0
	v_ldexp_f64 v[2:3], v[0:1], s2
	s_mov_b32 s2, 0
	s_mov_b32 s3, 0xc1f00000
	v_floor_f64_e32 v[2:3], v[2:3]
	v_fma_f64 v[0:1], v[2:3], s[2:3], v[0:1]
	v_cvt_u32_f64_e32 v0, v[0:1]
	global_store_byte v[7:8], v0, off
.LBB127_1891:
	s_mov_b64 s[10:11], -1
.LBB127_1892:
	s_andn2_b64 vcc, exec, s[10:11]
	s_cbranch_vccnz .LBB127_2088
; %bb.1893:
	v_mov_b32_e32 v0, s7
	s_waitcnt vmcnt(0)
	v_cndmask_b32_e64 v1, v0, v12, s[0:1]
	v_mov_b32_e32 v0, s6
	v_mov_b32_e32 v2, s9
	v_add_co_u32_e32 v5, vcc, s8, v6
	v_cndmask_b32_e64 v0, v0, v11, s[0:1]
	s_cmp_lt_i32 s19, 11
	v_addc_co_u32_e32 v6, vcc, 0, v2, vcc
	s_cbranch_scc1 .LBB127_1971
; %bb.1894:
	s_mov_b64 s[14:15], -1
	s_mov_b64 s[4:5], 0
	s_cmp_gt_i32 s19, 25
	s_mov_b64 s[10:11], 0
	s_mov_b64 s[2:3], 0
	s_cbranch_scc0 .LBB127_1927
; %bb.1895:
	s_cmp_gt_i32 s19, 28
	s_cbranch_scc0 .LBB127_1910
; %bb.1896:
	s_cmp_gt_i32 s19, 43
	;; [unrolled: 3-line block ×3, first 2 shown]
	s_cbranch_scc0 .LBB127_1900
; %bb.1898:
	s_mov_b64 s[2:3], -1
	s_mov_b64 s[14:15], 0
	s_cmp_eq_u32 s19, 46
	s_cbranch_scc0 .LBB127_1900
; %bb.1899:
	v_cvt_f32_f64_e32 v2, v[0:1]
	s_movk_i32 s2, 0x7fff
	v_mov_b32_e32 v3, 0x7fc0
	s_mov_b64 s[10:11], -1
	v_bfe_u32 v7, v2, 16, 1
	v_cmp_o_f32_e32 vcc, v2, v2
	v_add3_u32 v2, v2, v7, s2
	v_cndmask_b32_sdwa v2, v3, v2, vcc dst_sel:DWORD dst_unused:UNUSED_PAD src0_sel:DWORD src1_sel:WORD_1
	global_store_dword v[5:6], v2, off
	s_mov_b64 s[2:3], 0
.LBB127_1900:
	s_and_b64 vcc, exec, s[14:15]
	s_cbranch_vccz .LBB127_1905
; %bb.1901:
	s_cmp_eq_u32 s19, 44
	s_mov_b64 s[2:3], -1
	s_cbranch_scc0 .LBB127_1905
; %bb.1902:
	v_cvt_f32_f64_e32 v2, v[0:1]
	s_movk_i32 s2, 0xff
	v_mov_b32_e32 v7, 0xff
	v_bfe_u32 v3, v2, 23, 8
	v_cmp_ne_u32_e32 vcc, s2, v3
	s_and_saveexec_b64 s[10:11], vcc
; %bb.1903:
	s_mov_b32 s2, 0x3fffff
	v_lshrrev_b32_e32 v7, 23, v2
	v_and_b32_e32 v8, 0x400000, v2
	v_and_or_b32 v2, v2, s2, v3
	v_cmp_ne_u32_e32 vcc, 0, v8
	v_cmp_ne_u32_e64 s[2:3], 0, v2
	s_and_b64 s[2:3], vcc, s[2:3]
	v_cndmask_b32_e64 v2, 0, 1, s[2:3]
	v_add_u32_e32 v7, v7, v2
; %bb.1904:
	s_or_b64 exec, exec, s[10:11]
	s_mov_b64 s[2:3], 0
	s_mov_b64 s[10:11], -1
	global_store_byte v[5:6], v7, off
.LBB127_1905:
	s_mov_b64 s[14:15], 0
.LBB127_1906:
	s_and_b64 vcc, exec, s[14:15]
	s_cbranch_vccz .LBB127_1909
; %bb.1907:
	s_cmp_eq_u32 s19, 29
	s_mov_b64 s[2:3], -1
	s_cbranch_scc0 .LBB127_1909
; %bb.1908:
	v_trunc_f64_e32 v[2:3], v[0:1]
	s_movk_i32 s2, 0xffe0
	s_mov_b64 s[10:11], -1
	v_ldexp_f64 v[7:8], v[2:3], s2
	s_mov_b32 s2, 0
	s_mov_b32 s3, 0xc1f00000
	v_floor_f64_e32 v[7:8], v[7:8]
	v_fma_f64 v[2:3], v[7:8], s[2:3], v[2:3]
	v_cvt_u32_f64_e32 v8, v[7:8]
	s_mov_b64 s[2:3], 0
	v_cvt_u32_f64_e32 v7, v[2:3]
	global_store_dwordx2 v[5:6], v[7:8], off
.LBB127_1909:
	s_mov_b64 s[14:15], 0
.LBB127_1910:
	s_and_b64 vcc, exec, s[14:15]
	s_cbranch_vccz .LBB127_1926
; %bb.1911:
	s_cmp_lt_i32 s19, 27
	s_mov_b64 s[10:11], -1
	s_cbranch_scc1 .LBB127_1917
; %bb.1912:
	v_cvt_u32_f64_e32 v2, v[0:1]
	s_cmp_gt_i32 s19, 27
	s_cbranch_scc0 .LBB127_1914
; %bb.1913:
	s_mov_b64 s[10:11], 0
	global_store_dword v[5:6], v2, off
.LBB127_1914:
	s_andn2_b64 vcc, exec, s[10:11]
	s_cbranch_vccnz .LBB127_1916
; %bb.1915:
	global_store_short v[5:6], v2, off
.LBB127_1916:
	s_mov_b64 s[10:11], 0
.LBB127_1917:
	s_andn2_b64 vcc, exec, s[10:11]
	s_cbranch_vccnz .LBB127_1925
; %bb.1918:
	v_cvt_f32_f64_e32 v2, v[0:1]
	s_mov_b32 s10, 0x43800000
	v_mov_b32_e32 v7, 0x80
	v_and_b32_e32 v3, 0x7fffffff, v2
	v_cmp_gt_u32_e32 vcc, s10, v3
	s_and_saveexec_b64 s[10:11], vcc
	s_cbranch_execz .LBB127_1924
; %bb.1919:
	s_mov_b32 s14, 0x3bffffff
	v_cmp_lt_u32_e32 vcc, s14, v3
	s_mov_b64 s[14:15], 0
                                        ; implicit-def: $vgpr3
	s_and_saveexec_b64 s[16:17], vcc
	s_xor_b64 s[16:17], exec, s[16:17]
	s_cbranch_execz .LBB127_2145
; %bb.1920:
	v_bfe_u32 v3, v2, 20, 1
	s_mov_b32 s20, 0x487ffff
	v_add3_u32 v3, v2, v3, s20
	s_mov_b64 s[14:15], exec
	v_lshrrev_b32_e32 v3, 20, v3
	s_andn2_saveexec_b64 s[16:17], s[16:17]
	s_cbranch_execnz .LBB127_2146
.LBB127_1921:
	s_or_b64 exec, exec, s[16:17]
	v_mov_b32_e32 v7, 0
	s_and_saveexec_b64 s[16:17], s[14:15]
.LBB127_1922:
	v_lshrrev_b32_e32 v2, 24, v2
	s_movk_i32 s14, 0x80
	v_and_or_b32 v7, v2, s14, v3
.LBB127_1923:
	s_or_b64 exec, exec, s[16:17]
.LBB127_1924:
	s_or_b64 exec, exec, s[10:11]
	global_store_byte v[5:6], v7, off
.LBB127_1925:
	s_mov_b64 s[10:11], -1
.LBB127_1926:
	s_mov_b64 s[14:15], 0
.LBB127_1927:
	s_and_b64 vcc, exec, s[14:15]
	s_cbranch_vccz .LBB127_1967
; %bb.1928:
	s_cmp_gt_i32 s19, 22
	s_mov_b64 s[4:5], -1
	s_cbranch_scc0 .LBB127_1960
; %bb.1929:
	s_cmp_lt_i32 s19, 24
	s_cbranch_scc1 .LBB127_1949
; %bb.1930:
	s_cmp_gt_i32 s19, 24
	s_cbranch_scc0 .LBB127_1938
; %bb.1931:
	v_cvt_f32_f64_e32 v2, v[0:1]
	s_mov_b32 s4, 0x47800000
	v_mov_b32_e32 v7, 0x80
	v_and_b32_e32 v3, 0x7fffffff, v2
	v_cmp_gt_u32_e32 vcc, s4, v3
	s_and_saveexec_b64 s[4:5], vcc
	s_cbranch_execz .LBB127_1937
; %bb.1932:
	s_mov_b32 s10, 0x37ffffff
	v_cmp_lt_u32_e32 vcc, s10, v3
	s_mov_b64 s[10:11], 0
                                        ; implicit-def: $vgpr3
	s_and_saveexec_b64 s[14:15], vcc
	s_xor_b64 s[14:15], exec, s[14:15]
	s_cbranch_execz .LBB127_2148
; %bb.1933:
	v_bfe_u32 v3, v2, 21, 1
	s_mov_b32 s16, 0x88fffff
	v_add3_u32 v3, v2, v3, s16
	s_mov_b64 s[10:11], exec
	v_lshrrev_b32_e32 v3, 21, v3
	s_andn2_saveexec_b64 s[14:15], s[14:15]
	s_cbranch_execnz .LBB127_2149
.LBB127_1934:
	s_or_b64 exec, exec, s[14:15]
	v_mov_b32_e32 v7, 0
	s_and_saveexec_b64 s[14:15], s[10:11]
.LBB127_1935:
	v_lshrrev_b32_e32 v2, 24, v2
	s_movk_i32 s10, 0x80
	v_and_or_b32 v7, v2, s10, v3
.LBB127_1936:
	s_or_b64 exec, exec, s[14:15]
.LBB127_1937:
	s_or_b64 exec, exec, s[4:5]
	s_mov_b64 s[4:5], 0
	global_store_byte v[5:6], v7, off
.LBB127_1938:
	s_and_b64 vcc, exec, s[4:5]
	s_cbranch_vccz .LBB127_1948
; %bb.1939:
	v_cvt_f32_f64_e32 v2, v[0:1]
	s_mov_b32 s4, 0x43f00000
                                        ; implicit-def: $vgpr3
	v_and_b32_e32 v7, 0x7fffffff, v2
	v_cmp_gt_u32_e32 vcc, s4, v7
	s_and_saveexec_b64 s[4:5], vcc
	s_xor_b64 s[4:5], exec, s[4:5]
	s_cbranch_execz .LBB127_1945
; %bb.1940:
	s_mov_b32 s10, 0x3c7fffff
	v_cmp_lt_u32_e32 vcc, s10, v7
                                        ; implicit-def: $vgpr3
	s_and_saveexec_b64 s[10:11], vcc
	s_xor_b64 s[10:11], exec, s[10:11]
; %bb.1941:
	v_bfe_u32 v3, v2, 20, 1
	s_mov_b32 s14, 0x407ffff
	v_add3_u32 v3, v2, v3, s14
	v_lshrrev_b32_e32 v7, 20, v3
	v_and_b32_e32 v3, 0xff00000, v3
	s_mov_b32 s14, 0x7f00000
	v_mov_b32_e32 v8, 0x7e
	v_cmp_ne_u32_e32 vcc, s14, v3
	v_cndmask_b32_e32 v3, v8, v7, vcc
; %bb.1942:
	s_andn2_saveexec_b64 s[10:11], s[10:11]
; %bb.1943:
	s_mov_b32 s14, 0x46800000
	v_add_f32_e64 v3, |v2|, s14
; %bb.1944:
	s_or_b64 exec, exec, s[10:11]
                                        ; implicit-def: $vgpr7
.LBB127_1945:
	s_andn2_saveexec_b64 s[4:5], s[4:5]
; %bb.1946:
	s_mov_b32 s10, 0x7f800000
	v_mov_b32_e32 v3, 0x7e
	v_mov_b32_e32 v8, 0x7f
	v_cmp_lt_u32_e32 vcc, s10, v7
	v_cndmask_b32_e32 v3, v3, v8, vcc
; %bb.1947:
	s_or_b64 exec, exec, s[4:5]
	v_lshrrev_b32_e32 v2, 24, v2
	s_movk_i32 s4, 0x80
	v_and_or_b32 v2, v2, s4, v3
	global_store_byte v[5:6], v2, off
.LBB127_1948:
	s_mov_b64 s[4:5], 0
.LBB127_1949:
	s_andn2_b64 vcc, exec, s[4:5]
	s_cbranch_vccnz .LBB127_1959
; %bb.1950:
	v_cvt_f32_f64_e32 v2, v[0:1]
	s_mov_b32 s4, 0x47800000
                                        ; implicit-def: $vgpr3
	v_and_b32_e32 v7, 0x7fffffff, v2
	v_cmp_gt_u32_e32 vcc, s4, v7
	s_and_saveexec_b64 s[4:5], vcc
	s_xor_b64 s[4:5], exec, s[4:5]
	s_cbranch_execz .LBB127_1956
; %bb.1951:
	s_mov_b32 s10, 0x387fffff
	v_cmp_lt_u32_e32 vcc, s10, v7
                                        ; implicit-def: $vgpr3
	s_and_saveexec_b64 s[10:11], vcc
	s_xor_b64 s[10:11], exec, s[10:11]
; %bb.1952:
	v_bfe_u32 v3, v2, 21, 1
	s_mov_b32 s14, 0x80fffff
	v_add3_u32 v3, v2, v3, s14
	v_lshrrev_b32_e32 v3, 21, v3
; %bb.1953:
	s_andn2_saveexec_b64 s[10:11], s[10:11]
; %bb.1954:
	s_mov_b32 s14, 0x43000000
	v_add_f32_e64 v3, |v2|, s14
; %bb.1955:
	s_or_b64 exec, exec, s[10:11]
                                        ; implicit-def: $vgpr7
.LBB127_1956:
	s_andn2_saveexec_b64 s[4:5], s[4:5]
; %bb.1957:
	s_mov_b32 s10, 0x7f800000
	v_mov_b32_e32 v3, 0x7c
	v_mov_b32_e32 v8, 0x7f
	v_cmp_lt_u32_e32 vcc, s10, v7
	v_cndmask_b32_e32 v3, v3, v8, vcc
; %bb.1958:
	s_or_b64 exec, exec, s[4:5]
	v_lshrrev_b32_e32 v2, 24, v2
	s_movk_i32 s4, 0x80
	v_and_or_b32 v2, v2, s4, v3
	global_store_byte v[5:6], v2, off
.LBB127_1959:
	s_mov_b64 s[4:5], 0
	s_mov_b64 s[10:11], -1
.LBB127_1960:
	s_andn2_b64 vcc, exec, s[4:5]
	s_mov_b64 s[4:5], 0
	s_cbranch_vccnz .LBB127_1967
; %bb.1961:
	s_cmp_gt_i32 s19, 14
	s_mov_b64 s[14:15], -1
	s_cbranch_scc0 .LBB127_1965
; %bb.1962:
	s_cmp_eq_u32 s19, 15
	s_mov_b64 s[2:3], -1
	s_cbranch_scc0 .LBB127_1964
; %bb.1963:
	v_cvt_f32_f64_e32 v2, v[0:1]
	s_movk_i32 s2, 0x7fff
	v_mov_b32_e32 v3, 0x7fc0
	s_mov_b64 s[10:11], -1
	v_bfe_u32 v7, v2, 16, 1
	v_cmp_o_f32_e32 vcc, v2, v2
	v_add3_u32 v2, v2, v7, s2
	v_cndmask_b32_sdwa v2, v3, v2, vcc dst_sel:DWORD dst_unused:UNUSED_PAD src0_sel:DWORD src1_sel:WORD_1
	global_store_short v[5:6], v2, off
	s_mov_b64 s[2:3], 0
.LBB127_1964:
	s_mov_b64 s[14:15], 0
.LBB127_1965:
	s_and_b64 vcc, exec, s[14:15]
	s_cbranch_vccz .LBB127_1967
; %bb.1966:
	s_cmp_lg_u32 s19, 11
	s_mov_b64 s[4:5], -1
	s_cselect_b64 s[2:3], -1, 0
.LBB127_1967:
	s_and_b64 vcc, exec, s[2:3]
	s_cbranch_vccnz .LBB127_2147
; %bb.1968:
	s_andn2_b64 vcc, exec, s[4:5]
	s_cbranch_vccnz .LBB127_1970
.LBB127_1969:
	v_cmp_neq_f64_e32 vcc, 0, v[0:1]
	s_mov_b64 s[10:11], -1
	v_cndmask_b32_e64 v2, 0, 1, vcc
	global_store_byte v[5:6], v2, off
.LBB127_1970:
	s_mov_b64 s[2:3], 0
	s_branch .LBB127_1972
.LBB127_1971:
	s_mov_b64 s[2:3], -1
	s_mov_b64 s[10:11], 0
.LBB127_1972:
	s_and_b64 vcc, exec, s[2:3]
	s_cbranch_vccz .LBB127_2011
; %bb.1973:
	s_cmp_lt_i32 s19, 5
	s_mov_b64 s[2:3], -1
	s_cbranch_scc1 .LBB127_1994
; %bb.1974:
	s_cmp_lt_i32 s19, 8
	s_cbranch_scc1 .LBB127_1984
; %bb.1975:
	s_cmp_lt_i32 s19, 9
	s_cbranch_scc1 .LBB127_1981
; %bb.1976:
	s_cmp_gt_i32 s19, 9
	s_cbranch_scc0 .LBB127_1978
; %bb.1977:
	v_mov_b32_e32 v2, 0
	v_mov_b32_e32 v3, v2
	global_store_dwordx4 v[5:6], v[0:3], off
	s_mov_b64 s[2:3], 0
.LBB127_1978:
	s_andn2_b64 vcc, exec, s[2:3]
	s_cbranch_vccnz .LBB127_1980
; %bb.1979:
	v_cvt_f32_f64_e32 v2, v[0:1]
	v_mov_b32_e32 v3, 0
	global_store_dwordx2 v[5:6], v[2:3], off
.LBB127_1980:
	s_mov_b64 s[2:3], 0
.LBB127_1981:
	s_andn2_b64 vcc, exec, s[2:3]
	s_cbranch_vccnz .LBB127_1983
; %bb.1982:
	s_movk_i32 s2, 0x1ff
	v_and_or_b32 v2, v1, s2, v0
	v_cmp_ne_u32_e32 vcc, 0, v2
	v_cndmask_b32_e64 v2, 0, 1, vcc
	v_lshrrev_b32_e32 v3, 8, v1
	s_movk_i32 s2, 0xffe
	v_bfe_u32 v7, v1, 20, 11
	v_and_or_b32 v2, v3, s2, v2
	v_sub_u32_e32 v8, 0x3f1, v7
	v_or_b32_e32 v3, 0x1000, v2
	v_med3_i32 v8, v8, 0, 13
	v_lshrrev_b32_e32 v11, v8, v3
	v_lshlrev_b32_e32 v8, v8, v11
	v_cmp_ne_u32_e32 vcc, v8, v3
	v_cndmask_b32_e64 v3, 0, 1, vcc
	v_add_u32_e32 v7, 0xfffffc10, v7
	v_or_b32_e32 v3, v11, v3
	v_lshl_or_b32 v8, v7, 12, v2
	v_cmp_gt_i32_e32 vcc, 1, v7
	v_cndmask_b32_e32 v3, v8, v3, vcc
	v_and_b32_e32 v8, 7, v3
	v_cmp_lt_i32_e32 vcc, 5, v8
	v_cndmask_b32_e64 v11, 0, 1, vcc
	v_cmp_eq_u32_e32 vcc, 3, v8
	v_cndmask_b32_e64 v8, 0, 1, vcc
	v_or_b32_e32 v8, v8, v11
	v_lshrrev_b32_e32 v3, 2, v3
	v_add_u32_e32 v3, v3, v8
	v_mov_b32_e32 v8, 0x7c00
	v_cmp_gt_i32_e32 vcc, 31, v7
	v_cndmask_b32_e32 v3, v8, v3, vcc
	v_mov_b32_e32 v11, 0x7e00
	v_cmp_ne_u32_e32 vcc, 0, v2
	s_movk_i32 s2, 0x40f
	v_cndmask_b32_e32 v2, v8, v11, vcc
	v_cmp_eq_u32_e32 vcc, s2, v7
	v_cndmask_b32_e32 v2, v3, v2, vcc
	v_lshrrev_b32_e32 v3, 16, v1
	s_mov_b32 s2, 0x8000
	v_and_or_b32 v2, v3, s2, v2
	v_and_b32_e32 v2, 0xffff, v2
	global_store_dword v[5:6], v2, off
.LBB127_1983:
	s_mov_b64 s[2:3], 0
.LBB127_1984:
	s_andn2_b64 vcc, exec, s[2:3]
	s_cbranch_vccnz .LBB127_1993
; %bb.1985:
	s_cmp_lt_i32 s19, 6
	s_mov_b64 s[2:3], -1
	s_cbranch_scc1 .LBB127_1991
; %bb.1986:
	s_cmp_gt_i32 s19, 6
	s_cbranch_scc0 .LBB127_1988
; %bb.1987:
	global_store_dwordx2 v[5:6], v[0:1], off
	s_mov_b64 s[2:3], 0
.LBB127_1988:
	s_andn2_b64 vcc, exec, s[2:3]
	s_cbranch_vccnz .LBB127_1990
; %bb.1989:
	v_cvt_f32_f64_e32 v2, v[0:1]
	global_store_dword v[5:6], v2, off
.LBB127_1990:
	s_mov_b64 s[2:3], 0
.LBB127_1991:
	s_andn2_b64 vcc, exec, s[2:3]
	s_cbranch_vccnz .LBB127_1993
; %bb.1992:
	s_movk_i32 s2, 0x1ff
	v_and_or_b32 v2, v1, s2, v0
	v_cmp_ne_u32_e32 vcc, 0, v2
	v_cndmask_b32_e64 v2, 0, 1, vcc
	v_lshrrev_b32_e32 v3, 8, v1
	s_movk_i32 s2, 0xffe
	v_bfe_u32 v7, v1, 20, 11
	v_and_or_b32 v2, v3, s2, v2
	v_sub_u32_e32 v8, 0x3f1, v7
	v_or_b32_e32 v3, 0x1000, v2
	v_med3_i32 v8, v8, 0, 13
	v_lshrrev_b32_e32 v11, v8, v3
	v_lshlrev_b32_e32 v8, v8, v11
	v_cmp_ne_u32_e32 vcc, v8, v3
	v_cndmask_b32_e64 v3, 0, 1, vcc
	v_add_u32_e32 v7, 0xfffffc10, v7
	v_or_b32_e32 v3, v11, v3
	v_lshl_or_b32 v8, v7, 12, v2
	v_cmp_gt_i32_e32 vcc, 1, v7
	v_cndmask_b32_e32 v3, v8, v3, vcc
	v_and_b32_e32 v8, 7, v3
	v_cmp_lt_i32_e32 vcc, 5, v8
	v_cndmask_b32_e64 v11, 0, 1, vcc
	v_cmp_eq_u32_e32 vcc, 3, v8
	v_cndmask_b32_e64 v8, 0, 1, vcc
	v_or_b32_e32 v8, v8, v11
	v_lshrrev_b32_e32 v3, 2, v3
	v_add_u32_e32 v3, v3, v8
	v_mov_b32_e32 v8, 0x7c00
	v_cmp_gt_i32_e32 vcc, 31, v7
	v_cndmask_b32_e32 v3, v8, v3, vcc
	v_mov_b32_e32 v11, 0x7e00
	v_cmp_ne_u32_e32 vcc, 0, v2
	s_movk_i32 s2, 0x40f
	v_cndmask_b32_e32 v2, v8, v11, vcc
	v_cmp_eq_u32_e32 vcc, s2, v7
	v_cndmask_b32_e32 v2, v3, v2, vcc
	v_lshrrev_b32_e32 v3, 16, v1
	s_mov_b32 s2, 0x8000
	v_and_or_b32 v2, v3, s2, v2
	global_store_short v[5:6], v2, off
.LBB127_1993:
	s_mov_b64 s[2:3], 0
.LBB127_1994:
	s_andn2_b64 vcc, exec, s[2:3]
	s_cbranch_vccnz .LBB127_2010
; %bb.1995:
	s_cmp_lt_i32 s19, 2
	s_mov_b64 s[2:3], -1
	s_cbranch_scc1 .LBB127_2005
; %bb.1996:
	s_cmp_lt_i32 s19, 3
	s_cbranch_scc1 .LBB127_2002
; %bb.1997:
	s_cmp_gt_i32 s19, 3
	s_cbranch_scc0 .LBB127_1999
; %bb.1998:
	v_trunc_f64_e32 v[2:3], v[0:1]
	s_movk_i32 s2, 0xffe0
	v_ldexp_f64 v[7:8], v[2:3], s2
	s_mov_b32 s2, 0
	s_mov_b32 s3, 0xc1f00000
	v_floor_f64_e32 v[7:8], v[7:8]
	v_fma_f64 v[2:3], v[7:8], s[2:3], v[2:3]
	v_cvt_i32_f64_e32 v8, v[7:8]
	s_mov_b64 s[2:3], 0
	v_cvt_u32_f64_e32 v7, v[2:3]
	global_store_dwordx2 v[5:6], v[7:8], off
.LBB127_1999:
	s_andn2_b64 vcc, exec, s[2:3]
	s_cbranch_vccnz .LBB127_2001
; %bb.2000:
	v_cvt_i32_f64_e32 v2, v[0:1]
	global_store_dword v[5:6], v2, off
.LBB127_2001:
	s_mov_b64 s[2:3], 0
.LBB127_2002:
	s_andn2_b64 vcc, exec, s[2:3]
	s_cbranch_vccnz .LBB127_2004
; %bb.2003:
	v_cvt_i32_f64_e32 v2, v[0:1]
	global_store_short v[5:6], v2, off
.LBB127_2004:
	s_mov_b64 s[2:3], 0
.LBB127_2005:
	s_andn2_b64 vcc, exec, s[2:3]
	s_cbranch_vccnz .LBB127_2010
; %bb.2006:
	s_cmp_gt_i32 s19, 0
	s_mov_b64 s[2:3], -1
	s_cbranch_scc0 .LBB127_2008
; %bb.2007:
	v_cvt_i32_f64_e32 v2, v[0:1]
	s_mov_b64 s[2:3], 0
	global_store_byte v[5:6], v2, off
.LBB127_2008:
	s_andn2_b64 vcc, exec, s[2:3]
	s_cbranch_vccnz .LBB127_2010
; %bb.2009:
	v_trunc_f64_e32 v[0:1], v[0:1]
	s_movk_i32 s2, 0xffe0
	v_ldexp_f64 v[2:3], v[0:1], s2
	s_mov_b32 s2, 0
	s_mov_b32 s3, 0xc1f00000
	v_floor_f64_e32 v[2:3], v[2:3]
	v_fma_f64 v[0:1], v[2:3], s[2:3], v[0:1]
	v_cvt_u32_f64_e32 v0, v[0:1]
	global_store_byte v[5:6], v0, off
.LBB127_2010:
	s_mov_b64 s[10:11], -1
.LBB127_2011:
	s_andn2_b64 vcc, exec, s[10:11]
	s_cbranch_vccnz .LBB127_2088
; %bb.2012:
	v_mov_b32_e32 v0, s7
	v_cndmask_b32_e64 v1, v0, v10, s[0:1]
	v_mov_b32_e32 v0, s6
	v_mov_b32_e32 v2, s9
	v_add_co_u32_e32 v4, vcc, s8, v4
	v_cndmask_b32_e64 v0, v0, v9, s[0:1]
	s_cmp_lt_i32 s19, 11
	v_addc_co_u32_e32 v5, vcc, 0, v2, vcc
	s_cbranch_scc1 .LBB127_2133
; %bb.2013:
	s_mov_b64 s[4:5], -1
	s_mov_b64 s[2:3], 0
	s_cmp_gt_i32 s19, 25
	s_mov_b64 s[0:1], 0
	s_cbranch_scc0 .LBB127_2046
; %bb.2014:
	s_cmp_gt_i32 s19, 28
	s_cbranch_scc0 .LBB127_2030
; %bb.2015:
	s_cmp_gt_i32 s19, 43
	;; [unrolled: 3-line block ×3, first 2 shown]
	s_cbranch_scc0 .LBB127_2020
; %bb.2017:
	s_cmp_eq_u32 s19, 46
	s_mov_b64 s[0:1], -1
	s_cbranch_scc0 .LBB127_2019
; %bb.2018:
	v_cvt_f32_f64_e32 v2, v[0:1]
	s_movk_i32 s0, 0x7fff
	v_mov_b32_e32 v3, 0x7fc0
	v_bfe_u32 v6, v2, 16, 1
	v_cmp_o_f32_e32 vcc, v2, v2
	v_add3_u32 v2, v2, v6, s0
	v_cndmask_b32_sdwa v2, v3, v2, vcc dst_sel:DWORD dst_unused:UNUSED_PAD src0_sel:DWORD src1_sel:WORD_1
	global_store_dword v[4:5], v2, off
	s_mov_b64 s[0:1], 0
.LBB127_2019:
	s_mov_b64 s[4:5], 0
.LBB127_2020:
	s_and_b64 vcc, exec, s[4:5]
	s_cbranch_vccz .LBB127_2025
; %bb.2021:
	s_cmp_eq_u32 s19, 44
	s_mov_b64 s[0:1], -1
	s_cbranch_scc0 .LBB127_2025
; %bb.2022:
	v_cvt_f32_f64_e32 v2, v[0:1]
	s_movk_i32 s0, 0xff
	v_mov_b32_e32 v6, 0xff
	v_bfe_u32 v3, v2, 23, 8
	v_cmp_ne_u32_e32 vcc, s0, v3
	s_and_saveexec_b64 s[4:5], vcc
; %bb.2023:
	s_mov_b32 s0, 0x3fffff
	v_lshrrev_b32_e32 v6, 23, v2
	v_and_b32_e32 v7, 0x400000, v2
	v_and_or_b32 v2, v2, s0, v3
	v_cmp_ne_u32_e32 vcc, 0, v7
	v_cmp_ne_u32_e64 s[0:1], 0, v2
	s_and_b64 s[0:1], vcc, s[0:1]
	v_cndmask_b32_e64 v2, 0, 1, s[0:1]
	v_add_u32_e32 v6, v6, v2
; %bb.2024:
	s_or_b64 exec, exec, s[4:5]
	s_mov_b64 s[0:1], 0
	global_store_byte v[4:5], v6, off
.LBB127_2025:
	s_mov_b64 s[4:5], 0
.LBB127_2026:
	s_and_b64 vcc, exec, s[4:5]
	s_cbranch_vccz .LBB127_2029
; %bb.2027:
	s_cmp_eq_u32 s19, 29
	s_mov_b64 s[0:1], -1
	s_cbranch_scc0 .LBB127_2029
; %bb.2028:
	v_trunc_f64_e32 v[2:3], v[0:1]
	s_movk_i32 s0, 0xffe0
	v_ldexp_f64 v[6:7], v[2:3], s0
	s_mov_b32 s0, 0
	s_mov_b32 s1, 0xc1f00000
	v_floor_f64_e32 v[6:7], v[6:7]
	v_fma_f64 v[2:3], v[6:7], s[0:1], v[2:3]
	v_cvt_u32_f64_e32 v7, v[6:7]
	s_mov_b64 s[0:1], 0
	v_cvt_u32_f64_e32 v6, v[2:3]
	global_store_dwordx2 v[4:5], v[6:7], off
.LBB127_2029:
	s_mov_b64 s[4:5], 0
.LBB127_2030:
	s_and_b64 vcc, exec, s[4:5]
	s_cbranch_vccz .LBB127_2045
; %bb.2031:
	s_cmp_lt_i32 s19, 27
	s_mov_b64 s[4:5], -1
	s_cbranch_scc1 .LBB127_2037
; %bb.2032:
	s_cmp_gt_i32 s19, 27
	s_cbranch_scc0 .LBB127_2034
; %bb.2033:
	v_cvt_u32_f64_e32 v2, v[0:1]
	s_mov_b64 s[4:5], 0
	global_store_dword v[4:5], v2, off
.LBB127_2034:
	s_andn2_b64 vcc, exec, s[4:5]
	s_cbranch_vccnz .LBB127_2036
; %bb.2035:
	v_cvt_u32_f64_e32 v2, v[0:1]
	global_store_short v[4:5], v2, off
.LBB127_2036:
	s_mov_b64 s[4:5], 0
.LBB127_2037:
	s_andn2_b64 vcc, exec, s[4:5]
	s_cbranch_vccnz .LBB127_2045
; %bb.2038:
	v_cvt_f32_f64_e32 v2, v[0:1]
	s_mov_b32 s4, 0x43800000
	v_mov_b32_e32 v6, 0x80
	v_and_b32_e32 v3, 0x7fffffff, v2
	v_cmp_gt_u32_e32 vcc, s4, v3
	s_and_saveexec_b64 s[4:5], vcc
	s_cbranch_execz .LBB127_2044
; %bb.2039:
	s_mov_b32 s6, 0x3bffffff
	v_cmp_lt_u32_e32 vcc, s6, v3
	s_mov_b64 s[6:7], 0
                                        ; implicit-def: $vgpr3
	s_and_saveexec_b64 s[8:9], vcc
	s_xor_b64 s[8:9], exec, s[8:9]
	s_cbranch_execz .LBB127_2150
; %bb.2040:
	v_bfe_u32 v3, v2, 20, 1
	s_mov_b32 s10, 0x487ffff
	v_add3_u32 v3, v2, v3, s10
	s_mov_b64 s[6:7], exec
	v_lshrrev_b32_e32 v3, 20, v3
	s_andn2_saveexec_b64 s[8:9], s[8:9]
	s_cbranch_execnz .LBB127_2151
.LBB127_2041:
	s_or_b64 exec, exec, s[8:9]
	v_mov_b32_e32 v6, 0
	s_and_saveexec_b64 s[8:9], s[6:7]
.LBB127_2042:
	v_lshrrev_b32_e32 v2, 24, v2
	s_movk_i32 s6, 0x80
	v_and_or_b32 v6, v2, s6, v3
.LBB127_2043:
	s_or_b64 exec, exec, s[8:9]
.LBB127_2044:
	s_or_b64 exec, exec, s[4:5]
	global_store_byte v[4:5], v6, off
.LBB127_2045:
	s_mov_b64 s[4:5], 0
.LBB127_2046:
	s_and_b64 vcc, exec, s[4:5]
	s_cbranch_vccz .LBB127_2086
; %bb.2047:
	s_cmp_gt_i32 s19, 22
	s_mov_b64 s[2:3], -1
	s_cbranch_scc0 .LBB127_2079
; %bb.2048:
	s_cmp_lt_i32 s19, 24
	s_cbranch_scc1 .LBB127_2068
; %bb.2049:
	s_cmp_gt_i32 s19, 24
	s_cbranch_scc0 .LBB127_2057
; %bb.2050:
	v_cvt_f32_f64_e32 v2, v[0:1]
	s_mov_b32 s2, 0x47800000
	v_mov_b32_e32 v6, 0x80
	v_and_b32_e32 v3, 0x7fffffff, v2
	v_cmp_gt_u32_e32 vcc, s2, v3
	s_and_saveexec_b64 s[2:3], vcc
	s_cbranch_execz .LBB127_2056
; %bb.2051:
	s_mov_b32 s4, 0x37ffffff
	v_cmp_lt_u32_e32 vcc, s4, v3
	s_mov_b64 s[4:5], 0
                                        ; implicit-def: $vgpr3
	s_and_saveexec_b64 s[6:7], vcc
	s_xor_b64 s[6:7], exec, s[6:7]
	s_cbranch_execz .LBB127_2153
; %bb.2052:
	v_bfe_u32 v3, v2, 21, 1
	s_mov_b32 s8, 0x88fffff
	v_add3_u32 v3, v2, v3, s8
	s_mov_b64 s[4:5], exec
	v_lshrrev_b32_e32 v3, 21, v3
	s_andn2_saveexec_b64 s[6:7], s[6:7]
	s_cbranch_execnz .LBB127_2154
.LBB127_2053:
	s_or_b64 exec, exec, s[6:7]
	v_mov_b32_e32 v6, 0
	s_and_saveexec_b64 s[6:7], s[4:5]
.LBB127_2054:
	v_lshrrev_b32_e32 v2, 24, v2
	s_movk_i32 s4, 0x80
	v_and_or_b32 v6, v2, s4, v3
.LBB127_2055:
	s_or_b64 exec, exec, s[6:7]
.LBB127_2056:
	s_or_b64 exec, exec, s[2:3]
	s_mov_b64 s[2:3], 0
	global_store_byte v[4:5], v6, off
.LBB127_2057:
	s_and_b64 vcc, exec, s[2:3]
	s_cbranch_vccz .LBB127_2067
; %bb.2058:
	v_cvt_f32_f64_e32 v2, v[0:1]
	s_mov_b32 s2, 0x43f00000
                                        ; implicit-def: $vgpr3
	v_and_b32_e32 v6, 0x7fffffff, v2
	v_cmp_gt_u32_e32 vcc, s2, v6
	s_and_saveexec_b64 s[2:3], vcc
	s_xor_b64 s[2:3], exec, s[2:3]
	s_cbranch_execz .LBB127_2064
; %bb.2059:
	s_mov_b32 s4, 0x3c7fffff
	v_cmp_lt_u32_e32 vcc, s4, v6
                                        ; implicit-def: $vgpr3
	s_and_saveexec_b64 s[4:5], vcc
	s_xor_b64 s[4:5], exec, s[4:5]
; %bb.2060:
	v_bfe_u32 v3, v2, 20, 1
	s_mov_b32 s6, 0x407ffff
	v_add3_u32 v3, v2, v3, s6
	v_lshrrev_b32_e32 v6, 20, v3
	v_and_b32_e32 v3, 0xff00000, v3
	s_mov_b32 s6, 0x7f00000
	v_mov_b32_e32 v7, 0x7e
	v_cmp_ne_u32_e32 vcc, s6, v3
	v_cndmask_b32_e32 v3, v7, v6, vcc
; %bb.2061:
	s_andn2_saveexec_b64 s[4:5], s[4:5]
; %bb.2062:
	s_mov_b32 s6, 0x46800000
	v_add_f32_e64 v3, |v2|, s6
; %bb.2063:
	s_or_b64 exec, exec, s[4:5]
                                        ; implicit-def: $vgpr6
.LBB127_2064:
	s_andn2_saveexec_b64 s[2:3], s[2:3]
; %bb.2065:
	s_mov_b32 s4, 0x7f800000
	v_mov_b32_e32 v3, 0x7e
	v_mov_b32_e32 v7, 0x7f
	v_cmp_lt_u32_e32 vcc, s4, v6
	v_cndmask_b32_e32 v3, v3, v7, vcc
; %bb.2066:
	s_or_b64 exec, exec, s[2:3]
	v_lshrrev_b32_e32 v2, 24, v2
	s_movk_i32 s2, 0x80
	v_and_or_b32 v2, v2, s2, v3
	global_store_byte v[4:5], v2, off
.LBB127_2067:
	s_mov_b64 s[2:3], 0
.LBB127_2068:
	s_andn2_b64 vcc, exec, s[2:3]
	s_cbranch_vccnz .LBB127_2078
; %bb.2069:
	v_cvt_f32_f64_e32 v2, v[0:1]
	s_mov_b32 s2, 0x47800000
                                        ; implicit-def: $vgpr3
	v_and_b32_e32 v6, 0x7fffffff, v2
	v_cmp_gt_u32_e32 vcc, s2, v6
	s_and_saveexec_b64 s[2:3], vcc
	s_xor_b64 s[2:3], exec, s[2:3]
	s_cbranch_execz .LBB127_2075
; %bb.2070:
	s_mov_b32 s4, 0x387fffff
	v_cmp_lt_u32_e32 vcc, s4, v6
                                        ; implicit-def: $vgpr3
	s_and_saveexec_b64 s[4:5], vcc
	s_xor_b64 s[4:5], exec, s[4:5]
; %bb.2071:
	v_bfe_u32 v3, v2, 21, 1
	s_mov_b32 s6, 0x80fffff
	v_add3_u32 v3, v2, v3, s6
	v_lshrrev_b32_e32 v3, 21, v3
; %bb.2072:
	s_andn2_saveexec_b64 s[4:5], s[4:5]
; %bb.2073:
	s_mov_b32 s6, 0x43000000
	v_add_f32_e64 v3, |v2|, s6
; %bb.2074:
	s_or_b64 exec, exec, s[4:5]
                                        ; implicit-def: $vgpr6
.LBB127_2075:
	s_andn2_saveexec_b64 s[2:3], s[2:3]
; %bb.2076:
	s_mov_b32 s4, 0x7f800000
	v_mov_b32_e32 v3, 0x7c
	v_mov_b32_e32 v7, 0x7f
	v_cmp_lt_u32_e32 vcc, s4, v6
	v_cndmask_b32_e32 v3, v3, v7, vcc
; %bb.2077:
	s_or_b64 exec, exec, s[2:3]
	v_lshrrev_b32_e32 v2, 24, v2
	s_movk_i32 s2, 0x80
	v_and_or_b32 v2, v2, s2, v3
	global_store_byte v[4:5], v2, off
.LBB127_2078:
	s_mov_b64 s[2:3], 0
.LBB127_2079:
	s_andn2_b64 vcc, exec, s[2:3]
	s_mov_b64 s[2:3], 0
	s_cbranch_vccnz .LBB127_2086
; %bb.2080:
	s_cmp_gt_i32 s19, 14
	s_mov_b64 s[4:5], -1
	s_cbranch_scc0 .LBB127_2084
; %bb.2081:
	s_cmp_eq_u32 s19, 15
	s_mov_b64 s[0:1], -1
	s_cbranch_scc0 .LBB127_2083
; %bb.2082:
	v_cvt_f32_f64_e32 v2, v[0:1]
	s_movk_i32 s0, 0x7fff
	v_mov_b32_e32 v3, 0x7fc0
	v_bfe_u32 v6, v2, 16, 1
	v_cmp_o_f32_e32 vcc, v2, v2
	v_add3_u32 v2, v2, v6, s0
	v_cndmask_b32_sdwa v2, v3, v2, vcc dst_sel:DWORD dst_unused:UNUSED_PAD src0_sel:DWORD src1_sel:WORD_1
	global_store_short v[4:5], v2, off
	s_mov_b64 s[0:1], 0
.LBB127_2083:
	s_mov_b64 s[4:5], 0
.LBB127_2084:
	s_and_b64 vcc, exec, s[4:5]
	s_cbranch_vccz .LBB127_2086
; %bb.2085:
	s_cmp_lg_u32 s19, 11
	s_mov_b64 s[2:3], -1
	s_cselect_b64 s[0:1], -1, 0
.LBB127_2086:
	s_and_b64 vcc, exec, s[0:1]
	s_cbranch_vccnz .LBB127_2152
.LBB127_2087:
	s_mov_b64 s[0:1], 0
	s_branch .LBB127_2089
.LBB127_2088:
	s_mov_b64 s[0:1], 0
	s_mov_b64 s[2:3], 0
                                        ; implicit-def: $vgpr4_vgpr5
                                        ; implicit-def: $sgpr18
                                        ; implicit-def: $vgpr0_vgpr1
.LBB127_2089:
	s_and_b64 s[6:7], s[2:3], exec
	s_andn2_b64 s[2:3], s[28:29], exec
	s_and_b64 s[4:5], s[12:13], exec
	s_and_b64 s[0:1], s[0:1], exec
	s_or_b64 s[28:29], s[2:3], s[4:5]
.LBB127_2090:
	s_or_b64 exec, exec, s[30:31]
	s_and_saveexec_b64 s[2:3], s[28:29]
	s_cbranch_execz .LBB127_2093
; %bb.2091:
	; divergent unreachable
	s_or_b64 exec, exec, s[2:3]
	s_and_saveexec_b64 s[2:3], s[6:7]
	s_xor_b64 s[2:3], exec, s[2:3]
	s_cbranch_execnz .LBB127_2094
.LBB127_2092:
	s_or_b64 exec, exec, s[2:3]
	s_and_saveexec_b64 s[2:3], s[0:1]
	s_cbranch_execnz .LBB127_2095
	s_branch .LBB127_2132
.LBB127_2093:
	s_or_b64 exec, exec, s[2:3]
	s_and_saveexec_b64 s[2:3], s[6:7]
	s_xor_b64 s[2:3], exec, s[2:3]
	s_cbranch_execz .LBB127_2092
.LBB127_2094:
	s_waitcnt vmcnt(0)
	v_cmp_neq_f64_e32 vcc, 0, v[0:1]
	v_cndmask_b32_e64 v2, 0, 1, vcc
	global_store_byte v[4:5], v2, off
	s_or_b64 exec, exec, s[2:3]
	s_and_saveexec_b64 s[2:3], s[0:1]
	s_cbranch_execz .LBB127_2132
.LBB127_2095:
	s_sext_i32_i16 s2, s18
	s_cmp_lt_i32 s2, 5
	s_mov_b64 s[0:1], -1
	s_cbranch_scc1 .LBB127_2116
; %bb.2096:
	s_cmp_lt_i32 s2, 8
	s_cbranch_scc1 .LBB127_2106
; %bb.2097:
	s_cmp_lt_i32 s2, 9
	s_cbranch_scc1 .LBB127_2103
; %bb.2098:
	s_cmp_gt_i32 s2, 9
	s_cbranch_scc0 .LBB127_2100
; %bb.2099:
	v_mov_b32_e32 v2, 0
	s_waitcnt vmcnt(0)
	v_mov_b32_e32 v3, v2
	global_store_dwordx4 v[4:5], v[0:3], off
	s_mov_b64 s[0:1], 0
.LBB127_2100:
	s_andn2_b64 vcc, exec, s[0:1]
	s_cbranch_vccnz .LBB127_2102
; %bb.2101:
	s_waitcnt vmcnt(0)
	v_cvt_f32_f64_e32 v2, v[0:1]
	v_mov_b32_e32 v3, 0
	global_store_dwordx2 v[4:5], v[2:3], off
.LBB127_2102:
	s_mov_b64 s[0:1], 0
.LBB127_2103:
	s_andn2_b64 vcc, exec, s[0:1]
	s_cbranch_vccnz .LBB127_2105
; %bb.2104:
	s_movk_i32 s0, 0x1ff
	s_waitcnt vmcnt(0)
	v_and_or_b32 v2, v1, s0, v0
	v_cmp_ne_u32_e32 vcc, 0, v2
	v_cndmask_b32_e64 v2, 0, 1, vcc
	v_lshrrev_b32_e32 v3, 8, v1
	s_movk_i32 s0, 0xffe
	v_bfe_u32 v6, v1, 20, 11
	v_and_or_b32 v2, v3, s0, v2
	v_sub_u32_e32 v7, 0x3f1, v6
	v_or_b32_e32 v3, 0x1000, v2
	v_med3_i32 v7, v7, 0, 13
	v_lshrrev_b32_e32 v8, v7, v3
	v_lshlrev_b32_e32 v7, v7, v8
	v_cmp_ne_u32_e32 vcc, v7, v3
	v_cndmask_b32_e64 v3, 0, 1, vcc
	v_add_u32_e32 v6, 0xfffffc10, v6
	v_or_b32_e32 v3, v8, v3
	v_lshl_or_b32 v7, v6, 12, v2
	v_cmp_gt_i32_e32 vcc, 1, v6
	v_cndmask_b32_e32 v3, v7, v3, vcc
	v_and_b32_e32 v7, 7, v3
	v_cmp_lt_i32_e32 vcc, 5, v7
	v_cndmask_b32_e64 v8, 0, 1, vcc
	v_cmp_eq_u32_e32 vcc, 3, v7
	v_cndmask_b32_e64 v7, 0, 1, vcc
	v_or_b32_e32 v7, v7, v8
	v_lshrrev_b32_e32 v3, 2, v3
	v_add_u32_e32 v3, v3, v7
	v_mov_b32_e32 v7, 0x7c00
	v_cmp_gt_i32_e32 vcc, 31, v6
	v_cndmask_b32_e32 v3, v7, v3, vcc
	v_mov_b32_e32 v8, 0x7e00
	v_cmp_ne_u32_e32 vcc, 0, v2
	s_movk_i32 s0, 0x40f
	v_cndmask_b32_e32 v2, v7, v8, vcc
	v_cmp_eq_u32_e32 vcc, s0, v6
	v_cndmask_b32_e32 v2, v3, v2, vcc
	v_lshrrev_b32_e32 v3, 16, v1
	s_mov_b32 s0, 0x8000
	v_and_or_b32 v2, v3, s0, v2
	v_and_b32_e32 v2, 0xffff, v2
	global_store_dword v[4:5], v2, off
.LBB127_2105:
	s_mov_b64 s[0:1], 0
.LBB127_2106:
	s_andn2_b64 vcc, exec, s[0:1]
	s_cbranch_vccnz .LBB127_2115
; %bb.2107:
	s_sext_i32_i16 s2, s18
	s_cmp_lt_i32 s2, 6
	s_mov_b64 s[0:1], -1
	s_cbranch_scc1 .LBB127_2113
; %bb.2108:
	s_cmp_gt_i32 s2, 6
	s_cbranch_scc0 .LBB127_2110
; %bb.2109:
	s_waitcnt vmcnt(0)
	global_store_dwordx2 v[4:5], v[0:1], off
	s_mov_b64 s[0:1], 0
.LBB127_2110:
	s_andn2_b64 vcc, exec, s[0:1]
	s_cbranch_vccnz .LBB127_2112
; %bb.2111:
	s_waitcnt vmcnt(0)
	v_cvt_f32_f64_e32 v2, v[0:1]
	global_store_dword v[4:5], v2, off
.LBB127_2112:
	s_mov_b64 s[0:1], 0
.LBB127_2113:
	s_andn2_b64 vcc, exec, s[0:1]
	s_cbranch_vccnz .LBB127_2115
; %bb.2114:
	s_movk_i32 s0, 0x1ff
	s_waitcnt vmcnt(0)
	v_and_or_b32 v2, v1, s0, v0
	v_cmp_ne_u32_e32 vcc, 0, v2
	v_cndmask_b32_e64 v2, 0, 1, vcc
	v_lshrrev_b32_e32 v3, 8, v1
	s_movk_i32 s0, 0xffe
	v_bfe_u32 v6, v1, 20, 11
	v_and_or_b32 v2, v3, s0, v2
	v_sub_u32_e32 v7, 0x3f1, v6
	v_or_b32_e32 v3, 0x1000, v2
	v_med3_i32 v7, v7, 0, 13
	v_lshrrev_b32_e32 v8, v7, v3
	v_lshlrev_b32_e32 v7, v7, v8
	v_cmp_ne_u32_e32 vcc, v7, v3
	v_cndmask_b32_e64 v3, 0, 1, vcc
	v_add_u32_e32 v6, 0xfffffc10, v6
	v_or_b32_e32 v3, v8, v3
	v_lshl_or_b32 v7, v6, 12, v2
	v_cmp_gt_i32_e32 vcc, 1, v6
	v_cndmask_b32_e32 v3, v7, v3, vcc
	v_and_b32_e32 v7, 7, v3
	v_cmp_lt_i32_e32 vcc, 5, v7
	v_cndmask_b32_e64 v8, 0, 1, vcc
	v_cmp_eq_u32_e32 vcc, 3, v7
	v_cndmask_b32_e64 v7, 0, 1, vcc
	v_or_b32_e32 v7, v7, v8
	v_lshrrev_b32_e32 v3, 2, v3
	v_add_u32_e32 v3, v3, v7
	v_mov_b32_e32 v7, 0x7c00
	v_cmp_gt_i32_e32 vcc, 31, v6
	v_cndmask_b32_e32 v3, v7, v3, vcc
	v_mov_b32_e32 v8, 0x7e00
	v_cmp_ne_u32_e32 vcc, 0, v2
	s_movk_i32 s0, 0x40f
	v_cndmask_b32_e32 v2, v7, v8, vcc
	v_cmp_eq_u32_e32 vcc, s0, v6
	v_cndmask_b32_e32 v2, v3, v2, vcc
	v_lshrrev_b32_e32 v3, 16, v1
	s_mov_b32 s0, 0x8000
	v_and_or_b32 v2, v3, s0, v2
	global_store_short v[4:5], v2, off
.LBB127_2115:
	s_mov_b64 s[0:1], 0
.LBB127_2116:
	s_andn2_b64 vcc, exec, s[0:1]
	s_cbranch_vccnz .LBB127_2132
; %bb.2117:
	s_sext_i32_i16 s2, s18
	s_cmp_lt_i32 s2, 2
	s_mov_b64 s[0:1], -1
	s_cbranch_scc1 .LBB127_2127
; %bb.2118:
	s_cmp_lt_i32 s2, 3
	s_cbranch_scc1 .LBB127_2124
; %bb.2119:
	s_cmp_gt_i32 s2, 3
	s_cbranch_scc0 .LBB127_2121
; %bb.2120:
	s_waitcnt vmcnt(0)
	v_trunc_f64_e32 v[2:3], v[0:1]
	s_movk_i32 s0, 0xffe0
	v_ldexp_f64 v[6:7], v[2:3], s0
	s_mov_b32 s0, 0
	s_mov_b32 s1, 0xc1f00000
	v_floor_f64_e32 v[6:7], v[6:7]
	v_fma_f64 v[2:3], v[6:7], s[0:1], v[2:3]
	v_cvt_i32_f64_e32 v7, v[6:7]
	s_mov_b64 s[0:1], 0
	v_cvt_u32_f64_e32 v6, v[2:3]
	global_store_dwordx2 v[4:5], v[6:7], off
.LBB127_2121:
	s_andn2_b64 vcc, exec, s[0:1]
	s_cbranch_vccnz .LBB127_2123
; %bb.2122:
	s_waitcnt vmcnt(0)
	v_cvt_i32_f64_e32 v2, v[0:1]
	global_store_dword v[4:5], v2, off
.LBB127_2123:
	s_mov_b64 s[0:1], 0
.LBB127_2124:
	s_andn2_b64 vcc, exec, s[0:1]
	s_cbranch_vccnz .LBB127_2126
; %bb.2125:
	s_waitcnt vmcnt(0)
	v_cvt_i32_f64_e32 v2, v[0:1]
	global_store_short v[4:5], v2, off
.LBB127_2126:
	s_mov_b64 s[0:1], 0
.LBB127_2127:
	s_andn2_b64 vcc, exec, s[0:1]
	s_cbranch_vccnz .LBB127_2132
; %bb.2128:
	s_sext_i32_i16 s0, s18
	s_cmp_gt_i32 s0, 0
	s_mov_b64 s[0:1], -1
	s_cbranch_scc0 .LBB127_2130
; %bb.2129:
	s_waitcnt vmcnt(0)
	v_cvt_i32_f64_e32 v2, v[0:1]
	s_mov_b64 s[0:1], 0
	global_store_byte v[4:5], v2, off
.LBB127_2130:
	s_andn2_b64 vcc, exec, s[0:1]
	s_cbranch_vccnz .LBB127_2132
; %bb.2131:
	s_waitcnt vmcnt(0)
	v_trunc_f64_e32 v[0:1], v[0:1]
	s_movk_i32 s0, 0xffe0
	v_ldexp_f64 v[2:3], v[0:1], s0
	s_mov_b32 s0, 0
	s_mov_b32 s1, 0xc1f00000
	v_floor_f64_e32 v[2:3], v[2:3]
	v_fma_f64 v[0:1], v[2:3], s[0:1], v[0:1]
	v_cvt_u32_f64_e32 v0, v[0:1]
	global_store_byte v[4:5], v0, off
	s_endpgm
.LBB127_2132:
	s_endpgm
.LBB127_2133:
	s_mov_b64 s[2:3], 0
	s_mov_b64 s[0:1], -1
	s_branch .LBB127_2089
.LBB127_2134:
	s_trap 2
	s_or_b64 s[12:13], s[12:13], exec
	s_cbranch_execz .LBB127_1603
	s_branch .LBB127_1604
.LBB127_2135:
	s_andn2_saveexec_b64 s[16:17], s[16:17]
	s_cbranch_execz .LBB127_1683
.LBB127_2136:
	s_mov_b32 s20, 0x46000000
	v_add_f32_e64 v3, |v2|, s20
	v_and_b32_e32 v3, 0xff, v3
	v_cmp_ne_u32_e32 vcc, 0, v3
	s_andn2_b64 s[14:15], s[14:15], exec
	s_and_b64 s[20:21], vcc, exec
	s_or_b64 s[14:15], s[14:15], s[20:21]
	s_or_b64 exec, exec, s[16:17]
	v_mov_b32_e32 v5, 0
	s_and_saveexec_b64 s[16:17], s[14:15]
	s_cbranch_execnz .LBB127_1684
	s_branch .LBB127_1685
.LBB127_2137:
	s_trap 2
	s_or_b64 s[12:13], s[12:13], exec
	s_cbranch_execz .LBB127_1731
	s_branch .LBB127_1732
.LBB127_2138:
	s_andn2_saveexec_b64 s[14:15], s[14:15]
	s_cbranch_execz .LBB127_1696
.LBB127_2139:
	s_mov_b32 s16, 0x42800000
	v_add_f32_e64 v3, |v2|, s16
	v_and_b32_e32 v3, 0xff, v3
	v_cmp_ne_u32_e32 vcc, 0, v3
	s_andn2_b64 s[10:11], s[10:11], exec
	s_and_b64 s[16:17], vcc, exec
	s_or_b64 s[10:11], s[10:11], s[16:17]
	s_or_b64 exec, exec, s[14:15]
	v_mov_b32_e32 v5, 0
	s_and_saveexec_b64 s[14:15], s[10:11]
	s_cbranch_execnz .LBB127_1697
	s_branch .LBB127_1698
.LBB127_2140:
	s_andn2_saveexec_b64 s[16:17], s[16:17]
	s_cbranch_execz .LBB127_1802
.LBB127_2141:
	s_mov_b32 s20, 0x46000000
	v_add_f32_e64 v3, |v2|, s20
	v_and_b32_e32 v3, 0xff, v3
	v_cmp_ne_u32_e32 vcc, 0, v3
	s_andn2_b64 s[14:15], s[14:15], exec
	s_and_b64 s[20:21], vcc, exec
	s_or_b64 s[14:15], s[14:15], s[20:21]
	s_or_b64 exec, exec, s[16:17]
	v_mov_b32_e32 v5, 0
	s_and_saveexec_b64 s[16:17], s[14:15]
	s_cbranch_execnz .LBB127_1803
	s_branch .LBB127_1804
.LBB127_2142:
	s_trap 2
	s_or_b64 s[12:13], s[12:13], exec
	s_cbranch_execz .LBB127_1850
	s_branch .LBB127_1851
.LBB127_2143:
	s_andn2_saveexec_b64 s[14:15], s[14:15]
	s_cbranch_execz .LBB127_1815
.LBB127_2144:
	s_mov_b32 s16, 0x42800000
	v_add_f32_e64 v3, |v2|, s16
	v_and_b32_e32 v3, 0xff, v3
	v_cmp_ne_u32_e32 vcc, 0, v3
	s_andn2_b64 s[10:11], s[10:11], exec
	s_and_b64 s[16:17], vcc, exec
	s_or_b64 s[10:11], s[10:11], s[16:17]
	s_or_b64 exec, exec, s[14:15]
	v_mov_b32_e32 v5, 0
	s_and_saveexec_b64 s[14:15], s[10:11]
	s_cbranch_execnz .LBB127_1816
	s_branch .LBB127_1817
.LBB127_2145:
	s_andn2_saveexec_b64 s[16:17], s[16:17]
	s_cbranch_execz .LBB127_1921
.LBB127_2146:
	s_mov_b32 s20, 0x46000000
	v_add_f32_e64 v3, |v2|, s20
	v_and_b32_e32 v3, 0xff, v3
	v_cmp_ne_u32_e32 vcc, 0, v3
	s_andn2_b64 s[14:15], s[14:15], exec
	s_and_b64 s[20:21], vcc, exec
	s_or_b64 s[14:15], s[14:15], s[20:21]
	s_or_b64 exec, exec, s[16:17]
	v_mov_b32_e32 v7, 0
	s_and_saveexec_b64 s[16:17], s[14:15]
	s_cbranch_execnz .LBB127_1922
	s_branch .LBB127_1923
.LBB127_2147:
	s_trap 2
	s_or_b64 s[12:13], s[12:13], exec
	s_cbranch_execz .LBB127_1969
	s_branch .LBB127_1970
.LBB127_2148:
	s_andn2_saveexec_b64 s[14:15], s[14:15]
	s_cbranch_execz .LBB127_1934
.LBB127_2149:
	s_mov_b32 s16, 0x42800000
	v_add_f32_e64 v3, |v2|, s16
	v_and_b32_e32 v3, 0xff, v3
	v_cmp_ne_u32_e32 vcc, 0, v3
	s_andn2_b64 s[10:11], s[10:11], exec
	s_and_b64 s[16:17], vcc, exec
	s_or_b64 s[10:11], s[10:11], s[16:17]
	s_or_b64 exec, exec, s[14:15]
	v_mov_b32_e32 v7, 0
	s_and_saveexec_b64 s[14:15], s[10:11]
	s_cbranch_execnz .LBB127_1935
	s_branch .LBB127_1936
.LBB127_2150:
	s_andn2_saveexec_b64 s[8:9], s[8:9]
	s_cbranch_execz .LBB127_2041
.LBB127_2151:
	s_mov_b32 s10, 0x46000000
	v_add_f32_e64 v3, |v2|, s10
	v_and_b32_e32 v3, 0xff, v3
	v_cmp_ne_u32_e32 vcc, 0, v3
	s_andn2_b64 s[6:7], s[6:7], exec
	s_and_b64 s[10:11], vcc, exec
	s_or_b64 s[6:7], s[6:7], s[10:11]
	s_or_b64 exec, exec, s[8:9]
	v_mov_b32_e32 v6, 0
	s_and_saveexec_b64 s[8:9], s[6:7]
	s_cbranch_execnz .LBB127_2042
	s_branch .LBB127_2043
.LBB127_2152:
	s_mov_b64 s[2:3], 0
	s_or_b64 s[12:13], s[12:13], exec
	s_trap 2
	s_branch .LBB127_2087
.LBB127_2153:
	s_andn2_saveexec_b64 s[6:7], s[6:7]
	s_cbranch_execz .LBB127_2053
.LBB127_2154:
	s_mov_b32 s8, 0x42800000
	v_add_f32_e64 v3, |v2|, s8
	v_and_b32_e32 v3, 0xff, v3
	v_cmp_ne_u32_e32 vcc, 0, v3
	s_andn2_b64 s[4:5], s[4:5], exec
	s_and_b64 s[8:9], vcc, exec
	s_or_b64 s[4:5], s[4:5], s[8:9]
	s_or_b64 exec, exec, s[6:7]
	v_mov_b32_e32 v6, 0
	s_and_saveexec_b64 s[6:7], s[4:5]
	s_cbranch_execnz .LBB127_2054
	s_branch .LBB127_2055
	.section	.rodata,"a",@progbits
	.p2align	6, 0x0
	.amdhsa_kernel _ZN2at6native32elementwise_kernel_manual_unrollILi128ELi4EZNS0_15gpu_kernel_implINS0_13AUnaryFunctorIdddZNS0_12_GLOBAL__N_121threshold_kernel_implIdEEvRNS_18TensorIteratorBaseET_S8_EUlddE_EEEEvS7_RKS8_EUlibE0_EEviT1_
		.amdhsa_group_segment_fixed_size 0
		.amdhsa_private_segment_fixed_size 0
		.amdhsa_kernarg_size 384
		.amdhsa_user_sgpr_count 6
		.amdhsa_user_sgpr_private_segment_buffer 1
		.amdhsa_user_sgpr_dispatch_ptr 0
		.amdhsa_user_sgpr_queue_ptr 0
		.amdhsa_user_sgpr_kernarg_segment_ptr 1
		.amdhsa_user_sgpr_dispatch_id 0
		.amdhsa_user_sgpr_flat_scratch_init 0
		.amdhsa_user_sgpr_private_segment_size 0
		.amdhsa_uses_dynamic_stack 0
		.amdhsa_system_sgpr_private_segment_wavefront_offset 0
		.amdhsa_system_sgpr_workgroup_id_x 1
		.amdhsa_system_sgpr_workgroup_id_y 0
		.amdhsa_system_sgpr_workgroup_id_z 0
		.amdhsa_system_sgpr_workgroup_info 0
		.amdhsa_system_vgpr_workitem_id 0
		.amdhsa_next_free_vgpr 19
		.amdhsa_next_free_sgpr 82
		.amdhsa_reserve_vcc 1
		.amdhsa_reserve_flat_scratch 0
		.amdhsa_float_round_mode_32 0
		.amdhsa_float_round_mode_16_64 0
		.amdhsa_float_denorm_mode_32 3
		.amdhsa_float_denorm_mode_16_64 3
		.amdhsa_dx10_clamp 1
		.amdhsa_ieee_mode 1
		.amdhsa_fp16_overflow 0
		.amdhsa_exception_fp_ieee_invalid_op 0
		.amdhsa_exception_fp_denorm_src 0
		.amdhsa_exception_fp_ieee_div_zero 0
		.amdhsa_exception_fp_ieee_overflow 0
		.amdhsa_exception_fp_ieee_underflow 0
		.amdhsa_exception_fp_ieee_inexact 0
		.amdhsa_exception_int_div_zero 0
	.end_amdhsa_kernel
	.section	.text._ZN2at6native32elementwise_kernel_manual_unrollILi128ELi4EZNS0_15gpu_kernel_implINS0_13AUnaryFunctorIdddZNS0_12_GLOBAL__N_121threshold_kernel_implIdEEvRNS_18TensorIteratorBaseET_S8_EUlddE_EEEEvS7_RKS8_EUlibE0_EEviT1_,"axG",@progbits,_ZN2at6native32elementwise_kernel_manual_unrollILi128ELi4EZNS0_15gpu_kernel_implINS0_13AUnaryFunctorIdddZNS0_12_GLOBAL__N_121threshold_kernel_implIdEEvRNS_18TensorIteratorBaseET_S8_EUlddE_EEEEvS7_RKS8_EUlibE0_EEviT1_,comdat
.Lfunc_end127:
	.size	_ZN2at6native32elementwise_kernel_manual_unrollILi128ELi4EZNS0_15gpu_kernel_implINS0_13AUnaryFunctorIdddZNS0_12_GLOBAL__N_121threshold_kernel_implIdEEvRNS_18TensorIteratorBaseET_S8_EUlddE_EEEEvS7_RKS8_EUlibE0_EEviT1_, .Lfunc_end127-_ZN2at6native32elementwise_kernel_manual_unrollILi128ELi4EZNS0_15gpu_kernel_implINS0_13AUnaryFunctorIdddZNS0_12_GLOBAL__N_121threshold_kernel_implIdEEvRNS_18TensorIteratorBaseET_S8_EUlddE_EEEEvS7_RKS8_EUlibE0_EEviT1_
                                        ; -- End function
	.set _ZN2at6native32elementwise_kernel_manual_unrollILi128ELi4EZNS0_15gpu_kernel_implINS0_13AUnaryFunctorIdddZNS0_12_GLOBAL__N_121threshold_kernel_implIdEEvRNS_18TensorIteratorBaseET_S8_EUlddE_EEEEvS7_RKS8_EUlibE0_EEviT1_.num_vgpr, 19
	.set _ZN2at6native32elementwise_kernel_manual_unrollILi128ELi4EZNS0_15gpu_kernel_implINS0_13AUnaryFunctorIdddZNS0_12_GLOBAL__N_121threshold_kernel_implIdEEvRNS_18TensorIteratorBaseET_S8_EUlddE_EEEEvS7_RKS8_EUlibE0_EEviT1_.num_agpr, 0
	.set _ZN2at6native32elementwise_kernel_manual_unrollILi128ELi4EZNS0_15gpu_kernel_implINS0_13AUnaryFunctorIdddZNS0_12_GLOBAL__N_121threshold_kernel_implIdEEvRNS_18TensorIteratorBaseET_S8_EUlddE_EEEEvS7_RKS8_EUlibE0_EEviT1_.numbered_sgpr, 82
	.set _ZN2at6native32elementwise_kernel_manual_unrollILi128ELi4EZNS0_15gpu_kernel_implINS0_13AUnaryFunctorIdddZNS0_12_GLOBAL__N_121threshold_kernel_implIdEEvRNS_18TensorIteratorBaseET_S8_EUlddE_EEEEvS7_RKS8_EUlibE0_EEviT1_.num_named_barrier, 0
	.set _ZN2at6native32elementwise_kernel_manual_unrollILi128ELi4EZNS0_15gpu_kernel_implINS0_13AUnaryFunctorIdddZNS0_12_GLOBAL__N_121threshold_kernel_implIdEEvRNS_18TensorIteratorBaseET_S8_EUlddE_EEEEvS7_RKS8_EUlibE0_EEviT1_.private_seg_size, 0
	.set _ZN2at6native32elementwise_kernel_manual_unrollILi128ELi4EZNS0_15gpu_kernel_implINS0_13AUnaryFunctorIdddZNS0_12_GLOBAL__N_121threshold_kernel_implIdEEvRNS_18TensorIteratorBaseET_S8_EUlddE_EEEEvS7_RKS8_EUlibE0_EEviT1_.uses_vcc, 1
	.set _ZN2at6native32elementwise_kernel_manual_unrollILi128ELi4EZNS0_15gpu_kernel_implINS0_13AUnaryFunctorIdddZNS0_12_GLOBAL__N_121threshold_kernel_implIdEEvRNS_18TensorIteratorBaseET_S8_EUlddE_EEEEvS7_RKS8_EUlibE0_EEviT1_.uses_flat_scratch, 0
	.set _ZN2at6native32elementwise_kernel_manual_unrollILi128ELi4EZNS0_15gpu_kernel_implINS0_13AUnaryFunctorIdddZNS0_12_GLOBAL__N_121threshold_kernel_implIdEEvRNS_18TensorIteratorBaseET_S8_EUlddE_EEEEvS7_RKS8_EUlibE0_EEviT1_.has_dyn_sized_stack, 0
	.set _ZN2at6native32elementwise_kernel_manual_unrollILi128ELi4EZNS0_15gpu_kernel_implINS0_13AUnaryFunctorIdddZNS0_12_GLOBAL__N_121threshold_kernel_implIdEEvRNS_18TensorIteratorBaseET_S8_EUlddE_EEEEvS7_RKS8_EUlibE0_EEviT1_.has_recursion, 0
	.set _ZN2at6native32elementwise_kernel_manual_unrollILi128ELi4EZNS0_15gpu_kernel_implINS0_13AUnaryFunctorIdddZNS0_12_GLOBAL__N_121threshold_kernel_implIdEEvRNS_18TensorIteratorBaseET_S8_EUlddE_EEEEvS7_RKS8_EUlibE0_EEviT1_.has_indirect_call, 0
	.section	.AMDGPU.csdata,"",@progbits
; Kernel info:
; codeLenInByte = 40956
; TotalNumSgprs: 86
; NumVgprs: 19
; ScratchSize: 0
; MemoryBound: 1
; FloatMode: 240
; IeeeMode: 1
; LDSByteSize: 0 bytes/workgroup (compile time only)
; SGPRBlocks: 10
; VGPRBlocks: 4
; NumSGPRsForWavesPerEU: 86
; NumVGPRsForWavesPerEU: 19
; Occupancy: 9
; WaveLimiterHint : 1
; COMPUTE_PGM_RSRC2:SCRATCH_EN: 0
; COMPUTE_PGM_RSRC2:USER_SGPR: 6
; COMPUTE_PGM_RSRC2:TRAP_HANDLER: 0
; COMPUTE_PGM_RSRC2:TGID_X_EN: 1
; COMPUTE_PGM_RSRC2:TGID_Y_EN: 0
; COMPUTE_PGM_RSRC2:TGID_Z_EN: 0
; COMPUTE_PGM_RSRC2:TIDIG_COMP_CNT: 0
	.section	.text._ZN2at6native29vectorized_elementwise_kernelILi16ENS0_13BUnaryFunctorIdddZNS0_12_GLOBAL__N_121threshold_kernel_implIdEEvRNS_18TensorIteratorBaseET_S7_EUlddE_EESt5arrayIPcLm2EEEEviT0_T1_,"axG",@progbits,_ZN2at6native29vectorized_elementwise_kernelILi16ENS0_13BUnaryFunctorIdddZNS0_12_GLOBAL__N_121threshold_kernel_implIdEEvRNS_18TensorIteratorBaseET_S7_EUlddE_EESt5arrayIPcLm2EEEEviT0_T1_,comdat
	.globl	_ZN2at6native29vectorized_elementwise_kernelILi16ENS0_13BUnaryFunctorIdddZNS0_12_GLOBAL__N_121threshold_kernel_implIdEEvRNS_18TensorIteratorBaseET_S7_EUlddE_EESt5arrayIPcLm2EEEEviT0_T1_ ; -- Begin function _ZN2at6native29vectorized_elementwise_kernelILi16ENS0_13BUnaryFunctorIdddZNS0_12_GLOBAL__N_121threshold_kernel_implIdEEvRNS_18TensorIteratorBaseET_S7_EUlddE_EESt5arrayIPcLm2EEEEviT0_T1_
	.p2align	8
	.type	_ZN2at6native29vectorized_elementwise_kernelILi16ENS0_13BUnaryFunctorIdddZNS0_12_GLOBAL__N_121threshold_kernel_implIdEEvRNS_18TensorIteratorBaseET_S7_EUlddE_EESt5arrayIPcLm2EEEEviT0_T1_,@function
_ZN2at6native29vectorized_elementwise_kernelILi16ENS0_13BUnaryFunctorIdddZNS0_12_GLOBAL__N_121threshold_kernel_implIdEEvRNS_18TensorIteratorBaseET_S7_EUlddE_EESt5arrayIPcLm2EEEEviT0_T1_: ; @_ZN2at6native29vectorized_elementwise_kernelILi16ENS0_13BUnaryFunctorIdddZNS0_12_GLOBAL__N_121threshold_kernel_implIdEEvRNS_18TensorIteratorBaseET_S7_EUlddE_EESt5arrayIPcLm2EEEEviT0_T1_
; %bb.0:
	s_load_dword s0, s[4:5], 0x0
	s_load_dwordx8 s[8:15], s[4:5], 0x8
	s_load_dwordx2 s[16:17], s[4:5], 0x28
	s_lshl_b32 s6, s6, 10
	s_waitcnt lgkmcnt(0)
	s_sub_i32 s18, s0, s6
	s_cmpk_gt_i32 s18, 0x3ff
	s_mov_b64 s[0:1], -1
	s_cbranch_scc0 .LBB128_2
; %bb.1:
	s_ashr_i32 s7, s6, 31
	s_lshl_b64 s[0:1], s[6:7], 3
	s_add_u32 s2, s16, s0
	s_addc_u32 s3, s17, s1
	v_lshlrev_b32_e32 v9, 5, v0
	global_load_dwordx4 v[1:4], v9, s[2:3]
	global_load_dwordx4 v[5:8], v9, s[2:3] offset:16
	s_add_u32 s20, s14, s0
	s_addc_u32 s21, s15, s1
	v_mov_b32_e32 v10, s11
	v_mov_b32_e32 v11, s13
	;; [unrolled: 1-line block ×4, first 2 shown]
	s_waitcnt vmcnt(1)
	v_cmp_nge_f64_e32 vcc, s[8:9], v[1:2]
	v_cmp_nge_f64_e64 s[0:1], s[8:9], v[3:4]
	s_waitcnt vmcnt(0)
	v_cmp_nge_f64_e64 s[2:3], s[8:9], v[5:6]
	v_cmp_nge_f64_e64 s[4:5], s[8:9], v[7:8]
	v_cndmask_b32_e32 v2, v10, v11, vcc
	v_cndmask_b32_e64 v4, v10, v11, s[0:1]
	v_cndmask_b32_e32 v1, v12, v13, vcc
	v_cndmask_b32_e64 v3, v12, v13, s[0:1]
	v_cndmask_b32_e64 v6, v10, v11, s[2:3]
	;; [unrolled: 1-line block ×5, first 2 shown]
	global_store_dwordx4 v9, v[1:4], s[20:21]
	global_store_dwordx4 v9, v[5:8], s[20:21] offset:16
	s_mov_b64 s[0:1], 0
.LBB128_2:
	s_andn2_b64 vcc, exec, s[0:1]
	s_cbranch_vccnz .LBB128_16
; %bb.3:
	v_mov_b32_e32 v3, 0
	v_mov_b32_e32 v5, 0
	v_cmp_gt_i32_e32 vcc, s18, v0
	v_mov_b32_e32 v4, 0
	v_or_b32_e32 v1, s6, v0
	v_mov_b32_e32 v6, 0
	v_mov_b32_e32 v2, v0
	s_and_saveexec_b64 s[2:3], vcc
	s_cbranch_execz .LBB128_5
; %bb.4:
	v_mov_b32_e32 v2, 0
	v_lshlrev_b64 v[5:6], 3, v[1:2]
	v_mov_b32_e32 v2, s17
	v_add_co_u32_e64 v5, s[0:1], s16, v5
	v_addc_co_u32_e64 v6, s[0:1], v2, v6, s[0:1]
	global_load_dwordx2 v[5:6], v[5:6], off
	v_or_b32_e32 v2, 0x100, v0
.LBB128_5:
	s_or_b64 exec, exec, s[2:3]
	v_cmp_gt_i32_e64 s[0:1], s18, v2
	s_and_saveexec_b64 s[2:3], s[0:1]
	s_cbranch_execz .LBB128_7
; %bb.6:
	v_add_u32_e32 v3, s6, v2
	v_mov_b32_e32 v4, 0
	v_lshlrev_b64 v[3:4], 3, v[3:4]
	v_mov_b32_e32 v7, s17
	v_add_co_u32_e64 v3, s[0:1], s16, v3
	v_addc_co_u32_e64 v4, s[0:1], v7, v4, s[0:1]
	global_load_dwordx2 v[3:4], v[3:4], off
	v_add_u32_e32 v2, 0x100, v2
.LBB128_7:
	s_or_b64 exec, exec, s[2:3]
	v_mov_b32_e32 v7, 0
	v_mov_b32_e32 v9, 0
	;; [unrolled: 1-line block ×4, first 2 shown]
	v_cmp_gt_i32_e64 s[0:1], s18, v2
	s_and_saveexec_b64 s[2:3], s[0:1]
	s_cbranch_execz .LBB128_9
; %bb.8:
	v_add_u32_e32 v9, s6, v2
	v_mov_b32_e32 v10, 0
	v_lshlrev_b64 v[9:10], 3, v[9:10]
	v_mov_b32_e32 v11, s17
	v_add_co_u32_e64 v9, s[0:1], s16, v9
	v_addc_co_u32_e64 v10, s[0:1], v11, v10, s[0:1]
	global_load_dwordx2 v[9:10], v[9:10], off
	v_add_u32_e32 v2, 0x100, v2
.LBB128_9:
	s_or_b64 exec, exec, s[2:3]
	v_cmp_gt_i32_e64 s[0:1], s18, v2
	s_and_saveexec_b64 s[2:3], s[0:1]
	s_cbranch_execz .LBB128_11
; %bb.10:
	v_add_u32_e32 v7, s6, v2
	v_mov_b32_e32 v8, 0
	v_lshlrev_b64 v[7:8], 3, v[7:8]
	v_mov_b32_e32 v2, s17
	v_add_co_u32_e64 v7, s[0:1], s16, v7
	v_addc_co_u32_e64 v8, s[0:1], v2, v8, s[0:1]
	global_load_dwordx2 v[7:8], v[7:8], off
.LBB128_11:
	s_or_b64 exec, exec, s[2:3]
	s_waitcnt vmcnt(0)
	v_cmp_nge_f64_e64 s[0:1], s[8:9], v[5:6]
	v_cmp_nge_f64_e64 s[2:3], s[8:9], v[3:4]
	v_mov_b32_e32 v2, s10
	v_mov_b32_e32 v14, s12
	;; [unrolled: 1-line block ×4, first 2 shown]
	v_or_b32_e32 v13, 0x100, v0
	v_cndmask_b32_e64 v3, v2, v14, s[0:1]
	v_cndmask_b32_e32 v11, 0, v3, vcc
	v_cndmask_b32_e64 v3, v15, v16, s[0:1]
	v_cndmask_b32_e32 v12, 0, v3, vcc
	v_cndmask_b32_e64 v3, v2, v14, s[2:3]
	v_cmp_nge_f64_e64 s[0:1], s[8:9], v[9:10]
	v_cndmask_b32_e64 v4, v15, v16, s[2:3]
	v_cmp_gt_i32_e64 s[2:3], s18, v13
	v_cndmask_b32_e64 v10, 0, v4, s[2:3]
	v_cndmask_b32_e64 v9, 0, v3, s[2:3]
	v_cmp_nge_f64_e64 s[2:3], s[8:9], v[7:8]
	v_or_b32_e32 v3, 0x200, v0
	v_cndmask_b32_e64 v4, v2, v14, s[0:1]
	v_cndmask_b32_e64 v5, v15, v16, s[0:1]
	v_cmp_gt_i32_e64 s[0:1], s18, v3
	v_or_b32_e32 v3, 0x300, v0
	v_cndmask_b32_e64 v6, 0, v5, s[0:1]
	v_cndmask_b32_e64 v5, 0, v4, s[0:1]
	;; [unrolled: 1-line block ×4, first 2 shown]
	v_cmp_gt_i32_e64 s[0:1], s18, v3
	v_cndmask_b32_e64 v4, 0, v4, s[0:1]
	v_cndmask_b32_e64 v3, 0, v2, s[0:1]
	s_and_saveexec_b64 s[0:1], vcc
	s_cbranch_execnz .LBB128_17
; %bb.12:
	s_or_b64 exec, exec, s[0:1]
	v_cmp_gt_i32_e32 vcc, s18, v0
	s_and_saveexec_b64 s[0:1], vcc
	s_cbranch_execnz .LBB128_18
.LBB128_13:
	s_or_b64 exec, exec, s[0:1]
	v_cmp_gt_i32_e32 vcc, s18, v0
	s_and_saveexec_b64 s[0:1], vcc
	s_cbranch_execnz .LBB128_19
.LBB128_14:
	s_or_b64 exec, exec, s[0:1]
	v_cmp_gt_i32_e32 vcc, s18, v0
	s_and_saveexec_b64 s[0:1], vcc
	s_cbranch_execz .LBB128_16
.LBB128_15:
	v_add_u32_e32 v0, s6, v0
	v_mov_b32_e32 v1, 0
	v_lshlrev_b64 v[0:1], 3, v[0:1]
	v_mov_b32_e32 v2, s15
	v_add_co_u32_e32 v0, vcc, s14, v0
	v_addc_co_u32_e32 v1, vcc, v2, v1, vcc
	global_store_dwordx2 v[0:1], v[3:4], off
.LBB128_16:
	s_endpgm
.LBB128_17:
	v_mov_b32_e32 v2, 0
	v_lshlrev_b64 v[0:1], 3, v[1:2]
	v_mov_b32_e32 v2, s15
	v_add_co_u32_e32 v0, vcc, s14, v0
	v_addc_co_u32_e32 v1, vcc, v2, v1, vcc
	global_store_dwordx2 v[0:1], v[11:12], off
	v_mov_b32_e32 v0, v13
	s_or_b64 exec, exec, s[0:1]
	v_cmp_gt_i32_e32 vcc, s18, v0
	s_and_saveexec_b64 s[0:1], vcc
	s_cbranch_execz .LBB128_13
.LBB128_18:
	v_add_u32_e32 v1, s6, v0
	v_mov_b32_e32 v2, 0
	v_lshlrev_b64 v[1:2], 3, v[1:2]
	v_mov_b32_e32 v7, s15
	v_add_co_u32_e32 v1, vcc, s14, v1
	v_addc_co_u32_e32 v2, vcc, v7, v2, vcc
	v_add_u32_e32 v0, 0x100, v0
	global_store_dwordx2 v[1:2], v[9:10], off
	s_or_b64 exec, exec, s[0:1]
	v_cmp_gt_i32_e32 vcc, s18, v0
	s_and_saveexec_b64 s[0:1], vcc
	s_cbranch_execz .LBB128_14
.LBB128_19:
	v_add_u32_e32 v1, s6, v0
	v_mov_b32_e32 v2, 0
	v_lshlrev_b64 v[1:2], 3, v[1:2]
	v_mov_b32_e32 v7, s15
	v_add_co_u32_e32 v1, vcc, s14, v1
	v_addc_co_u32_e32 v2, vcc, v7, v2, vcc
	v_add_u32_e32 v0, 0x100, v0
	global_store_dwordx2 v[1:2], v[5:6], off
	s_or_b64 exec, exec, s[0:1]
	v_cmp_gt_i32_e32 vcc, s18, v0
	s_and_saveexec_b64 s[0:1], vcc
	s_cbranch_execnz .LBB128_15
	s_branch .LBB128_16
	.section	.rodata,"a",@progbits
	.p2align	6, 0x0
	.amdhsa_kernel _ZN2at6native29vectorized_elementwise_kernelILi16ENS0_13BUnaryFunctorIdddZNS0_12_GLOBAL__N_121threshold_kernel_implIdEEvRNS_18TensorIteratorBaseET_S7_EUlddE_EESt5arrayIPcLm2EEEEviT0_T1_
		.amdhsa_group_segment_fixed_size 0
		.amdhsa_private_segment_fixed_size 0
		.amdhsa_kernarg_size 48
		.amdhsa_user_sgpr_count 6
		.amdhsa_user_sgpr_private_segment_buffer 1
		.amdhsa_user_sgpr_dispatch_ptr 0
		.amdhsa_user_sgpr_queue_ptr 0
		.amdhsa_user_sgpr_kernarg_segment_ptr 1
		.amdhsa_user_sgpr_dispatch_id 0
		.amdhsa_user_sgpr_flat_scratch_init 0
		.amdhsa_user_sgpr_private_segment_size 0
		.amdhsa_uses_dynamic_stack 0
		.amdhsa_system_sgpr_private_segment_wavefront_offset 0
		.amdhsa_system_sgpr_workgroup_id_x 1
		.amdhsa_system_sgpr_workgroup_id_y 0
		.amdhsa_system_sgpr_workgroup_id_z 0
		.amdhsa_system_sgpr_workgroup_info 0
		.amdhsa_system_vgpr_workitem_id 0
		.amdhsa_next_free_vgpr 17
		.amdhsa_next_free_sgpr 22
		.amdhsa_reserve_vcc 1
		.amdhsa_reserve_flat_scratch 0
		.amdhsa_float_round_mode_32 0
		.amdhsa_float_round_mode_16_64 0
		.amdhsa_float_denorm_mode_32 3
		.amdhsa_float_denorm_mode_16_64 3
		.amdhsa_dx10_clamp 1
		.amdhsa_ieee_mode 1
		.amdhsa_fp16_overflow 0
		.amdhsa_exception_fp_ieee_invalid_op 0
		.amdhsa_exception_fp_denorm_src 0
		.amdhsa_exception_fp_ieee_div_zero 0
		.amdhsa_exception_fp_ieee_overflow 0
		.amdhsa_exception_fp_ieee_underflow 0
		.amdhsa_exception_fp_ieee_inexact 0
		.amdhsa_exception_int_div_zero 0
	.end_amdhsa_kernel
	.section	.text._ZN2at6native29vectorized_elementwise_kernelILi16ENS0_13BUnaryFunctorIdddZNS0_12_GLOBAL__N_121threshold_kernel_implIdEEvRNS_18TensorIteratorBaseET_S7_EUlddE_EESt5arrayIPcLm2EEEEviT0_T1_,"axG",@progbits,_ZN2at6native29vectorized_elementwise_kernelILi16ENS0_13BUnaryFunctorIdddZNS0_12_GLOBAL__N_121threshold_kernel_implIdEEvRNS_18TensorIteratorBaseET_S7_EUlddE_EESt5arrayIPcLm2EEEEviT0_T1_,comdat
.Lfunc_end128:
	.size	_ZN2at6native29vectorized_elementwise_kernelILi16ENS0_13BUnaryFunctorIdddZNS0_12_GLOBAL__N_121threshold_kernel_implIdEEvRNS_18TensorIteratorBaseET_S7_EUlddE_EESt5arrayIPcLm2EEEEviT0_T1_, .Lfunc_end128-_ZN2at6native29vectorized_elementwise_kernelILi16ENS0_13BUnaryFunctorIdddZNS0_12_GLOBAL__N_121threshold_kernel_implIdEEvRNS_18TensorIteratorBaseET_S7_EUlddE_EESt5arrayIPcLm2EEEEviT0_T1_
                                        ; -- End function
	.set _ZN2at6native29vectorized_elementwise_kernelILi16ENS0_13BUnaryFunctorIdddZNS0_12_GLOBAL__N_121threshold_kernel_implIdEEvRNS_18TensorIteratorBaseET_S7_EUlddE_EESt5arrayIPcLm2EEEEviT0_T1_.num_vgpr, 17
	.set _ZN2at6native29vectorized_elementwise_kernelILi16ENS0_13BUnaryFunctorIdddZNS0_12_GLOBAL__N_121threshold_kernel_implIdEEvRNS_18TensorIteratorBaseET_S7_EUlddE_EESt5arrayIPcLm2EEEEviT0_T1_.num_agpr, 0
	.set _ZN2at6native29vectorized_elementwise_kernelILi16ENS0_13BUnaryFunctorIdddZNS0_12_GLOBAL__N_121threshold_kernel_implIdEEvRNS_18TensorIteratorBaseET_S7_EUlddE_EESt5arrayIPcLm2EEEEviT0_T1_.numbered_sgpr, 22
	.set _ZN2at6native29vectorized_elementwise_kernelILi16ENS0_13BUnaryFunctorIdddZNS0_12_GLOBAL__N_121threshold_kernel_implIdEEvRNS_18TensorIteratorBaseET_S7_EUlddE_EESt5arrayIPcLm2EEEEviT0_T1_.num_named_barrier, 0
	.set _ZN2at6native29vectorized_elementwise_kernelILi16ENS0_13BUnaryFunctorIdddZNS0_12_GLOBAL__N_121threshold_kernel_implIdEEvRNS_18TensorIteratorBaseET_S7_EUlddE_EESt5arrayIPcLm2EEEEviT0_T1_.private_seg_size, 0
	.set _ZN2at6native29vectorized_elementwise_kernelILi16ENS0_13BUnaryFunctorIdddZNS0_12_GLOBAL__N_121threshold_kernel_implIdEEvRNS_18TensorIteratorBaseET_S7_EUlddE_EESt5arrayIPcLm2EEEEviT0_T1_.uses_vcc, 1
	.set _ZN2at6native29vectorized_elementwise_kernelILi16ENS0_13BUnaryFunctorIdddZNS0_12_GLOBAL__N_121threshold_kernel_implIdEEvRNS_18TensorIteratorBaseET_S7_EUlddE_EESt5arrayIPcLm2EEEEviT0_T1_.uses_flat_scratch, 0
	.set _ZN2at6native29vectorized_elementwise_kernelILi16ENS0_13BUnaryFunctorIdddZNS0_12_GLOBAL__N_121threshold_kernel_implIdEEvRNS_18TensorIteratorBaseET_S7_EUlddE_EESt5arrayIPcLm2EEEEviT0_T1_.has_dyn_sized_stack, 0
	.set _ZN2at6native29vectorized_elementwise_kernelILi16ENS0_13BUnaryFunctorIdddZNS0_12_GLOBAL__N_121threshold_kernel_implIdEEvRNS_18TensorIteratorBaseET_S7_EUlddE_EESt5arrayIPcLm2EEEEviT0_T1_.has_recursion, 0
	.set _ZN2at6native29vectorized_elementwise_kernelILi16ENS0_13BUnaryFunctorIdddZNS0_12_GLOBAL__N_121threshold_kernel_implIdEEvRNS_18TensorIteratorBaseET_S7_EUlddE_EESt5arrayIPcLm2EEEEviT0_T1_.has_indirect_call, 0
	.section	.AMDGPU.csdata,"",@progbits
; Kernel info:
; codeLenInByte = 1032
; TotalNumSgprs: 26
; NumVgprs: 17
; ScratchSize: 0
; MemoryBound: 0
; FloatMode: 240
; IeeeMode: 1
; LDSByteSize: 0 bytes/workgroup (compile time only)
; SGPRBlocks: 3
; VGPRBlocks: 4
; NumSGPRsForWavesPerEU: 26
; NumVGPRsForWavesPerEU: 17
; Occupancy: 10
; WaveLimiterHint : 0
; COMPUTE_PGM_RSRC2:SCRATCH_EN: 0
; COMPUTE_PGM_RSRC2:USER_SGPR: 6
; COMPUTE_PGM_RSRC2:TRAP_HANDLER: 0
; COMPUTE_PGM_RSRC2:TGID_X_EN: 1
; COMPUTE_PGM_RSRC2:TGID_Y_EN: 0
; COMPUTE_PGM_RSRC2:TGID_Z_EN: 0
; COMPUTE_PGM_RSRC2:TIDIG_COMP_CNT: 0
	.section	.text._ZN2at6native29vectorized_elementwise_kernelILi8ENS0_13BUnaryFunctorIdddZNS0_12_GLOBAL__N_121threshold_kernel_implIdEEvRNS_18TensorIteratorBaseET_S7_EUlddE_EESt5arrayIPcLm2EEEEviT0_T1_,"axG",@progbits,_ZN2at6native29vectorized_elementwise_kernelILi8ENS0_13BUnaryFunctorIdddZNS0_12_GLOBAL__N_121threshold_kernel_implIdEEvRNS_18TensorIteratorBaseET_S7_EUlddE_EESt5arrayIPcLm2EEEEviT0_T1_,comdat
	.globl	_ZN2at6native29vectorized_elementwise_kernelILi8ENS0_13BUnaryFunctorIdddZNS0_12_GLOBAL__N_121threshold_kernel_implIdEEvRNS_18TensorIteratorBaseET_S7_EUlddE_EESt5arrayIPcLm2EEEEviT0_T1_ ; -- Begin function _ZN2at6native29vectorized_elementwise_kernelILi8ENS0_13BUnaryFunctorIdddZNS0_12_GLOBAL__N_121threshold_kernel_implIdEEvRNS_18TensorIteratorBaseET_S7_EUlddE_EESt5arrayIPcLm2EEEEviT0_T1_
	.p2align	8
	.type	_ZN2at6native29vectorized_elementwise_kernelILi8ENS0_13BUnaryFunctorIdddZNS0_12_GLOBAL__N_121threshold_kernel_implIdEEvRNS_18TensorIteratorBaseET_S7_EUlddE_EESt5arrayIPcLm2EEEEviT0_T1_,@function
_ZN2at6native29vectorized_elementwise_kernelILi8ENS0_13BUnaryFunctorIdddZNS0_12_GLOBAL__N_121threshold_kernel_implIdEEvRNS_18TensorIteratorBaseET_S7_EUlddE_EESt5arrayIPcLm2EEEEviT0_T1_: ; @_ZN2at6native29vectorized_elementwise_kernelILi8ENS0_13BUnaryFunctorIdddZNS0_12_GLOBAL__N_121threshold_kernel_implIdEEvRNS_18TensorIteratorBaseET_S7_EUlddE_EESt5arrayIPcLm2EEEEviT0_T1_
; %bb.0:
	s_load_dword s0, s[4:5], 0x0
	s_load_dwordx8 s[8:15], s[4:5], 0x8
	s_load_dwordx2 s[16:17], s[4:5], 0x28
	s_lshl_b32 s6, s6, 10
	s_waitcnt lgkmcnt(0)
	s_sub_i32 s18, s0, s6
	s_cmpk_gt_i32 s18, 0x3ff
	s_mov_b64 s[0:1], -1
	s_cbranch_scc0 .LBB129_2
; %bb.1:
	s_ashr_i32 s7, s6, 31
	s_lshl_b64 s[0:1], s[6:7], 3
	s_add_u32 s2, s16, s0
	s_addc_u32 s3, s17, s1
	v_lshlrev_b32_e32 v9, 5, v0
	global_load_dwordx4 v[1:4], v9, s[2:3]
	global_load_dwordx4 v[5:8], v9, s[2:3] offset:16
	s_add_u32 s20, s14, s0
	s_addc_u32 s21, s15, s1
	v_mov_b32_e32 v10, s11
	v_mov_b32_e32 v11, s13
	;; [unrolled: 1-line block ×4, first 2 shown]
	s_waitcnt vmcnt(1)
	v_cmp_nge_f64_e32 vcc, s[8:9], v[1:2]
	v_cmp_nge_f64_e64 s[0:1], s[8:9], v[3:4]
	s_waitcnt vmcnt(0)
	v_cmp_nge_f64_e64 s[2:3], s[8:9], v[5:6]
	v_cmp_nge_f64_e64 s[4:5], s[8:9], v[7:8]
	v_cndmask_b32_e32 v2, v10, v11, vcc
	v_cndmask_b32_e64 v4, v10, v11, s[0:1]
	v_cndmask_b32_e32 v1, v12, v13, vcc
	v_cndmask_b32_e64 v3, v12, v13, s[0:1]
	v_cndmask_b32_e64 v6, v10, v11, s[2:3]
	v_cndmask_b32_e64 v8, v10, v11, s[4:5]
	v_cndmask_b32_e64 v5, v12, v13, s[2:3]
	v_cndmask_b32_e64 v7, v12, v13, s[4:5]
	global_store_dwordx4 v9, v[1:4], s[20:21]
	global_store_dwordx4 v9, v[5:8], s[20:21] offset:16
	s_mov_b64 s[0:1], 0
.LBB129_2:
	s_andn2_b64 vcc, exec, s[0:1]
	s_cbranch_vccnz .LBB129_16
; %bb.3:
	v_mov_b32_e32 v3, 0
	v_mov_b32_e32 v5, 0
	v_cmp_gt_i32_e32 vcc, s18, v0
	v_mov_b32_e32 v4, 0
	v_or_b32_e32 v1, s6, v0
	v_mov_b32_e32 v6, 0
	v_mov_b32_e32 v2, v0
	s_and_saveexec_b64 s[2:3], vcc
	s_cbranch_execz .LBB129_5
; %bb.4:
	v_mov_b32_e32 v2, 0
	v_lshlrev_b64 v[5:6], 3, v[1:2]
	v_mov_b32_e32 v2, s17
	v_add_co_u32_e64 v5, s[0:1], s16, v5
	v_addc_co_u32_e64 v6, s[0:1], v2, v6, s[0:1]
	global_load_dwordx2 v[5:6], v[5:6], off
	v_or_b32_e32 v2, 0x100, v0
.LBB129_5:
	s_or_b64 exec, exec, s[2:3]
	v_cmp_gt_i32_e64 s[0:1], s18, v2
	s_and_saveexec_b64 s[2:3], s[0:1]
	s_cbranch_execz .LBB129_7
; %bb.6:
	v_add_u32_e32 v3, s6, v2
	v_mov_b32_e32 v4, 0
	v_lshlrev_b64 v[3:4], 3, v[3:4]
	v_mov_b32_e32 v7, s17
	v_add_co_u32_e64 v3, s[0:1], s16, v3
	v_addc_co_u32_e64 v4, s[0:1], v7, v4, s[0:1]
	global_load_dwordx2 v[3:4], v[3:4], off
	v_add_u32_e32 v2, 0x100, v2
.LBB129_7:
	s_or_b64 exec, exec, s[2:3]
	v_mov_b32_e32 v7, 0
	v_mov_b32_e32 v9, 0
	;; [unrolled: 1-line block ×4, first 2 shown]
	v_cmp_gt_i32_e64 s[0:1], s18, v2
	s_and_saveexec_b64 s[2:3], s[0:1]
	s_cbranch_execz .LBB129_9
; %bb.8:
	v_add_u32_e32 v9, s6, v2
	v_mov_b32_e32 v10, 0
	v_lshlrev_b64 v[9:10], 3, v[9:10]
	v_mov_b32_e32 v11, s17
	v_add_co_u32_e64 v9, s[0:1], s16, v9
	v_addc_co_u32_e64 v10, s[0:1], v11, v10, s[0:1]
	global_load_dwordx2 v[9:10], v[9:10], off
	v_add_u32_e32 v2, 0x100, v2
.LBB129_9:
	s_or_b64 exec, exec, s[2:3]
	v_cmp_gt_i32_e64 s[0:1], s18, v2
	s_and_saveexec_b64 s[2:3], s[0:1]
	s_cbranch_execz .LBB129_11
; %bb.10:
	v_add_u32_e32 v7, s6, v2
	v_mov_b32_e32 v8, 0
	v_lshlrev_b64 v[7:8], 3, v[7:8]
	v_mov_b32_e32 v2, s17
	v_add_co_u32_e64 v7, s[0:1], s16, v7
	v_addc_co_u32_e64 v8, s[0:1], v2, v8, s[0:1]
	global_load_dwordx2 v[7:8], v[7:8], off
.LBB129_11:
	s_or_b64 exec, exec, s[2:3]
	s_waitcnt vmcnt(0)
	v_cmp_nge_f64_e64 s[0:1], s[8:9], v[5:6]
	v_cmp_nge_f64_e64 s[2:3], s[8:9], v[3:4]
	v_mov_b32_e32 v2, s10
	v_mov_b32_e32 v14, s12
	;; [unrolled: 1-line block ×4, first 2 shown]
	v_or_b32_e32 v13, 0x100, v0
	v_cndmask_b32_e64 v3, v2, v14, s[0:1]
	v_cndmask_b32_e32 v11, 0, v3, vcc
	v_cndmask_b32_e64 v3, v15, v16, s[0:1]
	v_cndmask_b32_e32 v12, 0, v3, vcc
	v_cndmask_b32_e64 v3, v2, v14, s[2:3]
	v_cmp_nge_f64_e64 s[0:1], s[8:9], v[9:10]
	v_cndmask_b32_e64 v4, v15, v16, s[2:3]
	v_cmp_gt_i32_e64 s[2:3], s18, v13
	v_cndmask_b32_e64 v10, 0, v4, s[2:3]
	v_cndmask_b32_e64 v9, 0, v3, s[2:3]
	v_cmp_nge_f64_e64 s[2:3], s[8:9], v[7:8]
	v_or_b32_e32 v3, 0x200, v0
	v_cndmask_b32_e64 v4, v2, v14, s[0:1]
	v_cndmask_b32_e64 v5, v15, v16, s[0:1]
	v_cmp_gt_i32_e64 s[0:1], s18, v3
	v_or_b32_e32 v3, 0x300, v0
	v_cndmask_b32_e64 v6, 0, v5, s[0:1]
	v_cndmask_b32_e64 v5, 0, v4, s[0:1]
	;; [unrolled: 1-line block ×4, first 2 shown]
	v_cmp_gt_i32_e64 s[0:1], s18, v3
	v_cndmask_b32_e64 v4, 0, v4, s[0:1]
	v_cndmask_b32_e64 v3, 0, v2, s[0:1]
	s_and_saveexec_b64 s[0:1], vcc
	s_cbranch_execnz .LBB129_17
; %bb.12:
	s_or_b64 exec, exec, s[0:1]
	v_cmp_gt_i32_e32 vcc, s18, v0
	s_and_saveexec_b64 s[0:1], vcc
	s_cbranch_execnz .LBB129_18
.LBB129_13:
	s_or_b64 exec, exec, s[0:1]
	v_cmp_gt_i32_e32 vcc, s18, v0
	s_and_saveexec_b64 s[0:1], vcc
	s_cbranch_execnz .LBB129_19
.LBB129_14:
	s_or_b64 exec, exec, s[0:1]
	v_cmp_gt_i32_e32 vcc, s18, v0
	s_and_saveexec_b64 s[0:1], vcc
	s_cbranch_execz .LBB129_16
.LBB129_15:
	v_add_u32_e32 v0, s6, v0
	v_mov_b32_e32 v1, 0
	v_lshlrev_b64 v[0:1], 3, v[0:1]
	v_mov_b32_e32 v2, s15
	v_add_co_u32_e32 v0, vcc, s14, v0
	v_addc_co_u32_e32 v1, vcc, v2, v1, vcc
	global_store_dwordx2 v[0:1], v[3:4], off
.LBB129_16:
	s_endpgm
.LBB129_17:
	v_mov_b32_e32 v2, 0
	v_lshlrev_b64 v[0:1], 3, v[1:2]
	v_mov_b32_e32 v2, s15
	v_add_co_u32_e32 v0, vcc, s14, v0
	v_addc_co_u32_e32 v1, vcc, v2, v1, vcc
	global_store_dwordx2 v[0:1], v[11:12], off
	v_mov_b32_e32 v0, v13
	s_or_b64 exec, exec, s[0:1]
	v_cmp_gt_i32_e32 vcc, s18, v0
	s_and_saveexec_b64 s[0:1], vcc
	s_cbranch_execz .LBB129_13
.LBB129_18:
	v_add_u32_e32 v1, s6, v0
	v_mov_b32_e32 v2, 0
	v_lshlrev_b64 v[1:2], 3, v[1:2]
	v_mov_b32_e32 v7, s15
	v_add_co_u32_e32 v1, vcc, s14, v1
	v_addc_co_u32_e32 v2, vcc, v7, v2, vcc
	v_add_u32_e32 v0, 0x100, v0
	global_store_dwordx2 v[1:2], v[9:10], off
	s_or_b64 exec, exec, s[0:1]
	v_cmp_gt_i32_e32 vcc, s18, v0
	s_and_saveexec_b64 s[0:1], vcc
	s_cbranch_execz .LBB129_14
.LBB129_19:
	v_add_u32_e32 v1, s6, v0
	v_mov_b32_e32 v2, 0
	v_lshlrev_b64 v[1:2], 3, v[1:2]
	v_mov_b32_e32 v7, s15
	v_add_co_u32_e32 v1, vcc, s14, v1
	v_addc_co_u32_e32 v2, vcc, v7, v2, vcc
	v_add_u32_e32 v0, 0x100, v0
	global_store_dwordx2 v[1:2], v[5:6], off
	s_or_b64 exec, exec, s[0:1]
	v_cmp_gt_i32_e32 vcc, s18, v0
	s_and_saveexec_b64 s[0:1], vcc
	s_cbranch_execnz .LBB129_15
	s_branch .LBB129_16
	.section	.rodata,"a",@progbits
	.p2align	6, 0x0
	.amdhsa_kernel _ZN2at6native29vectorized_elementwise_kernelILi8ENS0_13BUnaryFunctorIdddZNS0_12_GLOBAL__N_121threshold_kernel_implIdEEvRNS_18TensorIteratorBaseET_S7_EUlddE_EESt5arrayIPcLm2EEEEviT0_T1_
		.amdhsa_group_segment_fixed_size 0
		.amdhsa_private_segment_fixed_size 0
		.amdhsa_kernarg_size 48
		.amdhsa_user_sgpr_count 6
		.amdhsa_user_sgpr_private_segment_buffer 1
		.amdhsa_user_sgpr_dispatch_ptr 0
		.amdhsa_user_sgpr_queue_ptr 0
		.amdhsa_user_sgpr_kernarg_segment_ptr 1
		.amdhsa_user_sgpr_dispatch_id 0
		.amdhsa_user_sgpr_flat_scratch_init 0
		.amdhsa_user_sgpr_private_segment_size 0
		.amdhsa_uses_dynamic_stack 0
		.amdhsa_system_sgpr_private_segment_wavefront_offset 0
		.amdhsa_system_sgpr_workgroup_id_x 1
		.amdhsa_system_sgpr_workgroup_id_y 0
		.amdhsa_system_sgpr_workgroup_id_z 0
		.amdhsa_system_sgpr_workgroup_info 0
		.amdhsa_system_vgpr_workitem_id 0
		.amdhsa_next_free_vgpr 17
		.amdhsa_next_free_sgpr 22
		.amdhsa_reserve_vcc 1
		.amdhsa_reserve_flat_scratch 0
		.amdhsa_float_round_mode_32 0
		.amdhsa_float_round_mode_16_64 0
		.amdhsa_float_denorm_mode_32 3
		.amdhsa_float_denorm_mode_16_64 3
		.amdhsa_dx10_clamp 1
		.amdhsa_ieee_mode 1
		.amdhsa_fp16_overflow 0
		.amdhsa_exception_fp_ieee_invalid_op 0
		.amdhsa_exception_fp_denorm_src 0
		.amdhsa_exception_fp_ieee_div_zero 0
		.amdhsa_exception_fp_ieee_overflow 0
		.amdhsa_exception_fp_ieee_underflow 0
		.amdhsa_exception_fp_ieee_inexact 0
		.amdhsa_exception_int_div_zero 0
	.end_amdhsa_kernel
	.section	.text._ZN2at6native29vectorized_elementwise_kernelILi8ENS0_13BUnaryFunctorIdddZNS0_12_GLOBAL__N_121threshold_kernel_implIdEEvRNS_18TensorIteratorBaseET_S7_EUlddE_EESt5arrayIPcLm2EEEEviT0_T1_,"axG",@progbits,_ZN2at6native29vectorized_elementwise_kernelILi8ENS0_13BUnaryFunctorIdddZNS0_12_GLOBAL__N_121threshold_kernel_implIdEEvRNS_18TensorIteratorBaseET_S7_EUlddE_EESt5arrayIPcLm2EEEEviT0_T1_,comdat
.Lfunc_end129:
	.size	_ZN2at6native29vectorized_elementwise_kernelILi8ENS0_13BUnaryFunctorIdddZNS0_12_GLOBAL__N_121threshold_kernel_implIdEEvRNS_18TensorIteratorBaseET_S7_EUlddE_EESt5arrayIPcLm2EEEEviT0_T1_, .Lfunc_end129-_ZN2at6native29vectorized_elementwise_kernelILi8ENS0_13BUnaryFunctorIdddZNS0_12_GLOBAL__N_121threshold_kernel_implIdEEvRNS_18TensorIteratorBaseET_S7_EUlddE_EESt5arrayIPcLm2EEEEviT0_T1_
                                        ; -- End function
	.set _ZN2at6native29vectorized_elementwise_kernelILi8ENS0_13BUnaryFunctorIdddZNS0_12_GLOBAL__N_121threshold_kernel_implIdEEvRNS_18TensorIteratorBaseET_S7_EUlddE_EESt5arrayIPcLm2EEEEviT0_T1_.num_vgpr, 17
	.set _ZN2at6native29vectorized_elementwise_kernelILi8ENS0_13BUnaryFunctorIdddZNS0_12_GLOBAL__N_121threshold_kernel_implIdEEvRNS_18TensorIteratorBaseET_S7_EUlddE_EESt5arrayIPcLm2EEEEviT0_T1_.num_agpr, 0
	.set _ZN2at6native29vectorized_elementwise_kernelILi8ENS0_13BUnaryFunctorIdddZNS0_12_GLOBAL__N_121threshold_kernel_implIdEEvRNS_18TensorIteratorBaseET_S7_EUlddE_EESt5arrayIPcLm2EEEEviT0_T1_.numbered_sgpr, 22
	.set _ZN2at6native29vectorized_elementwise_kernelILi8ENS0_13BUnaryFunctorIdddZNS0_12_GLOBAL__N_121threshold_kernel_implIdEEvRNS_18TensorIteratorBaseET_S7_EUlddE_EESt5arrayIPcLm2EEEEviT0_T1_.num_named_barrier, 0
	.set _ZN2at6native29vectorized_elementwise_kernelILi8ENS0_13BUnaryFunctorIdddZNS0_12_GLOBAL__N_121threshold_kernel_implIdEEvRNS_18TensorIteratorBaseET_S7_EUlddE_EESt5arrayIPcLm2EEEEviT0_T1_.private_seg_size, 0
	.set _ZN2at6native29vectorized_elementwise_kernelILi8ENS0_13BUnaryFunctorIdddZNS0_12_GLOBAL__N_121threshold_kernel_implIdEEvRNS_18TensorIteratorBaseET_S7_EUlddE_EESt5arrayIPcLm2EEEEviT0_T1_.uses_vcc, 1
	.set _ZN2at6native29vectorized_elementwise_kernelILi8ENS0_13BUnaryFunctorIdddZNS0_12_GLOBAL__N_121threshold_kernel_implIdEEvRNS_18TensorIteratorBaseET_S7_EUlddE_EESt5arrayIPcLm2EEEEviT0_T1_.uses_flat_scratch, 0
	.set _ZN2at6native29vectorized_elementwise_kernelILi8ENS0_13BUnaryFunctorIdddZNS0_12_GLOBAL__N_121threshold_kernel_implIdEEvRNS_18TensorIteratorBaseET_S7_EUlddE_EESt5arrayIPcLm2EEEEviT0_T1_.has_dyn_sized_stack, 0
	.set _ZN2at6native29vectorized_elementwise_kernelILi8ENS0_13BUnaryFunctorIdddZNS0_12_GLOBAL__N_121threshold_kernel_implIdEEvRNS_18TensorIteratorBaseET_S7_EUlddE_EESt5arrayIPcLm2EEEEviT0_T1_.has_recursion, 0
	.set _ZN2at6native29vectorized_elementwise_kernelILi8ENS0_13BUnaryFunctorIdddZNS0_12_GLOBAL__N_121threshold_kernel_implIdEEvRNS_18TensorIteratorBaseET_S7_EUlddE_EESt5arrayIPcLm2EEEEviT0_T1_.has_indirect_call, 0
	.section	.AMDGPU.csdata,"",@progbits
; Kernel info:
; codeLenInByte = 1032
; TotalNumSgprs: 26
; NumVgprs: 17
; ScratchSize: 0
; MemoryBound: 0
; FloatMode: 240
; IeeeMode: 1
; LDSByteSize: 0 bytes/workgroup (compile time only)
; SGPRBlocks: 3
; VGPRBlocks: 4
; NumSGPRsForWavesPerEU: 26
; NumVGPRsForWavesPerEU: 17
; Occupancy: 10
; WaveLimiterHint : 0
; COMPUTE_PGM_RSRC2:SCRATCH_EN: 0
; COMPUTE_PGM_RSRC2:USER_SGPR: 6
; COMPUTE_PGM_RSRC2:TRAP_HANDLER: 0
; COMPUTE_PGM_RSRC2:TGID_X_EN: 1
; COMPUTE_PGM_RSRC2:TGID_Y_EN: 0
; COMPUTE_PGM_RSRC2:TGID_Z_EN: 0
; COMPUTE_PGM_RSRC2:TIDIG_COMP_CNT: 0
	.section	.text._ZN2at6native29vectorized_elementwise_kernelILi4ENS0_13BUnaryFunctorIdddZNS0_12_GLOBAL__N_121threshold_kernel_implIdEEvRNS_18TensorIteratorBaseET_S7_EUlddE_EESt5arrayIPcLm2EEEEviT0_T1_,"axG",@progbits,_ZN2at6native29vectorized_elementwise_kernelILi4ENS0_13BUnaryFunctorIdddZNS0_12_GLOBAL__N_121threshold_kernel_implIdEEvRNS_18TensorIteratorBaseET_S7_EUlddE_EESt5arrayIPcLm2EEEEviT0_T1_,comdat
	.globl	_ZN2at6native29vectorized_elementwise_kernelILi4ENS0_13BUnaryFunctorIdddZNS0_12_GLOBAL__N_121threshold_kernel_implIdEEvRNS_18TensorIteratorBaseET_S7_EUlddE_EESt5arrayIPcLm2EEEEviT0_T1_ ; -- Begin function _ZN2at6native29vectorized_elementwise_kernelILi4ENS0_13BUnaryFunctorIdddZNS0_12_GLOBAL__N_121threshold_kernel_implIdEEvRNS_18TensorIteratorBaseET_S7_EUlddE_EESt5arrayIPcLm2EEEEviT0_T1_
	.p2align	8
	.type	_ZN2at6native29vectorized_elementwise_kernelILi4ENS0_13BUnaryFunctorIdddZNS0_12_GLOBAL__N_121threshold_kernel_implIdEEvRNS_18TensorIteratorBaseET_S7_EUlddE_EESt5arrayIPcLm2EEEEviT0_T1_,@function
_ZN2at6native29vectorized_elementwise_kernelILi4ENS0_13BUnaryFunctorIdddZNS0_12_GLOBAL__N_121threshold_kernel_implIdEEvRNS_18TensorIteratorBaseET_S7_EUlddE_EESt5arrayIPcLm2EEEEviT0_T1_: ; @_ZN2at6native29vectorized_elementwise_kernelILi4ENS0_13BUnaryFunctorIdddZNS0_12_GLOBAL__N_121threshold_kernel_implIdEEvRNS_18TensorIteratorBaseET_S7_EUlddE_EESt5arrayIPcLm2EEEEviT0_T1_
; %bb.0:
	s_load_dword s0, s[4:5], 0x0
	s_load_dwordx8 s[8:15], s[4:5], 0x8
	s_load_dwordx2 s[16:17], s[4:5], 0x28
	s_lshl_b32 s6, s6, 10
	s_waitcnt lgkmcnt(0)
	s_sub_i32 s18, s0, s6
	s_cmpk_gt_i32 s18, 0x3ff
	s_mov_b64 s[0:1], -1
	s_cbranch_scc0 .LBB130_2
; %bb.1:
	s_ashr_i32 s7, s6, 31
	s_lshl_b64 s[0:1], s[6:7], 3
	s_add_u32 s2, s16, s0
	s_addc_u32 s3, s17, s1
	v_lshlrev_b32_e32 v9, 5, v0
	global_load_dwordx4 v[1:4], v9, s[2:3]
	global_load_dwordx4 v[5:8], v9, s[2:3] offset:16
	s_add_u32 s20, s14, s0
	s_addc_u32 s21, s15, s1
	v_mov_b32_e32 v10, s11
	v_mov_b32_e32 v11, s13
	;; [unrolled: 1-line block ×4, first 2 shown]
	s_waitcnt vmcnt(1)
	v_cmp_nge_f64_e32 vcc, s[8:9], v[1:2]
	v_cmp_nge_f64_e64 s[0:1], s[8:9], v[3:4]
	s_waitcnt vmcnt(0)
	v_cmp_nge_f64_e64 s[2:3], s[8:9], v[5:6]
	v_cmp_nge_f64_e64 s[4:5], s[8:9], v[7:8]
	v_cndmask_b32_e32 v2, v10, v11, vcc
	v_cndmask_b32_e64 v4, v10, v11, s[0:1]
	v_cndmask_b32_e32 v1, v12, v13, vcc
	v_cndmask_b32_e64 v3, v12, v13, s[0:1]
	v_cndmask_b32_e64 v6, v10, v11, s[2:3]
	;; [unrolled: 1-line block ×5, first 2 shown]
	global_store_dwordx4 v9, v[1:4], s[20:21]
	global_store_dwordx4 v9, v[5:8], s[20:21] offset:16
	s_mov_b64 s[0:1], 0
.LBB130_2:
	s_andn2_b64 vcc, exec, s[0:1]
	s_cbranch_vccnz .LBB130_16
; %bb.3:
	v_mov_b32_e32 v3, 0
	v_mov_b32_e32 v5, 0
	v_cmp_gt_i32_e32 vcc, s18, v0
	v_mov_b32_e32 v4, 0
	v_or_b32_e32 v1, s6, v0
	v_mov_b32_e32 v6, 0
	v_mov_b32_e32 v2, v0
	s_and_saveexec_b64 s[2:3], vcc
	s_cbranch_execz .LBB130_5
; %bb.4:
	v_mov_b32_e32 v2, 0
	v_lshlrev_b64 v[5:6], 3, v[1:2]
	v_mov_b32_e32 v2, s17
	v_add_co_u32_e64 v5, s[0:1], s16, v5
	v_addc_co_u32_e64 v6, s[0:1], v2, v6, s[0:1]
	global_load_dwordx2 v[5:6], v[5:6], off
	v_or_b32_e32 v2, 0x100, v0
.LBB130_5:
	s_or_b64 exec, exec, s[2:3]
	v_cmp_gt_i32_e64 s[0:1], s18, v2
	s_and_saveexec_b64 s[2:3], s[0:1]
	s_cbranch_execz .LBB130_7
; %bb.6:
	v_add_u32_e32 v3, s6, v2
	v_mov_b32_e32 v4, 0
	v_lshlrev_b64 v[3:4], 3, v[3:4]
	v_mov_b32_e32 v7, s17
	v_add_co_u32_e64 v3, s[0:1], s16, v3
	v_addc_co_u32_e64 v4, s[0:1], v7, v4, s[0:1]
	global_load_dwordx2 v[3:4], v[3:4], off
	v_add_u32_e32 v2, 0x100, v2
.LBB130_7:
	s_or_b64 exec, exec, s[2:3]
	v_mov_b32_e32 v7, 0
	v_mov_b32_e32 v9, 0
	;; [unrolled: 1-line block ×4, first 2 shown]
	v_cmp_gt_i32_e64 s[0:1], s18, v2
	s_and_saveexec_b64 s[2:3], s[0:1]
	s_cbranch_execz .LBB130_9
; %bb.8:
	v_add_u32_e32 v9, s6, v2
	v_mov_b32_e32 v10, 0
	v_lshlrev_b64 v[9:10], 3, v[9:10]
	v_mov_b32_e32 v11, s17
	v_add_co_u32_e64 v9, s[0:1], s16, v9
	v_addc_co_u32_e64 v10, s[0:1], v11, v10, s[0:1]
	global_load_dwordx2 v[9:10], v[9:10], off
	v_add_u32_e32 v2, 0x100, v2
.LBB130_9:
	s_or_b64 exec, exec, s[2:3]
	v_cmp_gt_i32_e64 s[0:1], s18, v2
	s_and_saveexec_b64 s[2:3], s[0:1]
	s_cbranch_execz .LBB130_11
; %bb.10:
	v_add_u32_e32 v7, s6, v2
	v_mov_b32_e32 v8, 0
	v_lshlrev_b64 v[7:8], 3, v[7:8]
	v_mov_b32_e32 v2, s17
	v_add_co_u32_e64 v7, s[0:1], s16, v7
	v_addc_co_u32_e64 v8, s[0:1], v2, v8, s[0:1]
	global_load_dwordx2 v[7:8], v[7:8], off
.LBB130_11:
	s_or_b64 exec, exec, s[2:3]
	s_waitcnt vmcnt(0)
	v_cmp_nge_f64_e64 s[0:1], s[8:9], v[5:6]
	v_cmp_nge_f64_e64 s[2:3], s[8:9], v[3:4]
	v_mov_b32_e32 v2, s10
	v_mov_b32_e32 v14, s12
	;; [unrolled: 1-line block ×4, first 2 shown]
	v_or_b32_e32 v13, 0x100, v0
	v_cndmask_b32_e64 v3, v2, v14, s[0:1]
	v_cndmask_b32_e32 v11, 0, v3, vcc
	v_cndmask_b32_e64 v3, v15, v16, s[0:1]
	v_cndmask_b32_e32 v12, 0, v3, vcc
	v_cndmask_b32_e64 v3, v2, v14, s[2:3]
	v_cmp_nge_f64_e64 s[0:1], s[8:9], v[9:10]
	v_cndmask_b32_e64 v4, v15, v16, s[2:3]
	v_cmp_gt_i32_e64 s[2:3], s18, v13
	v_cndmask_b32_e64 v10, 0, v4, s[2:3]
	v_cndmask_b32_e64 v9, 0, v3, s[2:3]
	v_cmp_nge_f64_e64 s[2:3], s[8:9], v[7:8]
	v_or_b32_e32 v3, 0x200, v0
	v_cndmask_b32_e64 v4, v2, v14, s[0:1]
	v_cndmask_b32_e64 v5, v15, v16, s[0:1]
	v_cmp_gt_i32_e64 s[0:1], s18, v3
	v_or_b32_e32 v3, 0x300, v0
	v_cndmask_b32_e64 v6, 0, v5, s[0:1]
	v_cndmask_b32_e64 v5, 0, v4, s[0:1]
	;; [unrolled: 1-line block ×4, first 2 shown]
	v_cmp_gt_i32_e64 s[0:1], s18, v3
	v_cndmask_b32_e64 v4, 0, v4, s[0:1]
	v_cndmask_b32_e64 v3, 0, v2, s[0:1]
	s_and_saveexec_b64 s[0:1], vcc
	s_cbranch_execnz .LBB130_17
; %bb.12:
	s_or_b64 exec, exec, s[0:1]
	v_cmp_gt_i32_e32 vcc, s18, v0
	s_and_saveexec_b64 s[0:1], vcc
	s_cbranch_execnz .LBB130_18
.LBB130_13:
	s_or_b64 exec, exec, s[0:1]
	v_cmp_gt_i32_e32 vcc, s18, v0
	s_and_saveexec_b64 s[0:1], vcc
	s_cbranch_execnz .LBB130_19
.LBB130_14:
	s_or_b64 exec, exec, s[0:1]
	v_cmp_gt_i32_e32 vcc, s18, v0
	s_and_saveexec_b64 s[0:1], vcc
	s_cbranch_execz .LBB130_16
.LBB130_15:
	v_add_u32_e32 v0, s6, v0
	v_mov_b32_e32 v1, 0
	v_lshlrev_b64 v[0:1], 3, v[0:1]
	v_mov_b32_e32 v2, s15
	v_add_co_u32_e32 v0, vcc, s14, v0
	v_addc_co_u32_e32 v1, vcc, v2, v1, vcc
	global_store_dwordx2 v[0:1], v[3:4], off
.LBB130_16:
	s_endpgm
.LBB130_17:
	v_mov_b32_e32 v2, 0
	v_lshlrev_b64 v[0:1], 3, v[1:2]
	v_mov_b32_e32 v2, s15
	v_add_co_u32_e32 v0, vcc, s14, v0
	v_addc_co_u32_e32 v1, vcc, v2, v1, vcc
	global_store_dwordx2 v[0:1], v[11:12], off
	v_mov_b32_e32 v0, v13
	s_or_b64 exec, exec, s[0:1]
	v_cmp_gt_i32_e32 vcc, s18, v0
	s_and_saveexec_b64 s[0:1], vcc
	s_cbranch_execz .LBB130_13
.LBB130_18:
	v_add_u32_e32 v1, s6, v0
	v_mov_b32_e32 v2, 0
	v_lshlrev_b64 v[1:2], 3, v[1:2]
	v_mov_b32_e32 v7, s15
	v_add_co_u32_e32 v1, vcc, s14, v1
	v_addc_co_u32_e32 v2, vcc, v7, v2, vcc
	v_add_u32_e32 v0, 0x100, v0
	global_store_dwordx2 v[1:2], v[9:10], off
	s_or_b64 exec, exec, s[0:1]
	v_cmp_gt_i32_e32 vcc, s18, v0
	s_and_saveexec_b64 s[0:1], vcc
	s_cbranch_execz .LBB130_14
.LBB130_19:
	v_add_u32_e32 v1, s6, v0
	v_mov_b32_e32 v2, 0
	v_lshlrev_b64 v[1:2], 3, v[1:2]
	v_mov_b32_e32 v7, s15
	v_add_co_u32_e32 v1, vcc, s14, v1
	v_addc_co_u32_e32 v2, vcc, v7, v2, vcc
	v_add_u32_e32 v0, 0x100, v0
	global_store_dwordx2 v[1:2], v[5:6], off
	s_or_b64 exec, exec, s[0:1]
	v_cmp_gt_i32_e32 vcc, s18, v0
	s_and_saveexec_b64 s[0:1], vcc
	s_cbranch_execnz .LBB130_15
	s_branch .LBB130_16
	.section	.rodata,"a",@progbits
	.p2align	6, 0x0
	.amdhsa_kernel _ZN2at6native29vectorized_elementwise_kernelILi4ENS0_13BUnaryFunctorIdddZNS0_12_GLOBAL__N_121threshold_kernel_implIdEEvRNS_18TensorIteratorBaseET_S7_EUlddE_EESt5arrayIPcLm2EEEEviT0_T1_
		.amdhsa_group_segment_fixed_size 0
		.amdhsa_private_segment_fixed_size 0
		.amdhsa_kernarg_size 48
		.amdhsa_user_sgpr_count 6
		.amdhsa_user_sgpr_private_segment_buffer 1
		.amdhsa_user_sgpr_dispatch_ptr 0
		.amdhsa_user_sgpr_queue_ptr 0
		.amdhsa_user_sgpr_kernarg_segment_ptr 1
		.amdhsa_user_sgpr_dispatch_id 0
		.amdhsa_user_sgpr_flat_scratch_init 0
		.amdhsa_user_sgpr_private_segment_size 0
		.amdhsa_uses_dynamic_stack 0
		.amdhsa_system_sgpr_private_segment_wavefront_offset 0
		.amdhsa_system_sgpr_workgroup_id_x 1
		.amdhsa_system_sgpr_workgroup_id_y 0
		.amdhsa_system_sgpr_workgroup_id_z 0
		.amdhsa_system_sgpr_workgroup_info 0
		.amdhsa_system_vgpr_workitem_id 0
		.amdhsa_next_free_vgpr 17
		.amdhsa_next_free_sgpr 22
		.amdhsa_reserve_vcc 1
		.amdhsa_reserve_flat_scratch 0
		.amdhsa_float_round_mode_32 0
		.amdhsa_float_round_mode_16_64 0
		.amdhsa_float_denorm_mode_32 3
		.amdhsa_float_denorm_mode_16_64 3
		.amdhsa_dx10_clamp 1
		.amdhsa_ieee_mode 1
		.amdhsa_fp16_overflow 0
		.amdhsa_exception_fp_ieee_invalid_op 0
		.amdhsa_exception_fp_denorm_src 0
		.amdhsa_exception_fp_ieee_div_zero 0
		.amdhsa_exception_fp_ieee_overflow 0
		.amdhsa_exception_fp_ieee_underflow 0
		.amdhsa_exception_fp_ieee_inexact 0
		.amdhsa_exception_int_div_zero 0
	.end_amdhsa_kernel
	.section	.text._ZN2at6native29vectorized_elementwise_kernelILi4ENS0_13BUnaryFunctorIdddZNS0_12_GLOBAL__N_121threshold_kernel_implIdEEvRNS_18TensorIteratorBaseET_S7_EUlddE_EESt5arrayIPcLm2EEEEviT0_T1_,"axG",@progbits,_ZN2at6native29vectorized_elementwise_kernelILi4ENS0_13BUnaryFunctorIdddZNS0_12_GLOBAL__N_121threshold_kernel_implIdEEvRNS_18TensorIteratorBaseET_S7_EUlddE_EESt5arrayIPcLm2EEEEviT0_T1_,comdat
.Lfunc_end130:
	.size	_ZN2at6native29vectorized_elementwise_kernelILi4ENS0_13BUnaryFunctorIdddZNS0_12_GLOBAL__N_121threshold_kernel_implIdEEvRNS_18TensorIteratorBaseET_S7_EUlddE_EESt5arrayIPcLm2EEEEviT0_T1_, .Lfunc_end130-_ZN2at6native29vectorized_elementwise_kernelILi4ENS0_13BUnaryFunctorIdddZNS0_12_GLOBAL__N_121threshold_kernel_implIdEEvRNS_18TensorIteratorBaseET_S7_EUlddE_EESt5arrayIPcLm2EEEEviT0_T1_
                                        ; -- End function
	.set _ZN2at6native29vectorized_elementwise_kernelILi4ENS0_13BUnaryFunctorIdddZNS0_12_GLOBAL__N_121threshold_kernel_implIdEEvRNS_18TensorIteratorBaseET_S7_EUlddE_EESt5arrayIPcLm2EEEEviT0_T1_.num_vgpr, 17
	.set _ZN2at6native29vectorized_elementwise_kernelILi4ENS0_13BUnaryFunctorIdddZNS0_12_GLOBAL__N_121threshold_kernel_implIdEEvRNS_18TensorIteratorBaseET_S7_EUlddE_EESt5arrayIPcLm2EEEEviT0_T1_.num_agpr, 0
	.set _ZN2at6native29vectorized_elementwise_kernelILi4ENS0_13BUnaryFunctorIdddZNS0_12_GLOBAL__N_121threshold_kernel_implIdEEvRNS_18TensorIteratorBaseET_S7_EUlddE_EESt5arrayIPcLm2EEEEviT0_T1_.numbered_sgpr, 22
	.set _ZN2at6native29vectorized_elementwise_kernelILi4ENS0_13BUnaryFunctorIdddZNS0_12_GLOBAL__N_121threshold_kernel_implIdEEvRNS_18TensorIteratorBaseET_S7_EUlddE_EESt5arrayIPcLm2EEEEviT0_T1_.num_named_barrier, 0
	.set _ZN2at6native29vectorized_elementwise_kernelILi4ENS0_13BUnaryFunctorIdddZNS0_12_GLOBAL__N_121threshold_kernel_implIdEEvRNS_18TensorIteratorBaseET_S7_EUlddE_EESt5arrayIPcLm2EEEEviT0_T1_.private_seg_size, 0
	.set _ZN2at6native29vectorized_elementwise_kernelILi4ENS0_13BUnaryFunctorIdddZNS0_12_GLOBAL__N_121threshold_kernel_implIdEEvRNS_18TensorIteratorBaseET_S7_EUlddE_EESt5arrayIPcLm2EEEEviT0_T1_.uses_vcc, 1
	.set _ZN2at6native29vectorized_elementwise_kernelILi4ENS0_13BUnaryFunctorIdddZNS0_12_GLOBAL__N_121threshold_kernel_implIdEEvRNS_18TensorIteratorBaseET_S7_EUlddE_EESt5arrayIPcLm2EEEEviT0_T1_.uses_flat_scratch, 0
	.set _ZN2at6native29vectorized_elementwise_kernelILi4ENS0_13BUnaryFunctorIdddZNS0_12_GLOBAL__N_121threshold_kernel_implIdEEvRNS_18TensorIteratorBaseET_S7_EUlddE_EESt5arrayIPcLm2EEEEviT0_T1_.has_dyn_sized_stack, 0
	.set _ZN2at6native29vectorized_elementwise_kernelILi4ENS0_13BUnaryFunctorIdddZNS0_12_GLOBAL__N_121threshold_kernel_implIdEEvRNS_18TensorIteratorBaseET_S7_EUlddE_EESt5arrayIPcLm2EEEEviT0_T1_.has_recursion, 0
	.set _ZN2at6native29vectorized_elementwise_kernelILi4ENS0_13BUnaryFunctorIdddZNS0_12_GLOBAL__N_121threshold_kernel_implIdEEvRNS_18TensorIteratorBaseET_S7_EUlddE_EESt5arrayIPcLm2EEEEviT0_T1_.has_indirect_call, 0
	.section	.AMDGPU.csdata,"",@progbits
; Kernel info:
; codeLenInByte = 1032
; TotalNumSgprs: 26
; NumVgprs: 17
; ScratchSize: 0
; MemoryBound: 0
; FloatMode: 240
; IeeeMode: 1
; LDSByteSize: 0 bytes/workgroup (compile time only)
; SGPRBlocks: 3
; VGPRBlocks: 4
; NumSGPRsForWavesPerEU: 26
; NumVGPRsForWavesPerEU: 17
; Occupancy: 10
; WaveLimiterHint : 0
; COMPUTE_PGM_RSRC2:SCRATCH_EN: 0
; COMPUTE_PGM_RSRC2:USER_SGPR: 6
; COMPUTE_PGM_RSRC2:TRAP_HANDLER: 0
; COMPUTE_PGM_RSRC2:TGID_X_EN: 1
; COMPUTE_PGM_RSRC2:TGID_Y_EN: 0
; COMPUTE_PGM_RSRC2:TGID_Z_EN: 0
; COMPUTE_PGM_RSRC2:TIDIG_COMP_CNT: 0
	.section	.text._ZN2at6native29vectorized_elementwise_kernelILi2ENS0_13BUnaryFunctorIdddZNS0_12_GLOBAL__N_121threshold_kernel_implIdEEvRNS_18TensorIteratorBaseET_S7_EUlddE_EESt5arrayIPcLm2EEEEviT0_T1_,"axG",@progbits,_ZN2at6native29vectorized_elementwise_kernelILi2ENS0_13BUnaryFunctorIdddZNS0_12_GLOBAL__N_121threshold_kernel_implIdEEvRNS_18TensorIteratorBaseET_S7_EUlddE_EESt5arrayIPcLm2EEEEviT0_T1_,comdat
	.globl	_ZN2at6native29vectorized_elementwise_kernelILi2ENS0_13BUnaryFunctorIdddZNS0_12_GLOBAL__N_121threshold_kernel_implIdEEvRNS_18TensorIteratorBaseET_S7_EUlddE_EESt5arrayIPcLm2EEEEviT0_T1_ ; -- Begin function _ZN2at6native29vectorized_elementwise_kernelILi2ENS0_13BUnaryFunctorIdddZNS0_12_GLOBAL__N_121threshold_kernel_implIdEEvRNS_18TensorIteratorBaseET_S7_EUlddE_EESt5arrayIPcLm2EEEEviT0_T1_
	.p2align	8
	.type	_ZN2at6native29vectorized_elementwise_kernelILi2ENS0_13BUnaryFunctorIdddZNS0_12_GLOBAL__N_121threshold_kernel_implIdEEvRNS_18TensorIteratorBaseET_S7_EUlddE_EESt5arrayIPcLm2EEEEviT0_T1_,@function
_ZN2at6native29vectorized_elementwise_kernelILi2ENS0_13BUnaryFunctorIdddZNS0_12_GLOBAL__N_121threshold_kernel_implIdEEvRNS_18TensorIteratorBaseET_S7_EUlddE_EESt5arrayIPcLm2EEEEviT0_T1_: ; @_ZN2at6native29vectorized_elementwise_kernelILi2ENS0_13BUnaryFunctorIdddZNS0_12_GLOBAL__N_121threshold_kernel_implIdEEvRNS_18TensorIteratorBaseET_S7_EUlddE_EESt5arrayIPcLm2EEEEviT0_T1_
; %bb.0:
	s_load_dword s0, s[4:5], 0x0
	s_load_dwordx8 s[8:15], s[4:5], 0x8
	s_load_dwordx2 s[16:17], s[4:5], 0x28
	s_lshl_b32 s6, s6, 10
	s_waitcnt lgkmcnt(0)
	s_sub_i32 s18, s0, s6
	s_cmpk_gt_i32 s18, 0x3ff
	s_mov_b64 s[0:1], -1
	s_cbranch_scc0 .LBB131_2
; %bb.1:
	s_ashr_i32 s7, s6, 31
	s_lshl_b64 s[0:1], s[6:7], 3
	s_add_u32 s2, s16, s0
	s_addc_u32 s3, s17, s1
	v_lshlrev_b32_e32 v11, 4, v0
	v_mov_b32_e32 v1, s3
	v_add_co_u32_e32 v5, vcc, s2, v11
	v_addc_co_u32_e32 v6, vcc, 0, v1, vcc
	v_add_co_u32_e32 v5, vcc, 0x1000, v5
	global_load_dwordx4 v[1:4], v11, s[2:3]
	v_addc_co_u32_e32 v6, vcc, 0, v6, vcc
	global_load_dwordx4 v[5:8], v[5:6], off
	s_add_u32 s20, s14, s0
	s_addc_u32 s21, s15, s1
	v_mov_b32_e32 v9, s21
	v_add_co_u32_e32 v10, vcc, s20, v11
	v_addc_co_u32_e32 v16, vcc, 0, v9, vcc
	v_add_co_u32_e32 v9, vcc, 0x1000, v10
	v_addc_co_u32_e32 v10, vcc, 0, v16, vcc
	v_mov_b32_e32 v12, s11
	v_mov_b32_e32 v13, s13
	;; [unrolled: 1-line block ×4, first 2 shown]
	s_waitcnt vmcnt(1)
	v_cmp_nge_f64_e32 vcc, s[8:9], v[1:2]
	v_cmp_nge_f64_e64 s[0:1], s[8:9], v[3:4]
	s_waitcnt vmcnt(0)
	v_cmp_nge_f64_e64 s[2:3], s[8:9], v[5:6]
	v_cmp_nge_f64_e64 s[4:5], s[8:9], v[7:8]
	v_cndmask_b32_e32 v2, v12, v13, vcc
	v_cndmask_b32_e64 v4, v12, v13, s[0:1]
	v_cndmask_b32_e32 v1, v14, v15, vcc
	v_cndmask_b32_e64 v3, v14, v15, s[0:1]
	v_cndmask_b32_e64 v5, v12, v13, s[2:3]
	;; [unrolled: 1-line block ×3, first 2 shown]
	global_store_dwordx4 v11, v[1:4], s[20:21]
	v_cndmask_b32_e64 v6, v14, v15, s[4:5]
	v_cndmask_b32_e64 v4, v14, v15, s[2:3]
	global_store_dwordx4 v[9:10], v[4:7], off
	s_mov_b64 s[0:1], 0
.LBB131_2:
	s_andn2_b64 vcc, exec, s[0:1]
	s_cbranch_vccnz .LBB131_16
; %bb.3:
	v_mov_b32_e32 v3, 0
	v_mov_b32_e32 v5, 0
	v_cmp_gt_i32_e32 vcc, s18, v0
	v_mov_b32_e32 v4, 0
	v_or_b32_e32 v1, s6, v0
	v_mov_b32_e32 v6, 0
	v_mov_b32_e32 v2, v0
	s_and_saveexec_b64 s[2:3], vcc
	s_cbranch_execz .LBB131_5
; %bb.4:
	v_mov_b32_e32 v2, 0
	v_lshlrev_b64 v[5:6], 3, v[1:2]
	v_mov_b32_e32 v2, s17
	v_add_co_u32_e64 v5, s[0:1], s16, v5
	v_addc_co_u32_e64 v6, s[0:1], v2, v6, s[0:1]
	global_load_dwordx2 v[5:6], v[5:6], off
	v_or_b32_e32 v2, 0x100, v0
.LBB131_5:
	s_or_b64 exec, exec, s[2:3]
	v_cmp_gt_i32_e64 s[0:1], s18, v2
	s_and_saveexec_b64 s[2:3], s[0:1]
	s_cbranch_execz .LBB131_7
; %bb.6:
	v_add_u32_e32 v3, s6, v2
	v_mov_b32_e32 v4, 0
	v_lshlrev_b64 v[3:4], 3, v[3:4]
	v_mov_b32_e32 v7, s17
	v_add_co_u32_e64 v3, s[0:1], s16, v3
	v_addc_co_u32_e64 v4, s[0:1], v7, v4, s[0:1]
	global_load_dwordx2 v[3:4], v[3:4], off
	v_add_u32_e32 v2, 0x100, v2
.LBB131_7:
	s_or_b64 exec, exec, s[2:3]
	v_mov_b32_e32 v7, 0
	v_mov_b32_e32 v9, 0
	;; [unrolled: 1-line block ×4, first 2 shown]
	v_cmp_gt_i32_e64 s[0:1], s18, v2
	s_and_saveexec_b64 s[2:3], s[0:1]
	s_cbranch_execz .LBB131_9
; %bb.8:
	v_add_u32_e32 v9, s6, v2
	v_mov_b32_e32 v10, 0
	v_lshlrev_b64 v[9:10], 3, v[9:10]
	v_mov_b32_e32 v11, s17
	v_add_co_u32_e64 v9, s[0:1], s16, v9
	v_addc_co_u32_e64 v10, s[0:1], v11, v10, s[0:1]
	global_load_dwordx2 v[9:10], v[9:10], off
	v_add_u32_e32 v2, 0x100, v2
.LBB131_9:
	s_or_b64 exec, exec, s[2:3]
	v_cmp_gt_i32_e64 s[0:1], s18, v2
	s_and_saveexec_b64 s[2:3], s[0:1]
	s_cbranch_execz .LBB131_11
; %bb.10:
	v_add_u32_e32 v7, s6, v2
	v_mov_b32_e32 v8, 0
	v_lshlrev_b64 v[7:8], 3, v[7:8]
	v_mov_b32_e32 v2, s17
	v_add_co_u32_e64 v7, s[0:1], s16, v7
	v_addc_co_u32_e64 v8, s[0:1], v2, v8, s[0:1]
	global_load_dwordx2 v[7:8], v[7:8], off
.LBB131_11:
	s_or_b64 exec, exec, s[2:3]
	s_waitcnt vmcnt(0)
	v_cmp_nge_f64_e64 s[0:1], s[8:9], v[5:6]
	v_cmp_nge_f64_e64 s[2:3], s[8:9], v[3:4]
	v_mov_b32_e32 v2, s10
	v_mov_b32_e32 v14, s12
	;; [unrolled: 1-line block ×4, first 2 shown]
	v_or_b32_e32 v13, 0x100, v0
	v_cndmask_b32_e64 v3, v2, v14, s[0:1]
	v_cndmask_b32_e32 v11, 0, v3, vcc
	v_cndmask_b32_e64 v3, v15, v16, s[0:1]
	v_cndmask_b32_e32 v12, 0, v3, vcc
	v_cndmask_b32_e64 v3, v2, v14, s[2:3]
	v_cmp_nge_f64_e64 s[0:1], s[8:9], v[9:10]
	v_cndmask_b32_e64 v4, v15, v16, s[2:3]
	v_cmp_gt_i32_e64 s[2:3], s18, v13
	v_cndmask_b32_e64 v10, 0, v4, s[2:3]
	v_cndmask_b32_e64 v9, 0, v3, s[2:3]
	v_cmp_nge_f64_e64 s[2:3], s[8:9], v[7:8]
	v_or_b32_e32 v3, 0x200, v0
	v_cndmask_b32_e64 v4, v2, v14, s[0:1]
	v_cndmask_b32_e64 v5, v15, v16, s[0:1]
	v_cmp_gt_i32_e64 s[0:1], s18, v3
	v_or_b32_e32 v3, 0x300, v0
	v_cndmask_b32_e64 v6, 0, v5, s[0:1]
	v_cndmask_b32_e64 v5, 0, v4, s[0:1]
	;; [unrolled: 1-line block ×4, first 2 shown]
	v_cmp_gt_i32_e64 s[0:1], s18, v3
	v_cndmask_b32_e64 v4, 0, v4, s[0:1]
	v_cndmask_b32_e64 v3, 0, v2, s[0:1]
	s_and_saveexec_b64 s[0:1], vcc
	s_cbranch_execnz .LBB131_17
; %bb.12:
	s_or_b64 exec, exec, s[0:1]
	v_cmp_gt_i32_e32 vcc, s18, v0
	s_and_saveexec_b64 s[0:1], vcc
	s_cbranch_execnz .LBB131_18
.LBB131_13:
	s_or_b64 exec, exec, s[0:1]
	v_cmp_gt_i32_e32 vcc, s18, v0
	s_and_saveexec_b64 s[0:1], vcc
	s_cbranch_execnz .LBB131_19
.LBB131_14:
	s_or_b64 exec, exec, s[0:1]
	v_cmp_gt_i32_e32 vcc, s18, v0
	s_and_saveexec_b64 s[0:1], vcc
	s_cbranch_execz .LBB131_16
.LBB131_15:
	v_add_u32_e32 v0, s6, v0
	v_mov_b32_e32 v1, 0
	v_lshlrev_b64 v[0:1], 3, v[0:1]
	v_mov_b32_e32 v2, s15
	v_add_co_u32_e32 v0, vcc, s14, v0
	v_addc_co_u32_e32 v1, vcc, v2, v1, vcc
	global_store_dwordx2 v[0:1], v[3:4], off
.LBB131_16:
	s_endpgm
.LBB131_17:
	v_mov_b32_e32 v2, 0
	v_lshlrev_b64 v[0:1], 3, v[1:2]
	v_mov_b32_e32 v2, s15
	v_add_co_u32_e32 v0, vcc, s14, v0
	v_addc_co_u32_e32 v1, vcc, v2, v1, vcc
	global_store_dwordx2 v[0:1], v[11:12], off
	v_mov_b32_e32 v0, v13
	s_or_b64 exec, exec, s[0:1]
	v_cmp_gt_i32_e32 vcc, s18, v0
	s_and_saveexec_b64 s[0:1], vcc
	s_cbranch_execz .LBB131_13
.LBB131_18:
	v_add_u32_e32 v1, s6, v0
	v_mov_b32_e32 v2, 0
	v_lshlrev_b64 v[1:2], 3, v[1:2]
	v_mov_b32_e32 v7, s15
	v_add_co_u32_e32 v1, vcc, s14, v1
	v_addc_co_u32_e32 v2, vcc, v7, v2, vcc
	v_add_u32_e32 v0, 0x100, v0
	global_store_dwordx2 v[1:2], v[9:10], off
	s_or_b64 exec, exec, s[0:1]
	v_cmp_gt_i32_e32 vcc, s18, v0
	s_and_saveexec_b64 s[0:1], vcc
	s_cbranch_execz .LBB131_14
.LBB131_19:
	v_add_u32_e32 v1, s6, v0
	v_mov_b32_e32 v2, 0
	v_lshlrev_b64 v[1:2], 3, v[1:2]
	v_mov_b32_e32 v7, s15
	v_add_co_u32_e32 v1, vcc, s14, v1
	v_addc_co_u32_e32 v2, vcc, v7, v2, vcc
	v_add_u32_e32 v0, 0x100, v0
	global_store_dwordx2 v[1:2], v[5:6], off
	s_or_b64 exec, exec, s[0:1]
	v_cmp_gt_i32_e32 vcc, s18, v0
	s_and_saveexec_b64 s[0:1], vcc
	s_cbranch_execnz .LBB131_15
	s_branch .LBB131_16
	.section	.rodata,"a",@progbits
	.p2align	6, 0x0
	.amdhsa_kernel _ZN2at6native29vectorized_elementwise_kernelILi2ENS0_13BUnaryFunctorIdddZNS0_12_GLOBAL__N_121threshold_kernel_implIdEEvRNS_18TensorIteratorBaseET_S7_EUlddE_EESt5arrayIPcLm2EEEEviT0_T1_
		.amdhsa_group_segment_fixed_size 0
		.amdhsa_private_segment_fixed_size 0
		.amdhsa_kernarg_size 48
		.amdhsa_user_sgpr_count 6
		.amdhsa_user_sgpr_private_segment_buffer 1
		.amdhsa_user_sgpr_dispatch_ptr 0
		.amdhsa_user_sgpr_queue_ptr 0
		.amdhsa_user_sgpr_kernarg_segment_ptr 1
		.amdhsa_user_sgpr_dispatch_id 0
		.amdhsa_user_sgpr_flat_scratch_init 0
		.amdhsa_user_sgpr_private_segment_size 0
		.amdhsa_uses_dynamic_stack 0
		.amdhsa_system_sgpr_private_segment_wavefront_offset 0
		.amdhsa_system_sgpr_workgroup_id_x 1
		.amdhsa_system_sgpr_workgroup_id_y 0
		.amdhsa_system_sgpr_workgroup_id_z 0
		.amdhsa_system_sgpr_workgroup_info 0
		.amdhsa_system_vgpr_workitem_id 0
		.amdhsa_next_free_vgpr 17
		.amdhsa_next_free_sgpr 22
		.amdhsa_reserve_vcc 1
		.amdhsa_reserve_flat_scratch 0
		.amdhsa_float_round_mode_32 0
		.amdhsa_float_round_mode_16_64 0
		.amdhsa_float_denorm_mode_32 3
		.amdhsa_float_denorm_mode_16_64 3
		.amdhsa_dx10_clamp 1
		.amdhsa_ieee_mode 1
		.amdhsa_fp16_overflow 0
		.amdhsa_exception_fp_ieee_invalid_op 0
		.amdhsa_exception_fp_denorm_src 0
		.amdhsa_exception_fp_ieee_div_zero 0
		.amdhsa_exception_fp_ieee_overflow 0
		.amdhsa_exception_fp_ieee_underflow 0
		.amdhsa_exception_fp_ieee_inexact 0
		.amdhsa_exception_int_div_zero 0
	.end_amdhsa_kernel
	.section	.text._ZN2at6native29vectorized_elementwise_kernelILi2ENS0_13BUnaryFunctorIdddZNS0_12_GLOBAL__N_121threshold_kernel_implIdEEvRNS_18TensorIteratorBaseET_S7_EUlddE_EESt5arrayIPcLm2EEEEviT0_T1_,"axG",@progbits,_ZN2at6native29vectorized_elementwise_kernelILi2ENS0_13BUnaryFunctorIdddZNS0_12_GLOBAL__N_121threshold_kernel_implIdEEvRNS_18TensorIteratorBaseET_S7_EUlddE_EESt5arrayIPcLm2EEEEviT0_T1_,comdat
.Lfunc_end131:
	.size	_ZN2at6native29vectorized_elementwise_kernelILi2ENS0_13BUnaryFunctorIdddZNS0_12_GLOBAL__N_121threshold_kernel_implIdEEvRNS_18TensorIteratorBaseET_S7_EUlddE_EESt5arrayIPcLm2EEEEviT0_T1_, .Lfunc_end131-_ZN2at6native29vectorized_elementwise_kernelILi2ENS0_13BUnaryFunctorIdddZNS0_12_GLOBAL__N_121threshold_kernel_implIdEEvRNS_18TensorIteratorBaseET_S7_EUlddE_EESt5arrayIPcLm2EEEEviT0_T1_
                                        ; -- End function
	.set _ZN2at6native29vectorized_elementwise_kernelILi2ENS0_13BUnaryFunctorIdddZNS0_12_GLOBAL__N_121threshold_kernel_implIdEEvRNS_18TensorIteratorBaseET_S7_EUlddE_EESt5arrayIPcLm2EEEEviT0_T1_.num_vgpr, 17
	.set _ZN2at6native29vectorized_elementwise_kernelILi2ENS0_13BUnaryFunctorIdddZNS0_12_GLOBAL__N_121threshold_kernel_implIdEEvRNS_18TensorIteratorBaseET_S7_EUlddE_EESt5arrayIPcLm2EEEEviT0_T1_.num_agpr, 0
	.set _ZN2at6native29vectorized_elementwise_kernelILi2ENS0_13BUnaryFunctorIdddZNS0_12_GLOBAL__N_121threshold_kernel_implIdEEvRNS_18TensorIteratorBaseET_S7_EUlddE_EESt5arrayIPcLm2EEEEviT0_T1_.numbered_sgpr, 22
	.set _ZN2at6native29vectorized_elementwise_kernelILi2ENS0_13BUnaryFunctorIdddZNS0_12_GLOBAL__N_121threshold_kernel_implIdEEvRNS_18TensorIteratorBaseET_S7_EUlddE_EESt5arrayIPcLm2EEEEviT0_T1_.num_named_barrier, 0
	.set _ZN2at6native29vectorized_elementwise_kernelILi2ENS0_13BUnaryFunctorIdddZNS0_12_GLOBAL__N_121threshold_kernel_implIdEEvRNS_18TensorIteratorBaseET_S7_EUlddE_EESt5arrayIPcLm2EEEEviT0_T1_.private_seg_size, 0
	.set _ZN2at6native29vectorized_elementwise_kernelILi2ENS0_13BUnaryFunctorIdddZNS0_12_GLOBAL__N_121threshold_kernel_implIdEEvRNS_18TensorIteratorBaseET_S7_EUlddE_EESt5arrayIPcLm2EEEEviT0_T1_.uses_vcc, 1
	.set _ZN2at6native29vectorized_elementwise_kernelILi2ENS0_13BUnaryFunctorIdddZNS0_12_GLOBAL__N_121threshold_kernel_implIdEEvRNS_18TensorIteratorBaseET_S7_EUlddE_EESt5arrayIPcLm2EEEEviT0_T1_.uses_flat_scratch, 0
	.set _ZN2at6native29vectorized_elementwise_kernelILi2ENS0_13BUnaryFunctorIdddZNS0_12_GLOBAL__N_121threshold_kernel_implIdEEvRNS_18TensorIteratorBaseET_S7_EUlddE_EESt5arrayIPcLm2EEEEviT0_T1_.has_dyn_sized_stack, 0
	.set _ZN2at6native29vectorized_elementwise_kernelILi2ENS0_13BUnaryFunctorIdddZNS0_12_GLOBAL__N_121threshold_kernel_implIdEEvRNS_18TensorIteratorBaseET_S7_EUlddE_EESt5arrayIPcLm2EEEEviT0_T1_.has_recursion, 0
	.set _ZN2at6native29vectorized_elementwise_kernelILi2ENS0_13BUnaryFunctorIdddZNS0_12_GLOBAL__N_121threshold_kernel_implIdEEvRNS_18TensorIteratorBaseET_S7_EUlddE_EESt5arrayIPcLm2EEEEviT0_T1_.has_indirect_call, 0
	.section	.AMDGPU.csdata,"",@progbits
; Kernel info:
; codeLenInByte = 1080
; TotalNumSgprs: 26
; NumVgprs: 17
; ScratchSize: 0
; MemoryBound: 0
; FloatMode: 240
; IeeeMode: 1
; LDSByteSize: 0 bytes/workgroup (compile time only)
; SGPRBlocks: 3
; VGPRBlocks: 4
; NumSGPRsForWavesPerEU: 26
; NumVGPRsForWavesPerEU: 17
; Occupancy: 10
; WaveLimiterHint : 1
; COMPUTE_PGM_RSRC2:SCRATCH_EN: 0
; COMPUTE_PGM_RSRC2:USER_SGPR: 6
; COMPUTE_PGM_RSRC2:TRAP_HANDLER: 0
; COMPUTE_PGM_RSRC2:TGID_X_EN: 1
; COMPUTE_PGM_RSRC2:TGID_Y_EN: 0
; COMPUTE_PGM_RSRC2:TGID_Z_EN: 0
; COMPUTE_PGM_RSRC2:TIDIG_COMP_CNT: 0
	.section	.text._ZN2at6native27unrolled_elementwise_kernelINS0_13BUnaryFunctorIdddZNS0_12_GLOBAL__N_121threshold_kernel_implIdEEvRNS_18TensorIteratorBaseET_S7_EUlddE_EESt5arrayIPcLm2EELi4E23TrivialOffsetCalculatorILi1EjESE_NS0_6memory15LoadWithoutCastENSF_16StoreWithoutCastEEEviS7_T0_T2_T3_T4_T5_,"axG",@progbits,_ZN2at6native27unrolled_elementwise_kernelINS0_13BUnaryFunctorIdddZNS0_12_GLOBAL__N_121threshold_kernel_implIdEEvRNS_18TensorIteratorBaseET_S7_EUlddE_EESt5arrayIPcLm2EELi4E23TrivialOffsetCalculatorILi1EjESE_NS0_6memory15LoadWithoutCastENSF_16StoreWithoutCastEEEviS7_T0_T2_T3_T4_T5_,comdat
	.globl	_ZN2at6native27unrolled_elementwise_kernelINS0_13BUnaryFunctorIdddZNS0_12_GLOBAL__N_121threshold_kernel_implIdEEvRNS_18TensorIteratorBaseET_S7_EUlddE_EESt5arrayIPcLm2EELi4E23TrivialOffsetCalculatorILi1EjESE_NS0_6memory15LoadWithoutCastENSF_16StoreWithoutCastEEEviS7_T0_T2_T3_T4_T5_ ; -- Begin function _ZN2at6native27unrolled_elementwise_kernelINS0_13BUnaryFunctorIdddZNS0_12_GLOBAL__N_121threshold_kernel_implIdEEvRNS_18TensorIteratorBaseET_S7_EUlddE_EESt5arrayIPcLm2EELi4E23TrivialOffsetCalculatorILi1EjESE_NS0_6memory15LoadWithoutCastENSF_16StoreWithoutCastEEEviS7_T0_T2_T3_T4_T5_
	.p2align	8
	.type	_ZN2at6native27unrolled_elementwise_kernelINS0_13BUnaryFunctorIdddZNS0_12_GLOBAL__N_121threshold_kernel_implIdEEvRNS_18TensorIteratorBaseET_S7_EUlddE_EESt5arrayIPcLm2EELi4E23TrivialOffsetCalculatorILi1EjESE_NS0_6memory15LoadWithoutCastENSF_16StoreWithoutCastEEEviS7_T0_T2_T3_T4_T5_,@function
_ZN2at6native27unrolled_elementwise_kernelINS0_13BUnaryFunctorIdddZNS0_12_GLOBAL__N_121threshold_kernel_implIdEEvRNS_18TensorIteratorBaseET_S7_EUlddE_EESt5arrayIPcLm2EELi4E23TrivialOffsetCalculatorILi1EjESE_NS0_6memory15LoadWithoutCastENSF_16StoreWithoutCastEEEviS7_T0_T2_T3_T4_T5_: ; @_ZN2at6native27unrolled_elementwise_kernelINS0_13BUnaryFunctorIdddZNS0_12_GLOBAL__N_121threshold_kernel_implIdEEvRNS_18TensorIteratorBaseET_S7_EUlddE_EESt5arrayIPcLm2EELi4E23TrivialOffsetCalculatorILi1EjESE_NS0_6memory15LoadWithoutCastENSF_16StoreWithoutCastEEEviS7_T0_T2_T3_T4_T5_
; %bb.0:
	s_load_dword s0, s[4:5], 0x0
	s_load_dwordx2 s[2:3], s[4:5], 0x28
	s_lshl_b32 s16, s6, 10
	v_mov_b32_e32 v3, 0
	v_mov_b32_e32 v5, 0
	s_waitcnt lgkmcnt(0)
	s_sub_i32 s17, s0, s16
	v_cmp_gt_i32_e32 vcc, s17, v0
	v_mov_b32_e32 v4, 0
	v_or_b32_e32 v1, s16, v0
	v_mov_b32_e32 v6, 0
	v_mov_b32_e32 v2, v0
	s_and_saveexec_b64 s[6:7], vcc
	s_cbranch_execz .LBB132_2
; %bb.1:
	v_mov_b32_e32 v2, 0
	v_lshlrev_b64 v[5:6], 3, v[1:2]
	v_mov_b32_e32 v2, s3
	v_add_co_u32_e64 v5, s[0:1], s2, v5
	v_addc_co_u32_e64 v6, s[0:1], v2, v6, s[0:1]
	global_load_dwordx2 v[5:6], v[5:6], off
	v_or_b32_e32 v2, 0x100, v0
.LBB132_2:
	s_or_b64 exec, exec, s[6:7]
	s_load_dwordx8 s[8:15], s[4:5], 0x8
	v_cmp_gt_i32_e64 s[0:1], s17, v2
	s_and_saveexec_b64 s[4:5], s[0:1]
	s_cbranch_execz .LBB132_4
; %bb.3:
	v_add_u32_e32 v3, s16, v2
	v_mov_b32_e32 v4, 0
	v_lshlrev_b64 v[3:4], 3, v[3:4]
	v_mov_b32_e32 v7, s3
	v_add_co_u32_e64 v3, s[0:1], s2, v3
	v_addc_co_u32_e64 v4, s[0:1], v7, v4, s[0:1]
	global_load_dwordx2 v[3:4], v[3:4], off
	v_add_u32_e32 v2, 0x100, v2
.LBB132_4:
	s_or_b64 exec, exec, s[4:5]
	v_mov_b32_e32 v7, 0
	v_mov_b32_e32 v9, 0
	v_mov_b32_e32 v8, 0
	v_mov_b32_e32 v10, 0
	v_cmp_gt_i32_e64 s[0:1], s17, v2
	s_and_saveexec_b64 s[4:5], s[0:1]
	s_cbranch_execz .LBB132_6
; %bb.5:
	v_add_u32_e32 v9, s16, v2
	v_mov_b32_e32 v10, 0
	v_lshlrev_b64 v[9:10], 3, v[9:10]
	v_mov_b32_e32 v11, s3
	v_add_co_u32_e64 v9, s[0:1], s2, v9
	v_addc_co_u32_e64 v10, s[0:1], v11, v10, s[0:1]
	global_load_dwordx2 v[9:10], v[9:10], off
	v_add_u32_e32 v2, 0x100, v2
.LBB132_6:
	s_or_b64 exec, exec, s[4:5]
	v_cmp_gt_i32_e64 s[0:1], s17, v2
	s_and_saveexec_b64 s[4:5], s[0:1]
	s_cbranch_execz .LBB132_8
; %bb.7:
	v_add_u32_e32 v7, s16, v2
	v_mov_b32_e32 v8, 0
	v_lshlrev_b64 v[7:8], 3, v[7:8]
	v_mov_b32_e32 v2, s3
	v_add_co_u32_e64 v7, s[0:1], s2, v7
	v_addc_co_u32_e64 v8, s[0:1], v2, v8, s[0:1]
	global_load_dwordx2 v[7:8], v[7:8], off
.LBB132_8:
	s_or_b64 exec, exec, s[4:5]
	s_waitcnt vmcnt(0) lgkmcnt(0)
	v_cmp_nge_f64_e64 s[0:1], s[8:9], v[5:6]
	v_cmp_nge_f64_e64 s[2:3], s[8:9], v[3:4]
	v_mov_b32_e32 v2, s10
	v_mov_b32_e32 v14, s12
	;; [unrolled: 1-line block ×4, first 2 shown]
	v_or_b32_e32 v13, 0x100, v0
	v_cndmask_b32_e64 v3, v2, v14, s[0:1]
	v_cndmask_b32_e32 v11, 0, v3, vcc
	v_cndmask_b32_e64 v3, v15, v16, s[0:1]
	v_cndmask_b32_e32 v12, 0, v3, vcc
	v_cndmask_b32_e64 v3, v2, v14, s[2:3]
	v_cmp_nge_f64_e64 s[0:1], s[8:9], v[9:10]
	v_cndmask_b32_e64 v4, v15, v16, s[2:3]
	v_cmp_gt_i32_e64 s[2:3], s17, v13
	v_cndmask_b32_e64 v10, 0, v4, s[2:3]
	v_cndmask_b32_e64 v9, 0, v3, s[2:3]
	v_cmp_nge_f64_e64 s[2:3], s[8:9], v[7:8]
	v_or_b32_e32 v3, 0x200, v0
	v_cndmask_b32_e64 v4, v2, v14, s[0:1]
	v_cndmask_b32_e64 v5, v15, v16, s[0:1]
	v_cmp_gt_i32_e64 s[0:1], s17, v3
	v_or_b32_e32 v3, 0x300, v0
	v_cndmask_b32_e64 v6, 0, v5, s[0:1]
	v_cndmask_b32_e64 v5, 0, v4, s[0:1]
	;; [unrolled: 1-line block ×4, first 2 shown]
	v_cmp_gt_i32_e64 s[0:1], s17, v3
	v_cndmask_b32_e64 v4, 0, v4, s[0:1]
	v_cndmask_b32_e64 v3, 0, v2, s[0:1]
	s_and_saveexec_b64 s[0:1], vcc
	s_cbranch_execnz .LBB132_13
; %bb.9:
	s_or_b64 exec, exec, s[0:1]
	v_cmp_gt_i32_e32 vcc, s17, v0
	s_and_saveexec_b64 s[0:1], vcc
	s_cbranch_execnz .LBB132_14
.LBB132_10:
	s_or_b64 exec, exec, s[0:1]
	v_cmp_gt_i32_e32 vcc, s17, v0
	s_and_saveexec_b64 s[0:1], vcc
	s_cbranch_execnz .LBB132_15
.LBB132_11:
	s_or_b64 exec, exec, s[0:1]
	v_cmp_gt_i32_e32 vcc, s17, v0
	s_and_saveexec_b64 s[0:1], vcc
	s_cbranch_execnz .LBB132_16
.LBB132_12:
	s_endpgm
.LBB132_13:
	v_mov_b32_e32 v2, 0
	v_lshlrev_b64 v[0:1], 3, v[1:2]
	v_mov_b32_e32 v2, s15
	v_add_co_u32_e32 v0, vcc, s14, v0
	v_addc_co_u32_e32 v1, vcc, v2, v1, vcc
	global_store_dwordx2 v[0:1], v[11:12], off
	v_mov_b32_e32 v0, v13
	s_or_b64 exec, exec, s[0:1]
	v_cmp_gt_i32_e32 vcc, s17, v0
	s_and_saveexec_b64 s[0:1], vcc
	s_cbranch_execz .LBB132_10
.LBB132_14:
	v_add_u32_e32 v2, 0x100, v0
	v_add_u32_e32 v0, s16, v0
	v_mov_b32_e32 v1, 0
	v_lshlrev_b64 v[0:1], 3, v[0:1]
	v_mov_b32_e32 v7, s15
	v_add_co_u32_e32 v0, vcc, s14, v0
	v_addc_co_u32_e32 v1, vcc, v7, v1, vcc
	global_store_dwordx2 v[0:1], v[9:10], off
	v_mov_b32_e32 v0, v2
	s_or_b64 exec, exec, s[0:1]
	v_cmp_gt_i32_e32 vcc, s17, v0
	s_and_saveexec_b64 s[0:1], vcc
	s_cbranch_execz .LBB132_11
.LBB132_15:
	v_add_u32_e32 v2, 0x100, v0
	v_add_u32_e32 v0, s16, v0
	v_mov_b32_e32 v1, 0
	v_lshlrev_b64 v[0:1], 3, v[0:1]
	v_mov_b32_e32 v7, s15
	v_add_co_u32_e32 v0, vcc, s14, v0
	v_addc_co_u32_e32 v1, vcc, v7, v1, vcc
	global_store_dwordx2 v[0:1], v[5:6], off
	v_mov_b32_e32 v0, v2
	s_or_b64 exec, exec, s[0:1]
	v_cmp_gt_i32_e32 vcc, s17, v0
	s_and_saveexec_b64 s[0:1], vcc
	s_cbranch_execz .LBB132_12
.LBB132_16:
	v_add_u32_e32 v0, s16, v0
	v_mov_b32_e32 v1, 0
	v_lshlrev_b64 v[0:1], 3, v[0:1]
	v_mov_b32_e32 v2, s15
	v_add_co_u32_e32 v0, vcc, s14, v0
	v_addc_co_u32_e32 v1, vcc, v2, v1, vcc
	global_store_dwordx2 v[0:1], v[3:4], off
	s_endpgm
	.section	.rodata,"a",@progbits
	.p2align	6, 0x0
	.amdhsa_kernel _ZN2at6native27unrolled_elementwise_kernelINS0_13BUnaryFunctorIdddZNS0_12_GLOBAL__N_121threshold_kernel_implIdEEvRNS_18TensorIteratorBaseET_S7_EUlddE_EESt5arrayIPcLm2EELi4E23TrivialOffsetCalculatorILi1EjESE_NS0_6memory15LoadWithoutCastENSF_16StoreWithoutCastEEEviS7_T0_T2_T3_T4_T5_
		.amdhsa_group_segment_fixed_size 0
		.amdhsa_private_segment_fixed_size 0
		.amdhsa_kernarg_size 52
		.amdhsa_user_sgpr_count 6
		.amdhsa_user_sgpr_private_segment_buffer 1
		.amdhsa_user_sgpr_dispatch_ptr 0
		.amdhsa_user_sgpr_queue_ptr 0
		.amdhsa_user_sgpr_kernarg_segment_ptr 1
		.amdhsa_user_sgpr_dispatch_id 0
		.amdhsa_user_sgpr_flat_scratch_init 0
		.amdhsa_user_sgpr_private_segment_size 0
		.amdhsa_uses_dynamic_stack 0
		.amdhsa_system_sgpr_private_segment_wavefront_offset 0
		.amdhsa_system_sgpr_workgroup_id_x 1
		.amdhsa_system_sgpr_workgroup_id_y 0
		.amdhsa_system_sgpr_workgroup_id_z 0
		.amdhsa_system_sgpr_workgroup_info 0
		.amdhsa_system_vgpr_workitem_id 0
		.amdhsa_next_free_vgpr 17
		.amdhsa_next_free_sgpr 18
		.amdhsa_reserve_vcc 1
		.amdhsa_reserve_flat_scratch 0
		.amdhsa_float_round_mode_32 0
		.amdhsa_float_round_mode_16_64 0
		.amdhsa_float_denorm_mode_32 3
		.amdhsa_float_denorm_mode_16_64 3
		.amdhsa_dx10_clamp 1
		.amdhsa_ieee_mode 1
		.amdhsa_fp16_overflow 0
		.amdhsa_exception_fp_ieee_invalid_op 0
		.amdhsa_exception_fp_denorm_src 0
		.amdhsa_exception_fp_ieee_div_zero 0
		.amdhsa_exception_fp_ieee_overflow 0
		.amdhsa_exception_fp_ieee_underflow 0
		.amdhsa_exception_fp_ieee_inexact 0
		.amdhsa_exception_int_div_zero 0
	.end_amdhsa_kernel
	.section	.text._ZN2at6native27unrolled_elementwise_kernelINS0_13BUnaryFunctorIdddZNS0_12_GLOBAL__N_121threshold_kernel_implIdEEvRNS_18TensorIteratorBaseET_S7_EUlddE_EESt5arrayIPcLm2EELi4E23TrivialOffsetCalculatorILi1EjESE_NS0_6memory15LoadWithoutCastENSF_16StoreWithoutCastEEEviS7_T0_T2_T3_T4_T5_,"axG",@progbits,_ZN2at6native27unrolled_elementwise_kernelINS0_13BUnaryFunctorIdddZNS0_12_GLOBAL__N_121threshold_kernel_implIdEEvRNS_18TensorIteratorBaseET_S7_EUlddE_EESt5arrayIPcLm2EELi4E23TrivialOffsetCalculatorILi1EjESE_NS0_6memory15LoadWithoutCastENSF_16StoreWithoutCastEEEviS7_T0_T2_T3_T4_T5_,comdat
.Lfunc_end132:
	.size	_ZN2at6native27unrolled_elementwise_kernelINS0_13BUnaryFunctorIdddZNS0_12_GLOBAL__N_121threshold_kernel_implIdEEvRNS_18TensorIteratorBaseET_S7_EUlddE_EESt5arrayIPcLm2EELi4E23TrivialOffsetCalculatorILi1EjESE_NS0_6memory15LoadWithoutCastENSF_16StoreWithoutCastEEEviS7_T0_T2_T3_T4_T5_, .Lfunc_end132-_ZN2at6native27unrolled_elementwise_kernelINS0_13BUnaryFunctorIdddZNS0_12_GLOBAL__N_121threshold_kernel_implIdEEvRNS_18TensorIteratorBaseET_S7_EUlddE_EESt5arrayIPcLm2EELi4E23TrivialOffsetCalculatorILi1EjESE_NS0_6memory15LoadWithoutCastENSF_16StoreWithoutCastEEEviS7_T0_T2_T3_T4_T5_
                                        ; -- End function
	.set _ZN2at6native27unrolled_elementwise_kernelINS0_13BUnaryFunctorIdddZNS0_12_GLOBAL__N_121threshold_kernel_implIdEEvRNS_18TensorIteratorBaseET_S7_EUlddE_EESt5arrayIPcLm2EELi4E23TrivialOffsetCalculatorILi1EjESE_NS0_6memory15LoadWithoutCastENSF_16StoreWithoutCastEEEviS7_T0_T2_T3_T4_T5_.num_vgpr, 17
	.set _ZN2at6native27unrolled_elementwise_kernelINS0_13BUnaryFunctorIdddZNS0_12_GLOBAL__N_121threshold_kernel_implIdEEvRNS_18TensorIteratorBaseET_S7_EUlddE_EESt5arrayIPcLm2EELi4E23TrivialOffsetCalculatorILi1EjESE_NS0_6memory15LoadWithoutCastENSF_16StoreWithoutCastEEEviS7_T0_T2_T3_T4_T5_.num_agpr, 0
	.set _ZN2at6native27unrolled_elementwise_kernelINS0_13BUnaryFunctorIdddZNS0_12_GLOBAL__N_121threshold_kernel_implIdEEvRNS_18TensorIteratorBaseET_S7_EUlddE_EESt5arrayIPcLm2EELi4E23TrivialOffsetCalculatorILi1EjESE_NS0_6memory15LoadWithoutCastENSF_16StoreWithoutCastEEEviS7_T0_T2_T3_T4_T5_.numbered_sgpr, 18
	.set _ZN2at6native27unrolled_elementwise_kernelINS0_13BUnaryFunctorIdddZNS0_12_GLOBAL__N_121threshold_kernel_implIdEEvRNS_18TensorIteratorBaseET_S7_EUlddE_EESt5arrayIPcLm2EELi4E23TrivialOffsetCalculatorILi1EjESE_NS0_6memory15LoadWithoutCastENSF_16StoreWithoutCastEEEviS7_T0_T2_T3_T4_T5_.num_named_barrier, 0
	.set _ZN2at6native27unrolled_elementwise_kernelINS0_13BUnaryFunctorIdddZNS0_12_GLOBAL__N_121threshold_kernel_implIdEEvRNS_18TensorIteratorBaseET_S7_EUlddE_EESt5arrayIPcLm2EELi4E23TrivialOffsetCalculatorILi1EjESE_NS0_6memory15LoadWithoutCastENSF_16StoreWithoutCastEEEviS7_T0_T2_T3_T4_T5_.private_seg_size, 0
	.set _ZN2at6native27unrolled_elementwise_kernelINS0_13BUnaryFunctorIdddZNS0_12_GLOBAL__N_121threshold_kernel_implIdEEvRNS_18TensorIteratorBaseET_S7_EUlddE_EESt5arrayIPcLm2EELi4E23TrivialOffsetCalculatorILi1EjESE_NS0_6memory15LoadWithoutCastENSF_16StoreWithoutCastEEEviS7_T0_T2_T3_T4_T5_.uses_vcc, 1
	.set _ZN2at6native27unrolled_elementwise_kernelINS0_13BUnaryFunctorIdddZNS0_12_GLOBAL__N_121threshold_kernel_implIdEEvRNS_18TensorIteratorBaseET_S7_EUlddE_EESt5arrayIPcLm2EELi4E23TrivialOffsetCalculatorILi1EjESE_NS0_6memory15LoadWithoutCastENSF_16StoreWithoutCastEEEviS7_T0_T2_T3_T4_T5_.uses_flat_scratch, 0
	.set _ZN2at6native27unrolled_elementwise_kernelINS0_13BUnaryFunctorIdddZNS0_12_GLOBAL__N_121threshold_kernel_implIdEEvRNS_18TensorIteratorBaseET_S7_EUlddE_EESt5arrayIPcLm2EELi4E23TrivialOffsetCalculatorILi1EjESE_NS0_6memory15LoadWithoutCastENSF_16StoreWithoutCastEEEviS7_T0_T2_T3_T4_T5_.has_dyn_sized_stack, 0
	.set _ZN2at6native27unrolled_elementwise_kernelINS0_13BUnaryFunctorIdddZNS0_12_GLOBAL__N_121threshold_kernel_implIdEEvRNS_18TensorIteratorBaseET_S7_EUlddE_EESt5arrayIPcLm2EELi4E23TrivialOffsetCalculatorILi1EjESE_NS0_6memory15LoadWithoutCastENSF_16StoreWithoutCastEEEviS7_T0_T2_T3_T4_T5_.has_recursion, 0
	.set _ZN2at6native27unrolled_elementwise_kernelINS0_13BUnaryFunctorIdddZNS0_12_GLOBAL__N_121threshold_kernel_implIdEEvRNS_18TensorIteratorBaseET_S7_EUlddE_EESt5arrayIPcLm2EELi4E23TrivialOffsetCalculatorILi1EjESE_NS0_6memory15LoadWithoutCastENSF_16StoreWithoutCastEEEviS7_T0_T2_T3_T4_T5_.has_indirect_call, 0
	.section	.AMDGPU.csdata,"",@progbits
; Kernel info:
; codeLenInByte = 848
; TotalNumSgprs: 22
; NumVgprs: 17
; ScratchSize: 0
; MemoryBound: 0
; FloatMode: 240
; IeeeMode: 1
; LDSByteSize: 0 bytes/workgroup (compile time only)
; SGPRBlocks: 2
; VGPRBlocks: 4
; NumSGPRsForWavesPerEU: 22
; NumVGPRsForWavesPerEU: 17
; Occupancy: 10
; WaveLimiterHint : 0
; COMPUTE_PGM_RSRC2:SCRATCH_EN: 0
; COMPUTE_PGM_RSRC2:USER_SGPR: 6
; COMPUTE_PGM_RSRC2:TRAP_HANDLER: 0
; COMPUTE_PGM_RSRC2:TGID_X_EN: 1
; COMPUTE_PGM_RSRC2:TGID_Y_EN: 0
; COMPUTE_PGM_RSRC2:TGID_Z_EN: 0
; COMPUTE_PGM_RSRC2:TIDIG_COMP_CNT: 0
	.section	.text._ZN2at6native32elementwise_kernel_manual_unrollILi128ELi4EZNS0_22gpu_kernel_impl_nocastINS0_13BUnaryFunctorIdddZNS0_12_GLOBAL__N_121threshold_kernel_implIdEEvRNS_18TensorIteratorBaseET_S8_EUlddE_EEEEvS7_RKS8_EUlibE_EEviT1_,"axG",@progbits,_ZN2at6native32elementwise_kernel_manual_unrollILi128ELi4EZNS0_22gpu_kernel_impl_nocastINS0_13BUnaryFunctorIdddZNS0_12_GLOBAL__N_121threshold_kernel_implIdEEvRNS_18TensorIteratorBaseET_S8_EUlddE_EEEEvS7_RKS8_EUlibE_EEviT1_,comdat
	.globl	_ZN2at6native32elementwise_kernel_manual_unrollILi128ELi4EZNS0_22gpu_kernel_impl_nocastINS0_13BUnaryFunctorIdddZNS0_12_GLOBAL__N_121threshold_kernel_implIdEEvRNS_18TensorIteratorBaseET_S8_EUlddE_EEEEvS7_RKS8_EUlibE_EEviT1_ ; -- Begin function _ZN2at6native32elementwise_kernel_manual_unrollILi128ELi4EZNS0_22gpu_kernel_impl_nocastINS0_13BUnaryFunctorIdddZNS0_12_GLOBAL__N_121threshold_kernel_implIdEEvRNS_18TensorIteratorBaseET_S8_EUlddE_EEEEvS7_RKS8_EUlibE_EEviT1_
	.p2align	8
	.type	_ZN2at6native32elementwise_kernel_manual_unrollILi128ELi4EZNS0_22gpu_kernel_impl_nocastINS0_13BUnaryFunctorIdddZNS0_12_GLOBAL__N_121threshold_kernel_implIdEEvRNS_18TensorIteratorBaseET_S8_EUlddE_EEEEvS7_RKS8_EUlibE_EEviT1_,@function
_ZN2at6native32elementwise_kernel_manual_unrollILi128ELi4EZNS0_22gpu_kernel_impl_nocastINS0_13BUnaryFunctorIdddZNS0_12_GLOBAL__N_121threshold_kernel_implIdEEvRNS_18TensorIteratorBaseET_S8_EUlddE_EEEEvS7_RKS8_EUlibE_EEviT1_: ; @_ZN2at6native32elementwise_kernel_manual_unrollILi128ELi4EZNS0_22gpu_kernel_impl_nocastINS0_13BUnaryFunctorIdddZNS0_12_GLOBAL__N_121threshold_kernel_implIdEEvRNS_18TensorIteratorBaseET_S8_EUlddE_EEEEvS7_RKS8_EUlibE_EEviT1_
; %bb.0:
	s_load_dword s61, s[4:5], 0x0
	s_load_dword s33, s[4:5], 0x8
	s_add_u32 s34, s4, 8
	s_addc_u32 s35, s5, 0
	v_lshl_or_b32 v7, s6, 9, v0
	v_or_b32_e32 v13, 0x180, v7
	s_waitcnt lgkmcnt(0)
	s_add_i32 s60, s33, -1
	s_cmp_gt_u32 s60, 1
	v_cmp_le_i32_e32 vcc, s61, v13
	s_cselect_b64 s[40:41], -1, 0
	s_and_saveexec_b64 s[0:1], vcc
	s_xor_b64 s[42:43], exec, s[0:1]
	s_cbranch_execz .LBB133_7
; %bb.1:
	s_load_dwordx4 s[28:31], s[34:35], 0x4
	s_load_dwordx2 s[46:47], s[34:35], 0x14
	s_load_dwordx4 s[24:27], s[34:35], 0xc4
	s_load_dwordx2 s[44:45], s[34:35], 0x168
	s_load_dwordx8 s[0:7], s[34:35], 0x148
	s_cmp_lg_u32 s33, 0
	s_cselect_b64 s[52:53], -1, 0
	s_add_u32 s50, s34, 0xc4
	s_addc_u32 s51, s35, 0
	s_min_u32 s62, s60, 15
	s_cmp_gt_u32 s33, 1
	s_cselect_b64 s[48:49], -1, 0
	v_cmp_gt_i32_e32 vcc, s61, v7
	s_and_saveexec_b64 s[54:55], vcc
	s_cbranch_execz .LBB133_14
; %bb.2:
	s_andn2_b64 vcc, exec, s[40:41]
	s_cbranch_vccnz .LBB133_21
; %bb.3:
	s_andn2_b64 vcc, exec, s[52:53]
	s_cbranch_vccnz .LBB133_73
; %bb.4:
	s_add_i32 s64, s62, 1
	s_cmp_eq_u32 s60, 2
	s_cbranch_scc1 .LBB133_75
; %bb.5:
	s_and_b32 s63, s64, 28
	v_mov_b32_e32 v2, 0
	s_mov_b32 s65, 0
	s_mov_b64 s[56:57], s[34:35]
	s_mov_b64 s[58:59], s[50:51]
	v_mov_b32_e32 v0, 0
	v_mov_b32_e32 v1, v7
.LBB133_6:                              ; =>This Inner Loop Header: Depth=1
	s_load_dwordx8 s[16:23], s[56:57], 0x4
	s_load_dwordx4 s[36:39], s[56:57], 0x24
	s_load_dwordx8 s[8:15], s[58:59], 0x0
	s_add_u32 s56, s56, 48
	s_addc_u32 s57, s57, 0
	s_waitcnt lgkmcnt(0)
	v_mul_hi_u32 v3, s17, v1
	s_add_i32 s65, s65, 4
	s_add_u32 s58, s58, 32
	s_addc_u32 s59, s59, 0
	v_add_u32_e32 v3, v1, v3
	v_lshrrev_b32_e32 v3, s18, v3
	v_mul_lo_u32 v4, v3, s16
	v_mul_hi_u32 v5, s20, v3
	s_cmp_lg_u32 s63, s65
	v_sub_u32_e32 v1, v1, v4
	v_add_u32_e32 v4, v3, v5
	v_mul_lo_u32 v5, v1, s8
	v_mul_lo_u32 v6, v1, s9
	v_lshrrev_b32_e32 v1, s21, v4
	v_mul_lo_u32 v4, v1, s19
	v_mul_hi_u32 v8, s23, v1
	v_sub_u32_e32 v3, v3, v4
	v_add_u32_e32 v4, v1, v8
	v_lshrrev_b32_e32 v4, s36, v4
	v_mul_hi_u32 v9, s38, v4
	v_mul_lo_u32 v10, v4, s22
	v_mul_lo_u32 v8, v3, s10
	;; [unrolled: 1-line block ×3, first 2 shown]
	v_sub_u32_e32 v10, v1, v10
	v_add_u32_e32 v1, v4, v9
	v_lshrrev_b32_e32 v1, s39, v1
	v_mul_lo_u32 v9, v1, s37
	v_mul_lo_u32 v11, v10, s12
	;; [unrolled: 1-line block ×3, first 2 shown]
	v_add3_u32 v0, v5, v0, v8
	v_sub_u32_e32 v4, v4, v9
	v_mul_lo_u32 v9, v4, s14
	v_mul_lo_u32 v4, v4, s15
	v_add3_u32 v2, v6, v2, v3
	v_add3_u32 v0, v11, v0, v9
	;; [unrolled: 1-line block ×3, first 2 shown]
	s_cbranch_scc1 .LBB133_6
	s_branch .LBB133_76
.LBB133_7:
	s_andn2_saveexec_b64 s[0:1], s[42:43]
	s_cbranch_execz .LBB133_101
.LBB133_8:
	v_cndmask_b32_e64 v0, 0, 1, s[40:41]
	v_cmp_ne_u32_e64 s[0:1], 1, v0
	s_andn2_b64 vcc, exec, s[40:41]
	s_cbranch_vccnz .LBB133_20
; %bb.9:
	s_cmp_lg_u32 s33, 0
	s_mov_b32 s26, 0
	s_cbranch_scc0 .LBB133_23
; %bb.10:
	s_min_u32 s27, s60, 15
	s_add_i32 s27, s27, 1
	s_cmp_eq_u32 s60, 2
	s_cbranch_scc1 .LBB133_24
; %bb.11:
	s_and_b32 s26, s27, 28
	s_add_u32 s2, s34, 0xc4
	s_addc_u32 s3, s35, 0
	v_mov_b32_e32 v2, 0
	s_mov_b32 s28, 0
	s_mov_b64 s[24:25], s[34:35]
	v_mov_b32_e32 v0, 0
	v_mov_b32_e32 v1, v7
.LBB133_12:                             ; =>This Inner Loop Header: Depth=1
	s_load_dwordx8 s[12:19], s[24:25], 0x4
	s_load_dwordx4 s[20:23], s[24:25], 0x24
	s_load_dwordx8 s[4:11], s[2:3], 0x0
	s_add_u32 s24, s24, 48
	s_addc_u32 s25, s25, 0
	s_waitcnt lgkmcnt(0)
	v_mul_hi_u32 v3, s13, v1
	s_add_i32 s28, s28, 4
	s_add_u32 s2, s2, 32
	s_addc_u32 s3, s3, 0
	v_add_u32_e32 v3, v1, v3
	v_lshrrev_b32_e32 v3, s14, v3
	v_mul_lo_u32 v4, v3, s12
	v_mul_hi_u32 v5, s16, v3
	s_cmp_lg_u32 s26, s28
	v_sub_u32_e32 v1, v1, v4
	v_add_u32_e32 v4, v3, v5
	v_mul_lo_u32 v5, v1, s4
	v_mul_lo_u32 v6, v1, s5
	v_lshrrev_b32_e32 v1, s17, v4
	v_mul_lo_u32 v4, v1, s15
	v_mul_hi_u32 v8, s19, v1
	v_sub_u32_e32 v3, v3, v4
	v_add_u32_e32 v4, v1, v8
	v_lshrrev_b32_e32 v4, s20, v4
	v_mul_hi_u32 v9, s22, v4
	v_mul_lo_u32 v10, v4, s18
	v_mul_lo_u32 v8, v3, s6
	;; [unrolled: 1-line block ×3, first 2 shown]
	v_sub_u32_e32 v10, v1, v10
	v_add_u32_e32 v1, v4, v9
	v_lshrrev_b32_e32 v1, s23, v1
	v_mul_lo_u32 v9, v1, s21
	v_mul_lo_u32 v11, v10, s8
	;; [unrolled: 1-line block ×3, first 2 shown]
	v_add3_u32 v0, v5, v0, v8
	v_sub_u32_e32 v4, v4, v9
	v_mul_lo_u32 v9, v4, s10
	v_mul_lo_u32 v4, v4, s11
	v_add3_u32 v2, v6, v2, v3
	v_add3_u32 v0, v11, v0, v9
	;; [unrolled: 1-line block ×3, first 2 shown]
	s_cbranch_scc1 .LBB133_12
; %bb.13:
	s_and_b32 s6, s27, 3
	s_cmp_eq_u32 s6, 0
	s_cbranch_scc0 .LBB133_25
	s_branch .LBB133_27
.LBB133_14:
	s_or_b64 exec, exec, s[54:55]
	v_cmp_gt_i32_e32 vcc, s61, v7
	s_and_saveexec_b64 s[54:55], vcc
	s_cbranch_execz .LBB133_83
.LBB133_15:
	s_andn2_b64 vcc, exec, s[40:41]
	s_cbranch_vccnz .LBB133_22
; %bb.16:
	s_andn2_b64 vcc, exec, s[52:53]
	s_cbranch_vccnz .LBB133_74
; %bb.17:
	s_add_i32 s64, s62, 1
	s_cmp_eq_u32 s60, 2
	s_cbranch_scc1 .LBB133_91
; %bb.18:
	s_and_b32 s63, s64, 28
	v_mov_b32_e32 v2, 0
	s_mov_b32 s65, 0
	s_mov_b64 s[56:57], s[34:35]
	s_mov_b64 s[58:59], s[50:51]
	v_mov_b32_e32 v0, 0
	v_mov_b32_e32 v1, v7
.LBB133_19:                             ; =>This Inner Loop Header: Depth=1
	s_load_dwordx8 s[16:23], s[56:57], 0x4
	s_load_dwordx4 s[36:39], s[56:57], 0x24
	s_load_dwordx8 s[8:15], s[58:59], 0x0
	s_add_u32 s56, s56, 48
	s_addc_u32 s57, s57, 0
	s_waitcnt lgkmcnt(0)
	v_mul_hi_u32 v3, s17, v1
	s_add_i32 s65, s65, 4
	s_add_u32 s58, s58, 32
	s_addc_u32 s59, s59, 0
	v_add_u32_e32 v3, v1, v3
	v_lshrrev_b32_e32 v3, s18, v3
	v_mul_lo_u32 v4, v3, s16
	v_mul_hi_u32 v5, s20, v3
	s_cmp_eq_u32 s63, s65
	v_sub_u32_e32 v1, v1, v4
	v_add_u32_e32 v4, v3, v5
	v_mul_lo_u32 v5, v1, s8
	v_mul_lo_u32 v6, v1, s9
	v_lshrrev_b32_e32 v1, s21, v4
	v_mul_lo_u32 v4, v1, s19
	v_mul_hi_u32 v8, s23, v1
	v_sub_u32_e32 v3, v3, v4
	v_add_u32_e32 v4, v1, v8
	v_lshrrev_b32_e32 v4, s36, v4
	v_mul_hi_u32 v9, s38, v4
	v_mul_lo_u32 v10, v4, s22
	v_mul_lo_u32 v8, v3, s10
	;; [unrolled: 1-line block ×3, first 2 shown]
	v_sub_u32_e32 v10, v1, v10
	v_add_u32_e32 v1, v4, v9
	v_lshrrev_b32_e32 v1, s39, v1
	v_mul_lo_u32 v9, v1, s37
	v_mul_lo_u32 v11, v10, s12
	;; [unrolled: 1-line block ×3, first 2 shown]
	v_add3_u32 v0, v5, v0, v8
	v_sub_u32_e32 v4, v4, v9
	v_mul_lo_u32 v9, v4, s14
	v_mul_lo_u32 v4, v4, s15
	v_add3_u32 v2, v6, v2, v3
	v_add3_u32 v0, v11, v0, v9
	;; [unrolled: 1-line block ×3, first 2 shown]
	s_cbranch_scc0 .LBB133_19
	s_branch .LBB133_92
.LBB133_20:
                                        ; implicit-def: $vgpr0
                                        ; implicit-def: $vgpr2
	s_branch .LBB133_28
.LBB133_21:
                                        ; implicit-def: $vgpr0
                                        ; implicit-def: $vgpr2
	s_branch .LBB133_80
.LBB133_22:
                                        ; implicit-def: $vgpr0
                                        ; implicit-def: $vgpr2
	s_branch .LBB133_96
.LBB133_23:
	v_mov_b32_e32 v0, 0
	v_mov_b32_e32 v2, 0
	s_branch .LBB133_27
.LBB133_24:
	v_mov_b32_e32 v0, 0
	v_mov_b32_e32 v2, 0
	;; [unrolled: 1-line block ×3, first 2 shown]
	s_and_b32 s6, s27, 3
	s_cmp_eq_u32 s6, 0
	s_cbranch_scc1 .LBB133_27
.LBB133_25:
	s_lshl_b32 s2, s26, 3
	s_add_u32 s2, s34, s2
	s_addc_u32 s3, s35, 0
	s_add_u32 s2, s2, 0xc4
	s_addc_u32 s3, s3, 0
	s_mul_i32 s4, s26, 12
	s_add_u32 s4, s34, s4
	s_addc_u32 s5, s35, 0
.LBB133_26:                             ; =>This Inner Loop Header: Depth=1
	s_load_dwordx2 s[8:9], s[4:5], 0x4
	s_load_dword s7, s[4:5], 0xc
	s_load_dwordx2 s[10:11], s[2:3], 0x0
	s_add_u32 s4, s4, 12
	s_addc_u32 s5, s5, 0
	s_waitcnt lgkmcnt(0)
	v_mul_hi_u32 v4, s9, v1
	s_add_u32 s2, s2, 8
	s_addc_u32 s3, s3, 0
	s_add_i32 s6, s6, -1
	v_add_u32_e32 v4, v1, v4
	v_lshrrev_b32_e32 v4, s7, v4
	v_mul_lo_u32 v5, v4, s8
	s_cmp_lg_u32 s6, 0
	v_sub_u32_e32 v5, v1, v5
	v_mad_u64_u32 v[0:1], s[8:9], v5, s10, v[0:1]
	v_mad_u64_u32 v[2:3], s[8:9], v5, s11, v[2:3]
	v_mov_b32_e32 v1, v4
	s_cbranch_scc1 .LBB133_26
.LBB133_27:
	s_cbranch_execnz .LBB133_30
.LBB133_28:
	s_load_dwordx4 s[4:7], s[34:35], 0x4
	s_load_dwordx2 s[2:3], s[34:35], 0xc4
	s_cmp_lt_u32 s33, 2
	s_waitcnt lgkmcnt(0)
	v_mul_hi_u32 v0, s5, v7
	v_add_u32_e32 v0, v7, v0
	v_lshrrev_b32_e32 v1, s6, v0
	v_mul_lo_u32 v0, v1, s4
	v_sub_u32_e32 v2, v7, v0
	v_mul_lo_u32 v0, v2, s2
	v_mul_lo_u32 v2, v2, s3
	s_cbranch_scc1 .LBB133_30
; %bb.29:
	s_load_dwordx4 s[4:7], s[34:35], 0x10
	s_load_dwordx2 s[2:3], s[34:35], 0xcc
	s_waitcnt lgkmcnt(0)
	v_mul_hi_u32 v3, s5, v1
	v_add_u32_e32 v3, v1, v3
	v_lshrrev_b32_e32 v3, s6, v3
	v_mul_lo_u32 v3, v3, s4
	v_sub_u32_e32 v3, v1, v3
	v_mad_u64_u32 v[0:1], s[4:5], v3, s2, v[0:1]
	v_mad_u64_u32 v[2:3], s[2:3], v3, s3, v[2:3]
.LBB133_30:
	s_and_b64 vcc, exec, s[0:1]
	v_add_u32_e32 v1, 0x80, v7
	s_cbranch_vccnz .LBB133_36
; %bb.31:
	s_cmp_lg_u32 s33, 0
	s_mov_b32 s26, 0
	s_cbranch_scc0 .LBB133_37
; %bb.32:
	s_min_u32 s27, s60, 15
	s_add_i32 s27, s27, 1
	s_cmp_eq_u32 s60, 2
	s_cbranch_scc1 .LBB133_38
; %bb.33:
	s_and_b32 s26, s27, 28
	s_add_u32 s2, s34, 0xc4
	s_addc_u32 s3, s35, 0
	v_mov_b32_e32 v5, 0
	s_mov_b32 s28, 0
	s_mov_b64 s[24:25], s[34:35]
	v_mov_b32_e32 v3, 0
	v_mov_b32_e32 v4, v1
.LBB133_34:                             ; =>This Inner Loop Header: Depth=1
	s_load_dwordx8 s[12:19], s[24:25], 0x4
	s_load_dwordx4 s[20:23], s[24:25], 0x24
	s_load_dwordx8 s[4:11], s[2:3], 0x0
	s_add_u32 s24, s24, 48
	s_addc_u32 s25, s25, 0
	s_waitcnt lgkmcnt(0)
	v_mul_hi_u32 v6, s13, v4
	s_add_i32 s28, s28, 4
	s_add_u32 s2, s2, 32
	s_addc_u32 s3, s3, 0
	v_add_u32_e32 v6, v4, v6
	v_lshrrev_b32_e32 v6, s14, v6
	v_mul_lo_u32 v8, v6, s12
	v_mul_hi_u32 v9, s16, v6
	s_cmp_lg_u32 s26, s28
	v_sub_u32_e32 v4, v4, v8
	v_add_u32_e32 v8, v6, v9
	v_mul_lo_u32 v9, v4, s4
	v_mul_lo_u32 v10, v4, s5
	v_lshrrev_b32_e32 v4, s17, v8
	v_mul_lo_u32 v8, v4, s15
	v_mul_hi_u32 v11, s19, v4
	v_sub_u32_e32 v6, v6, v8
	v_add_u32_e32 v8, v4, v11
	v_lshrrev_b32_e32 v8, s20, v8
	v_mul_hi_u32 v12, s22, v8
	v_mul_lo_u32 v14, v8, s18
	v_mul_lo_u32 v11, v6, s6
	;; [unrolled: 1-line block ×3, first 2 shown]
	v_sub_u32_e32 v14, v4, v14
	v_add_u32_e32 v4, v8, v12
	v_lshrrev_b32_e32 v4, s23, v4
	v_mul_lo_u32 v12, v4, s21
	v_mul_lo_u32 v15, v14, s8
	;; [unrolled: 1-line block ×3, first 2 shown]
	v_add3_u32 v3, v9, v3, v11
	v_sub_u32_e32 v8, v8, v12
	v_mul_lo_u32 v12, v8, s10
	v_mul_lo_u32 v8, v8, s11
	v_add3_u32 v5, v10, v5, v6
	v_add3_u32 v3, v15, v3, v12
	;; [unrolled: 1-line block ×3, first 2 shown]
	s_cbranch_scc1 .LBB133_34
; %bb.35:
	s_and_b32 s6, s27, 3
	s_cmp_eq_u32 s6, 0
	s_cbranch_scc0 .LBB133_39
	s_branch .LBB133_41
.LBB133_36:
                                        ; implicit-def: $vgpr3
                                        ; implicit-def: $vgpr5
	s_branch .LBB133_42
.LBB133_37:
	v_mov_b32_e32 v3, 0
	v_mov_b32_e32 v5, 0
	s_branch .LBB133_41
.LBB133_38:
	v_mov_b32_e32 v3, 0
	v_mov_b32_e32 v5, 0
	;; [unrolled: 1-line block ×3, first 2 shown]
	s_and_b32 s6, s27, 3
	s_cmp_eq_u32 s6, 0
	s_cbranch_scc1 .LBB133_41
.LBB133_39:
	s_lshl_b32 s2, s26, 3
	s_add_u32 s2, s34, s2
	s_addc_u32 s3, s35, 0
	s_add_u32 s2, s2, 0xc4
	s_addc_u32 s3, s3, 0
	s_mul_i32 s4, s26, 12
	s_add_u32 s4, s34, s4
	s_addc_u32 s5, s35, 0
.LBB133_40:                             ; =>This Inner Loop Header: Depth=1
	s_load_dwordx2 s[8:9], s[4:5], 0x4
	s_load_dword s7, s[4:5], 0xc
	s_load_dwordx2 s[10:11], s[2:3], 0x0
	s_add_u32 s4, s4, 12
	s_addc_u32 s5, s5, 0
	s_waitcnt lgkmcnt(0)
	v_mul_hi_u32 v8, s9, v4
	s_add_u32 s2, s2, 8
	s_addc_u32 s3, s3, 0
	s_add_i32 s6, s6, -1
	v_add_u32_e32 v8, v4, v8
	v_lshrrev_b32_e32 v8, s7, v8
	v_mul_lo_u32 v9, v8, s8
	s_cmp_lg_u32 s6, 0
	v_sub_u32_e32 v9, v4, v9
	v_mad_u64_u32 v[3:4], s[8:9], v9, s10, v[3:4]
	v_mad_u64_u32 v[5:6], s[8:9], v9, s11, v[5:6]
	v_mov_b32_e32 v4, v8
	s_cbranch_scc1 .LBB133_40
.LBB133_41:
	s_cbranch_execnz .LBB133_44
.LBB133_42:
	s_load_dwordx4 s[4:7], s[34:35], 0x4
	s_load_dwordx2 s[2:3], s[34:35], 0xc4
	s_cmp_lt_u32 s33, 2
	s_waitcnt lgkmcnt(0)
	v_mul_hi_u32 v3, s5, v1
	v_add_u32_e32 v3, v1, v3
	v_lshrrev_b32_e32 v4, s6, v3
	v_mul_lo_u32 v3, v4, s4
	v_sub_u32_e32 v1, v1, v3
	v_mul_lo_u32 v3, v1, s2
	v_mul_lo_u32 v5, v1, s3
	s_cbranch_scc1 .LBB133_44
; %bb.43:
	s_load_dwordx4 s[4:7], s[34:35], 0x10
	s_load_dwordx2 s[2:3], s[34:35], 0xcc
	s_waitcnt lgkmcnt(0)
	v_mul_hi_u32 v1, s5, v4
	v_add_u32_e32 v1, v4, v1
	v_lshrrev_b32_e32 v1, s6, v1
	v_mul_lo_u32 v1, v1, s4
	v_sub_u32_e32 v1, v4, v1
	v_mad_u64_u32 v[3:4], s[4:5], v1, s2, v[3:4]
	v_mad_u64_u32 v[5:6], s[2:3], v1, s3, v[5:6]
.LBB133_44:
	s_and_b64 vcc, exec, s[0:1]
	v_add_u32_e32 v1, 0x100, v7
	s_cbranch_vccnz .LBB133_50
; %bb.45:
	s_cmp_lg_u32 s33, 0
	s_mov_b32 s26, 0
	s_cbranch_scc0 .LBB133_51
; %bb.46:
	s_min_u32 s27, s60, 15
	s_add_i32 s27, s27, 1
	s_cmp_eq_u32 s60, 2
	s_cbranch_scc1 .LBB133_52
; %bb.47:
	s_and_b32 s26, s27, 28
	s_add_u32 s2, s34, 0xc4
	s_addc_u32 s3, s35, 0
	v_mov_b32_e32 v8, 0
	s_mov_b32 s28, 0
	s_mov_b64 s[24:25], s[34:35]
	v_mov_b32_e32 v6, 0
	v_mov_b32_e32 v4, v1
.LBB133_48:                             ; =>This Inner Loop Header: Depth=1
	s_load_dwordx8 s[12:19], s[24:25], 0x4
	s_load_dwordx4 s[20:23], s[24:25], 0x24
	s_load_dwordx8 s[4:11], s[2:3], 0x0
	s_add_u32 s24, s24, 48
	s_addc_u32 s25, s25, 0
	s_waitcnt lgkmcnt(0)
	v_mul_hi_u32 v7, s13, v4
	s_add_i32 s28, s28, 4
	s_add_u32 s2, s2, 32
	s_addc_u32 s3, s3, 0
	v_add_u32_e32 v7, v4, v7
	v_lshrrev_b32_e32 v7, s14, v7
	v_mul_lo_u32 v9, v7, s12
	v_mul_hi_u32 v10, s16, v7
	s_cmp_lg_u32 s26, s28
	v_sub_u32_e32 v4, v4, v9
	v_add_u32_e32 v9, v7, v10
	v_mul_lo_u32 v10, v4, s4
	v_mul_lo_u32 v11, v4, s5
	v_lshrrev_b32_e32 v4, s17, v9
	v_mul_lo_u32 v9, v4, s15
	v_mul_hi_u32 v12, s19, v4
	v_sub_u32_e32 v7, v7, v9
	v_add_u32_e32 v9, v4, v12
	v_lshrrev_b32_e32 v9, s20, v9
	v_mul_hi_u32 v14, s22, v9
	v_mul_lo_u32 v15, v9, s18
	v_mul_lo_u32 v12, v7, s6
	;; [unrolled: 1-line block ×3, first 2 shown]
	v_sub_u32_e32 v15, v4, v15
	v_add_u32_e32 v4, v9, v14
	v_lshrrev_b32_e32 v4, s23, v4
	v_mul_lo_u32 v14, v4, s21
	v_mul_lo_u32 v16, v15, s8
	;; [unrolled: 1-line block ×3, first 2 shown]
	v_add3_u32 v6, v10, v6, v12
	v_sub_u32_e32 v9, v9, v14
	v_mul_lo_u32 v14, v9, s10
	v_mul_lo_u32 v9, v9, s11
	v_add3_u32 v7, v11, v8, v7
	v_add3_u32 v6, v16, v6, v14
	;; [unrolled: 1-line block ×3, first 2 shown]
	s_cbranch_scc1 .LBB133_48
; %bb.49:
	s_and_b32 s6, s27, 3
	s_cmp_eq_u32 s6, 0
	s_cbranch_scc0 .LBB133_53
	s_branch .LBB133_55
.LBB133_50:
                                        ; implicit-def: $vgpr6
                                        ; implicit-def: $vgpr8
	s_branch .LBB133_56
.LBB133_51:
	v_mov_b32_e32 v6, 0
	v_mov_b32_e32 v8, 0
	s_branch .LBB133_55
.LBB133_52:
	v_mov_b32_e32 v6, 0
	v_mov_b32_e32 v8, 0
	;; [unrolled: 1-line block ×3, first 2 shown]
	s_and_b32 s6, s27, 3
	s_cmp_eq_u32 s6, 0
	s_cbranch_scc1 .LBB133_55
.LBB133_53:
	s_lshl_b32 s2, s26, 3
	s_add_u32 s2, s34, s2
	s_addc_u32 s3, s35, 0
	s_add_u32 s2, s2, 0xc4
	s_addc_u32 s3, s3, 0
	s_mul_i32 s4, s26, 12
	s_add_u32 s4, s34, s4
	s_addc_u32 s5, s35, 0
.LBB133_54:                             ; =>This Inner Loop Header: Depth=1
	s_load_dwordx2 s[8:9], s[4:5], 0x4
	s_load_dword s7, s[4:5], 0xc
	s_load_dwordx2 s[10:11], s[2:3], 0x0
	s_add_u32 s4, s4, 12
	s_addc_u32 s5, s5, 0
	s_waitcnt lgkmcnt(0)
	v_mul_hi_u32 v7, s9, v4
	s_add_u32 s2, s2, 8
	s_addc_u32 s3, s3, 0
	s_add_i32 s6, s6, -1
	v_add_u32_e32 v7, v4, v7
	v_lshrrev_b32_e32 v10, s7, v7
	v_mul_lo_u32 v7, v10, s8
	s_cmp_lg_u32 s6, 0
	v_sub_u32_e32 v4, v4, v7
	v_mad_u64_u32 v[6:7], s[8:9], v4, s10, v[6:7]
	v_mad_u64_u32 v[8:9], s[8:9], v4, s11, v[8:9]
	v_mov_b32_e32 v4, v10
	s_cbranch_scc1 .LBB133_54
.LBB133_55:
	s_cbranch_execnz .LBB133_58
.LBB133_56:
	s_load_dwordx4 s[4:7], s[34:35], 0x4
	s_load_dwordx2 s[2:3], s[34:35], 0xc4
	s_cmp_lt_u32 s33, 2
	s_waitcnt lgkmcnt(0)
	v_mul_hi_u32 v4, s5, v1
	v_add_u32_e32 v4, v1, v4
	v_lshrrev_b32_e32 v4, s6, v4
	v_mul_lo_u32 v6, v4, s4
	v_sub_u32_e32 v1, v1, v6
	v_mul_lo_u32 v6, v1, s2
	v_mul_lo_u32 v8, v1, s3
	s_cbranch_scc1 .LBB133_58
; %bb.57:
	s_load_dwordx4 s[4:7], s[34:35], 0x10
	s_load_dwordx2 s[2:3], s[34:35], 0xcc
	s_waitcnt lgkmcnt(0)
	v_mul_hi_u32 v1, s5, v4
	v_add_u32_e32 v1, v4, v1
	v_lshrrev_b32_e32 v1, s6, v1
	v_mul_lo_u32 v1, v1, s4
	v_sub_u32_e32 v1, v4, v1
	v_mad_u64_u32 v[6:7], s[4:5], v1, s2, v[6:7]
	v_mad_u64_u32 v[8:9], s[2:3], v1, s3, v[8:9]
.LBB133_58:
	s_and_b64 vcc, exec, s[0:1]
	s_cbranch_vccnz .LBB133_64
; %bb.59:
	s_cmp_lg_u32 s33, 0
	s_mov_b32 s24, 0
	s_cbranch_scc0 .LBB133_65
; %bb.60:
	s_min_u32 s25, s60, 15
	s_add_i32 s25, s25, 1
	s_cmp_eq_u32 s60, 2
	s_cbranch_scc1 .LBB133_66
; %bb.61:
	s_and_b32 s24, s25, 28
	s_add_u32 s20, s34, 0xc4
	s_addc_u32 s21, s35, 0
	v_mov_b32_e32 v11, 0
	s_mov_b32 s26, 0
	s_mov_b64 s[22:23], s[34:35]
	v_mov_b32_e32 v9, 0
	v_mov_b32_e32 v1, v13
.LBB133_62:                             ; =>This Inner Loop Header: Depth=1
	s_load_dwordx8 s[8:15], s[22:23], 0x4
	s_load_dwordx4 s[16:19], s[22:23], 0x24
	s_load_dwordx8 s[0:7], s[20:21], 0x0
	s_add_u32 s22, s22, 48
	s_addc_u32 s23, s23, 0
	s_waitcnt lgkmcnt(0)
	v_mul_hi_u32 v4, s9, v1
	s_add_i32 s26, s26, 4
	s_add_u32 s20, s20, 32
	s_addc_u32 s21, s21, 0
	v_add_u32_e32 v4, v1, v4
	v_lshrrev_b32_e32 v4, s10, v4
	v_mul_lo_u32 v7, v4, s8
	v_mul_hi_u32 v10, s12, v4
	s_cmp_lg_u32 s24, s26
	v_sub_u32_e32 v1, v1, v7
	v_add_u32_e32 v7, v4, v10
	v_mul_lo_u32 v10, v1, s0
	v_mul_lo_u32 v12, v1, s1
	v_lshrrev_b32_e32 v1, s13, v7
	v_mul_lo_u32 v7, v1, s11
	v_mul_hi_u32 v14, s15, v1
	v_sub_u32_e32 v4, v4, v7
	v_add_u32_e32 v7, v1, v14
	v_lshrrev_b32_e32 v7, s16, v7
	v_mul_hi_u32 v15, s18, v7
	v_mul_lo_u32 v16, v7, s14
	v_mul_lo_u32 v14, v4, s2
	;; [unrolled: 1-line block ×3, first 2 shown]
	v_sub_u32_e32 v16, v1, v16
	v_add_u32_e32 v1, v7, v15
	v_lshrrev_b32_e32 v1, s19, v1
	v_mul_lo_u32 v15, v1, s17
	v_mul_lo_u32 v17, v16, s4
	;; [unrolled: 1-line block ×3, first 2 shown]
	v_add3_u32 v9, v10, v9, v14
	v_sub_u32_e32 v7, v7, v15
	v_mul_lo_u32 v15, v7, s6
	v_mul_lo_u32 v7, v7, s7
	v_add3_u32 v4, v12, v11, v4
	v_add3_u32 v9, v17, v9, v15
	v_add3_u32 v11, v16, v4, v7
	s_cbranch_scc1 .LBB133_62
; %bb.63:
	s_and_b32 s4, s25, 3
	s_cmp_eq_u32 s4, 0
	s_cbranch_scc0 .LBB133_67
	s_branch .LBB133_69
.LBB133_64:
                                        ; implicit-def: $vgpr9
                                        ; implicit-def: $vgpr11
	s_branch .LBB133_70
.LBB133_65:
	v_mov_b32_e32 v9, 0
	v_mov_b32_e32 v11, 0
	s_branch .LBB133_69
.LBB133_66:
	v_mov_b32_e32 v9, 0
	v_mov_b32_e32 v11, 0
	;; [unrolled: 1-line block ×3, first 2 shown]
	s_and_b32 s4, s25, 3
	s_cmp_eq_u32 s4, 0
	s_cbranch_scc1 .LBB133_69
.LBB133_67:
	s_lshl_b32 s0, s24, 3
	s_add_u32 s0, s34, s0
	s_addc_u32 s1, s35, 0
	s_add_u32 s0, s0, 0xc4
	s_addc_u32 s1, s1, 0
	s_mul_i32 s2, s24, 12
	s_add_u32 s2, s34, s2
	s_addc_u32 s3, s35, 0
.LBB133_68:                             ; =>This Inner Loop Header: Depth=1
	s_load_dwordx2 s[6:7], s[2:3], 0x4
	s_load_dword s5, s[2:3], 0xc
	s_load_dwordx2 s[8:9], s[0:1], 0x0
	s_add_u32 s2, s2, 12
	s_addc_u32 s3, s3, 0
	s_waitcnt lgkmcnt(0)
	v_mul_hi_u32 v4, s7, v1
	s_add_u32 s0, s0, 8
	s_addc_u32 s1, s1, 0
	s_add_i32 s4, s4, -1
	v_add_u32_e32 v4, v1, v4
	v_lshrrev_b32_e32 v4, s5, v4
	v_mul_lo_u32 v7, v4, s6
	s_cmp_lg_u32 s4, 0
	v_sub_u32_e32 v1, v1, v7
	v_mad_u64_u32 v[9:10], s[6:7], v1, s8, v[9:10]
	v_mad_u64_u32 v[11:12], s[6:7], v1, s9, v[11:12]
	v_mov_b32_e32 v1, v4
	s_cbranch_scc1 .LBB133_68
.LBB133_69:
	s_cbranch_execnz .LBB133_72
.LBB133_70:
	s_load_dwordx4 s[0:3], s[34:35], 0x4
	s_load_dwordx2 s[4:5], s[34:35], 0xc4
	s_cmp_lt_u32 s33, 2
	s_waitcnt lgkmcnt(0)
	v_mul_hi_u32 v1, s1, v13
	v_add_u32_e32 v1, v13, v1
	v_lshrrev_b32_e32 v1, s2, v1
	v_mul_lo_u32 v4, v1, s0
	v_sub_u32_e32 v4, v13, v4
	v_mul_lo_u32 v9, v4, s4
	v_mul_lo_u32 v11, v4, s5
	s_cbranch_scc1 .LBB133_72
; %bb.71:
	s_load_dwordx4 s[0:3], s[34:35], 0x10
	s_load_dwordx2 s[4:5], s[34:35], 0xcc
	s_waitcnt lgkmcnt(0)
	v_mul_hi_u32 v4, s1, v1
	v_add_u32_e32 v4, v1, v4
	v_lshrrev_b32_e32 v4, s2, v4
	v_mul_lo_u32 v4, v4, s0
	v_sub_u32_e32 v1, v1, v4
	v_mad_u64_u32 v[9:10], s[0:1], v1, s4, v[9:10]
	v_mad_u64_u32 v[11:12], s[0:1], v1, s5, v[11:12]
.LBB133_72:
	s_load_dwordx8 s[8:15], s[34:35], 0x148
	s_load_dwordx2 s[0:1], s[34:35], 0x168
	s_waitcnt lgkmcnt(0)
	global_load_dwordx2 v[12:13], v2, s[10:11]
	global_load_dwordx2 v[14:15], v5, s[10:11]
	global_load_dwordx2 v[16:17], v8, s[10:11]
	global_load_dwordx2 v[18:19], v11, s[10:11]
	v_mov_b32_e32 v4, s1
	v_mov_b32_e32 v20, s0
	;; [unrolled: 1-line block ×4, first 2 shown]
	s_waitcnt vmcnt(3)
	v_cmp_nge_f64_e32 vcc, s[12:13], v[12:13]
	s_waitcnt vmcnt(2)
	v_cmp_nge_f64_e64 s[0:1], s[12:13], v[14:15]
	s_waitcnt vmcnt(1)
	v_cmp_nge_f64_e64 s[2:3], s[12:13], v[16:17]
	;; [unrolled: 2-line block ×3, first 2 shown]
	v_cndmask_b32_e32 v2, v1, v4, vcc
	v_cndmask_b32_e64 v5, v1, v4, s[0:1]
	v_cndmask_b32_e64 v8, v1, v4, s[2:3]
	;; [unrolled: 1-line block ×3, first 2 shown]
	v_cndmask_b32_e32 v1, v10, v20, vcc
	v_cndmask_b32_e64 v4, v10, v20, s[0:1]
	v_cndmask_b32_e64 v7, v10, v20, s[2:3]
	v_cndmask_b32_e64 v10, v10, v20, s[4:5]
	global_store_dwordx2 v0, v[1:2], s[8:9]
	global_store_dwordx2 v3, v[4:5], s[8:9]
	global_store_dwordx2 v6, v[7:8], s[8:9]
	global_store_dwordx2 v9, v[10:11], s[8:9]
	s_endpgm
.LBB133_73:
	v_mov_b32_e32 v0, 0
	v_mov_b32_e32 v2, 0
	s_branch .LBB133_79
.LBB133_74:
	v_mov_b32_e32 v0, 0
	v_mov_b32_e32 v2, 0
	s_branch .LBB133_95
.LBB133_75:
	s_mov_b32 s63, 0
	v_mov_b32_e32 v0, 0
	v_mov_b32_e32 v2, 0
	v_mov_b32_e32 v1, v7
.LBB133_76:
	s_and_b32 s12, s64, 3
	s_cmp_eq_u32 s12, 0
	s_cbranch_scc1 .LBB133_79
; %bb.77:
	s_lshl_b32 s8, s63, 3
	s_add_u32 s8, s34, s8
	s_addc_u32 s9, s35, 0
	s_add_u32 s8, s8, 0xc4
	s_addc_u32 s9, s9, 0
	s_mul_i32 s10, s63, 12
	s_add_u32 s10, s34, s10
	s_addc_u32 s11, s35, 0
.LBB133_78:                             ; =>This Inner Loop Header: Depth=1
	s_load_dwordx2 s[14:15], s[10:11], 0x4
	s_load_dword s13, s[10:11], 0xc
	s_load_dwordx2 s[16:17], s[8:9], 0x0
	s_add_u32 s10, s10, 12
	s_addc_u32 s11, s11, 0
	s_waitcnt lgkmcnt(0)
	v_mul_hi_u32 v3, s15, v1
	s_add_u32 s8, s8, 8
	s_addc_u32 s9, s9, 0
	s_add_i32 s12, s12, -1
	v_add_u32_e32 v3, v1, v3
	v_lshrrev_b32_e32 v4, s13, v3
	v_mul_lo_u32 v3, v4, s14
	s_cmp_lg_u32 s12, 0
	v_sub_u32_e32 v3, v1, v3
	v_mad_u64_u32 v[0:1], s[14:15], v3, s16, v[0:1]
	v_mad_u64_u32 v[2:3], s[14:15], v3, s17, v[2:3]
	v_mov_b32_e32 v1, v4
	s_cbranch_scc1 .LBB133_78
.LBB133_79:
	s_cbranch_execnz .LBB133_82
.LBB133_80:
	s_waitcnt lgkmcnt(0)
	v_mul_hi_u32 v0, s29, v7
	s_andn2_b64 vcc, exec, s[48:49]
	v_add_u32_e32 v0, v7, v0
	v_lshrrev_b32_e32 v1, s30, v0
	v_mul_lo_u32 v0, v1, s28
	v_sub_u32_e32 v2, v7, v0
	v_mul_lo_u32 v0, v2, s24
	v_mul_lo_u32 v2, v2, s25
	s_cbranch_vccnz .LBB133_82
; %bb.81:
	v_mul_hi_u32 v3, s46, v1
	v_add_u32_e32 v3, v1, v3
	v_lshrrev_b32_e32 v3, s47, v3
	v_mul_lo_u32 v3, v3, s31
	v_sub_u32_e32 v3, v1, v3
	v_mad_u64_u32 v[0:1], s[8:9], v3, s26, v[0:1]
	v_mad_u64_u32 v[2:3], s[8:9], v3, s27, v[2:3]
.LBB133_82:
	s_waitcnt lgkmcnt(0)
	global_load_dwordx2 v[1:2], v2, s[2:3]
	v_mov_b32_e32 v3, s7
	v_mov_b32_e32 v4, s45
	;; [unrolled: 1-line block ×3, first 2 shown]
	v_add_u32_e32 v7, 0x80, v7
	s_waitcnt vmcnt(0)
	v_cmp_nge_f64_e32 vcc, s[4:5], v[1:2]
	v_mov_b32_e32 v1, s6
	v_cndmask_b32_e32 v2, v3, v4, vcc
	v_cndmask_b32_e32 v1, v1, v5, vcc
	global_store_dwordx2 v0, v[1:2], s[0:1]
	s_or_b64 exec, exec, s[54:55]
	v_cmp_gt_i32_e32 vcc, s61, v7
	s_and_saveexec_b64 s[54:55], vcc
	s_cbranch_execnz .LBB133_15
.LBB133_83:
	s_or_b64 exec, exec, s[54:55]
	v_cmp_gt_i32_e32 vcc, s61, v7
	s_and_saveexec_b64 s[54:55], vcc
	s_cbranch_execz .LBB133_99
.LBB133_84:
	s_andn2_b64 vcc, exec, s[40:41]
	s_cbranch_vccnz .LBB133_89
; %bb.85:
	s_andn2_b64 vcc, exec, s[52:53]
	s_cbranch_vccnz .LBB133_90
; %bb.86:
	s_add_i32 s64, s62, 1
	s_cmp_eq_u32 s60, 2
	s_cbranch_scc1 .LBB133_102
; %bb.87:
	s_and_b32 s63, s64, 28
	v_mov_b32_e32 v2, 0
	s_mov_b32 s65, 0
	s_mov_b64 s[56:57], s[34:35]
	s_mov_b64 s[58:59], s[50:51]
	v_mov_b32_e32 v0, 0
	v_mov_b32_e32 v1, v7
.LBB133_88:                             ; =>This Inner Loop Header: Depth=1
	s_load_dwordx8 s[16:23], s[56:57], 0x4
	s_load_dwordx4 s[36:39], s[56:57], 0x24
	s_load_dwordx8 s[8:15], s[58:59], 0x0
	s_add_u32 s56, s56, 48
	s_addc_u32 s57, s57, 0
	s_waitcnt lgkmcnt(0)
	v_mul_hi_u32 v3, s17, v1
	s_add_i32 s65, s65, 4
	s_add_u32 s58, s58, 32
	s_addc_u32 s59, s59, 0
	v_add_u32_e32 v3, v1, v3
	v_lshrrev_b32_e32 v3, s18, v3
	v_mul_lo_u32 v4, v3, s16
	v_mul_hi_u32 v5, s20, v3
	s_cmp_eq_u32 s63, s65
	v_sub_u32_e32 v1, v1, v4
	v_add_u32_e32 v4, v3, v5
	v_mul_lo_u32 v5, v1, s8
	v_mul_lo_u32 v6, v1, s9
	v_lshrrev_b32_e32 v1, s21, v4
	v_mul_lo_u32 v4, v1, s19
	v_mul_hi_u32 v8, s23, v1
	v_sub_u32_e32 v3, v3, v4
	v_add_u32_e32 v4, v1, v8
	v_lshrrev_b32_e32 v4, s36, v4
	v_mul_hi_u32 v9, s38, v4
	v_mul_lo_u32 v10, v4, s22
	v_mul_lo_u32 v8, v3, s10
	;; [unrolled: 1-line block ×3, first 2 shown]
	v_sub_u32_e32 v10, v1, v10
	v_add_u32_e32 v1, v4, v9
	v_lshrrev_b32_e32 v1, s39, v1
	v_mul_lo_u32 v9, v1, s37
	v_mul_lo_u32 v11, v10, s12
	v_mul_lo_u32 v10, v10, s13
	v_add3_u32 v0, v5, v0, v8
	v_sub_u32_e32 v4, v4, v9
	v_mul_lo_u32 v9, v4, s14
	v_mul_lo_u32 v4, v4, s15
	v_add3_u32 v2, v6, v2, v3
	v_add3_u32 v0, v11, v0, v9
	v_add3_u32 v2, v10, v2, v4
	s_cbranch_scc0 .LBB133_88
	s_branch .LBB133_103
.LBB133_89:
                                        ; implicit-def: $vgpr0
                                        ; implicit-def: $vgpr2
	s_branch .LBB133_107
.LBB133_90:
	v_mov_b32_e32 v0, 0
	v_mov_b32_e32 v2, 0
	s_branch .LBB133_106
.LBB133_91:
	s_mov_b32 s63, 0
	v_mov_b32_e32 v0, 0
	v_mov_b32_e32 v2, 0
	;; [unrolled: 1-line block ×3, first 2 shown]
.LBB133_92:
	s_and_b32 s12, s64, 3
	s_cmp_eq_u32 s12, 0
	s_cbranch_scc1 .LBB133_95
; %bb.93:
	s_lshl_b32 s8, s63, 3
	s_add_u32 s8, s34, s8
	s_addc_u32 s9, s35, 0
	s_add_u32 s8, s8, 0xc4
	s_addc_u32 s9, s9, 0
	s_mul_i32 s10, s63, 12
	s_add_u32 s10, s34, s10
	s_addc_u32 s11, s35, 0
.LBB133_94:                             ; =>This Inner Loop Header: Depth=1
	s_load_dwordx2 s[14:15], s[10:11], 0x4
	s_load_dword s13, s[10:11], 0xc
	s_load_dwordx2 s[16:17], s[8:9], 0x0
	s_add_u32 s10, s10, 12
	s_addc_u32 s11, s11, 0
	s_waitcnt lgkmcnt(0)
	v_mul_hi_u32 v3, s15, v1
	s_add_u32 s8, s8, 8
	s_addc_u32 s9, s9, 0
	s_add_i32 s12, s12, -1
	v_add_u32_e32 v3, v1, v3
	v_lshrrev_b32_e32 v4, s13, v3
	v_mul_lo_u32 v3, v4, s14
	s_cmp_lg_u32 s12, 0
	v_sub_u32_e32 v3, v1, v3
	v_mad_u64_u32 v[0:1], s[14:15], v3, s16, v[0:1]
	v_mad_u64_u32 v[2:3], s[14:15], v3, s17, v[2:3]
	v_mov_b32_e32 v1, v4
	s_cbranch_scc1 .LBB133_94
.LBB133_95:
	s_cbranch_execnz .LBB133_98
.LBB133_96:
	s_waitcnt lgkmcnt(0)
	v_mul_hi_u32 v0, s29, v7
	s_andn2_b64 vcc, exec, s[48:49]
	v_add_u32_e32 v0, v7, v0
	v_lshrrev_b32_e32 v1, s30, v0
	v_mul_lo_u32 v0, v1, s28
	v_sub_u32_e32 v2, v7, v0
	v_mul_lo_u32 v0, v2, s24
	v_mul_lo_u32 v2, v2, s25
	s_cbranch_vccnz .LBB133_98
; %bb.97:
	v_mul_hi_u32 v3, s46, v1
	v_add_u32_e32 v3, v1, v3
	v_lshrrev_b32_e32 v3, s47, v3
	v_mul_lo_u32 v3, v3, s31
	v_sub_u32_e32 v3, v1, v3
	v_mad_u64_u32 v[0:1], s[8:9], v3, s26, v[0:1]
	v_mad_u64_u32 v[2:3], s[8:9], v3, s27, v[2:3]
.LBB133_98:
	s_waitcnt lgkmcnt(0)
	global_load_dwordx2 v[1:2], v2, s[2:3]
	v_mov_b32_e32 v3, s7
	v_mov_b32_e32 v4, s45
	;; [unrolled: 1-line block ×3, first 2 shown]
	v_add_u32_e32 v7, 0x80, v7
	s_waitcnt vmcnt(0)
	v_cmp_nge_f64_e32 vcc, s[4:5], v[1:2]
	v_mov_b32_e32 v1, s6
	v_cndmask_b32_e32 v2, v3, v4, vcc
	v_cndmask_b32_e32 v1, v1, v5, vcc
	global_store_dwordx2 v0, v[1:2], s[0:1]
	s_or_b64 exec, exec, s[54:55]
	v_cmp_gt_i32_e32 vcc, s61, v7
	s_and_saveexec_b64 s[54:55], vcc
	s_cbranch_execnz .LBB133_84
.LBB133_99:
	s_or_b64 exec, exec, s[54:55]
	v_cmp_gt_i32_e32 vcc, s61, v7
	s_and_saveexec_b64 s[54:55], vcc
	s_cbranch_execnz .LBB133_110
.LBB133_100:
	s_or_b64 exec, exec, s[54:55]
                                        ; implicit-def: $vgpr13
                                        ; implicit-def: $vgpr7
	s_waitcnt lgkmcnt(0)
	s_andn2_saveexec_b64 s[0:1], s[42:43]
	s_cbranch_execnz .LBB133_8
.LBB133_101:
	s_endpgm
.LBB133_102:
	s_mov_b32 s63, 0
	v_mov_b32_e32 v0, 0
	v_mov_b32_e32 v2, 0
	;; [unrolled: 1-line block ×3, first 2 shown]
.LBB133_103:
	s_and_b32 s12, s64, 3
	s_cmp_eq_u32 s12, 0
	s_cbranch_scc1 .LBB133_106
; %bb.104:
	s_lshl_b32 s8, s63, 3
	s_add_u32 s8, s34, s8
	s_addc_u32 s9, s35, 0
	s_add_u32 s8, s8, 0xc4
	s_addc_u32 s9, s9, 0
	s_mul_i32 s10, s63, 12
	s_add_u32 s10, s34, s10
	s_addc_u32 s11, s35, 0
.LBB133_105:                            ; =>This Inner Loop Header: Depth=1
	s_load_dwordx2 s[14:15], s[10:11], 0x4
	s_load_dword s13, s[10:11], 0xc
	s_load_dwordx2 s[16:17], s[8:9], 0x0
	s_add_u32 s10, s10, 12
	s_addc_u32 s11, s11, 0
	s_waitcnt lgkmcnt(0)
	v_mul_hi_u32 v3, s15, v1
	s_add_u32 s8, s8, 8
	s_addc_u32 s9, s9, 0
	s_add_i32 s12, s12, -1
	v_add_u32_e32 v3, v1, v3
	v_lshrrev_b32_e32 v4, s13, v3
	v_mul_lo_u32 v3, v4, s14
	s_cmp_lg_u32 s12, 0
	v_sub_u32_e32 v3, v1, v3
	v_mad_u64_u32 v[0:1], s[14:15], v3, s16, v[0:1]
	v_mad_u64_u32 v[2:3], s[14:15], v3, s17, v[2:3]
	v_mov_b32_e32 v1, v4
	s_cbranch_scc1 .LBB133_105
.LBB133_106:
	s_cbranch_execnz .LBB133_109
.LBB133_107:
	s_waitcnt lgkmcnt(0)
	v_mul_hi_u32 v0, s29, v7
	s_andn2_b64 vcc, exec, s[48:49]
	v_add_u32_e32 v0, v7, v0
	v_lshrrev_b32_e32 v1, s30, v0
	v_mul_lo_u32 v0, v1, s28
	v_sub_u32_e32 v2, v7, v0
	v_mul_lo_u32 v0, v2, s24
	v_mul_lo_u32 v2, v2, s25
	s_cbranch_vccnz .LBB133_109
; %bb.108:
	v_mul_hi_u32 v3, s46, v1
	v_add_u32_e32 v3, v1, v3
	v_lshrrev_b32_e32 v3, s47, v3
	v_mul_lo_u32 v3, v3, s31
	v_sub_u32_e32 v3, v1, v3
	v_mad_u64_u32 v[0:1], s[8:9], v3, s26, v[0:1]
	v_mad_u64_u32 v[2:3], s[8:9], v3, s27, v[2:3]
.LBB133_109:
	s_waitcnt lgkmcnt(0)
	global_load_dwordx2 v[1:2], v2, s[2:3]
	v_mov_b32_e32 v3, s7
	v_mov_b32_e32 v4, s45
	;; [unrolled: 1-line block ×3, first 2 shown]
	v_add_u32_e32 v7, 0x80, v7
	s_waitcnt vmcnt(0)
	v_cmp_nge_f64_e32 vcc, s[4:5], v[1:2]
	v_mov_b32_e32 v1, s6
	v_cndmask_b32_e32 v2, v3, v4, vcc
	v_cndmask_b32_e32 v1, v1, v5, vcc
	global_store_dwordx2 v0, v[1:2], s[0:1]
	s_or_b64 exec, exec, s[54:55]
	v_cmp_gt_i32_e32 vcc, s61, v7
	s_and_saveexec_b64 s[54:55], vcc
	s_cbranch_execz .LBB133_100
.LBB133_110:
	s_andn2_b64 vcc, exec, s[40:41]
	s_cbranch_vccnz .LBB133_115
; %bb.111:
	s_andn2_b64 vcc, exec, s[52:53]
	s_cbranch_vccnz .LBB133_116
; %bb.112:
	s_add_i32 s62, s62, 1
	s_cmp_eq_u32 s60, 2
	s_cbranch_scc1 .LBB133_117
; %bb.113:
	s_and_b32 s56, s62, 28
	v_mov_b32_e32 v2, 0
	s_mov_b32 s57, 0
	s_mov_b64 s[52:53], s[34:35]
	v_mov_b32_e32 v0, 0
	v_mov_b32_e32 v1, v7
.LBB133_114:                            ; =>This Inner Loop Header: Depth=1
	s_load_dwordx8 s[16:23], s[52:53], 0x4
	s_load_dwordx4 s[36:39], s[52:53], 0x24
	s_load_dwordx8 s[8:15], s[50:51], 0x0
	s_add_u32 s52, s52, 48
	s_addc_u32 s53, s53, 0
	s_waitcnt lgkmcnt(0)
	v_mul_hi_u32 v3, s17, v1
	s_add_i32 s57, s57, 4
	s_add_u32 s50, s50, 32
	s_addc_u32 s51, s51, 0
	v_add_u32_e32 v3, v1, v3
	v_lshrrev_b32_e32 v3, s18, v3
	v_mul_lo_u32 v4, v3, s16
	v_mul_hi_u32 v5, s20, v3
	s_cmp_eq_u32 s56, s57
	v_sub_u32_e32 v1, v1, v4
	v_add_u32_e32 v4, v3, v5
	v_mul_lo_u32 v5, v1, s8
	v_mul_lo_u32 v6, v1, s9
	v_lshrrev_b32_e32 v1, s21, v4
	v_mul_lo_u32 v4, v1, s19
	v_mul_hi_u32 v8, s23, v1
	v_sub_u32_e32 v3, v3, v4
	v_add_u32_e32 v4, v1, v8
	v_lshrrev_b32_e32 v4, s36, v4
	v_mul_hi_u32 v9, s38, v4
	v_mul_lo_u32 v10, v4, s22
	v_mul_lo_u32 v8, v3, s10
	;; [unrolled: 1-line block ×3, first 2 shown]
	v_sub_u32_e32 v10, v1, v10
	v_add_u32_e32 v1, v4, v9
	v_lshrrev_b32_e32 v1, s39, v1
	v_mul_lo_u32 v9, v1, s37
	v_mul_lo_u32 v11, v10, s12
	;; [unrolled: 1-line block ×3, first 2 shown]
	v_add3_u32 v0, v5, v0, v8
	v_sub_u32_e32 v4, v4, v9
	v_mul_lo_u32 v9, v4, s14
	v_mul_lo_u32 v4, v4, s15
	v_add3_u32 v2, v6, v2, v3
	v_add3_u32 v0, v11, v0, v9
	;; [unrolled: 1-line block ×3, first 2 shown]
	s_cbranch_scc0 .LBB133_114
	s_branch .LBB133_118
.LBB133_115:
                                        ; implicit-def: $vgpr0
                                        ; implicit-def: $vgpr2
	s_branch .LBB133_122
.LBB133_116:
	v_mov_b32_e32 v0, 0
	v_mov_b32_e32 v2, 0
	s_branch .LBB133_121
.LBB133_117:
	s_mov_b32 s56, 0
	v_mov_b32_e32 v0, 0
	v_mov_b32_e32 v2, 0
	;; [unrolled: 1-line block ×3, first 2 shown]
.LBB133_118:
	s_and_b32 s12, s62, 3
	s_cmp_eq_u32 s12, 0
	s_cbranch_scc1 .LBB133_121
; %bb.119:
	s_lshl_b32 s8, s56, 3
	s_add_u32 s8, s34, s8
	s_addc_u32 s9, s35, 0
	s_add_u32 s8, s8, 0xc4
	s_addc_u32 s9, s9, 0
	s_mul_i32 s10, s56, 12
	s_add_u32 s10, s34, s10
	s_addc_u32 s11, s35, 0
.LBB133_120:                            ; =>This Inner Loop Header: Depth=1
	s_load_dwordx2 s[14:15], s[10:11], 0x4
	s_load_dword s13, s[10:11], 0xc
	s_load_dwordx2 s[16:17], s[8:9], 0x0
	s_add_u32 s10, s10, 12
	s_addc_u32 s11, s11, 0
	s_waitcnt lgkmcnt(0)
	v_mul_hi_u32 v3, s15, v1
	s_add_u32 s8, s8, 8
	s_addc_u32 s9, s9, 0
	s_add_i32 s12, s12, -1
	v_add_u32_e32 v3, v1, v3
	v_lshrrev_b32_e32 v4, s13, v3
	v_mul_lo_u32 v3, v4, s14
	s_cmp_lg_u32 s12, 0
	v_sub_u32_e32 v3, v1, v3
	v_mad_u64_u32 v[0:1], s[14:15], v3, s16, v[0:1]
	v_mad_u64_u32 v[2:3], s[14:15], v3, s17, v[2:3]
	v_mov_b32_e32 v1, v4
	s_cbranch_scc1 .LBB133_120
.LBB133_121:
	s_cbranch_execnz .LBB133_124
.LBB133_122:
	s_waitcnt lgkmcnt(0)
	v_mul_hi_u32 v0, s29, v7
	s_andn2_b64 vcc, exec, s[48:49]
	v_add_u32_e32 v0, v7, v0
	v_lshrrev_b32_e32 v1, s30, v0
	v_mul_lo_u32 v0, v1, s28
	v_sub_u32_e32 v2, v7, v0
	v_mul_lo_u32 v0, v2, s24
	v_mul_lo_u32 v2, v2, s25
	s_cbranch_vccnz .LBB133_124
; %bb.123:
	v_mul_hi_u32 v3, s46, v1
	v_add_u32_e32 v3, v1, v3
	v_lshrrev_b32_e32 v3, s47, v3
	v_mul_lo_u32 v3, v3, s31
	v_sub_u32_e32 v3, v1, v3
	v_mad_u64_u32 v[0:1], s[8:9], v3, s26, v[0:1]
	v_mad_u64_u32 v[2:3], s[8:9], v3, s27, v[2:3]
.LBB133_124:
	s_waitcnt lgkmcnt(0)
	global_load_dwordx2 v[1:2], v2, s[2:3]
	v_mov_b32_e32 v3, s7
	v_mov_b32_e32 v4, s45
	s_waitcnt vmcnt(0)
	v_cmp_nge_f64_e32 vcc, s[4:5], v[1:2]
	v_mov_b32_e32 v1, s6
	v_cndmask_b32_e32 v2, v3, v4, vcc
	v_mov_b32_e32 v3, s44
	v_cndmask_b32_e32 v1, v1, v3, vcc
	global_store_dwordx2 v0, v[1:2], s[0:1]
	s_or_b64 exec, exec, s[54:55]
                                        ; implicit-def: $vgpr13
                                        ; implicit-def: $vgpr7
	s_andn2_saveexec_b64 s[0:1], s[42:43]
	s_cbranch_execz .LBB133_101
	s_branch .LBB133_8
	.section	.rodata,"a",@progbits
	.p2align	6, 0x0
	.amdhsa_kernel _ZN2at6native32elementwise_kernel_manual_unrollILi128ELi4EZNS0_22gpu_kernel_impl_nocastINS0_13BUnaryFunctorIdddZNS0_12_GLOBAL__N_121threshold_kernel_implIdEEvRNS_18TensorIteratorBaseET_S8_EUlddE_EEEEvS7_RKS8_EUlibE_EEviT1_
		.amdhsa_group_segment_fixed_size 0
		.amdhsa_private_segment_fixed_size 0
		.amdhsa_kernarg_size 376
		.amdhsa_user_sgpr_count 6
		.amdhsa_user_sgpr_private_segment_buffer 1
		.amdhsa_user_sgpr_dispatch_ptr 0
		.amdhsa_user_sgpr_queue_ptr 0
		.amdhsa_user_sgpr_kernarg_segment_ptr 1
		.amdhsa_user_sgpr_dispatch_id 0
		.amdhsa_user_sgpr_flat_scratch_init 0
		.amdhsa_user_sgpr_private_segment_size 0
		.amdhsa_uses_dynamic_stack 0
		.amdhsa_system_sgpr_private_segment_wavefront_offset 0
		.amdhsa_system_sgpr_workgroup_id_x 1
		.amdhsa_system_sgpr_workgroup_id_y 0
		.amdhsa_system_sgpr_workgroup_id_z 0
		.amdhsa_system_sgpr_workgroup_info 0
		.amdhsa_system_vgpr_workitem_id 0
		.amdhsa_next_free_vgpr 21
		.amdhsa_next_free_sgpr 66
		.amdhsa_reserve_vcc 1
		.amdhsa_reserve_flat_scratch 0
		.amdhsa_float_round_mode_32 0
		.amdhsa_float_round_mode_16_64 0
		.amdhsa_float_denorm_mode_32 3
		.amdhsa_float_denorm_mode_16_64 3
		.amdhsa_dx10_clamp 1
		.amdhsa_ieee_mode 1
		.amdhsa_fp16_overflow 0
		.amdhsa_exception_fp_ieee_invalid_op 0
		.amdhsa_exception_fp_denorm_src 0
		.amdhsa_exception_fp_ieee_div_zero 0
		.amdhsa_exception_fp_ieee_overflow 0
		.amdhsa_exception_fp_ieee_underflow 0
		.amdhsa_exception_fp_ieee_inexact 0
		.amdhsa_exception_int_div_zero 0
	.end_amdhsa_kernel
	.section	.text._ZN2at6native32elementwise_kernel_manual_unrollILi128ELi4EZNS0_22gpu_kernel_impl_nocastINS0_13BUnaryFunctorIdddZNS0_12_GLOBAL__N_121threshold_kernel_implIdEEvRNS_18TensorIteratorBaseET_S8_EUlddE_EEEEvS7_RKS8_EUlibE_EEviT1_,"axG",@progbits,_ZN2at6native32elementwise_kernel_manual_unrollILi128ELi4EZNS0_22gpu_kernel_impl_nocastINS0_13BUnaryFunctorIdddZNS0_12_GLOBAL__N_121threshold_kernel_implIdEEvRNS_18TensorIteratorBaseET_S8_EUlddE_EEEEvS7_RKS8_EUlibE_EEviT1_,comdat
.Lfunc_end133:
	.size	_ZN2at6native32elementwise_kernel_manual_unrollILi128ELi4EZNS0_22gpu_kernel_impl_nocastINS0_13BUnaryFunctorIdddZNS0_12_GLOBAL__N_121threshold_kernel_implIdEEvRNS_18TensorIteratorBaseET_S8_EUlddE_EEEEvS7_RKS8_EUlibE_EEviT1_, .Lfunc_end133-_ZN2at6native32elementwise_kernel_manual_unrollILi128ELi4EZNS0_22gpu_kernel_impl_nocastINS0_13BUnaryFunctorIdddZNS0_12_GLOBAL__N_121threshold_kernel_implIdEEvRNS_18TensorIteratorBaseET_S8_EUlddE_EEEEvS7_RKS8_EUlibE_EEviT1_
                                        ; -- End function
	.set _ZN2at6native32elementwise_kernel_manual_unrollILi128ELi4EZNS0_22gpu_kernel_impl_nocastINS0_13BUnaryFunctorIdddZNS0_12_GLOBAL__N_121threshold_kernel_implIdEEvRNS_18TensorIteratorBaseET_S8_EUlddE_EEEEvS7_RKS8_EUlibE_EEviT1_.num_vgpr, 21
	.set _ZN2at6native32elementwise_kernel_manual_unrollILi128ELi4EZNS0_22gpu_kernel_impl_nocastINS0_13BUnaryFunctorIdddZNS0_12_GLOBAL__N_121threshold_kernel_implIdEEvRNS_18TensorIteratorBaseET_S8_EUlddE_EEEEvS7_RKS8_EUlibE_EEviT1_.num_agpr, 0
	.set _ZN2at6native32elementwise_kernel_manual_unrollILi128ELi4EZNS0_22gpu_kernel_impl_nocastINS0_13BUnaryFunctorIdddZNS0_12_GLOBAL__N_121threshold_kernel_implIdEEvRNS_18TensorIteratorBaseET_S8_EUlddE_EEEEvS7_RKS8_EUlibE_EEviT1_.numbered_sgpr, 66
	.set _ZN2at6native32elementwise_kernel_manual_unrollILi128ELi4EZNS0_22gpu_kernel_impl_nocastINS0_13BUnaryFunctorIdddZNS0_12_GLOBAL__N_121threshold_kernel_implIdEEvRNS_18TensorIteratorBaseET_S8_EUlddE_EEEEvS7_RKS8_EUlibE_EEviT1_.num_named_barrier, 0
	.set _ZN2at6native32elementwise_kernel_manual_unrollILi128ELi4EZNS0_22gpu_kernel_impl_nocastINS0_13BUnaryFunctorIdddZNS0_12_GLOBAL__N_121threshold_kernel_implIdEEvRNS_18TensorIteratorBaseET_S8_EUlddE_EEEEvS7_RKS8_EUlibE_EEviT1_.private_seg_size, 0
	.set _ZN2at6native32elementwise_kernel_manual_unrollILi128ELi4EZNS0_22gpu_kernel_impl_nocastINS0_13BUnaryFunctorIdddZNS0_12_GLOBAL__N_121threshold_kernel_implIdEEvRNS_18TensorIteratorBaseET_S8_EUlddE_EEEEvS7_RKS8_EUlibE_EEviT1_.uses_vcc, 1
	.set _ZN2at6native32elementwise_kernel_manual_unrollILi128ELi4EZNS0_22gpu_kernel_impl_nocastINS0_13BUnaryFunctorIdddZNS0_12_GLOBAL__N_121threshold_kernel_implIdEEvRNS_18TensorIteratorBaseET_S8_EUlddE_EEEEvS7_RKS8_EUlibE_EEviT1_.uses_flat_scratch, 0
	.set _ZN2at6native32elementwise_kernel_manual_unrollILi128ELi4EZNS0_22gpu_kernel_impl_nocastINS0_13BUnaryFunctorIdddZNS0_12_GLOBAL__N_121threshold_kernel_implIdEEvRNS_18TensorIteratorBaseET_S8_EUlddE_EEEEvS7_RKS8_EUlibE_EEviT1_.has_dyn_sized_stack, 0
	.set _ZN2at6native32elementwise_kernel_manual_unrollILi128ELi4EZNS0_22gpu_kernel_impl_nocastINS0_13BUnaryFunctorIdddZNS0_12_GLOBAL__N_121threshold_kernel_implIdEEvRNS_18TensorIteratorBaseET_S8_EUlddE_EEEEvS7_RKS8_EUlibE_EEviT1_.has_recursion, 0
	.set _ZN2at6native32elementwise_kernel_manual_unrollILi128ELi4EZNS0_22gpu_kernel_impl_nocastINS0_13BUnaryFunctorIdddZNS0_12_GLOBAL__N_121threshold_kernel_implIdEEvRNS_18TensorIteratorBaseET_S8_EUlddE_EEEEvS7_RKS8_EUlibE_EEviT1_.has_indirect_call, 0
	.section	.AMDGPU.csdata,"",@progbits
; Kernel info:
; codeLenInByte = 5896
; TotalNumSgprs: 70
; NumVgprs: 21
; ScratchSize: 0
; MemoryBound: 0
; FloatMode: 240
; IeeeMode: 1
; LDSByteSize: 0 bytes/workgroup (compile time only)
; SGPRBlocks: 8
; VGPRBlocks: 5
; NumSGPRsForWavesPerEU: 70
; NumVGPRsForWavesPerEU: 21
; Occupancy: 10
; WaveLimiterHint : 1
; COMPUTE_PGM_RSRC2:SCRATCH_EN: 0
; COMPUTE_PGM_RSRC2:USER_SGPR: 6
; COMPUTE_PGM_RSRC2:TRAP_HANDLER: 0
; COMPUTE_PGM_RSRC2:TGID_X_EN: 1
; COMPUTE_PGM_RSRC2:TGID_Y_EN: 0
; COMPUTE_PGM_RSRC2:TGID_Z_EN: 0
; COMPUTE_PGM_RSRC2:TIDIG_COMP_CNT: 0
	.section	.text._ZN2at6native32elementwise_kernel_manual_unrollILi128ELi4EZNS0_15gpu_kernel_implINS0_13BUnaryFunctorIdddZNS0_12_GLOBAL__N_121threshold_kernel_implIdEEvRNS_18TensorIteratorBaseET_S8_EUlddE_EEEEvS7_RKS8_EUlibE_EEviT1_,"axG",@progbits,_ZN2at6native32elementwise_kernel_manual_unrollILi128ELi4EZNS0_15gpu_kernel_implINS0_13BUnaryFunctorIdddZNS0_12_GLOBAL__N_121threshold_kernel_implIdEEvRNS_18TensorIteratorBaseET_S8_EUlddE_EEEEvS7_RKS8_EUlibE_EEviT1_,comdat
	.globl	_ZN2at6native32elementwise_kernel_manual_unrollILi128ELi4EZNS0_15gpu_kernel_implINS0_13BUnaryFunctorIdddZNS0_12_GLOBAL__N_121threshold_kernel_implIdEEvRNS_18TensorIteratorBaseET_S8_EUlddE_EEEEvS7_RKS8_EUlibE_EEviT1_ ; -- Begin function _ZN2at6native32elementwise_kernel_manual_unrollILi128ELi4EZNS0_15gpu_kernel_implINS0_13BUnaryFunctorIdddZNS0_12_GLOBAL__N_121threshold_kernel_implIdEEvRNS_18TensorIteratorBaseET_S8_EUlddE_EEEEvS7_RKS8_EUlibE_EEviT1_
	.p2align	8
	.type	_ZN2at6native32elementwise_kernel_manual_unrollILi128ELi4EZNS0_15gpu_kernel_implINS0_13BUnaryFunctorIdddZNS0_12_GLOBAL__N_121threshold_kernel_implIdEEvRNS_18TensorIteratorBaseET_S8_EUlddE_EEEEvS7_RKS8_EUlibE_EEviT1_,@function
_ZN2at6native32elementwise_kernel_manual_unrollILi128ELi4EZNS0_15gpu_kernel_implINS0_13BUnaryFunctorIdddZNS0_12_GLOBAL__N_121threshold_kernel_implIdEEvRNS_18TensorIteratorBaseET_S8_EUlddE_EEEEvS7_RKS8_EUlibE_EEviT1_: ; @_ZN2at6native32elementwise_kernel_manual_unrollILi128ELi4EZNS0_15gpu_kernel_implINS0_13BUnaryFunctorIdddZNS0_12_GLOBAL__N_121threshold_kernel_implIdEEvRNS_18TensorIteratorBaseET_S8_EUlddE_EEEEvS7_RKS8_EUlibE_EEviT1_
; %bb.0:
	s_load_dwordx2 s[2:3], s[4:5], 0x30
	s_load_dword s33, s[4:5], 0x38
	s_load_dword s44, s[4:5], 0x0
	s_load_dwordx4 s[8:11], s[4:5], 0x8
	s_load_dwordx2 s[16:17], s[4:5], 0x18
	s_load_dwordx4 s[12:15], s[4:5], 0x20
	v_lshl_or_b32 v10, s6, 9, v0
	v_or_b32_e32 v0, 0x180, v10
	s_waitcnt lgkmcnt(0)
	s_bfe_u32 s48, s33, 0x80008
	v_cmp_le_i32_e32 vcc, s44, v0
	s_mov_b64 s[4:5], 0
	s_mov_b64 s[18:19], 0
	s_and_saveexec_b64 s[0:1], vcc
	s_xor_b64 s[6:7], exec, s[0:1]
	s_cbranch_execz .LBB134_1027
; %bb.1:
	v_cmp_gt_i32_e32 vcc, s44, v10
	s_mov_b64 s[24:25], -1
	s_mov_b64 s[26:27], 0
	s_mov_b64 s[20:21], 0
	s_and_saveexec_b64 s[22:23], vcc
	s_cbranch_execz .LBB134_252
; %bb.2:
	v_mul_lo_u32 v0, v10, s17
	v_mov_b32_e32 v1, s11
	s_and_b32 s28, 0xffff, s48
	s_cmp_lt_i32 s28, 11
	v_ashrrev_i32_e32 v2, 31, v0
	v_add_co_u32_e32 v0, vcc, s10, v0
	v_addc_co_u32_e32 v1, vcc, v1, v2, vcc
	s_cbranch_scc1 .LBB134_9
; %bb.3:
	s_cmp_gt_i32 s28, 25
	s_cbranch_scc0 .LBB134_18
; %bb.4:
	s_cmp_gt_i32 s28, 28
	s_cbranch_scc0 .LBB134_22
; %bb.5:
	s_cmp_gt_i32 s28, 43
	s_cbranch_scc0 .LBB134_24
; %bb.6:
	s_cmp_gt_i32 s28, 45
	s_cbranch_scc0 .LBB134_26
; %bb.7:
	s_cmp_eq_u32 s28, 46
	s_cbranch_scc0 .LBB134_28
; %bb.8:
	global_load_dword v2, v[0:1], off
	s_mov_b64 s[0:1], -1
	s_waitcnt vmcnt(0)
	v_lshlrev_b32_e32 v2, 16, v2
	v_cvt_f64_f32_e32 v[2:3], v2
	s_branch .LBB134_30
.LBB134_9:
                                        ; implicit-def: $vgpr2_vgpr3
	s_mov_b64 s[0:1], 0
	s_cbranch_execnz .LBB134_203
.LBB134_10:
	s_andn2_b64 vcc, exec, s[0:1]
	s_cbranch_vccnz .LBB134_250
.LBB134_11:
	s_waitcnt vmcnt(0)
	v_cmp_nge_f64_e32 vcc, s[12:13], v[2:3]
	v_mul_lo_u32 v2, v10, s16
	v_mov_b32_e32 v0, s15
	v_mov_b32_e32 v1, s3
	;; [unrolled: 1-line block ×4, first 2 shown]
	v_ashrrev_i32_e32 v5, 31, v2
	s_and_b32 s30, s33, 0xff
	v_cndmask_b32_e32 v1, v0, v1, vcc
	v_cndmask_b32_e32 v0, v3, v4, vcc
	v_mov_b32_e32 v3, s9
	v_add_co_u32_e32 v4, vcc, s8, v2
	s_cmp_lt_i32 s30, 11
	v_addc_co_u32_e32 v5, vcc, v3, v5, vcc
	s_cbranch_scc1 .LBB134_19
; %bb.12:
	s_and_b32 s31, 0xffff, s30
	s_cmp_gt_i32 s31, 25
	s_cbranch_scc0 .LBB134_23
; %bb.13:
	s_cmp_gt_i32 s31, 28
	s_cbranch_scc0 .LBB134_25
; %bb.14:
	;; [unrolled: 3-line block ×4, first 2 shown]
	s_mov_b64 s[24:25], 0
	s_mov_b64 s[0:1], -1
	s_cmp_eq_u32 s31, 46
	s_mov_b64 s[18:19], 0
	s_cbranch_scc0 .LBB134_34
; %bb.17:
	v_cvt_f32_f64_e32 v2, v[0:1]
	s_movk_i32 s0, 0x7fff
	v_mov_b32_e32 v3, 0x7fc0
	s_mov_b64 s[18:19], -1
	v_bfe_u32 v6, v2, 16, 1
	v_cmp_o_f32_e32 vcc, v2, v2
	v_add3_u32 v2, v2, v6, s0
	v_cndmask_b32_sdwa v2, v3, v2, vcc dst_sel:DWORD dst_unused:UNUSED_PAD src0_sel:DWORD src1_sel:WORD_1
	global_store_dword v[4:5], v2, off
	s_mov_b64 s[0:1], 0
	s_branch .LBB134_34
.LBB134_18:
	s_mov_b64 s[0:1], 0
                                        ; implicit-def: $vgpr2_vgpr3
	s_cbranch_execnz .LBB134_170
	s_branch .LBB134_202
.LBB134_19:
	s_mov_b64 s[0:1], 0
	s_mov_b64 s[18:19], 0
	s_cbranch_execnz .LBB134_103
.LBB134_20:
	s_andn2_b64 vcc, exec, s[18:19]
	s_cbranch_vccnz .LBB134_141
.LBB134_21:
	v_add_u32_e32 v10, 0x80, v10
	s_mov_b64 s[24:25], -1
	s_branch .LBB134_251
.LBB134_22:
	s_mov_b64 s[18:19], -1
	s_mov_b64 s[0:1], 0
                                        ; implicit-def: $vgpr2_vgpr3
	s_branch .LBB134_149
.LBB134_23:
	s_mov_b64 s[24:25], -1
	s_mov_b64 s[0:1], 0
	s_mov_b64 s[18:19], 0
	s_branch .LBB134_61
.LBB134_24:
	s_mov_b64 s[18:19], -1
	s_mov_b64 s[0:1], 0
                                        ; implicit-def: $vgpr2_vgpr3
	s_branch .LBB134_144
.LBB134_25:
	s_mov_b64 s[24:25], -1
	s_mov_b64 s[0:1], 0
	s_mov_b64 s[18:19], 0
	s_branch .LBB134_44
.LBB134_26:
	s_mov_b64 s[18:19], -1
	s_branch .LBB134_29
.LBB134_27:
	s_mov_b64 s[24:25], -1
	s_mov_b64 s[0:1], 0
	s_mov_b64 s[18:19], 0
	s_branch .LBB134_40
.LBB134_28:
	s_mov_b64 s[20:21], -1
.LBB134_29:
	s_mov_b64 s[0:1], 0
                                        ; implicit-def: $vgpr2_vgpr3
.LBB134_30:
	s_and_b64 vcc, exec, s[18:19]
	s_cbranch_vccz .LBB134_143
; %bb.31:
	s_cmp_eq_u32 s28, 44
	s_cbranch_scc0 .LBB134_142
; %bb.32:
	global_load_ubyte v4, v[0:1], off
	s_movk_i32 s18, 0xff
	v_bfrev_b32_e32 v5, 4
	v_mov_b32_e32 v6, 0x7ff80000
	v_bfrev_b32_e32 v7, 28
	s_mov_b64 s[0:1], -1
	s_mov_b64 s[20:21], 0
	s_waitcnt vmcnt(0)
	v_lshlrev_b32_e32 v2, 23, v4
	v_cvt_f64_f32_e32 v[2:3], v2
	v_cmp_ne_u32_e32 vcc, s18, v4
	v_cndmask_b32_e32 v2, v5, v2, vcc
	v_cndmask_b32_e32 v3, v6, v3, vcc
	v_cmp_ne_u32_e32 vcc, 0, v4
	v_cndmask_b32_e32 v3, v7, v3, vcc
	v_cndmask_b32_e32 v2, 0, v2, vcc
	s_branch .LBB134_143
.LBB134_33:
	s_mov_b64 s[24:25], -1
	s_mov_b64 s[0:1], 0
	s_mov_b64 s[18:19], 0
.LBB134_34:
	s_and_b64 vcc, exec, s[24:25]
	s_cbranch_vccz .LBB134_39
; %bb.35:
	s_cmp_eq_u32 s31, 44
	s_mov_b64 s[0:1], -1
	s_cbranch_scc0 .LBB134_39
; %bb.36:
	v_cvt_f32_f64_e32 v2, v[0:1]
	s_movk_i32 s0, 0xff
	v_mov_b32_e32 v6, 0xff
	v_bfe_u32 v3, v2, 23, 8
	v_cmp_ne_u32_e32 vcc, s0, v3
	s_and_saveexec_b64 s[18:19], vcc
; %bb.37:
	s_mov_b32 s0, 0x3fffff
	v_lshrrev_b32_e32 v6, 23, v2
	v_and_b32_e32 v7, 0x400000, v2
	v_and_or_b32 v2, v2, s0, v3
	v_cmp_ne_u32_e32 vcc, 0, v7
	v_cmp_ne_u32_e64 s[0:1], 0, v2
	s_and_b64 s[0:1], vcc, s[0:1]
	v_cndmask_b32_e64 v2, 0, 1, s[0:1]
	v_add_u32_e32 v6, v6, v2
; %bb.38:
	s_or_b64 exec, exec, s[18:19]
	s_mov_b64 s[18:19], -1
	s_mov_b64 s[0:1], 0
	global_store_byte v[4:5], v6, off
.LBB134_39:
	s_mov_b64 s[24:25], 0
.LBB134_40:
	s_and_b64 vcc, exec, s[24:25]
	s_cbranch_vccz .LBB134_43
; %bb.41:
	s_cmp_eq_u32 s31, 29
	s_mov_b64 s[0:1], -1
	s_cbranch_scc0 .LBB134_43
; %bb.42:
	v_trunc_f64_e32 v[2:3], v[0:1]
	s_movk_i32 s0, 0xffe0
	s_mov_b64 s[18:19], -1
	s_mov_b64 s[24:25], 0
	v_ldexp_f64 v[6:7], v[2:3], s0
	s_mov_b32 s0, 0
	s_mov_b32 s1, 0xc1f00000
	v_floor_f64_e32 v[6:7], v[6:7]
	v_fma_f64 v[2:3], v[6:7], s[0:1], v[2:3]
	v_cvt_u32_f64_e32 v7, v[6:7]
	s_mov_b64 s[0:1], 0
	v_cvt_u32_f64_e32 v6, v[2:3]
	global_store_dwordx2 v[4:5], v[6:7], off
	s_branch .LBB134_44
.LBB134_43:
	s_mov_b64 s[24:25], 0
.LBB134_44:
	s_and_b64 vcc, exec, s[24:25]
	s_cbranch_vccz .LBB134_60
; %bb.45:
	s_cmp_lt_i32 s31, 27
	s_mov_b64 s[18:19], -1
	s_cbranch_scc1 .LBB134_51
; %bb.46:
	v_cvt_u32_f64_e32 v2, v[0:1]
	s_cmp_gt_i32 s31, 27
	s_cbranch_scc0 .LBB134_48
; %bb.47:
	s_mov_b64 s[18:19], 0
	global_store_dword v[4:5], v2, off
.LBB134_48:
	s_andn2_b64 vcc, exec, s[18:19]
	s_cbranch_vccnz .LBB134_50
; %bb.49:
	global_store_short v[4:5], v2, off
.LBB134_50:
	s_mov_b64 s[18:19], 0
.LBB134_51:
	s_andn2_b64 vcc, exec, s[18:19]
	s_cbranch_vccnz .LBB134_59
; %bb.52:
	v_cvt_f32_f64_e32 v2, v[0:1]
	s_mov_b32 s18, 0x43800000
	v_mov_b32_e32 v6, 0x80
	v_and_b32_e32 v3, 0x7fffffff, v2
	v_cmp_gt_u32_e32 vcc, s18, v3
	s_and_saveexec_b64 s[18:19], vcc
	s_cbranch_execz .LBB134_58
; %bb.53:
	s_mov_b32 s24, 0x3bffffff
	v_cmp_lt_u32_e32 vcc, s24, v3
	s_mov_b64 s[24:25], 0
                                        ; implicit-def: $vgpr3
	s_and_saveexec_b64 s[28:29], vcc
	s_xor_b64 s[28:29], exec, s[28:29]
	s_cbranch_execz .LBB134_279
; %bb.54:
	v_bfe_u32 v3, v2, 20, 1
	s_mov_b32 s34, 0x487ffff
	v_add3_u32 v3, v2, v3, s34
	s_mov_b64 s[24:25], exec
	v_lshrrev_b32_e32 v3, 20, v3
	s_andn2_saveexec_b64 s[28:29], s[28:29]
	s_cbranch_execnz .LBB134_280
.LBB134_55:
	s_or_b64 exec, exec, s[28:29]
	v_mov_b32_e32 v6, 0
	s_and_saveexec_b64 s[28:29], s[24:25]
.LBB134_56:
	v_lshrrev_b32_e32 v2, 24, v2
	s_movk_i32 s24, 0x80
	v_and_or_b32 v6, v2, s24, v3
.LBB134_57:
	s_or_b64 exec, exec, s[28:29]
.LBB134_58:
	s_or_b64 exec, exec, s[18:19]
	global_store_byte v[4:5], v6, off
.LBB134_59:
	s_mov_b64 s[18:19], -1
.LBB134_60:
	s_mov_b64 s[24:25], 0
.LBB134_61:
	s_and_b64 vcc, exec, s[24:25]
	s_cbranch_vccz .LBB134_102
; %bb.62:
	s_cmp_gt_i32 s31, 22
	s_mov_b64 s[24:25], -1
	s_cbranch_scc0 .LBB134_94
; %bb.63:
	s_cmp_lt_i32 s31, 24
	s_mov_b64 s[18:19], -1
	s_cbranch_scc1 .LBB134_83
; %bb.64:
	s_cmp_gt_i32 s31, 24
	s_cbranch_scc0 .LBB134_72
; %bb.65:
	v_cvt_f32_f64_e32 v2, v[0:1]
	s_mov_b32 s18, 0x47800000
	v_mov_b32_e32 v6, 0x80
	v_and_b32_e32 v3, 0x7fffffff, v2
	v_cmp_gt_u32_e32 vcc, s18, v3
	s_and_saveexec_b64 s[18:19], vcc
	s_cbranch_execz .LBB134_71
; %bb.66:
	s_mov_b32 s24, 0x37ffffff
	v_cmp_lt_u32_e32 vcc, s24, v3
	s_mov_b64 s[24:25], 0
                                        ; implicit-def: $vgpr3
	s_and_saveexec_b64 s[28:29], vcc
	s_xor_b64 s[28:29], exec, s[28:29]
	s_cbranch_execz .LBB134_283
; %bb.67:
	v_bfe_u32 v3, v2, 21, 1
	s_mov_b32 s34, 0x88fffff
	v_add3_u32 v3, v2, v3, s34
	s_mov_b64 s[24:25], exec
	v_lshrrev_b32_e32 v3, 21, v3
	s_andn2_saveexec_b64 s[28:29], s[28:29]
	s_cbranch_execnz .LBB134_284
.LBB134_68:
	s_or_b64 exec, exec, s[28:29]
	v_mov_b32_e32 v6, 0
	s_and_saveexec_b64 s[28:29], s[24:25]
.LBB134_69:
	v_lshrrev_b32_e32 v2, 24, v2
	s_movk_i32 s24, 0x80
	v_and_or_b32 v6, v2, s24, v3
.LBB134_70:
	s_or_b64 exec, exec, s[28:29]
.LBB134_71:
	s_or_b64 exec, exec, s[18:19]
	s_mov_b64 s[18:19], 0
	global_store_byte v[4:5], v6, off
.LBB134_72:
	s_and_b64 vcc, exec, s[18:19]
	s_cbranch_vccz .LBB134_82
; %bb.73:
	v_cvt_f32_f64_e32 v2, v[0:1]
	s_mov_b32 s18, 0x43f00000
                                        ; implicit-def: $vgpr3
	v_and_b32_e32 v6, 0x7fffffff, v2
	v_cmp_gt_u32_e32 vcc, s18, v6
	s_and_saveexec_b64 s[18:19], vcc
	s_xor_b64 s[18:19], exec, s[18:19]
	s_cbranch_execz .LBB134_79
; %bb.74:
	s_mov_b32 s24, 0x3c7fffff
	v_cmp_lt_u32_e32 vcc, s24, v6
                                        ; implicit-def: $vgpr3
	s_and_saveexec_b64 s[24:25], vcc
	s_xor_b64 s[24:25], exec, s[24:25]
; %bb.75:
	v_bfe_u32 v3, v2, 20, 1
	s_mov_b32 s28, 0x407ffff
	v_add3_u32 v3, v2, v3, s28
	v_lshrrev_b32_e32 v6, 20, v3
	v_and_b32_e32 v3, 0xff00000, v3
	s_mov_b32 s28, 0x7f00000
	v_mov_b32_e32 v7, 0x7e
	v_cmp_ne_u32_e32 vcc, s28, v3
	v_cndmask_b32_e32 v3, v7, v6, vcc
; %bb.76:
	s_andn2_saveexec_b64 s[24:25], s[24:25]
; %bb.77:
	s_mov_b32 s28, 0x46800000
	v_add_f32_e64 v3, |v2|, s28
; %bb.78:
	s_or_b64 exec, exec, s[24:25]
                                        ; implicit-def: $vgpr6
.LBB134_79:
	s_andn2_saveexec_b64 s[18:19], s[18:19]
; %bb.80:
	s_mov_b32 s24, 0x7f800000
	v_mov_b32_e32 v3, 0x7e
	v_mov_b32_e32 v7, 0x7f
	v_cmp_lt_u32_e32 vcc, s24, v6
	v_cndmask_b32_e32 v3, v3, v7, vcc
; %bb.81:
	s_or_b64 exec, exec, s[18:19]
	v_lshrrev_b32_e32 v2, 24, v2
	s_movk_i32 s18, 0x80
	v_and_or_b32 v2, v2, s18, v3
	global_store_byte v[4:5], v2, off
.LBB134_82:
	s_mov_b64 s[18:19], 0
.LBB134_83:
	s_andn2_b64 vcc, exec, s[18:19]
	s_cbranch_vccnz .LBB134_93
; %bb.84:
	v_cvt_f32_f64_e32 v2, v[0:1]
	s_mov_b32 s18, 0x47800000
                                        ; implicit-def: $vgpr3
	v_and_b32_e32 v6, 0x7fffffff, v2
	v_cmp_gt_u32_e32 vcc, s18, v6
	s_and_saveexec_b64 s[18:19], vcc
	s_xor_b64 s[18:19], exec, s[18:19]
	s_cbranch_execz .LBB134_90
; %bb.85:
	s_mov_b32 s24, 0x387fffff
	v_cmp_lt_u32_e32 vcc, s24, v6
                                        ; implicit-def: $vgpr3
	s_and_saveexec_b64 s[24:25], vcc
	s_xor_b64 s[24:25], exec, s[24:25]
; %bb.86:
	v_bfe_u32 v3, v2, 21, 1
	s_mov_b32 s28, 0x80fffff
	v_add3_u32 v3, v2, v3, s28
	v_lshrrev_b32_e32 v3, 21, v3
; %bb.87:
	s_andn2_saveexec_b64 s[24:25], s[24:25]
; %bb.88:
	s_mov_b32 s28, 0x43000000
	v_add_f32_e64 v3, |v2|, s28
; %bb.89:
	s_or_b64 exec, exec, s[24:25]
                                        ; implicit-def: $vgpr6
.LBB134_90:
	s_andn2_saveexec_b64 s[18:19], s[18:19]
; %bb.91:
	s_mov_b32 s24, 0x7f800000
	v_mov_b32_e32 v3, 0x7c
	v_mov_b32_e32 v7, 0x7f
	v_cmp_lt_u32_e32 vcc, s24, v6
	v_cndmask_b32_e32 v3, v3, v7, vcc
; %bb.92:
	s_or_b64 exec, exec, s[18:19]
	v_lshrrev_b32_e32 v2, 24, v2
	s_movk_i32 s18, 0x80
	v_and_or_b32 v2, v2, s18, v3
	global_store_byte v[4:5], v2, off
.LBB134_93:
	s_mov_b64 s[24:25], 0
	s_mov_b64 s[18:19], -1
.LBB134_94:
	s_andn2_b64 vcc, exec, s[24:25]
	s_cbranch_vccnz .LBB134_102
; %bb.95:
	s_cmp_gt_i32 s31, 14
	s_mov_b64 s[24:25], -1
	s_cbranch_scc0 .LBB134_99
; %bb.96:
	s_cmp_eq_u32 s31, 15
	s_mov_b64 s[0:1], -1
	s_cbranch_scc0 .LBB134_98
; %bb.97:
	v_cvt_f32_f64_e32 v2, v[0:1]
	s_movk_i32 s0, 0x7fff
	v_mov_b32_e32 v3, 0x7fc0
	s_mov_b64 s[18:19], -1
	v_bfe_u32 v6, v2, 16, 1
	v_cmp_o_f32_e32 vcc, v2, v2
	v_add3_u32 v2, v2, v6, s0
	v_cndmask_b32_sdwa v2, v3, v2, vcc dst_sel:DWORD dst_unused:UNUSED_PAD src0_sel:DWORD src1_sel:WORD_1
	global_store_short v[4:5], v2, off
	s_mov_b64 s[0:1], 0
.LBB134_98:
	s_mov_b64 s[24:25], 0
.LBB134_99:
	s_and_b64 vcc, exec, s[24:25]
	s_cbranch_vccz .LBB134_102
; %bb.100:
	s_cmp_eq_u32 s31, 11
	s_mov_b64 s[0:1], -1
	s_cbranch_scc0 .LBB134_102
; %bb.101:
	v_cmp_neq_f64_e32 vcc, 0, v[0:1]
	s_mov_b64 s[0:1], 0
	s_mov_b64 s[18:19], -1
	v_cndmask_b32_e64 v2, 0, 1, vcc
	global_store_byte v[4:5], v2, off
.LBB134_102:
	s_branch .LBB134_20
.LBB134_103:
	s_and_b32 s24, 0xffff, s30
	s_cmp_lt_i32 s24, 5
	s_mov_b64 s[18:19], -1
	s_cbranch_scc1 .LBB134_124
; %bb.104:
	s_cmp_lt_i32 s24, 8
	s_cbranch_scc1 .LBB134_114
; %bb.105:
	s_cmp_lt_i32 s24, 9
	s_cbranch_scc1 .LBB134_111
; %bb.106:
	s_cmp_gt_i32 s24, 9
	s_cbranch_scc0 .LBB134_108
; %bb.107:
	v_mov_b32_e32 v2, 0
	v_mov_b32_e32 v3, v2
	global_store_dwordx4 v[4:5], v[0:3], off
	s_mov_b64 s[18:19], 0
.LBB134_108:
	s_andn2_b64 vcc, exec, s[18:19]
	s_cbranch_vccnz .LBB134_110
; %bb.109:
	v_cvt_f32_f64_e32 v2, v[0:1]
	v_mov_b32_e32 v3, 0
	global_store_dwordx2 v[4:5], v[2:3], off
.LBB134_110:
	s_mov_b64 s[18:19], 0
.LBB134_111:
	s_andn2_b64 vcc, exec, s[18:19]
	s_cbranch_vccnz .LBB134_113
; %bb.112:
	s_movk_i32 s18, 0x1ff
	v_and_or_b32 v2, v1, s18, v0
	v_cmp_ne_u32_e32 vcc, 0, v2
	v_cndmask_b32_e64 v2, 0, 1, vcc
	v_lshrrev_b32_e32 v3, 8, v1
	s_movk_i32 s18, 0xffe
	v_bfe_u32 v6, v1, 20, 11
	v_and_or_b32 v2, v3, s18, v2
	v_sub_u32_e32 v7, 0x3f1, v6
	v_or_b32_e32 v3, 0x1000, v2
	v_med3_i32 v7, v7, 0, 13
	v_lshrrev_b32_e32 v8, v7, v3
	v_lshlrev_b32_e32 v7, v7, v8
	v_cmp_ne_u32_e32 vcc, v7, v3
	v_cndmask_b32_e64 v3, 0, 1, vcc
	v_add_u32_e32 v6, 0xfffffc10, v6
	v_or_b32_e32 v3, v8, v3
	v_lshl_or_b32 v7, v6, 12, v2
	v_cmp_gt_i32_e32 vcc, 1, v6
	v_cndmask_b32_e32 v3, v7, v3, vcc
	v_and_b32_e32 v7, 7, v3
	v_cmp_lt_i32_e32 vcc, 5, v7
	v_cndmask_b32_e64 v8, 0, 1, vcc
	v_cmp_eq_u32_e32 vcc, 3, v7
	v_cndmask_b32_e64 v7, 0, 1, vcc
	v_or_b32_e32 v7, v7, v8
	v_lshrrev_b32_e32 v3, 2, v3
	v_add_u32_e32 v3, v3, v7
	v_mov_b32_e32 v7, 0x7c00
	v_cmp_gt_i32_e32 vcc, 31, v6
	v_cndmask_b32_e32 v3, v7, v3, vcc
	v_mov_b32_e32 v8, 0x7e00
	v_cmp_ne_u32_e32 vcc, 0, v2
	s_movk_i32 s18, 0x40f
	v_cndmask_b32_e32 v2, v7, v8, vcc
	v_cmp_eq_u32_e32 vcc, s18, v6
	v_cndmask_b32_e32 v2, v3, v2, vcc
	v_lshrrev_b32_e32 v3, 16, v1
	s_mov_b32 s18, 0x8000
	v_and_or_b32 v2, v3, s18, v2
	v_and_b32_e32 v2, 0xffff, v2
	global_store_dword v[4:5], v2, off
.LBB134_113:
	s_mov_b64 s[18:19], 0
.LBB134_114:
	s_andn2_b64 vcc, exec, s[18:19]
	s_cbranch_vccnz .LBB134_123
; %bb.115:
	s_cmp_lt_i32 s24, 6
	s_mov_b64 s[18:19], -1
	s_cbranch_scc1 .LBB134_121
; %bb.116:
	s_cmp_gt_i32 s24, 6
	s_cbranch_scc0 .LBB134_118
; %bb.117:
	global_store_dwordx2 v[4:5], v[0:1], off
	s_mov_b64 s[18:19], 0
.LBB134_118:
	s_andn2_b64 vcc, exec, s[18:19]
	s_cbranch_vccnz .LBB134_120
; %bb.119:
	v_cvt_f32_f64_e32 v2, v[0:1]
	global_store_dword v[4:5], v2, off
.LBB134_120:
	s_mov_b64 s[18:19], 0
.LBB134_121:
	s_andn2_b64 vcc, exec, s[18:19]
	s_cbranch_vccnz .LBB134_123
; %bb.122:
	s_movk_i32 s18, 0x1ff
	v_and_or_b32 v2, v1, s18, v0
	v_cmp_ne_u32_e32 vcc, 0, v2
	v_cndmask_b32_e64 v2, 0, 1, vcc
	v_lshrrev_b32_e32 v3, 8, v1
	s_movk_i32 s18, 0xffe
	v_bfe_u32 v6, v1, 20, 11
	v_and_or_b32 v2, v3, s18, v2
	v_sub_u32_e32 v7, 0x3f1, v6
	v_or_b32_e32 v3, 0x1000, v2
	v_med3_i32 v7, v7, 0, 13
	v_lshrrev_b32_e32 v8, v7, v3
	v_lshlrev_b32_e32 v7, v7, v8
	v_cmp_ne_u32_e32 vcc, v7, v3
	v_cndmask_b32_e64 v3, 0, 1, vcc
	v_add_u32_e32 v6, 0xfffffc10, v6
	v_or_b32_e32 v3, v8, v3
	v_lshl_or_b32 v7, v6, 12, v2
	v_cmp_gt_i32_e32 vcc, 1, v6
	v_cndmask_b32_e32 v3, v7, v3, vcc
	v_and_b32_e32 v7, 7, v3
	v_cmp_lt_i32_e32 vcc, 5, v7
	v_cndmask_b32_e64 v8, 0, 1, vcc
	v_cmp_eq_u32_e32 vcc, 3, v7
	v_cndmask_b32_e64 v7, 0, 1, vcc
	v_or_b32_e32 v7, v7, v8
	v_lshrrev_b32_e32 v3, 2, v3
	v_add_u32_e32 v3, v3, v7
	v_mov_b32_e32 v7, 0x7c00
	v_cmp_gt_i32_e32 vcc, 31, v6
	v_cndmask_b32_e32 v3, v7, v3, vcc
	v_mov_b32_e32 v8, 0x7e00
	v_cmp_ne_u32_e32 vcc, 0, v2
	s_movk_i32 s18, 0x40f
	v_cndmask_b32_e32 v2, v7, v8, vcc
	v_cmp_eq_u32_e32 vcc, s18, v6
	v_cndmask_b32_e32 v2, v3, v2, vcc
	v_lshrrev_b32_e32 v3, 16, v1
	s_mov_b32 s18, 0x8000
	v_and_or_b32 v2, v3, s18, v2
	global_store_short v[4:5], v2, off
.LBB134_123:
	s_mov_b64 s[18:19], 0
.LBB134_124:
	s_andn2_b64 vcc, exec, s[18:19]
	s_cbranch_vccnz .LBB134_140
; %bb.125:
	s_cmp_lt_i32 s24, 2
	s_mov_b64 s[18:19], -1
	s_cbranch_scc1 .LBB134_135
; %bb.126:
	s_cmp_lt_i32 s24, 3
	s_cbranch_scc1 .LBB134_132
; %bb.127:
	s_cmp_gt_i32 s24, 3
	s_cbranch_scc0 .LBB134_129
; %bb.128:
	v_trunc_f64_e32 v[2:3], v[0:1]
	s_movk_i32 s18, 0xffe0
	v_ldexp_f64 v[6:7], v[2:3], s18
	s_mov_b32 s18, 0
	s_mov_b32 s19, 0xc1f00000
	v_floor_f64_e32 v[6:7], v[6:7]
	v_fma_f64 v[2:3], v[6:7], s[18:19], v[2:3]
	v_cvt_i32_f64_e32 v7, v[6:7]
	s_mov_b64 s[18:19], 0
	v_cvt_u32_f64_e32 v6, v[2:3]
	global_store_dwordx2 v[4:5], v[6:7], off
.LBB134_129:
	s_andn2_b64 vcc, exec, s[18:19]
	s_cbranch_vccnz .LBB134_131
; %bb.130:
	v_cvt_i32_f64_e32 v2, v[0:1]
	global_store_dword v[4:5], v2, off
.LBB134_131:
	s_mov_b64 s[18:19], 0
.LBB134_132:
	s_andn2_b64 vcc, exec, s[18:19]
	s_cbranch_vccnz .LBB134_134
; %bb.133:
	v_cvt_i32_f64_e32 v2, v[0:1]
	global_store_short v[4:5], v2, off
.LBB134_134:
	s_mov_b64 s[18:19], 0
.LBB134_135:
	s_andn2_b64 vcc, exec, s[18:19]
	s_cbranch_vccnz .LBB134_140
; %bb.136:
	s_cmp_gt_i32 s24, 0
	s_mov_b64 s[18:19], -1
	s_cbranch_scc0 .LBB134_138
; %bb.137:
	v_cvt_i32_f64_e32 v2, v[0:1]
	s_mov_b64 s[18:19], 0
	global_store_byte v[4:5], v2, off
.LBB134_138:
	s_andn2_b64 vcc, exec, s[18:19]
	s_cbranch_vccnz .LBB134_140
; %bb.139:
	v_trunc_f64_e32 v[0:1], v[0:1]
	s_movk_i32 s18, 0xffe0
	v_ldexp_f64 v[2:3], v[0:1], s18
	s_mov_b32 s18, 0
	s_mov_b32 s19, 0xc1f00000
	v_floor_f64_e32 v[2:3], v[2:3]
	v_fma_f64 v[0:1], v[2:3], s[18:19], v[0:1]
	v_cvt_u32_f64_e32 v0, v[0:1]
	global_store_byte v[4:5], v0, off
.LBB134_140:
	s_branch .LBB134_21
.LBB134_141:
	s_mov_b64 s[24:25], 0
                                        ; implicit-def: $vgpr10
	s_branch .LBB134_251
.LBB134_142:
	s_mov_b64 s[20:21], -1
                                        ; implicit-def: $vgpr2_vgpr3
.LBB134_143:
	s_mov_b64 s[18:19], 0
.LBB134_144:
	s_and_b64 vcc, exec, s[18:19]
	s_cbranch_vccz .LBB134_148
; %bb.145:
	s_cmp_eq_u32 s28, 29
	s_cbranch_scc0 .LBB134_147
; %bb.146:
	global_load_dwordx2 v[2:3], v[0:1], off
	s_mov_b64 s[0:1], -1
	s_mov_b64 s[20:21], 0
	s_mov_b64 s[18:19], 0
	s_waitcnt vmcnt(0)
	v_cvt_f64_u32_e32 v[3:4], v3
	v_cvt_f64_u32_e32 v[5:6], v2
	v_ldexp_f64 v[3:4], v[3:4], 32
	v_add_f64 v[2:3], v[3:4], v[5:6]
	s_branch .LBB134_149
.LBB134_147:
	s_mov_b64 s[20:21], -1
                                        ; implicit-def: $vgpr2_vgpr3
.LBB134_148:
	s_mov_b64 s[18:19], 0
.LBB134_149:
	s_and_b64 vcc, exec, s[18:19]
	s_cbranch_vccz .LBB134_169
; %bb.150:
	s_cmp_lt_i32 s28, 27
	s_cbranch_scc1 .LBB134_153
; %bb.151:
	s_cmp_gt_i32 s28, 27
	s_cbranch_scc0 .LBB134_154
; %bb.152:
	global_load_dword v2, v[0:1], off
	s_mov_b64 s[0:1], 0
	s_waitcnt vmcnt(0)
	v_cvt_f64_u32_e32 v[2:3], v2
	s_branch .LBB134_155
.LBB134_153:
	s_mov_b64 s[0:1], -1
                                        ; implicit-def: $vgpr2_vgpr3
	s_branch .LBB134_158
.LBB134_154:
	s_mov_b64 s[0:1], -1
                                        ; implicit-def: $vgpr2_vgpr3
.LBB134_155:
	s_andn2_b64 vcc, exec, s[0:1]
	s_cbranch_vccnz .LBB134_157
; %bb.156:
	global_load_ushort v2, v[0:1], off
	s_waitcnt vmcnt(0)
	v_cvt_f64_u32_e32 v[2:3], v2
.LBB134_157:
	s_mov_b64 s[0:1], 0
.LBB134_158:
	s_andn2_b64 vcc, exec, s[0:1]
	s_cbranch_vccnz .LBB134_168
; %bb.159:
	global_load_ubyte v4, v[0:1], off
	s_movk_i32 s0, 0x7f
	s_waitcnt vmcnt(0)
	v_cmp_lt_i16_e32 vcc, s0, v4
	s_mov_b64 s[0:1], 0
	s_and_saveexec_b64 s[18:19], vcc
	s_xor_b64 s[18:19], exec, s[18:19]
	s_cbranch_execz .LBB134_163
; %bb.160:
	s_movk_i32 s0, 0x80
	v_cmp_eq_u16_e32 vcc, s0, v4
	s_mov_b64 s[0:1], -1
	s_and_saveexec_b64 s[24:25], vcc
; %bb.161:
	s_xor_b64 s[0:1], exec, -1
; %bb.162:
	s_or_b64 exec, exec, s[24:25]
	s_and_b64 s[0:1], s[0:1], exec
.LBB134_163:
	s_or_saveexec_b64 s[18:19], s[18:19]
	v_bfrev_b32_e32 v2, 4
	v_mov_b32_e32 v3, 0x7ff80000
	s_xor_b64 exec, exec, s[18:19]
; %bb.164:
	v_cmp_ne_u16_e32 vcc, 0, v4
	v_mov_b32_e32 v2, 0
	s_andn2_b64 s[0:1], s[0:1], exec
	s_and_b64 s[24:25], vcc, exec
	v_mov_b32_e32 v3, 0
	s_or_b64 s[0:1], s[0:1], s[24:25]
; %bb.165:
	s_or_b64 exec, exec, s[18:19]
	s_and_saveexec_b64 s[18:19], s[0:1]
	s_cbranch_execz .LBB134_167
; %bb.166:
	v_and_b32_e32 v3, 0xffff, v4
	v_lshlrev_b32_e32 v2, 24, v4
	v_and_b32_e32 v4, 7, v3
	v_ffbh_u32_e32 v6, v4
	v_min_u32_e32 v6, 32, v6
	v_subrev_u32_e32 v7, 28, v6
	v_bfe_u32 v5, v3, 3, 4
	v_lshlrev_b32_e32 v3, v7, v3
	v_sub_u32_e32 v6, 29, v6
	v_and_b32_e32 v3, 7, v3
	v_cmp_eq_u32_e32 vcc, 0, v5
	v_cndmask_b32_e32 v5, v5, v6, vcc
	v_cndmask_b32_e32 v3, v4, v3, vcc
	v_mov_b32_e32 v4, 0x3b800000
	v_lshlrev_b32_e32 v3, 20, v3
	v_and_b32_e32 v2, 0x80000000, v2
	v_lshl_add_u32 v4, v5, 23, v4
	v_or3_b32 v2, v2, v4, v3
	v_cvt_f64_f32_e32 v[2:3], v2
.LBB134_167:
	s_or_b64 exec, exec, s[18:19]
.LBB134_168:
	s_mov_b64 s[0:1], -1
.LBB134_169:
	s_branch .LBB134_202
.LBB134_170:
	s_cmp_gt_i32 s28, 22
	s_cbranch_scc0 .LBB134_182
; %bb.171:
	s_cmp_lt_i32 s28, 24
	s_cbranch_scc1 .LBB134_183
; %bb.172:
	s_cmp_gt_i32 s28, 24
	s_cbranch_scc0 .LBB134_184
; %bb.173:
	global_load_ubyte v4, v[0:1], off
	s_movk_i32 s0, 0x7f
	s_waitcnt vmcnt(0)
	v_cmp_lt_i16_e32 vcc, s0, v4
	s_mov_b64 s[0:1], 0
	s_and_saveexec_b64 s[18:19], vcc
	s_xor_b64 s[18:19], exec, s[18:19]
	s_cbranch_execz .LBB134_177
; %bb.174:
	s_movk_i32 s0, 0x80
	v_cmp_eq_u16_e32 vcc, s0, v4
	s_mov_b64 s[0:1], -1
	s_and_saveexec_b64 s[24:25], vcc
; %bb.175:
	s_xor_b64 s[0:1], exec, -1
; %bb.176:
	s_or_b64 exec, exec, s[24:25]
	s_and_b64 s[0:1], s[0:1], exec
.LBB134_177:
	s_or_saveexec_b64 s[18:19], s[18:19]
	v_bfrev_b32_e32 v2, 4
	v_mov_b32_e32 v3, 0x7ff80000
	s_xor_b64 exec, exec, s[18:19]
; %bb.178:
	v_cmp_ne_u16_e32 vcc, 0, v4
	v_mov_b32_e32 v2, 0
	s_andn2_b64 s[0:1], s[0:1], exec
	s_and_b64 s[24:25], vcc, exec
	v_mov_b32_e32 v3, 0
	s_or_b64 s[0:1], s[0:1], s[24:25]
; %bb.179:
	s_or_b64 exec, exec, s[18:19]
	s_and_saveexec_b64 s[18:19], s[0:1]
	s_cbranch_execz .LBB134_181
; %bb.180:
	v_and_b32_e32 v3, 0xffff, v4
	v_lshlrev_b32_e32 v2, 24, v4
	v_and_b32_e32 v4, 3, v3
	v_ffbh_u32_e32 v6, v4
	v_min_u32_e32 v6, 32, v6
	v_subrev_u32_e32 v7, 29, v6
	v_bfe_u32 v5, v3, 2, 5
	v_lshlrev_b32_e32 v3, v7, v3
	v_sub_u32_e32 v6, 30, v6
	v_and_b32_e32 v3, 3, v3
	v_cmp_eq_u32_e32 vcc, 0, v5
	v_cndmask_b32_e32 v5, v5, v6, vcc
	v_cndmask_b32_e32 v3, v4, v3, vcc
	v_mov_b32_e32 v4, 0x37800000
	v_lshlrev_b32_e32 v3, 21, v3
	v_and_b32_e32 v2, 0x80000000, v2
	v_lshl_add_u32 v4, v5, 23, v4
	v_or3_b32 v2, v2, v4, v3
	v_cvt_f64_f32_e32 v[2:3], v2
.LBB134_181:
	s_or_b64 exec, exec, s[18:19]
	s_mov_b64 s[0:1], 0
	s_branch .LBB134_185
.LBB134_182:
	s_mov_b64 s[18:19], -1
                                        ; implicit-def: $vgpr2_vgpr3
	s_branch .LBB134_191
.LBB134_183:
	s_mov_b64 s[0:1], -1
                                        ; implicit-def: $vgpr2_vgpr3
	s_branch .LBB134_188
.LBB134_184:
	s_mov_b64 s[0:1], -1
                                        ; implicit-def: $vgpr2_vgpr3
.LBB134_185:
	s_and_b64 vcc, exec, s[0:1]
	s_cbranch_vccz .LBB134_187
; %bb.186:
	global_load_ubyte v2, v[0:1], off
	s_mov_b32 s0, 0x7f800000
	s_waitcnt vmcnt(0)
	v_lshlrev_b32_e32 v2, 24, v2
	v_and_b32_e32 v3, 0x7f000000, v2
	v_ffbh_u32_e32 v4, v3
	v_min_u32_e32 v4, 32, v4
	v_sub_u32_e64 v4, v4, 4 clamp
	v_lshlrev_b32_e32 v6, v4, v3
	v_lshlrev_b32_e32 v4, 23, v4
	v_lshrrev_b32_e32 v6, 4, v6
	v_add_u32_e32 v5, 0x1000000, v3
	v_sub_u32_e32 v4, v6, v4
	v_ashrrev_i32_e32 v5, 8, v5
	v_add_u32_e32 v4, 0x3c000000, v4
	v_and_or_b32 v4, v5, s0, v4
	v_cmp_ne_u32_e32 vcc, 0, v3
	v_cndmask_b32_e32 v3, 0, v4, vcc
	s_brev_b32 s0, 1
	v_and_or_b32 v2, v2, s0, v3
	v_cvt_f64_f32_e32 v[2:3], v2
.LBB134_187:
	s_mov_b64 s[0:1], 0
.LBB134_188:
	s_andn2_b64 vcc, exec, s[0:1]
	s_cbranch_vccnz .LBB134_190
; %bb.189:
	global_load_ubyte v2, v[0:1], off
	s_movk_i32 s0, 0x7f00
	s_brev_b32 s1, 16
	s_waitcnt vmcnt(0)
	v_lshlrev_b16_e32 v3, 8, v2
	v_lshlrev_b32_e32 v2, 25, v2
	v_lshrrev_b32_e32 v4, 4, v2
	v_and_or_b32 v5, v3, s0, 0.5
	v_or_b32_e32 v4, 0x70000000, v4
	v_add_f32_e32 v5, -0.5, v5
	v_mul_f32_e32 v4, 0x7800000, v4
	v_cmp_gt_u32_e32 vcc, s1, v2
	v_bfe_i32 v3, v3, 0, 16
	v_cndmask_b32_e32 v2, v4, v5, vcc
	s_brev_b32 s0, 1
	v_and_or_b32 v2, v3, s0, v2
	v_cvt_f64_f32_e32 v[2:3], v2
.LBB134_190:
	s_mov_b64 s[18:19], 0
	s_mov_b64 s[0:1], -1
.LBB134_191:
	s_andn2_b64 vcc, exec, s[18:19]
	s_cbranch_vccnz .LBB134_202
; %bb.192:
	s_cmp_gt_i32 s28, 14
	s_cbranch_scc0 .LBB134_195
; %bb.193:
	s_cmp_eq_u32 s28, 15
	s_cbranch_scc0 .LBB134_196
; %bb.194:
	global_load_ushort v2, v[0:1], off
	s_mov_b64 s[0:1], -1
	s_mov_b64 s[20:21], 0
	s_waitcnt vmcnt(0)
	v_lshlrev_b32_e32 v2, 16, v2
	v_cvt_f64_f32_e32 v[2:3], v2
	s_branch .LBB134_197
.LBB134_195:
	s_mov_b64 s[18:19], -1
                                        ; implicit-def: $vgpr2_vgpr3
	s_branch .LBB134_198
.LBB134_196:
	s_mov_b64 s[20:21], -1
                                        ; implicit-def: $vgpr2_vgpr3
.LBB134_197:
	s_mov_b64 s[18:19], 0
.LBB134_198:
	s_and_b64 vcc, exec, s[18:19]
	s_cbranch_vccz .LBB134_202
; %bb.199:
	s_cmp_eq_u32 s28, 11
	s_cbranch_scc0 .LBB134_201
; %bb.200:
	global_load_ubyte v3, v[0:1], off
	v_mov_b32_e32 v4, 0x3ff00000
	v_mov_b32_e32 v2, 0
	s_mov_b64 s[0:1], -1
	s_mov_b64 s[20:21], 0
	s_waitcnt vmcnt(0)
	v_cmp_ne_u16_e32 vcc, 0, v3
	v_cndmask_b32_e32 v3, 0, v4, vcc
	s_branch .LBB134_202
.LBB134_201:
	s_mov_b64 s[20:21], -1
                                        ; implicit-def: $vgpr2_vgpr3
.LBB134_202:
	s_branch .LBB134_10
.LBB134_203:
	s_cmp_lt_i32 s28, 5
	s_cbranch_scc1 .LBB134_208
; %bb.204:
	s_cmp_lt_i32 s28, 8
	s_cbranch_scc1 .LBB134_209
; %bb.205:
	;; [unrolled: 3-line block ×3, first 2 shown]
	s_cmp_gt_i32 s28, 9
	s_cbranch_scc0 .LBB134_211
; %bb.207:
	global_load_dwordx2 v[2:3], v[0:1], off
	s_mov_b64 s[0:1], 0
	s_branch .LBB134_212
.LBB134_208:
                                        ; implicit-def: $vgpr2_vgpr3
	s_branch .LBB134_230
.LBB134_209:
	s_mov_b64 s[0:1], -1
                                        ; implicit-def: $vgpr2_vgpr3
	s_branch .LBB134_218
.LBB134_210:
	s_mov_b64 s[0:1], -1
                                        ; implicit-def: $vgpr2_vgpr3
	s_branch .LBB134_215
.LBB134_211:
	s_mov_b64 s[0:1], -1
                                        ; implicit-def: $vgpr2_vgpr3
.LBB134_212:
	s_andn2_b64 vcc, exec, s[0:1]
	s_cbranch_vccnz .LBB134_214
; %bb.213:
	global_load_dword v2, v[0:1], off
	s_waitcnt vmcnt(0)
	v_cvt_f64_f32_e32 v[2:3], v2
.LBB134_214:
	s_mov_b64 s[0:1], 0
.LBB134_215:
	s_andn2_b64 vcc, exec, s[0:1]
	s_cbranch_vccnz .LBB134_217
; %bb.216:
	global_load_dword v2, v[0:1], off
	s_waitcnt vmcnt(0)
	v_cvt_f32_f16_e32 v2, v2
	v_cvt_f64_f32_e32 v[2:3], v2
.LBB134_217:
	s_mov_b64 s[0:1], 0
.LBB134_218:
	s_andn2_b64 vcc, exec, s[0:1]
	s_cbranch_vccnz .LBB134_229
; %bb.219:
	s_cmp_lt_i32 s28, 6
	s_cbranch_scc1 .LBB134_222
; %bb.220:
	s_cmp_gt_i32 s28, 6
	s_cbranch_scc0 .LBB134_223
; %bb.221:
	global_load_dwordx2 v[2:3], v[0:1], off
	s_mov_b64 s[0:1], 0
	s_branch .LBB134_224
.LBB134_222:
	s_mov_b64 s[0:1], -1
                                        ; implicit-def: $vgpr2_vgpr3
	s_branch .LBB134_227
.LBB134_223:
	s_mov_b64 s[0:1], -1
                                        ; implicit-def: $vgpr2_vgpr3
.LBB134_224:
	s_andn2_b64 vcc, exec, s[0:1]
	s_cbranch_vccnz .LBB134_226
; %bb.225:
	global_load_dword v2, v[0:1], off
	s_waitcnt vmcnt(0)
	v_cvt_f64_f32_e32 v[2:3], v2
.LBB134_226:
	s_mov_b64 s[0:1], 0
.LBB134_227:
	s_andn2_b64 vcc, exec, s[0:1]
	s_cbranch_vccnz .LBB134_229
; %bb.228:
	global_load_ushort v2, v[0:1], off
	s_waitcnt vmcnt(0)
	v_cvt_f32_f16_e32 v2, v2
	v_cvt_f64_f32_e32 v[2:3], v2
.LBB134_229:
	s_cbranch_execnz .LBB134_249
.LBB134_230:
	s_cmp_lt_i32 s28, 2
	s_cbranch_scc1 .LBB134_234
; %bb.231:
	s_cmp_lt_i32 s28, 3
	s_cbranch_scc1 .LBB134_235
; %bb.232:
	s_cmp_gt_i32 s28, 3
	s_cbranch_scc0 .LBB134_236
; %bb.233:
	global_load_dwordx2 v[2:3], v[0:1], off
	s_mov_b64 s[0:1], 0
	s_waitcnt vmcnt(0)
	v_cvt_f64_i32_e32 v[3:4], v3
	v_cvt_f64_u32_e32 v[5:6], v2
	v_ldexp_f64 v[3:4], v[3:4], 32
	v_add_f64 v[2:3], v[3:4], v[5:6]
	s_branch .LBB134_237
.LBB134_234:
	s_mov_b64 s[0:1], -1
                                        ; implicit-def: $vgpr2_vgpr3
	s_branch .LBB134_243
.LBB134_235:
	s_mov_b64 s[0:1], -1
                                        ; implicit-def: $vgpr2_vgpr3
	s_branch .LBB134_240
.LBB134_236:
	s_mov_b64 s[0:1], -1
                                        ; implicit-def: $vgpr2_vgpr3
.LBB134_237:
	s_andn2_b64 vcc, exec, s[0:1]
	s_cbranch_vccnz .LBB134_239
; %bb.238:
	global_load_dword v2, v[0:1], off
	s_waitcnt vmcnt(0)
	v_cvt_f64_i32_e32 v[2:3], v2
.LBB134_239:
	s_mov_b64 s[0:1], 0
.LBB134_240:
	s_andn2_b64 vcc, exec, s[0:1]
	s_cbranch_vccnz .LBB134_242
; %bb.241:
	global_load_sshort v2, v[0:1], off
	s_waitcnt vmcnt(0)
	v_cvt_f64_i32_e32 v[2:3], v2
.LBB134_242:
	s_mov_b64 s[0:1], 0
.LBB134_243:
	s_andn2_b64 vcc, exec, s[0:1]
	s_cbranch_vccnz .LBB134_249
; %bb.244:
	s_cmp_gt_i32 s28, 0
	s_cbranch_scc0 .LBB134_246
; %bb.245:
	global_load_sbyte v2, v[0:1], off
	s_mov_b64 s[0:1], 0
	s_waitcnt vmcnt(0)
	v_cvt_f64_i32_e32 v[2:3], v2
	s_branch .LBB134_247
.LBB134_246:
	s_mov_b64 s[0:1], -1
                                        ; implicit-def: $vgpr2_vgpr3
.LBB134_247:
	s_andn2_b64 vcc, exec, s[0:1]
	s_cbranch_vccnz .LBB134_249
; %bb.248:
	global_load_ubyte v0, v[0:1], off
	s_waitcnt vmcnt(0)
	v_cvt_f64_u32_e32 v[2:3], v0
.LBB134_249:
	s_branch .LBB134_11
.LBB134_250:
	s_mov_b64 s[0:1], 0
                                        ; implicit-def: $vgpr10
	s_mov_b64 s[24:25], 0
.LBB134_251:
	s_and_b64 s[18:19], s[0:1], exec
	s_and_b64 s[20:21], s[20:21], exec
	s_orn2_b64 s[24:25], s[24:25], exec
.LBB134_252:
	s_or_b64 exec, exec, s[22:23]
	s_mov_b64 s[28:29], 0
	s_mov_b64 s[0:1], 0
                                        ; implicit-def: $vgpr0_vgpr1
                                        ; implicit-def: $vgpr2_vgpr3
	s_and_saveexec_b64 s[22:23], s[24:25]
	s_cbranch_execz .LBB134_261
; %bb.253:
	v_cmp_gt_i32_e32 vcc, s44, v10
	s_mov_b64 s[0:1], -1
	s_mov_b64 s[24:25], s[20:21]
	s_mov_b64 s[26:27], s[18:19]
	s_and_saveexec_b64 s[28:29], vcc
	s_cbranch_execz .LBB134_513
; %bb.254:
	v_mul_lo_u32 v0, v10, s17
	v_mov_b32_e32 v1, s11
	s_and_b32 s34, 0xffff, s48
	s_cmp_lt_i32 s34, 11
	s_waitcnt vmcnt(0)
	v_ashrrev_i32_e32 v2, 31, v0
	v_add_co_u32_e32 v0, vcc, s10, v0
	v_addc_co_u32_e32 v1, vcc, v1, v2, vcc
	s_cbranch_scc1 .LBB134_264
; %bb.255:
	s_cmp_gt_i32 s34, 25
	s_cbranch_scc0 .LBB134_273
; %bb.256:
	s_cmp_gt_i32 s34, 28
	s_cbranch_scc0 .LBB134_275
	;; [unrolled: 3-line block ×4, first 2 shown]
; %bb.259:
	s_cmp_eq_u32 s34, 46
	s_mov_b64 s[26:27], 0
	s_cbranch_scc0 .LBB134_285
; %bb.260:
	global_load_dword v2, v[0:1], off
	s_mov_b64 s[24:25], 0
	s_waitcnt vmcnt(0)
	v_lshlrev_b32_e32 v2, 16, v2
	v_cvt_f64_f32_e32 v[2:3], v2
	s_branch .LBB134_286
.LBB134_261:
	s_or_b64 exec, exec, s[22:23]
	s_mov_b64 s[22:23], 0
	s_and_saveexec_b64 s[24:25], s[20:21]
	s_cbranch_execnz .LBB134_859
.LBB134_262:
	s_or_b64 exec, exec, s[24:25]
	s_and_saveexec_b64 s[20:21], s[26:27]
	s_xor_b64 s[20:21], exec, s[20:21]
	s_cbranch_execz .LBB134_860
.LBB134_263:
	global_load_ubyte v3, v[0:1], off
	v_mov_b32_e32 v4, 0x3ff00000
	s_waitcnt vmcnt(1)
	v_mov_b32_e32 v2, 0
	s_or_b64 s[0:1], s[0:1], exec
	s_waitcnt vmcnt(0)
	v_cmp_ne_u16_e32 vcc, 0, v3
	v_cndmask_b32_e32 v3, 0, v4, vcc
	s_or_b64 exec, exec, s[20:21]
	s_and_saveexec_b64 s[20:21], s[28:29]
	s_cbranch_execz .LBB134_906
	s_branch .LBB134_861
.LBB134_264:
	s_mov_b64 s[0:1], 0
                                        ; implicit-def: $vgpr2_vgpr3
	s_mov_b64 s[24:25], s[20:21]
	s_cbranch_execnz .LBB134_463
.LBB134_265:
	s_andn2_b64 vcc, exec, s[0:1]
	s_cbranch_vccnz .LBB134_511
.LBB134_266:
	s_waitcnt vmcnt(0)
	v_cmp_nge_f64_e32 vcc, s[12:13], v[2:3]
	v_mul_lo_u32 v2, v10, s16
	v_mov_b32_e32 v0, s15
	v_mov_b32_e32 v1, s3
	;; [unrolled: 1-line block ×4, first 2 shown]
	v_ashrrev_i32_e32 v5, 31, v2
	s_and_b32 s36, s33, 0xff
	v_cndmask_b32_e32 v1, v0, v1, vcc
	v_cndmask_b32_e32 v0, v3, v4, vcc
	v_mov_b32_e32 v3, s9
	v_add_co_u32_e32 v4, vcc, s8, v2
	s_cmp_lt_i32 s36, 11
	v_addc_co_u32_e32 v5, vcc, v3, v5, vcc
	s_cbranch_scc1 .LBB134_274
; %bb.267:
	s_and_b32 s37, 0xffff, s36
	s_cmp_gt_i32 s37, 25
	s_cbranch_scc0 .LBB134_276
; %bb.268:
	s_cmp_gt_i32 s37, 28
	s_cbranch_scc0 .LBB134_278
; %bb.269:
	;; [unrolled: 3-line block ×4, first 2 shown]
	s_mov_b64 s[30:31], 0
	s_mov_b64 s[0:1], -1
	s_cmp_eq_u32 s37, 46
	s_mov_b64 s[26:27], 0
	s_cbranch_scc0 .LBB134_290
; %bb.272:
	v_cvt_f32_f64_e32 v2, v[0:1]
	s_movk_i32 s0, 0x7fff
	v_mov_b32_e32 v3, 0x7fc0
	s_mov_b64 s[26:27], -1
	v_bfe_u32 v6, v2, 16, 1
	v_cmp_o_f32_e32 vcc, v2, v2
	v_add3_u32 v2, v2, v6, s0
	v_cndmask_b32_sdwa v2, v3, v2, vcc dst_sel:DWORD dst_unused:UNUSED_PAD src0_sel:DWORD src1_sel:WORD_1
	global_store_dword v[4:5], v2, off
	s_mov_b64 s[0:1], 0
	s_branch .LBB134_290
.LBB134_273:
	s_mov_b64 s[26:27], -1
	s_mov_b64 s[0:1], 0
	s_mov_b64 s[24:25], s[20:21]
                                        ; implicit-def: $vgpr2_vgpr3
	s_branch .LBB134_429
.LBB134_274:
	s_mov_b64 s[30:31], -1
	s_mov_b64 s[26:27], 0
	s_mov_b64 s[0:1], s[18:19]
	s_branch .LBB134_359
.LBB134_275:
	s_mov_b64 s[26:27], -1
	s_mov_b64 s[0:1], 0
	s_mov_b64 s[24:25], s[20:21]
                                        ; implicit-def: $vgpr2_vgpr3
	s_branch .LBB134_408
.LBB134_276:
	s_mov_b64 s[30:31], -1
	s_mov_b64 s[26:27], 0
	s_mov_b64 s[0:1], s[18:19]
	s_branch .LBB134_317
.LBB134_277:
	s_mov_b64 s[26:27], -1
	s_mov_b64 s[0:1], 0
	s_mov_b64 s[24:25], s[20:21]
                                        ; implicit-def: $vgpr2_vgpr3
	s_branch .LBB134_403
.LBB134_278:
	s_mov_b64 s[30:31], -1
	s_mov_b64 s[26:27], 0
	s_mov_b64 s[0:1], s[18:19]
	s_branch .LBB134_300
.LBB134_279:
	s_andn2_saveexec_b64 s[28:29], s[28:29]
	s_cbranch_execz .LBB134_55
.LBB134_280:
	s_mov_b32 s34, 0x46000000
	v_add_f32_e64 v3, |v2|, s34
	v_and_b32_e32 v3, 0xff, v3
	v_cmp_ne_u32_e32 vcc, 0, v3
	s_andn2_b64 s[24:25], s[24:25], exec
	s_and_b64 s[34:35], vcc, exec
	s_or_b64 s[24:25], s[24:25], s[34:35]
	s_or_b64 exec, exec, s[28:29]
	v_mov_b32_e32 v6, 0
	s_and_saveexec_b64 s[28:29], s[24:25]
	s_cbranch_execnz .LBB134_56
	s_branch .LBB134_57
.LBB134_281:
	s_mov_b64 s[26:27], -1
	s_mov_b64 s[0:1], 0
	s_mov_b64 s[24:25], s[20:21]
                                        ; implicit-def: $vgpr2_vgpr3
	s_branch .LBB134_286
.LBB134_282:
	s_mov_b64 s[30:31], -1
	s_mov_b64 s[26:27], 0
	s_mov_b64 s[0:1], s[18:19]
	s_branch .LBB134_296
.LBB134_283:
	s_andn2_saveexec_b64 s[28:29], s[28:29]
	s_cbranch_execz .LBB134_68
.LBB134_284:
	s_mov_b32 s34, 0x42800000
	v_add_f32_e64 v3, |v2|, s34
	v_and_b32_e32 v3, 0xff, v3
	v_cmp_ne_u32_e32 vcc, 0, v3
	s_andn2_b64 s[24:25], s[24:25], exec
	s_and_b64 s[34:35], vcc, exec
	s_or_b64 s[24:25], s[24:25], s[34:35]
	s_or_b64 exec, exec, s[28:29]
	v_mov_b32_e32 v6, 0
	s_and_saveexec_b64 s[28:29], s[24:25]
	s_cbranch_execnz .LBB134_69
	s_branch .LBB134_70
.LBB134_285:
	s_mov_b64 s[24:25], -1
                                        ; implicit-def: $vgpr2_vgpr3
	s_mov_b64 s[0:1], 0
.LBB134_286:
	s_and_b64 vcc, exec, s[26:27]
	s_cbranch_vccz .LBB134_402
; %bb.287:
	s_cmp_eq_u32 s34, 44
	s_cbranch_scc0 .LBB134_401
; %bb.288:
	global_load_ubyte v4, v[0:1], off
	s_movk_i32 s24, 0xff
	v_bfrev_b32_e32 v5, 4
	v_mov_b32_e32 v6, 0x7ff80000
	v_bfrev_b32_e32 v7, 28
	s_mov_b64 s[0:1], -1
	s_waitcnt vmcnt(0)
	v_lshlrev_b32_e32 v2, 23, v4
	v_cvt_f64_f32_e32 v[2:3], v2
	v_cmp_ne_u32_e32 vcc, s24, v4
	s_mov_b64 s[24:25], 0
	v_cndmask_b32_e32 v2, v5, v2, vcc
	v_cndmask_b32_e32 v3, v6, v3, vcc
	v_cmp_ne_u32_e32 vcc, 0, v4
	v_cndmask_b32_e32 v3, v7, v3, vcc
	v_cndmask_b32_e32 v2, 0, v2, vcc
	s_branch .LBB134_402
.LBB134_289:
	s_mov_b64 s[30:31], -1
	s_mov_b64 s[26:27], 0
	s_mov_b64 s[0:1], s[18:19]
.LBB134_290:
	s_and_b64 vcc, exec, s[30:31]
	s_cbranch_vccz .LBB134_295
; %bb.291:
	s_cmp_eq_u32 s37, 44
	s_mov_b64 s[0:1], -1
	s_cbranch_scc0 .LBB134_295
; %bb.292:
	v_cvt_f32_f64_e32 v2, v[0:1]
	s_movk_i32 s0, 0xff
	v_mov_b32_e32 v6, 0xff
	v_bfe_u32 v3, v2, 23, 8
	v_cmp_ne_u32_e32 vcc, s0, v3
	s_and_saveexec_b64 s[26:27], vcc
; %bb.293:
	s_mov_b32 s0, 0x3fffff
	v_lshrrev_b32_e32 v6, 23, v2
	v_and_b32_e32 v7, 0x400000, v2
	v_and_or_b32 v2, v2, s0, v3
	v_cmp_ne_u32_e32 vcc, 0, v7
	v_cmp_ne_u32_e64 s[0:1], 0, v2
	s_and_b64 s[0:1], vcc, s[0:1]
	v_cndmask_b32_e64 v2, 0, 1, s[0:1]
	v_add_u32_e32 v6, v6, v2
; %bb.294:
	s_or_b64 exec, exec, s[26:27]
	s_mov_b64 s[26:27], -1
	s_mov_b64 s[0:1], 0
	global_store_byte v[4:5], v6, off
.LBB134_295:
	s_mov_b64 s[30:31], 0
.LBB134_296:
	s_and_b64 vcc, exec, s[30:31]
	s_cbranch_vccz .LBB134_299
; %bb.297:
	s_cmp_eq_u32 s37, 29
	s_mov_b64 s[0:1], -1
	s_cbranch_scc0 .LBB134_299
; %bb.298:
	v_trunc_f64_e32 v[2:3], v[0:1]
	s_movk_i32 s0, 0xffe0
	s_mov_b64 s[26:27], -1
	s_mov_b64 s[30:31], 0
	v_ldexp_f64 v[6:7], v[2:3], s0
	s_mov_b32 s0, 0
	s_mov_b32 s1, 0xc1f00000
	v_floor_f64_e32 v[6:7], v[6:7]
	v_fma_f64 v[2:3], v[6:7], s[0:1], v[2:3]
	v_cvt_u32_f64_e32 v7, v[6:7]
	s_mov_b64 s[0:1], 0
	v_cvt_u32_f64_e32 v6, v[2:3]
	global_store_dwordx2 v[4:5], v[6:7], off
	s_branch .LBB134_300
.LBB134_299:
	s_mov_b64 s[30:31], 0
.LBB134_300:
	s_and_b64 vcc, exec, s[30:31]
	s_cbranch_vccz .LBB134_316
; %bb.301:
	s_cmp_lt_i32 s37, 27
	s_mov_b64 s[26:27], -1
	s_cbranch_scc1 .LBB134_307
; %bb.302:
	v_cvt_u32_f64_e32 v2, v[0:1]
	s_cmp_gt_i32 s37, 27
	s_cbranch_scc0 .LBB134_304
; %bb.303:
	s_mov_b64 s[26:27], 0
	global_store_dword v[4:5], v2, off
.LBB134_304:
	s_andn2_b64 vcc, exec, s[26:27]
	s_cbranch_vccnz .LBB134_306
; %bb.305:
	global_store_short v[4:5], v2, off
.LBB134_306:
	s_mov_b64 s[26:27], 0
.LBB134_307:
	s_andn2_b64 vcc, exec, s[26:27]
	s_cbranch_vccnz .LBB134_315
; %bb.308:
	v_cvt_f32_f64_e32 v2, v[0:1]
	s_mov_b32 s26, 0x43800000
	v_mov_b32_e32 v6, 0x80
	v_and_b32_e32 v3, 0x7fffffff, v2
	v_cmp_gt_u32_e32 vcc, s26, v3
	s_and_saveexec_b64 s[26:27], vcc
	s_cbranch_execz .LBB134_314
; %bb.309:
	s_mov_b32 s30, 0x3bffffff
	v_cmp_lt_u32_e32 vcc, s30, v3
	s_mov_b64 s[30:31], 0
                                        ; implicit-def: $vgpr3
	s_and_saveexec_b64 s[34:35], vcc
	s_xor_b64 s[34:35], exec, s[34:35]
	s_cbranch_execz .LBB134_526
; %bb.310:
	v_bfe_u32 v3, v2, 20, 1
	s_mov_b32 s38, 0x487ffff
	v_add3_u32 v3, v2, v3, s38
	s_mov_b64 s[30:31], exec
	v_lshrrev_b32_e32 v3, 20, v3
	s_andn2_saveexec_b64 s[34:35], s[34:35]
	s_cbranch_execnz .LBB134_527
.LBB134_311:
	s_or_b64 exec, exec, s[34:35]
	v_mov_b32_e32 v6, 0
	s_and_saveexec_b64 s[34:35], s[30:31]
.LBB134_312:
	v_lshrrev_b32_e32 v2, 24, v2
	s_movk_i32 s30, 0x80
	v_and_or_b32 v6, v2, s30, v3
.LBB134_313:
	s_or_b64 exec, exec, s[34:35]
.LBB134_314:
	s_or_b64 exec, exec, s[26:27]
	global_store_byte v[4:5], v6, off
.LBB134_315:
	s_mov_b64 s[26:27], -1
.LBB134_316:
	s_mov_b64 s[30:31], 0
.LBB134_317:
	s_and_b64 vcc, exec, s[30:31]
	s_cbranch_vccz .LBB134_358
; %bb.318:
	s_cmp_gt_i32 s37, 22
	s_mov_b64 s[30:31], -1
	s_cbranch_scc0 .LBB134_350
; %bb.319:
	s_cmp_lt_i32 s37, 24
	s_mov_b64 s[26:27], -1
	s_cbranch_scc1 .LBB134_339
; %bb.320:
	s_cmp_gt_i32 s37, 24
	s_cbranch_scc0 .LBB134_328
; %bb.321:
	v_cvt_f32_f64_e32 v2, v[0:1]
	s_mov_b32 s26, 0x47800000
	v_mov_b32_e32 v6, 0x80
	v_and_b32_e32 v3, 0x7fffffff, v2
	v_cmp_gt_u32_e32 vcc, s26, v3
	s_and_saveexec_b64 s[26:27], vcc
	s_cbranch_execz .LBB134_327
; %bb.322:
	s_mov_b32 s30, 0x37ffffff
	v_cmp_lt_u32_e32 vcc, s30, v3
	s_mov_b64 s[30:31], 0
                                        ; implicit-def: $vgpr3
	s_and_saveexec_b64 s[34:35], vcc
	s_xor_b64 s[34:35], exec, s[34:35]
	s_cbranch_execz .LBB134_529
; %bb.323:
	v_bfe_u32 v3, v2, 21, 1
	s_mov_b32 s38, 0x88fffff
	v_add3_u32 v3, v2, v3, s38
	s_mov_b64 s[30:31], exec
	v_lshrrev_b32_e32 v3, 21, v3
	s_andn2_saveexec_b64 s[34:35], s[34:35]
	s_cbranch_execnz .LBB134_530
.LBB134_324:
	s_or_b64 exec, exec, s[34:35]
	v_mov_b32_e32 v6, 0
	s_and_saveexec_b64 s[34:35], s[30:31]
.LBB134_325:
	v_lshrrev_b32_e32 v2, 24, v2
	s_movk_i32 s30, 0x80
	v_and_or_b32 v6, v2, s30, v3
.LBB134_326:
	s_or_b64 exec, exec, s[34:35]
.LBB134_327:
	s_or_b64 exec, exec, s[26:27]
	s_mov_b64 s[26:27], 0
	global_store_byte v[4:5], v6, off
.LBB134_328:
	s_and_b64 vcc, exec, s[26:27]
	s_cbranch_vccz .LBB134_338
; %bb.329:
	v_cvt_f32_f64_e32 v2, v[0:1]
	s_mov_b32 s26, 0x43f00000
                                        ; implicit-def: $vgpr3
	v_and_b32_e32 v6, 0x7fffffff, v2
	v_cmp_gt_u32_e32 vcc, s26, v6
	s_and_saveexec_b64 s[26:27], vcc
	s_xor_b64 s[26:27], exec, s[26:27]
	s_cbranch_execz .LBB134_335
; %bb.330:
	s_mov_b32 s30, 0x3c7fffff
	v_cmp_lt_u32_e32 vcc, s30, v6
                                        ; implicit-def: $vgpr3
	s_and_saveexec_b64 s[30:31], vcc
	s_xor_b64 s[30:31], exec, s[30:31]
; %bb.331:
	v_bfe_u32 v3, v2, 20, 1
	s_mov_b32 s34, 0x407ffff
	v_add3_u32 v3, v2, v3, s34
	v_lshrrev_b32_e32 v6, 20, v3
	v_and_b32_e32 v3, 0xff00000, v3
	s_mov_b32 s34, 0x7f00000
	v_mov_b32_e32 v7, 0x7e
	v_cmp_ne_u32_e32 vcc, s34, v3
	v_cndmask_b32_e32 v3, v7, v6, vcc
; %bb.332:
	s_andn2_saveexec_b64 s[30:31], s[30:31]
; %bb.333:
	s_mov_b32 s34, 0x46800000
	v_add_f32_e64 v3, |v2|, s34
; %bb.334:
	s_or_b64 exec, exec, s[30:31]
                                        ; implicit-def: $vgpr6
.LBB134_335:
	s_andn2_saveexec_b64 s[26:27], s[26:27]
; %bb.336:
	s_mov_b32 s30, 0x7f800000
	v_mov_b32_e32 v3, 0x7e
	v_mov_b32_e32 v7, 0x7f
	v_cmp_lt_u32_e32 vcc, s30, v6
	v_cndmask_b32_e32 v3, v3, v7, vcc
; %bb.337:
	s_or_b64 exec, exec, s[26:27]
	v_lshrrev_b32_e32 v2, 24, v2
	s_movk_i32 s26, 0x80
	v_and_or_b32 v2, v2, s26, v3
	global_store_byte v[4:5], v2, off
.LBB134_338:
	s_mov_b64 s[26:27], 0
.LBB134_339:
	s_andn2_b64 vcc, exec, s[26:27]
	s_cbranch_vccnz .LBB134_349
; %bb.340:
	v_cvt_f32_f64_e32 v2, v[0:1]
	s_mov_b32 s26, 0x47800000
                                        ; implicit-def: $vgpr3
	v_and_b32_e32 v6, 0x7fffffff, v2
	v_cmp_gt_u32_e32 vcc, s26, v6
	s_and_saveexec_b64 s[26:27], vcc
	s_xor_b64 s[26:27], exec, s[26:27]
	s_cbranch_execz .LBB134_346
; %bb.341:
	s_mov_b32 s30, 0x387fffff
	v_cmp_lt_u32_e32 vcc, s30, v6
                                        ; implicit-def: $vgpr3
	s_and_saveexec_b64 s[30:31], vcc
	s_xor_b64 s[30:31], exec, s[30:31]
; %bb.342:
	v_bfe_u32 v3, v2, 21, 1
	s_mov_b32 s34, 0x80fffff
	v_add3_u32 v3, v2, v3, s34
	v_lshrrev_b32_e32 v3, 21, v3
; %bb.343:
	s_andn2_saveexec_b64 s[30:31], s[30:31]
; %bb.344:
	s_mov_b32 s34, 0x43000000
	v_add_f32_e64 v3, |v2|, s34
; %bb.345:
	s_or_b64 exec, exec, s[30:31]
                                        ; implicit-def: $vgpr6
.LBB134_346:
	s_andn2_saveexec_b64 s[26:27], s[26:27]
; %bb.347:
	s_mov_b32 s30, 0x7f800000
	v_mov_b32_e32 v3, 0x7c
	v_mov_b32_e32 v7, 0x7f
	v_cmp_lt_u32_e32 vcc, s30, v6
	v_cndmask_b32_e32 v3, v3, v7, vcc
; %bb.348:
	s_or_b64 exec, exec, s[26:27]
	v_lshrrev_b32_e32 v2, 24, v2
	s_movk_i32 s26, 0x80
	v_and_or_b32 v2, v2, s26, v3
	global_store_byte v[4:5], v2, off
.LBB134_349:
	s_mov_b64 s[30:31], 0
	s_mov_b64 s[26:27], -1
.LBB134_350:
	s_andn2_b64 vcc, exec, s[30:31]
	s_cbranch_vccnz .LBB134_358
; %bb.351:
	s_cmp_gt_i32 s37, 14
	s_mov_b64 s[30:31], -1
	s_cbranch_scc0 .LBB134_355
; %bb.352:
	s_cmp_eq_u32 s37, 15
	s_mov_b64 s[0:1], -1
	s_cbranch_scc0 .LBB134_354
; %bb.353:
	v_cvt_f32_f64_e32 v2, v[0:1]
	s_movk_i32 s0, 0x7fff
	v_mov_b32_e32 v3, 0x7fc0
	s_mov_b64 s[26:27], -1
	v_bfe_u32 v6, v2, 16, 1
	v_cmp_o_f32_e32 vcc, v2, v2
	v_add3_u32 v2, v2, v6, s0
	v_cndmask_b32_sdwa v2, v3, v2, vcc dst_sel:DWORD dst_unused:UNUSED_PAD src0_sel:DWORD src1_sel:WORD_1
	global_store_short v[4:5], v2, off
	s_mov_b64 s[0:1], 0
.LBB134_354:
	s_mov_b64 s[30:31], 0
.LBB134_355:
	s_and_b64 vcc, exec, s[30:31]
	s_cbranch_vccz .LBB134_358
; %bb.356:
	s_cmp_eq_u32 s37, 11
	s_mov_b64 s[0:1], -1
	s_cbranch_scc0 .LBB134_358
; %bb.357:
	v_cmp_neq_f64_e32 vcc, 0, v[0:1]
	s_mov_b64 s[0:1], 0
	s_mov_b64 s[26:27], -1
	v_cndmask_b32_e64 v2, 0, 1, vcc
	global_store_byte v[4:5], v2, off
.LBB134_358:
	s_mov_b64 s[30:31], 0
.LBB134_359:
	s_and_b64 vcc, exec, s[30:31]
	s_cbranch_vccz .LBB134_398
; %bb.360:
	s_and_b32 s30, 0xffff, s36
	s_cmp_lt_i32 s30, 5
	s_mov_b64 s[26:27], -1
	s_cbranch_scc1 .LBB134_381
; %bb.361:
	s_cmp_lt_i32 s30, 8
	s_cbranch_scc1 .LBB134_371
; %bb.362:
	s_cmp_lt_i32 s30, 9
	s_cbranch_scc1 .LBB134_368
; %bb.363:
	s_cmp_gt_i32 s30, 9
	s_cbranch_scc0 .LBB134_365
; %bb.364:
	v_mov_b32_e32 v2, 0
	v_mov_b32_e32 v3, v2
	s_mov_b64 s[26:27], 0
	global_store_dwordx4 v[4:5], v[0:3], off
.LBB134_365:
	s_andn2_b64 vcc, exec, s[26:27]
	s_cbranch_vccnz .LBB134_367
; %bb.366:
	v_cvt_f32_f64_e32 v2, v[0:1]
	v_mov_b32_e32 v3, 0
	global_store_dwordx2 v[4:5], v[2:3], off
.LBB134_367:
	s_mov_b64 s[26:27], 0
.LBB134_368:
	s_andn2_b64 vcc, exec, s[26:27]
	s_cbranch_vccnz .LBB134_370
; %bb.369:
	s_movk_i32 s26, 0x1ff
	v_and_or_b32 v2, v1, s26, v0
	v_cmp_ne_u32_e32 vcc, 0, v2
	v_cndmask_b32_e64 v2, 0, 1, vcc
	v_lshrrev_b32_e32 v3, 8, v1
	s_movk_i32 s26, 0xffe
	v_bfe_u32 v6, v1, 20, 11
	v_and_or_b32 v2, v3, s26, v2
	v_sub_u32_e32 v7, 0x3f1, v6
	v_or_b32_e32 v3, 0x1000, v2
	v_med3_i32 v7, v7, 0, 13
	v_lshrrev_b32_e32 v8, v7, v3
	v_lshlrev_b32_e32 v7, v7, v8
	v_cmp_ne_u32_e32 vcc, v7, v3
	v_cndmask_b32_e64 v3, 0, 1, vcc
	v_add_u32_e32 v6, 0xfffffc10, v6
	v_or_b32_e32 v3, v8, v3
	v_lshl_or_b32 v7, v6, 12, v2
	v_cmp_gt_i32_e32 vcc, 1, v6
	v_cndmask_b32_e32 v3, v7, v3, vcc
	v_and_b32_e32 v7, 7, v3
	v_cmp_lt_i32_e32 vcc, 5, v7
	v_cndmask_b32_e64 v8, 0, 1, vcc
	v_cmp_eq_u32_e32 vcc, 3, v7
	v_cndmask_b32_e64 v7, 0, 1, vcc
	v_or_b32_e32 v7, v7, v8
	v_lshrrev_b32_e32 v3, 2, v3
	v_add_u32_e32 v3, v3, v7
	v_mov_b32_e32 v7, 0x7c00
	v_cmp_gt_i32_e32 vcc, 31, v6
	v_cndmask_b32_e32 v3, v7, v3, vcc
	v_mov_b32_e32 v8, 0x7e00
	v_cmp_ne_u32_e32 vcc, 0, v2
	s_movk_i32 s26, 0x40f
	v_cndmask_b32_e32 v2, v7, v8, vcc
	v_cmp_eq_u32_e32 vcc, s26, v6
	v_cndmask_b32_e32 v2, v3, v2, vcc
	v_lshrrev_b32_e32 v3, 16, v1
	s_mov_b32 s26, 0x8000
	v_and_or_b32 v2, v3, s26, v2
	v_and_b32_e32 v2, 0xffff, v2
	global_store_dword v[4:5], v2, off
.LBB134_370:
	s_mov_b64 s[26:27], 0
.LBB134_371:
	s_andn2_b64 vcc, exec, s[26:27]
	s_cbranch_vccnz .LBB134_380
; %bb.372:
	s_cmp_lt_i32 s30, 6
	s_mov_b64 s[26:27], -1
	s_cbranch_scc1 .LBB134_378
; %bb.373:
	s_cmp_gt_i32 s30, 6
	s_cbranch_scc0 .LBB134_375
; %bb.374:
	s_mov_b64 s[26:27], 0
	global_store_dwordx2 v[4:5], v[0:1], off
.LBB134_375:
	s_andn2_b64 vcc, exec, s[26:27]
	s_cbranch_vccnz .LBB134_377
; %bb.376:
	v_cvt_f32_f64_e32 v2, v[0:1]
	global_store_dword v[4:5], v2, off
.LBB134_377:
	s_mov_b64 s[26:27], 0
.LBB134_378:
	s_andn2_b64 vcc, exec, s[26:27]
	s_cbranch_vccnz .LBB134_380
; %bb.379:
	s_movk_i32 s26, 0x1ff
	v_and_or_b32 v2, v1, s26, v0
	v_cmp_ne_u32_e32 vcc, 0, v2
	v_cndmask_b32_e64 v2, 0, 1, vcc
	v_lshrrev_b32_e32 v3, 8, v1
	s_movk_i32 s26, 0xffe
	v_bfe_u32 v6, v1, 20, 11
	v_and_or_b32 v2, v3, s26, v2
	v_sub_u32_e32 v7, 0x3f1, v6
	v_or_b32_e32 v3, 0x1000, v2
	v_med3_i32 v7, v7, 0, 13
	v_lshrrev_b32_e32 v8, v7, v3
	v_lshlrev_b32_e32 v7, v7, v8
	v_cmp_ne_u32_e32 vcc, v7, v3
	v_cndmask_b32_e64 v3, 0, 1, vcc
	v_add_u32_e32 v6, 0xfffffc10, v6
	v_or_b32_e32 v3, v8, v3
	v_lshl_or_b32 v7, v6, 12, v2
	v_cmp_gt_i32_e32 vcc, 1, v6
	v_cndmask_b32_e32 v3, v7, v3, vcc
	v_and_b32_e32 v7, 7, v3
	v_cmp_lt_i32_e32 vcc, 5, v7
	v_cndmask_b32_e64 v8, 0, 1, vcc
	v_cmp_eq_u32_e32 vcc, 3, v7
	v_cndmask_b32_e64 v7, 0, 1, vcc
	v_or_b32_e32 v7, v7, v8
	v_lshrrev_b32_e32 v3, 2, v3
	v_add_u32_e32 v3, v3, v7
	v_mov_b32_e32 v7, 0x7c00
	v_cmp_gt_i32_e32 vcc, 31, v6
	v_cndmask_b32_e32 v3, v7, v3, vcc
	v_mov_b32_e32 v8, 0x7e00
	v_cmp_ne_u32_e32 vcc, 0, v2
	s_movk_i32 s26, 0x40f
	v_cndmask_b32_e32 v2, v7, v8, vcc
	v_cmp_eq_u32_e32 vcc, s26, v6
	v_cndmask_b32_e32 v2, v3, v2, vcc
	v_lshrrev_b32_e32 v3, 16, v1
	s_mov_b32 s26, 0x8000
	v_and_or_b32 v2, v3, s26, v2
	global_store_short v[4:5], v2, off
.LBB134_380:
	s_mov_b64 s[26:27], 0
.LBB134_381:
	s_andn2_b64 vcc, exec, s[26:27]
	s_cbranch_vccnz .LBB134_397
; %bb.382:
	s_cmp_lt_i32 s30, 2
	s_mov_b64 s[26:27], -1
	s_cbranch_scc1 .LBB134_392
; %bb.383:
	s_cmp_lt_i32 s30, 3
	s_cbranch_scc1 .LBB134_389
; %bb.384:
	s_cmp_gt_i32 s30, 3
	s_cbranch_scc0 .LBB134_386
; %bb.385:
	v_trunc_f64_e32 v[2:3], v[0:1]
	s_movk_i32 s26, 0xffe0
	v_ldexp_f64 v[6:7], v[2:3], s26
	s_mov_b32 s26, 0
	s_mov_b32 s27, 0xc1f00000
	v_floor_f64_e32 v[6:7], v[6:7]
	v_fma_f64 v[2:3], v[6:7], s[26:27], v[2:3]
	v_cvt_i32_f64_e32 v7, v[6:7]
	s_mov_b64 s[26:27], 0
	v_cvt_u32_f64_e32 v6, v[2:3]
	global_store_dwordx2 v[4:5], v[6:7], off
.LBB134_386:
	s_andn2_b64 vcc, exec, s[26:27]
	s_cbranch_vccnz .LBB134_388
; %bb.387:
	v_cvt_i32_f64_e32 v2, v[0:1]
	global_store_dword v[4:5], v2, off
.LBB134_388:
	s_mov_b64 s[26:27], 0
.LBB134_389:
	s_andn2_b64 vcc, exec, s[26:27]
	s_cbranch_vccnz .LBB134_391
; %bb.390:
	v_cvt_i32_f64_e32 v2, v[0:1]
	global_store_short v[4:5], v2, off
.LBB134_391:
	s_mov_b64 s[26:27], 0
.LBB134_392:
	s_andn2_b64 vcc, exec, s[26:27]
	s_cbranch_vccnz .LBB134_397
; %bb.393:
	s_cmp_gt_i32 s30, 0
	s_mov_b64 s[26:27], -1
	s_cbranch_scc0 .LBB134_395
; %bb.394:
	v_cvt_i32_f64_e32 v2, v[0:1]
	s_mov_b64 s[26:27], 0
	global_store_byte v[4:5], v2, off
.LBB134_395:
	s_andn2_b64 vcc, exec, s[26:27]
	s_cbranch_vccnz .LBB134_397
; %bb.396:
	v_trunc_f64_e32 v[0:1], v[0:1]
	s_movk_i32 s26, 0xffe0
	v_ldexp_f64 v[2:3], v[0:1], s26
	s_mov_b32 s26, 0
	s_mov_b32 s27, 0xc1f00000
	v_floor_f64_e32 v[2:3], v[2:3]
	v_fma_f64 v[0:1], v[2:3], s[26:27], v[0:1]
	v_cvt_u32_f64_e32 v0, v[0:1]
	global_store_byte v[4:5], v0, off
.LBB134_397:
	s_mov_b64 s[26:27], -1
.LBB134_398:
	s_andn2_b64 vcc, exec, s[26:27]
	s_cbranch_vccnz .LBB134_400
; %bb.399:
	v_add_u32_e32 v10, 0x80, v10
	s_mov_b64 s[30:31], -1
	s_branch .LBB134_512
.LBB134_400:
	s_mov_b64 s[30:31], 0
                                        ; implicit-def: $vgpr10
	s_branch .LBB134_512
.LBB134_401:
	s_mov_b64 s[24:25], -1
                                        ; implicit-def: $vgpr2_vgpr3
.LBB134_402:
	s_mov_b64 s[26:27], 0
.LBB134_403:
	s_and_b64 vcc, exec, s[26:27]
	s_cbranch_vccz .LBB134_407
; %bb.404:
	s_cmp_eq_u32 s34, 29
	s_cbranch_scc0 .LBB134_406
; %bb.405:
	global_load_dwordx2 v[2:3], v[0:1], off
	s_mov_b64 s[0:1], -1
	s_mov_b64 s[24:25], 0
	s_mov_b64 s[26:27], 0
	s_waitcnt vmcnt(0)
	v_cvt_f64_u32_e32 v[3:4], v3
	v_cvt_f64_u32_e32 v[5:6], v2
	v_ldexp_f64 v[3:4], v[3:4], 32
	v_add_f64 v[2:3], v[3:4], v[5:6]
	s_branch .LBB134_408
.LBB134_406:
	s_mov_b64 s[24:25], -1
                                        ; implicit-def: $vgpr2_vgpr3
.LBB134_407:
	s_mov_b64 s[26:27], 0
.LBB134_408:
	s_and_b64 vcc, exec, s[26:27]
	s_cbranch_vccz .LBB134_428
; %bb.409:
	s_cmp_lt_i32 s34, 27
	s_cbranch_scc1 .LBB134_412
; %bb.410:
	s_cmp_gt_i32 s34, 27
	s_cbranch_scc0 .LBB134_413
; %bb.411:
	global_load_dword v2, v[0:1], off
	s_mov_b64 s[0:1], 0
	s_waitcnt vmcnt(0)
	v_cvt_f64_u32_e32 v[2:3], v2
	s_branch .LBB134_414
.LBB134_412:
	s_mov_b64 s[0:1], -1
                                        ; implicit-def: $vgpr2_vgpr3
	s_branch .LBB134_417
.LBB134_413:
	s_mov_b64 s[0:1], -1
                                        ; implicit-def: $vgpr2_vgpr3
.LBB134_414:
	s_andn2_b64 vcc, exec, s[0:1]
	s_cbranch_vccnz .LBB134_416
; %bb.415:
	global_load_ushort v2, v[0:1], off
	s_waitcnt vmcnt(0)
	v_cvt_f64_u32_e32 v[2:3], v2
.LBB134_416:
	s_mov_b64 s[0:1], 0
.LBB134_417:
	s_andn2_b64 vcc, exec, s[0:1]
	s_cbranch_vccnz .LBB134_427
; %bb.418:
	global_load_ubyte v4, v[0:1], off
	s_movk_i32 s0, 0x7f
	s_waitcnt vmcnt(0)
	v_cmp_lt_i16_e32 vcc, s0, v4
	s_mov_b64 s[0:1], 0
	s_and_saveexec_b64 s[26:27], vcc
	s_xor_b64 s[26:27], exec, s[26:27]
	s_cbranch_execz .LBB134_422
; %bb.419:
	s_movk_i32 s0, 0x80
	v_cmp_eq_u16_e32 vcc, s0, v4
	s_mov_b64 s[0:1], -1
	s_and_saveexec_b64 s[30:31], vcc
; %bb.420:
	s_xor_b64 s[0:1], exec, -1
; %bb.421:
	s_or_b64 exec, exec, s[30:31]
	s_and_b64 s[0:1], s[0:1], exec
.LBB134_422:
	s_or_saveexec_b64 s[26:27], s[26:27]
	v_bfrev_b32_e32 v2, 4
	v_mov_b32_e32 v3, 0x7ff80000
	s_xor_b64 exec, exec, s[26:27]
; %bb.423:
	v_cmp_ne_u16_e32 vcc, 0, v4
	v_mov_b32_e32 v2, 0
	s_andn2_b64 s[0:1], s[0:1], exec
	s_and_b64 s[30:31], vcc, exec
	v_mov_b32_e32 v3, 0
	s_or_b64 s[0:1], s[0:1], s[30:31]
; %bb.424:
	s_or_b64 exec, exec, s[26:27]
	s_and_saveexec_b64 s[26:27], s[0:1]
	s_cbranch_execz .LBB134_426
; %bb.425:
	v_and_b32_e32 v3, 0xffff, v4
	v_lshlrev_b32_e32 v2, 24, v4
	v_and_b32_e32 v4, 7, v3
	v_ffbh_u32_e32 v6, v4
	v_min_u32_e32 v6, 32, v6
	v_subrev_u32_e32 v7, 28, v6
	v_bfe_u32 v5, v3, 3, 4
	v_lshlrev_b32_e32 v3, v7, v3
	v_sub_u32_e32 v6, 29, v6
	v_and_b32_e32 v3, 7, v3
	v_cmp_eq_u32_e32 vcc, 0, v5
	v_cndmask_b32_e32 v5, v5, v6, vcc
	v_cndmask_b32_e32 v3, v4, v3, vcc
	v_mov_b32_e32 v4, 0x3b800000
	v_lshlrev_b32_e32 v3, 20, v3
	v_and_b32_e32 v2, 0x80000000, v2
	v_lshl_add_u32 v4, v5, 23, v4
	v_or3_b32 v2, v2, v4, v3
	v_cvt_f64_f32_e32 v[2:3], v2
.LBB134_426:
	s_or_b64 exec, exec, s[26:27]
.LBB134_427:
	s_mov_b64 s[0:1], -1
.LBB134_428:
	s_mov_b64 s[26:27], 0
.LBB134_429:
	s_and_b64 vcc, exec, s[26:27]
	s_cbranch_vccz .LBB134_462
; %bb.430:
	s_cmp_gt_i32 s34, 22
	s_cbranch_scc0 .LBB134_442
; %bb.431:
	s_cmp_lt_i32 s34, 24
	s_cbranch_scc1 .LBB134_443
; %bb.432:
	s_cmp_gt_i32 s34, 24
	s_cbranch_scc0 .LBB134_444
; %bb.433:
	global_load_ubyte v4, v[0:1], off
	s_movk_i32 s0, 0x7f
	s_waitcnt vmcnt(0)
	v_cmp_lt_i16_e32 vcc, s0, v4
	s_mov_b64 s[0:1], 0
	s_and_saveexec_b64 s[26:27], vcc
	s_xor_b64 s[26:27], exec, s[26:27]
	s_cbranch_execz .LBB134_437
; %bb.434:
	s_movk_i32 s0, 0x80
	v_cmp_eq_u16_e32 vcc, s0, v4
	s_mov_b64 s[0:1], -1
	s_and_saveexec_b64 s[30:31], vcc
; %bb.435:
	s_xor_b64 s[0:1], exec, -1
; %bb.436:
	s_or_b64 exec, exec, s[30:31]
	s_and_b64 s[0:1], s[0:1], exec
.LBB134_437:
	s_or_saveexec_b64 s[26:27], s[26:27]
	v_bfrev_b32_e32 v2, 4
	v_mov_b32_e32 v3, 0x7ff80000
	s_xor_b64 exec, exec, s[26:27]
; %bb.438:
	v_cmp_ne_u16_e32 vcc, 0, v4
	v_mov_b32_e32 v2, 0
	s_andn2_b64 s[0:1], s[0:1], exec
	s_and_b64 s[30:31], vcc, exec
	v_mov_b32_e32 v3, 0
	s_or_b64 s[0:1], s[0:1], s[30:31]
; %bb.439:
	s_or_b64 exec, exec, s[26:27]
	s_and_saveexec_b64 s[26:27], s[0:1]
	s_cbranch_execz .LBB134_441
; %bb.440:
	v_and_b32_e32 v3, 0xffff, v4
	v_lshlrev_b32_e32 v2, 24, v4
	v_and_b32_e32 v4, 3, v3
	v_ffbh_u32_e32 v6, v4
	v_min_u32_e32 v6, 32, v6
	v_subrev_u32_e32 v7, 29, v6
	v_bfe_u32 v5, v3, 2, 5
	v_lshlrev_b32_e32 v3, v7, v3
	v_sub_u32_e32 v6, 30, v6
	v_and_b32_e32 v3, 3, v3
	v_cmp_eq_u32_e32 vcc, 0, v5
	v_cndmask_b32_e32 v5, v5, v6, vcc
	v_cndmask_b32_e32 v3, v4, v3, vcc
	v_mov_b32_e32 v4, 0x37800000
	v_lshlrev_b32_e32 v3, 21, v3
	v_and_b32_e32 v2, 0x80000000, v2
	v_lshl_add_u32 v4, v5, 23, v4
	v_or3_b32 v2, v2, v4, v3
	v_cvt_f64_f32_e32 v[2:3], v2
.LBB134_441:
	s_or_b64 exec, exec, s[26:27]
	s_mov_b64 s[0:1], 0
	s_branch .LBB134_445
.LBB134_442:
	s_mov_b64 s[26:27], -1
                                        ; implicit-def: $vgpr2_vgpr3
	s_branch .LBB134_451
.LBB134_443:
	s_mov_b64 s[0:1], -1
                                        ; implicit-def: $vgpr2_vgpr3
	s_branch .LBB134_448
.LBB134_444:
	s_mov_b64 s[0:1], -1
                                        ; implicit-def: $vgpr2_vgpr3
.LBB134_445:
	s_and_b64 vcc, exec, s[0:1]
	s_cbranch_vccz .LBB134_447
; %bb.446:
	global_load_ubyte v2, v[0:1], off
	s_mov_b32 s0, 0x7f800000
	s_waitcnt vmcnt(0)
	v_lshlrev_b32_e32 v2, 24, v2
	v_and_b32_e32 v3, 0x7f000000, v2
	v_ffbh_u32_e32 v4, v3
	v_min_u32_e32 v4, 32, v4
	v_sub_u32_e64 v4, v4, 4 clamp
	v_lshlrev_b32_e32 v6, v4, v3
	v_lshlrev_b32_e32 v4, 23, v4
	v_lshrrev_b32_e32 v6, 4, v6
	v_add_u32_e32 v5, 0x1000000, v3
	v_sub_u32_e32 v4, v6, v4
	v_ashrrev_i32_e32 v5, 8, v5
	v_add_u32_e32 v4, 0x3c000000, v4
	v_and_or_b32 v4, v5, s0, v4
	v_cmp_ne_u32_e32 vcc, 0, v3
	v_cndmask_b32_e32 v3, 0, v4, vcc
	s_brev_b32 s0, 1
	v_and_or_b32 v2, v2, s0, v3
	v_cvt_f64_f32_e32 v[2:3], v2
.LBB134_447:
	s_mov_b64 s[0:1], 0
.LBB134_448:
	s_andn2_b64 vcc, exec, s[0:1]
	s_cbranch_vccnz .LBB134_450
; %bb.449:
	global_load_ubyte v2, v[0:1], off
	s_movk_i32 s0, 0x7f00
	s_brev_b32 s1, 16
	s_waitcnt vmcnt(0)
	v_lshlrev_b16_e32 v3, 8, v2
	v_lshlrev_b32_e32 v2, 25, v2
	v_lshrrev_b32_e32 v4, 4, v2
	v_and_or_b32 v5, v3, s0, 0.5
	v_or_b32_e32 v4, 0x70000000, v4
	v_add_f32_e32 v5, -0.5, v5
	v_mul_f32_e32 v4, 0x7800000, v4
	v_cmp_gt_u32_e32 vcc, s1, v2
	v_bfe_i32 v3, v3, 0, 16
	v_cndmask_b32_e32 v2, v4, v5, vcc
	s_brev_b32 s0, 1
	v_and_or_b32 v2, v3, s0, v2
	v_cvt_f64_f32_e32 v[2:3], v2
.LBB134_450:
	s_mov_b64 s[26:27], 0
	s_mov_b64 s[0:1], -1
.LBB134_451:
	s_andn2_b64 vcc, exec, s[26:27]
	s_cbranch_vccnz .LBB134_462
; %bb.452:
	s_cmp_gt_i32 s34, 14
	s_cbranch_scc0 .LBB134_455
; %bb.453:
	s_cmp_eq_u32 s34, 15
	s_cbranch_scc0 .LBB134_456
; %bb.454:
	global_load_ushort v2, v[0:1], off
	s_mov_b64 s[0:1], -1
	s_mov_b64 s[24:25], 0
	s_waitcnt vmcnt(0)
	v_lshlrev_b32_e32 v2, 16, v2
	v_cvt_f64_f32_e32 v[2:3], v2
	s_branch .LBB134_457
.LBB134_455:
	s_mov_b64 s[26:27], -1
                                        ; implicit-def: $vgpr2_vgpr3
	s_branch .LBB134_458
.LBB134_456:
	s_mov_b64 s[24:25], -1
                                        ; implicit-def: $vgpr2_vgpr3
.LBB134_457:
	s_mov_b64 s[26:27], 0
.LBB134_458:
	s_and_b64 vcc, exec, s[26:27]
	s_cbranch_vccz .LBB134_462
; %bb.459:
	s_cmp_eq_u32 s34, 11
	s_cbranch_scc0 .LBB134_461
; %bb.460:
	global_load_ubyte v3, v[0:1], off
	v_mov_b32_e32 v4, 0x3ff00000
	v_mov_b32_e32 v2, 0
	s_mov_b64 s[0:1], -1
	s_mov_b64 s[24:25], 0
	s_waitcnt vmcnt(0)
	v_cmp_ne_u16_e32 vcc, 0, v3
	v_cndmask_b32_e32 v3, 0, v4, vcc
	s_branch .LBB134_462
.LBB134_461:
	s_mov_b64 s[24:25], -1
                                        ; implicit-def: $vgpr2_vgpr3
.LBB134_462:
	s_branch .LBB134_265
.LBB134_463:
	s_cmp_lt_i32 s34, 5
	s_cbranch_scc1 .LBB134_468
; %bb.464:
	s_cmp_lt_i32 s34, 8
	s_cbranch_scc1 .LBB134_469
; %bb.465:
	;; [unrolled: 3-line block ×3, first 2 shown]
	s_cmp_gt_i32 s34, 9
	s_cbranch_scc0 .LBB134_471
; %bb.467:
	global_load_dwordx2 v[2:3], v[0:1], off
	s_mov_b64 s[0:1], 0
	s_branch .LBB134_472
.LBB134_468:
	s_mov_b64 s[0:1], -1
                                        ; implicit-def: $vgpr2_vgpr3
	s_branch .LBB134_490
.LBB134_469:
	s_mov_b64 s[0:1], -1
                                        ; implicit-def: $vgpr2_vgpr3
	s_branch .LBB134_478
.LBB134_470:
	s_mov_b64 s[0:1], -1
                                        ; implicit-def: $vgpr2_vgpr3
	s_branch .LBB134_475
.LBB134_471:
	s_mov_b64 s[0:1], -1
                                        ; implicit-def: $vgpr2_vgpr3
.LBB134_472:
	s_andn2_b64 vcc, exec, s[0:1]
	s_cbranch_vccnz .LBB134_474
; %bb.473:
	global_load_dword v2, v[0:1], off
	s_waitcnt vmcnt(0)
	v_cvt_f64_f32_e32 v[2:3], v2
.LBB134_474:
	s_mov_b64 s[0:1], 0
.LBB134_475:
	s_andn2_b64 vcc, exec, s[0:1]
	s_cbranch_vccnz .LBB134_477
; %bb.476:
	global_load_dword v2, v[0:1], off
	s_waitcnt vmcnt(0)
	v_cvt_f32_f16_e32 v2, v2
	v_cvt_f64_f32_e32 v[2:3], v2
.LBB134_477:
	s_mov_b64 s[0:1], 0
.LBB134_478:
	s_andn2_b64 vcc, exec, s[0:1]
	s_cbranch_vccnz .LBB134_489
; %bb.479:
	s_cmp_lt_i32 s34, 6
	s_cbranch_scc1 .LBB134_482
; %bb.480:
	s_cmp_gt_i32 s34, 6
	s_cbranch_scc0 .LBB134_483
; %bb.481:
	global_load_dwordx2 v[2:3], v[0:1], off
	s_mov_b64 s[0:1], 0
	s_branch .LBB134_484
.LBB134_482:
	s_mov_b64 s[0:1], -1
                                        ; implicit-def: $vgpr2_vgpr3
	s_branch .LBB134_487
.LBB134_483:
	s_mov_b64 s[0:1], -1
                                        ; implicit-def: $vgpr2_vgpr3
.LBB134_484:
	s_andn2_b64 vcc, exec, s[0:1]
	s_cbranch_vccnz .LBB134_486
; %bb.485:
	global_load_dword v2, v[0:1], off
	s_waitcnt vmcnt(0)
	v_cvt_f64_f32_e32 v[2:3], v2
.LBB134_486:
	s_mov_b64 s[0:1], 0
.LBB134_487:
	s_andn2_b64 vcc, exec, s[0:1]
	s_cbranch_vccnz .LBB134_489
; %bb.488:
	global_load_ushort v2, v[0:1], off
	s_waitcnt vmcnt(0)
	v_cvt_f32_f16_e32 v2, v2
	v_cvt_f64_f32_e32 v[2:3], v2
.LBB134_489:
	s_mov_b64 s[0:1], 0
.LBB134_490:
	s_andn2_b64 vcc, exec, s[0:1]
	s_cbranch_vccnz .LBB134_510
; %bb.491:
	s_cmp_lt_i32 s34, 2
	s_cbranch_scc1 .LBB134_495
; %bb.492:
	s_cmp_lt_i32 s34, 3
	s_cbranch_scc1 .LBB134_496
; %bb.493:
	s_cmp_gt_i32 s34, 3
	s_cbranch_scc0 .LBB134_497
; %bb.494:
	global_load_dwordx2 v[2:3], v[0:1], off
	s_mov_b64 s[0:1], 0
	s_waitcnt vmcnt(0)
	v_cvt_f64_i32_e32 v[3:4], v3
	v_cvt_f64_u32_e32 v[5:6], v2
	v_ldexp_f64 v[3:4], v[3:4], 32
	v_add_f64 v[2:3], v[3:4], v[5:6]
	s_branch .LBB134_498
.LBB134_495:
	s_mov_b64 s[0:1], -1
                                        ; implicit-def: $vgpr2_vgpr3
	s_branch .LBB134_504
.LBB134_496:
	s_mov_b64 s[0:1], -1
                                        ; implicit-def: $vgpr2_vgpr3
	s_branch .LBB134_501
.LBB134_497:
	s_mov_b64 s[0:1], -1
                                        ; implicit-def: $vgpr2_vgpr3
.LBB134_498:
	s_andn2_b64 vcc, exec, s[0:1]
	s_cbranch_vccnz .LBB134_500
; %bb.499:
	global_load_dword v2, v[0:1], off
	s_waitcnt vmcnt(0)
	v_cvt_f64_i32_e32 v[2:3], v2
.LBB134_500:
	s_mov_b64 s[0:1], 0
.LBB134_501:
	s_andn2_b64 vcc, exec, s[0:1]
	s_cbranch_vccnz .LBB134_503
; %bb.502:
	global_load_sshort v2, v[0:1], off
	s_waitcnt vmcnt(0)
	v_cvt_f64_i32_e32 v[2:3], v2
.LBB134_503:
	s_mov_b64 s[0:1], 0
.LBB134_504:
	s_andn2_b64 vcc, exec, s[0:1]
	s_cbranch_vccnz .LBB134_510
; %bb.505:
	s_cmp_gt_i32 s34, 0
	s_cbranch_scc0 .LBB134_507
; %bb.506:
	global_load_sbyte v2, v[0:1], off
	s_mov_b64 s[0:1], 0
	s_waitcnt vmcnt(0)
	v_cvt_f64_i32_e32 v[2:3], v2
	s_branch .LBB134_508
.LBB134_507:
	s_mov_b64 s[0:1], -1
                                        ; implicit-def: $vgpr2_vgpr3
.LBB134_508:
	s_andn2_b64 vcc, exec, s[0:1]
	s_cbranch_vccnz .LBB134_510
; %bb.509:
	global_load_ubyte v0, v[0:1], off
	s_waitcnt vmcnt(0)
	v_cvt_f64_u32_e32 v[2:3], v0
.LBB134_510:
	s_branch .LBB134_266
.LBB134_511:
	s_mov_b64 s[30:31], 0
                                        ; implicit-def: $vgpr10
	s_mov_b64 s[0:1], s[18:19]
.LBB134_512:
	s_andn2_b64 s[26:27], s[18:19], exec
	s_and_b64 s[0:1], s[0:1], exec
	s_or_b64 s[26:27], s[26:27], s[0:1]
	s_andn2_b64 s[0:1], s[20:21], exec
	s_and_b64 s[24:25], s[24:25], exec
	s_or_b64 s[24:25], s[0:1], s[24:25]
	s_orn2_b64 s[0:1], s[30:31], exec
.LBB134_513:
	s_or_b64 exec, exec, s[28:29]
	s_mov_b64 s[30:31], 0
	s_mov_b64 s[34:35], 0
	;; [unrolled: 1-line block ×3, first 2 shown]
                                        ; implicit-def: $vgpr0_vgpr1
                                        ; implicit-def: $vgpr2_vgpr3
	s_and_saveexec_b64 s[28:29], s[0:1]
	s_cbranch_execz .LBB134_858
; %bb.514:
	v_cmp_gt_i32_e32 vcc, s44, v10
	s_mov_b64 s[40:41], -1
	s_mov_b64 s[0:1], s[24:25]
	s_mov_b64 s[36:37], s[26:27]
	s_and_saveexec_b64 s[30:31], vcc
	s_cbranch_execz .LBB134_772
; %bb.515:
	v_mul_lo_u32 v0, v10, s17
	v_mov_b32_e32 v1, s11
	s_and_b32 s40, 0xffff, s48
	s_cmp_lt_i32 s40, 11
	s_waitcnt vmcnt(0)
	v_ashrrev_i32_e32 v2, 31, v0
	v_add_co_u32_e32 v0, vcc, s10, v0
	v_addc_co_u32_e32 v1, vcc, v1, v2, vcc
	s_cbranch_scc1 .LBB134_522
; %bb.516:
	s_cmp_gt_i32 s40, 25
	s_cbranch_scc0 .LBB134_523
; %bb.517:
	s_cmp_gt_i32 s40, 28
	s_cbranch_scc0 .LBB134_524
	;; [unrolled: 3-line block ×4, first 2 shown]
; %bb.520:
	s_cmp_eq_u32 s40, 46
	s_mov_b64 s[36:37], 0
	s_cbranch_scc0 .LBB134_531
; %bb.521:
	global_load_dword v2, v[0:1], off
	s_mov_b64 s[0:1], -1
	s_waitcnt vmcnt(0)
	v_lshlrev_b32_e32 v2, 16, v2
	v_cvt_f64_f32_e32 v[2:3], v2
	s_branch .LBB134_532
.LBB134_522:
	s_mov_b64 s[36:37], -1
	s_mov_b64 s[0:1], 0
                                        ; implicit-def: $vgpr2_vgpr3
	s_mov_b64 s[34:35], s[24:25]
	s_branch .LBB134_597
.LBB134_523:
	s_mov_b64 s[36:37], -1
	s_mov_b64 s[0:1], 0
	s_mov_b64 s[34:35], s[24:25]
                                        ; implicit-def: $vgpr2_vgpr3
	s_branch .LBB134_563
.LBB134_524:
	s_mov_b64 s[36:37], -1
	s_mov_b64 s[0:1], 0
	s_mov_b64 s[34:35], s[24:25]
                                        ; implicit-def: $vgpr2_vgpr3
	s_branch .LBB134_542
.LBB134_525:
	s_mov_b64 s[36:37], -1
	s_mov_b64 s[0:1], 0
	s_mov_b64 s[34:35], s[24:25]
                                        ; implicit-def: $vgpr2_vgpr3
	s_branch .LBB134_537
.LBB134_526:
	s_andn2_saveexec_b64 s[34:35], s[34:35]
	s_cbranch_execz .LBB134_311
.LBB134_527:
	s_mov_b32 s38, 0x46000000
	v_add_f32_e64 v3, |v2|, s38
	v_and_b32_e32 v3, 0xff, v3
	v_cmp_ne_u32_e32 vcc, 0, v3
	s_andn2_b64 s[30:31], s[30:31], exec
	s_and_b64 s[38:39], vcc, exec
	s_or_b64 s[30:31], s[30:31], s[38:39]
	s_or_b64 exec, exec, s[34:35]
	v_mov_b32_e32 v6, 0
	s_and_saveexec_b64 s[34:35], s[30:31]
	s_cbranch_execnz .LBB134_312
	s_branch .LBB134_313
.LBB134_528:
	s_mov_b64 s[36:37], -1
	s_mov_b64 s[0:1], 0
	s_mov_b64 s[34:35], s[24:25]
                                        ; implicit-def: $vgpr2_vgpr3
	s_branch .LBB134_532
.LBB134_529:
	s_andn2_saveexec_b64 s[34:35], s[34:35]
	s_cbranch_execz .LBB134_324
.LBB134_530:
	s_mov_b32 s38, 0x42800000
	v_add_f32_e64 v3, |v2|, s38
	v_and_b32_e32 v3, 0xff, v3
	v_cmp_ne_u32_e32 vcc, 0, v3
	s_andn2_b64 s[30:31], s[30:31], exec
	s_and_b64 s[38:39], vcc, exec
	s_or_b64 s[30:31], s[30:31], s[38:39]
	s_or_b64 exec, exec, s[34:35]
	v_mov_b32_e32 v6, 0
	s_and_saveexec_b64 s[34:35], s[30:31]
	s_cbranch_execnz .LBB134_325
	s_branch .LBB134_326
.LBB134_531:
	s_mov_b64 s[34:35], -1
                                        ; implicit-def: $vgpr2_vgpr3
	s_mov_b64 s[0:1], 0
.LBB134_532:
	s_and_b64 vcc, exec, s[36:37]
	s_cbranch_vccz .LBB134_536
; %bb.533:
	s_cmp_eq_u32 s40, 44
	s_cbranch_scc0 .LBB134_535
; %bb.534:
	global_load_ubyte v4, v[0:1], off
	s_movk_i32 s34, 0xff
	v_bfrev_b32_e32 v5, 4
	v_mov_b32_e32 v6, 0x7ff80000
	v_bfrev_b32_e32 v7, 28
	s_mov_b64 s[0:1], -1
	s_waitcnt vmcnt(0)
	v_lshlrev_b32_e32 v2, 23, v4
	v_cvt_f64_f32_e32 v[2:3], v2
	v_cmp_ne_u32_e32 vcc, s34, v4
	s_mov_b64 s[34:35], 0
	v_cndmask_b32_e32 v2, v5, v2, vcc
	v_cndmask_b32_e32 v3, v6, v3, vcc
	v_cmp_ne_u32_e32 vcc, 0, v4
	v_cndmask_b32_e32 v3, v7, v3, vcc
	v_cndmask_b32_e32 v2, 0, v2, vcc
	s_branch .LBB134_536
.LBB134_535:
	s_mov_b64 s[34:35], -1
                                        ; implicit-def: $vgpr2_vgpr3
.LBB134_536:
	s_mov_b64 s[36:37], 0
.LBB134_537:
	s_and_b64 vcc, exec, s[36:37]
	s_cbranch_vccz .LBB134_541
; %bb.538:
	s_cmp_eq_u32 s40, 29
	s_cbranch_scc0 .LBB134_540
; %bb.539:
	global_load_dwordx2 v[2:3], v[0:1], off
	s_mov_b64 s[0:1], -1
	s_mov_b64 s[34:35], 0
	s_mov_b64 s[36:37], 0
	s_waitcnt vmcnt(0)
	v_cvt_f64_u32_e32 v[3:4], v3
	v_cvt_f64_u32_e32 v[5:6], v2
	v_ldexp_f64 v[3:4], v[3:4], 32
	v_add_f64 v[2:3], v[3:4], v[5:6]
	s_branch .LBB134_542
.LBB134_540:
	s_mov_b64 s[34:35], -1
                                        ; implicit-def: $vgpr2_vgpr3
.LBB134_541:
	s_mov_b64 s[36:37], 0
.LBB134_542:
	s_and_b64 vcc, exec, s[36:37]
	s_cbranch_vccz .LBB134_562
; %bb.543:
	s_cmp_lt_i32 s40, 27
	s_cbranch_scc1 .LBB134_546
; %bb.544:
	s_cmp_gt_i32 s40, 27
	s_cbranch_scc0 .LBB134_547
; %bb.545:
	global_load_dword v2, v[0:1], off
	s_mov_b64 s[0:1], 0
	s_waitcnt vmcnt(0)
	v_cvt_f64_u32_e32 v[2:3], v2
	s_branch .LBB134_548
.LBB134_546:
	s_mov_b64 s[0:1], -1
                                        ; implicit-def: $vgpr2_vgpr3
	s_branch .LBB134_551
.LBB134_547:
	s_mov_b64 s[0:1], -1
                                        ; implicit-def: $vgpr2_vgpr3
.LBB134_548:
	s_andn2_b64 vcc, exec, s[0:1]
	s_cbranch_vccnz .LBB134_550
; %bb.549:
	global_load_ushort v2, v[0:1], off
	s_waitcnt vmcnt(0)
	v_cvt_f64_u32_e32 v[2:3], v2
.LBB134_550:
	s_mov_b64 s[0:1], 0
.LBB134_551:
	s_andn2_b64 vcc, exec, s[0:1]
	s_cbranch_vccnz .LBB134_561
; %bb.552:
	global_load_ubyte v4, v[0:1], off
	s_movk_i32 s0, 0x7f
	s_waitcnt vmcnt(0)
	v_cmp_lt_i16_e32 vcc, s0, v4
	s_mov_b64 s[0:1], 0
	s_and_saveexec_b64 s[36:37], vcc
	s_xor_b64 s[36:37], exec, s[36:37]
	s_cbranch_execz .LBB134_556
; %bb.553:
	s_movk_i32 s0, 0x80
	v_cmp_eq_u16_e32 vcc, s0, v4
	s_mov_b64 s[0:1], -1
	s_and_saveexec_b64 s[38:39], vcc
; %bb.554:
	s_xor_b64 s[0:1], exec, -1
; %bb.555:
	s_or_b64 exec, exec, s[38:39]
	s_and_b64 s[0:1], s[0:1], exec
.LBB134_556:
	s_or_saveexec_b64 s[36:37], s[36:37]
	v_bfrev_b32_e32 v2, 4
	v_mov_b32_e32 v3, 0x7ff80000
	s_xor_b64 exec, exec, s[36:37]
; %bb.557:
	v_cmp_ne_u16_e32 vcc, 0, v4
	v_mov_b32_e32 v2, 0
	s_andn2_b64 s[0:1], s[0:1], exec
	s_and_b64 s[38:39], vcc, exec
	v_mov_b32_e32 v3, 0
	s_or_b64 s[0:1], s[0:1], s[38:39]
; %bb.558:
	s_or_b64 exec, exec, s[36:37]
	s_and_saveexec_b64 s[36:37], s[0:1]
	s_cbranch_execz .LBB134_560
; %bb.559:
	v_and_b32_e32 v3, 0xffff, v4
	v_lshlrev_b32_e32 v2, 24, v4
	v_and_b32_e32 v4, 7, v3
	v_ffbh_u32_e32 v6, v4
	v_min_u32_e32 v6, 32, v6
	v_subrev_u32_e32 v7, 28, v6
	v_bfe_u32 v5, v3, 3, 4
	v_lshlrev_b32_e32 v3, v7, v3
	v_sub_u32_e32 v6, 29, v6
	v_and_b32_e32 v3, 7, v3
	v_cmp_eq_u32_e32 vcc, 0, v5
	v_cndmask_b32_e32 v5, v5, v6, vcc
	v_cndmask_b32_e32 v3, v4, v3, vcc
	v_mov_b32_e32 v4, 0x3b800000
	v_lshlrev_b32_e32 v3, 20, v3
	v_and_b32_e32 v2, 0x80000000, v2
	v_lshl_add_u32 v4, v5, 23, v4
	v_or3_b32 v2, v2, v4, v3
	v_cvt_f64_f32_e32 v[2:3], v2
.LBB134_560:
	s_or_b64 exec, exec, s[36:37]
.LBB134_561:
	s_mov_b64 s[0:1], -1
.LBB134_562:
	s_mov_b64 s[36:37], 0
.LBB134_563:
	s_and_b64 vcc, exec, s[36:37]
	s_cbranch_vccz .LBB134_596
; %bb.564:
	s_cmp_gt_i32 s40, 22
	s_cbranch_scc0 .LBB134_576
; %bb.565:
	s_cmp_lt_i32 s40, 24
	s_cbranch_scc1 .LBB134_577
; %bb.566:
	s_cmp_gt_i32 s40, 24
	s_cbranch_scc0 .LBB134_578
; %bb.567:
	global_load_ubyte v4, v[0:1], off
	s_movk_i32 s0, 0x7f
	s_waitcnt vmcnt(0)
	v_cmp_lt_i16_e32 vcc, s0, v4
	s_mov_b64 s[0:1], 0
	s_and_saveexec_b64 s[36:37], vcc
	s_xor_b64 s[36:37], exec, s[36:37]
	s_cbranch_execz .LBB134_571
; %bb.568:
	s_movk_i32 s0, 0x80
	v_cmp_eq_u16_e32 vcc, s0, v4
	s_mov_b64 s[0:1], -1
	s_and_saveexec_b64 s[38:39], vcc
; %bb.569:
	s_xor_b64 s[0:1], exec, -1
; %bb.570:
	s_or_b64 exec, exec, s[38:39]
	s_and_b64 s[0:1], s[0:1], exec
.LBB134_571:
	s_or_saveexec_b64 s[36:37], s[36:37]
	v_bfrev_b32_e32 v2, 4
	v_mov_b32_e32 v3, 0x7ff80000
	s_xor_b64 exec, exec, s[36:37]
; %bb.572:
	v_cmp_ne_u16_e32 vcc, 0, v4
	v_mov_b32_e32 v2, 0
	s_andn2_b64 s[0:1], s[0:1], exec
	s_and_b64 s[38:39], vcc, exec
	v_mov_b32_e32 v3, 0
	s_or_b64 s[0:1], s[0:1], s[38:39]
; %bb.573:
	s_or_b64 exec, exec, s[36:37]
	s_and_saveexec_b64 s[36:37], s[0:1]
	s_cbranch_execz .LBB134_575
; %bb.574:
	v_and_b32_e32 v3, 0xffff, v4
	v_lshlrev_b32_e32 v2, 24, v4
	v_and_b32_e32 v4, 3, v3
	v_ffbh_u32_e32 v6, v4
	v_min_u32_e32 v6, 32, v6
	v_subrev_u32_e32 v7, 29, v6
	v_bfe_u32 v5, v3, 2, 5
	v_lshlrev_b32_e32 v3, v7, v3
	v_sub_u32_e32 v6, 30, v6
	v_and_b32_e32 v3, 3, v3
	v_cmp_eq_u32_e32 vcc, 0, v5
	v_cndmask_b32_e32 v5, v5, v6, vcc
	v_cndmask_b32_e32 v3, v4, v3, vcc
	v_mov_b32_e32 v4, 0x37800000
	v_lshlrev_b32_e32 v3, 21, v3
	v_and_b32_e32 v2, 0x80000000, v2
	v_lshl_add_u32 v4, v5, 23, v4
	v_or3_b32 v2, v2, v4, v3
	v_cvt_f64_f32_e32 v[2:3], v2
.LBB134_575:
	s_or_b64 exec, exec, s[36:37]
	s_mov_b64 s[0:1], 0
	s_branch .LBB134_579
.LBB134_576:
	s_mov_b64 s[36:37], -1
                                        ; implicit-def: $vgpr2_vgpr3
	s_branch .LBB134_585
.LBB134_577:
	s_mov_b64 s[0:1], -1
                                        ; implicit-def: $vgpr2_vgpr3
	s_branch .LBB134_582
.LBB134_578:
	s_mov_b64 s[0:1], -1
                                        ; implicit-def: $vgpr2_vgpr3
.LBB134_579:
	s_and_b64 vcc, exec, s[0:1]
	s_cbranch_vccz .LBB134_581
; %bb.580:
	global_load_ubyte v2, v[0:1], off
	s_mov_b32 s0, 0x7f800000
	s_waitcnt vmcnt(0)
	v_lshlrev_b32_e32 v2, 24, v2
	v_and_b32_e32 v3, 0x7f000000, v2
	v_ffbh_u32_e32 v4, v3
	v_min_u32_e32 v4, 32, v4
	v_sub_u32_e64 v4, v4, 4 clamp
	v_lshlrev_b32_e32 v6, v4, v3
	v_lshlrev_b32_e32 v4, 23, v4
	v_lshrrev_b32_e32 v6, 4, v6
	v_add_u32_e32 v5, 0x1000000, v3
	v_sub_u32_e32 v4, v6, v4
	v_ashrrev_i32_e32 v5, 8, v5
	v_add_u32_e32 v4, 0x3c000000, v4
	v_and_or_b32 v4, v5, s0, v4
	v_cmp_ne_u32_e32 vcc, 0, v3
	v_cndmask_b32_e32 v3, 0, v4, vcc
	s_brev_b32 s0, 1
	v_and_or_b32 v2, v2, s0, v3
	v_cvt_f64_f32_e32 v[2:3], v2
.LBB134_581:
	s_mov_b64 s[0:1], 0
.LBB134_582:
	s_andn2_b64 vcc, exec, s[0:1]
	s_cbranch_vccnz .LBB134_584
; %bb.583:
	global_load_ubyte v2, v[0:1], off
	s_movk_i32 s0, 0x7f00
	s_brev_b32 s1, 16
	s_waitcnt vmcnt(0)
	v_lshlrev_b16_e32 v3, 8, v2
	v_lshlrev_b32_e32 v2, 25, v2
	v_lshrrev_b32_e32 v4, 4, v2
	v_and_or_b32 v5, v3, s0, 0.5
	v_or_b32_e32 v4, 0x70000000, v4
	v_add_f32_e32 v5, -0.5, v5
	v_mul_f32_e32 v4, 0x7800000, v4
	v_cmp_gt_u32_e32 vcc, s1, v2
	v_bfe_i32 v3, v3, 0, 16
	v_cndmask_b32_e32 v2, v4, v5, vcc
	s_brev_b32 s0, 1
	v_and_or_b32 v2, v3, s0, v2
	v_cvt_f64_f32_e32 v[2:3], v2
.LBB134_584:
	s_mov_b64 s[36:37], 0
	s_mov_b64 s[0:1], -1
.LBB134_585:
	s_andn2_b64 vcc, exec, s[36:37]
	s_cbranch_vccnz .LBB134_596
; %bb.586:
	s_cmp_gt_i32 s40, 14
	s_cbranch_scc0 .LBB134_589
; %bb.587:
	s_cmp_eq_u32 s40, 15
	s_cbranch_scc0 .LBB134_590
; %bb.588:
	global_load_ushort v2, v[0:1], off
	s_mov_b64 s[0:1], -1
	s_mov_b64 s[34:35], 0
	s_waitcnt vmcnt(0)
	v_lshlrev_b32_e32 v2, 16, v2
	v_cvt_f64_f32_e32 v[2:3], v2
	s_branch .LBB134_591
.LBB134_589:
	s_mov_b64 s[36:37], -1
                                        ; implicit-def: $vgpr2_vgpr3
	s_branch .LBB134_592
.LBB134_590:
	s_mov_b64 s[34:35], -1
                                        ; implicit-def: $vgpr2_vgpr3
.LBB134_591:
	s_mov_b64 s[36:37], 0
.LBB134_592:
	s_and_b64 vcc, exec, s[36:37]
	s_cbranch_vccz .LBB134_596
; %bb.593:
	s_cmp_eq_u32 s40, 11
	s_cbranch_scc0 .LBB134_595
; %bb.594:
	global_load_ubyte v3, v[0:1], off
	v_mov_b32_e32 v4, 0x3ff00000
	v_mov_b32_e32 v2, 0
	s_mov_b64 s[0:1], -1
	s_mov_b64 s[34:35], 0
	s_waitcnt vmcnt(0)
	v_cmp_ne_u16_e32 vcc, 0, v3
	v_cndmask_b32_e32 v3, 0, v4, vcc
	s_branch .LBB134_596
.LBB134_595:
	s_mov_b64 s[34:35], -1
                                        ; implicit-def: $vgpr2_vgpr3
.LBB134_596:
	s_mov_b64 s[36:37], 0
.LBB134_597:
	s_and_b64 vcc, exec, s[36:37]
	s_cbranch_vccz .LBB134_646
; %bb.598:
	s_cmp_lt_i32 s40, 5
	s_cbranch_scc1 .LBB134_603
; %bb.599:
	s_cmp_lt_i32 s40, 8
	s_cbranch_scc1 .LBB134_604
	;; [unrolled: 3-line block ×3, first 2 shown]
; %bb.601:
	s_cmp_gt_i32 s40, 9
	s_cbranch_scc0 .LBB134_606
; %bb.602:
	global_load_dwordx2 v[2:3], v[0:1], off
	s_mov_b64 s[0:1], 0
	s_branch .LBB134_607
.LBB134_603:
	s_mov_b64 s[0:1], -1
                                        ; implicit-def: $vgpr2_vgpr3
	s_branch .LBB134_625
.LBB134_604:
	s_mov_b64 s[0:1], -1
                                        ; implicit-def: $vgpr2_vgpr3
	s_branch .LBB134_613
.LBB134_605:
	s_mov_b64 s[0:1], -1
                                        ; implicit-def: $vgpr2_vgpr3
	s_branch .LBB134_610
.LBB134_606:
	s_mov_b64 s[0:1], -1
                                        ; implicit-def: $vgpr2_vgpr3
.LBB134_607:
	s_andn2_b64 vcc, exec, s[0:1]
	s_cbranch_vccnz .LBB134_609
; %bb.608:
	global_load_dword v2, v[0:1], off
	s_waitcnt vmcnt(0)
	v_cvt_f64_f32_e32 v[2:3], v2
.LBB134_609:
	s_mov_b64 s[0:1], 0
.LBB134_610:
	s_andn2_b64 vcc, exec, s[0:1]
	s_cbranch_vccnz .LBB134_612
; %bb.611:
	global_load_dword v2, v[0:1], off
	s_waitcnt vmcnt(0)
	v_cvt_f32_f16_e32 v2, v2
	v_cvt_f64_f32_e32 v[2:3], v2
.LBB134_612:
	s_mov_b64 s[0:1], 0
.LBB134_613:
	s_andn2_b64 vcc, exec, s[0:1]
	s_cbranch_vccnz .LBB134_624
; %bb.614:
	s_cmp_lt_i32 s40, 6
	s_cbranch_scc1 .LBB134_617
; %bb.615:
	s_cmp_gt_i32 s40, 6
	s_cbranch_scc0 .LBB134_618
; %bb.616:
	global_load_dwordx2 v[2:3], v[0:1], off
	s_mov_b64 s[0:1], 0
	s_branch .LBB134_619
.LBB134_617:
	s_mov_b64 s[0:1], -1
                                        ; implicit-def: $vgpr2_vgpr3
	s_branch .LBB134_622
.LBB134_618:
	s_mov_b64 s[0:1], -1
                                        ; implicit-def: $vgpr2_vgpr3
.LBB134_619:
	s_andn2_b64 vcc, exec, s[0:1]
	s_cbranch_vccnz .LBB134_621
; %bb.620:
	global_load_dword v2, v[0:1], off
	s_waitcnt vmcnt(0)
	v_cvt_f64_f32_e32 v[2:3], v2
.LBB134_621:
	s_mov_b64 s[0:1], 0
.LBB134_622:
	s_andn2_b64 vcc, exec, s[0:1]
	s_cbranch_vccnz .LBB134_624
; %bb.623:
	global_load_ushort v2, v[0:1], off
	s_waitcnt vmcnt(0)
	v_cvt_f32_f16_e32 v2, v2
	v_cvt_f64_f32_e32 v[2:3], v2
.LBB134_624:
	s_mov_b64 s[0:1], 0
.LBB134_625:
	s_andn2_b64 vcc, exec, s[0:1]
	s_cbranch_vccnz .LBB134_645
; %bb.626:
	s_cmp_lt_i32 s40, 2
	s_cbranch_scc1 .LBB134_630
; %bb.627:
	s_cmp_lt_i32 s40, 3
	s_cbranch_scc1 .LBB134_631
; %bb.628:
	s_cmp_gt_i32 s40, 3
	s_cbranch_scc0 .LBB134_632
; %bb.629:
	global_load_dwordx2 v[2:3], v[0:1], off
	s_mov_b64 s[0:1], 0
	s_waitcnt vmcnt(0)
	v_cvt_f64_i32_e32 v[3:4], v3
	v_cvt_f64_u32_e32 v[5:6], v2
	v_ldexp_f64 v[3:4], v[3:4], 32
	v_add_f64 v[2:3], v[3:4], v[5:6]
	s_branch .LBB134_633
.LBB134_630:
	s_mov_b64 s[0:1], -1
                                        ; implicit-def: $vgpr2_vgpr3
	s_branch .LBB134_639
.LBB134_631:
	s_mov_b64 s[0:1], -1
                                        ; implicit-def: $vgpr2_vgpr3
	s_branch .LBB134_636
.LBB134_632:
	s_mov_b64 s[0:1], -1
                                        ; implicit-def: $vgpr2_vgpr3
.LBB134_633:
	s_andn2_b64 vcc, exec, s[0:1]
	s_cbranch_vccnz .LBB134_635
; %bb.634:
	global_load_dword v2, v[0:1], off
	s_waitcnt vmcnt(0)
	v_cvt_f64_i32_e32 v[2:3], v2
.LBB134_635:
	s_mov_b64 s[0:1], 0
.LBB134_636:
	s_andn2_b64 vcc, exec, s[0:1]
	s_cbranch_vccnz .LBB134_638
; %bb.637:
	global_load_sshort v2, v[0:1], off
	s_waitcnt vmcnt(0)
	v_cvt_f64_i32_e32 v[2:3], v2
.LBB134_638:
	s_mov_b64 s[0:1], 0
.LBB134_639:
	s_andn2_b64 vcc, exec, s[0:1]
	s_cbranch_vccnz .LBB134_645
; %bb.640:
	s_cmp_gt_i32 s40, 0
	s_cbranch_scc0 .LBB134_642
; %bb.641:
	global_load_sbyte v2, v[0:1], off
	s_mov_b64 s[0:1], 0
	s_waitcnt vmcnt(0)
	v_cvt_f64_i32_e32 v[2:3], v2
	s_branch .LBB134_643
.LBB134_642:
	s_mov_b64 s[0:1], -1
                                        ; implicit-def: $vgpr2_vgpr3
.LBB134_643:
	s_andn2_b64 vcc, exec, s[0:1]
	s_cbranch_vccnz .LBB134_645
; %bb.644:
	global_load_ubyte v0, v[0:1], off
	s_waitcnt vmcnt(0)
	v_cvt_f64_u32_e32 v[2:3], v0
.LBB134_645:
	s_mov_b64 s[0:1], -1
.LBB134_646:
	s_andn2_b64 vcc, exec, s[0:1]
	s_cbranch_vccnz .LBB134_654
; %bb.647:
	s_waitcnt vmcnt(0)
	v_cmp_nge_f64_e32 vcc, s[12:13], v[2:3]
	v_mul_lo_u32 v2, v10, s16
	v_mov_b32_e32 v0, s15
	v_mov_b32_e32 v1, s3
	;; [unrolled: 1-line block ×4, first 2 shown]
	v_ashrrev_i32_e32 v5, 31, v2
	s_and_b32 s42, s33, 0xff
	v_cndmask_b32_e32 v1, v0, v1, vcc
	v_cndmask_b32_e32 v0, v3, v4, vcc
	v_mov_b32_e32 v3, s9
	v_add_co_u32_e32 v4, vcc, s8, v2
	s_cmp_lt_i32 s42, 11
	v_addc_co_u32_e32 v5, vcc, v3, v5, vcc
	s_cbranch_scc1 .LBB134_655
; %bb.648:
	s_and_b32 s43, 0xffff, s42
	s_cmp_gt_i32 s43, 25
	s_cbranch_scc0 .LBB134_656
; %bb.649:
	s_cmp_gt_i32 s43, 28
	s_cbranch_scc0 .LBB134_657
; %bb.650:
	;; [unrolled: 3-line block ×4, first 2 shown]
	s_mov_b64 s[38:39], 0
	s_mov_b64 s[0:1], -1
	s_cmp_eq_u32 s43, 46
	s_mov_b64 s[36:37], 0
	s_cbranch_scc0 .LBB134_660
; %bb.653:
	v_cvt_f32_f64_e32 v2, v[0:1]
	s_movk_i32 s0, 0x7fff
	v_mov_b32_e32 v3, 0x7fc0
	s_mov_b64 s[36:37], -1
	v_bfe_u32 v6, v2, 16, 1
	v_cmp_o_f32_e32 vcc, v2, v2
	v_add3_u32 v2, v2, v6, s0
	v_cndmask_b32_sdwa v2, v3, v2, vcc dst_sel:DWORD dst_unused:UNUSED_PAD src0_sel:DWORD src1_sel:WORD_1
	global_store_dword v[4:5], v2, off
	s_mov_b64 s[0:1], 0
	s_branch .LBB134_660
.LBB134_654:
	s_mov_b64 s[38:39], 0
                                        ; implicit-def: $vgpr10
	s_mov_b64 s[0:1], s[26:27]
	s_branch .LBB134_771
.LBB134_655:
	s_mov_b64 s[38:39], -1
	s_mov_b64 s[36:37], 0
	s_mov_b64 s[0:1], s[26:27]
	s_branch .LBB134_729
.LBB134_656:
	s_mov_b64 s[38:39], -1
	s_mov_b64 s[36:37], 0
	s_mov_b64 s[0:1], s[26:27]
	s_branch .LBB134_687
.LBB134_657:
	s_mov_b64 s[38:39], -1
	s_mov_b64 s[36:37], 0
	s_mov_b64 s[0:1], s[26:27]
	s_branch .LBB134_670
.LBB134_658:
	s_mov_b64 s[38:39], -1
	s_mov_b64 s[36:37], 0
	s_mov_b64 s[0:1], s[26:27]
	s_branch .LBB134_666
.LBB134_659:
	s_mov_b64 s[38:39], -1
	s_mov_b64 s[36:37], 0
	s_mov_b64 s[0:1], s[26:27]
.LBB134_660:
	s_and_b64 vcc, exec, s[38:39]
	s_cbranch_vccz .LBB134_665
; %bb.661:
	s_cmp_eq_u32 s43, 44
	s_mov_b64 s[0:1], -1
	s_cbranch_scc0 .LBB134_665
; %bb.662:
	v_cvt_f32_f64_e32 v2, v[0:1]
	s_movk_i32 s0, 0xff
	v_mov_b32_e32 v6, 0xff
	v_bfe_u32 v3, v2, 23, 8
	v_cmp_ne_u32_e32 vcc, s0, v3
	s_and_saveexec_b64 s[36:37], vcc
; %bb.663:
	s_mov_b32 s0, 0x3fffff
	v_lshrrev_b32_e32 v6, 23, v2
	v_and_b32_e32 v7, 0x400000, v2
	v_and_or_b32 v2, v2, s0, v3
	v_cmp_ne_u32_e32 vcc, 0, v7
	v_cmp_ne_u32_e64 s[0:1], 0, v2
	s_and_b64 s[0:1], vcc, s[0:1]
	v_cndmask_b32_e64 v2, 0, 1, s[0:1]
	v_add_u32_e32 v6, v6, v2
; %bb.664:
	s_or_b64 exec, exec, s[36:37]
	s_mov_b64 s[36:37], -1
	s_mov_b64 s[0:1], 0
	global_store_byte v[4:5], v6, off
.LBB134_665:
	s_mov_b64 s[38:39], 0
.LBB134_666:
	s_and_b64 vcc, exec, s[38:39]
	s_cbranch_vccz .LBB134_669
; %bb.667:
	s_cmp_eq_u32 s43, 29
	s_mov_b64 s[0:1], -1
	s_cbranch_scc0 .LBB134_669
; %bb.668:
	v_trunc_f64_e32 v[2:3], v[0:1]
	s_movk_i32 s0, 0xffe0
	s_mov_b64 s[36:37], -1
	s_mov_b64 s[38:39], 0
	v_ldexp_f64 v[6:7], v[2:3], s0
	s_mov_b32 s0, 0
	s_mov_b32 s1, 0xc1f00000
	v_floor_f64_e32 v[6:7], v[6:7]
	v_fma_f64 v[2:3], v[6:7], s[0:1], v[2:3]
	v_cvt_u32_f64_e32 v7, v[6:7]
	s_mov_b64 s[0:1], 0
	v_cvt_u32_f64_e32 v6, v[2:3]
	global_store_dwordx2 v[4:5], v[6:7], off
	s_branch .LBB134_670
.LBB134_669:
	s_mov_b64 s[38:39], 0
.LBB134_670:
	s_and_b64 vcc, exec, s[38:39]
	s_cbranch_vccz .LBB134_686
; %bb.671:
	s_cmp_lt_i32 s43, 27
	s_mov_b64 s[36:37], -1
	s_cbranch_scc1 .LBB134_677
; %bb.672:
	v_cvt_u32_f64_e32 v2, v[0:1]
	s_cmp_gt_i32 s43, 27
	s_cbranch_scc0 .LBB134_674
; %bb.673:
	s_mov_b64 s[36:37], 0
	global_store_dword v[4:5], v2, off
.LBB134_674:
	s_andn2_b64 vcc, exec, s[36:37]
	s_cbranch_vccnz .LBB134_676
; %bb.675:
	global_store_short v[4:5], v2, off
.LBB134_676:
	s_mov_b64 s[36:37], 0
.LBB134_677:
	s_andn2_b64 vcc, exec, s[36:37]
	s_cbranch_vccnz .LBB134_685
; %bb.678:
	v_cvt_f32_f64_e32 v2, v[0:1]
	s_mov_b32 s36, 0x43800000
	v_mov_b32_e32 v6, 0x80
	v_and_b32_e32 v3, 0x7fffffff, v2
	v_cmp_gt_u32_e32 vcc, s36, v3
	s_and_saveexec_b64 s[36:37], vcc
	s_cbranch_execz .LBB134_684
; %bb.679:
	s_mov_b32 s38, 0x3bffffff
	v_cmp_lt_u32_e32 vcc, s38, v3
	s_mov_b64 s[38:39], 0
                                        ; implicit-def: $vgpr3
	s_and_saveexec_b64 s[40:41], vcc
	s_xor_b64 s[40:41], exec, s[40:41]
	s_cbranch_execz .LBB134_785
; %bb.680:
	v_bfe_u32 v3, v2, 20, 1
	s_mov_b32 s45, 0x487ffff
	v_add3_u32 v3, v2, v3, s45
	s_mov_b64 s[38:39], exec
	v_lshrrev_b32_e32 v3, 20, v3
	s_andn2_saveexec_b64 s[40:41], s[40:41]
	s_cbranch_execnz .LBB134_786
.LBB134_681:
	s_or_b64 exec, exec, s[40:41]
	v_mov_b32_e32 v6, 0
	s_and_saveexec_b64 s[40:41], s[38:39]
.LBB134_682:
	v_lshrrev_b32_e32 v2, 24, v2
	s_movk_i32 s38, 0x80
	v_and_or_b32 v6, v2, s38, v3
.LBB134_683:
	s_or_b64 exec, exec, s[40:41]
.LBB134_684:
	s_or_b64 exec, exec, s[36:37]
	global_store_byte v[4:5], v6, off
.LBB134_685:
	s_mov_b64 s[36:37], -1
.LBB134_686:
	s_mov_b64 s[38:39], 0
.LBB134_687:
	s_and_b64 vcc, exec, s[38:39]
	s_cbranch_vccz .LBB134_728
; %bb.688:
	s_cmp_gt_i32 s43, 22
	s_mov_b64 s[38:39], -1
	s_cbranch_scc0 .LBB134_720
; %bb.689:
	s_cmp_lt_i32 s43, 24
	s_mov_b64 s[36:37], -1
	s_cbranch_scc1 .LBB134_709
; %bb.690:
	s_cmp_gt_i32 s43, 24
	s_cbranch_scc0 .LBB134_698
; %bb.691:
	v_cvt_f32_f64_e32 v2, v[0:1]
	s_mov_b32 s36, 0x47800000
	v_mov_b32_e32 v6, 0x80
	v_and_b32_e32 v3, 0x7fffffff, v2
	v_cmp_gt_u32_e32 vcc, s36, v3
	s_and_saveexec_b64 s[36:37], vcc
	s_cbranch_execz .LBB134_697
; %bb.692:
	s_mov_b32 s38, 0x37ffffff
	v_cmp_lt_u32_e32 vcc, s38, v3
	s_mov_b64 s[38:39], 0
                                        ; implicit-def: $vgpr3
	s_and_saveexec_b64 s[40:41], vcc
	s_xor_b64 s[40:41], exec, s[40:41]
	s_cbranch_execz .LBB134_788
; %bb.693:
	v_bfe_u32 v3, v2, 21, 1
	s_mov_b32 s45, 0x88fffff
	v_add3_u32 v3, v2, v3, s45
	s_mov_b64 s[38:39], exec
	v_lshrrev_b32_e32 v3, 21, v3
	s_andn2_saveexec_b64 s[40:41], s[40:41]
	s_cbranch_execnz .LBB134_789
.LBB134_694:
	s_or_b64 exec, exec, s[40:41]
	v_mov_b32_e32 v6, 0
	s_and_saveexec_b64 s[40:41], s[38:39]
.LBB134_695:
	v_lshrrev_b32_e32 v2, 24, v2
	s_movk_i32 s38, 0x80
	v_and_or_b32 v6, v2, s38, v3
.LBB134_696:
	s_or_b64 exec, exec, s[40:41]
.LBB134_697:
	s_or_b64 exec, exec, s[36:37]
	s_mov_b64 s[36:37], 0
	global_store_byte v[4:5], v6, off
.LBB134_698:
	s_and_b64 vcc, exec, s[36:37]
	s_cbranch_vccz .LBB134_708
; %bb.699:
	v_cvt_f32_f64_e32 v2, v[0:1]
	s_mov_b32 s36, 0x43f00000
                                        ; implicit-def: $vgpr3
	v_and_b32_e32 v6, 0x7fffffff, v2
	v_cmp_gt_u32_e32 vcc, s36, v6
	s_and_saveexec_b64 s[36:37], vcc
	s_xor_b64 s[36:37], exec, s[36:37]
	s_cbranch_execz .LBB134_705
; %bb.700:
	s_mov_b32 s38, 0x3c7fffff
	v_cmp_lt_u32_e32 vcc, s38, v6
                                        ; implicit-def: $vgpr3
	s_and_saveexec_b64 s[38:39], vcc
	s_xor_b64 s[38:39], exec, s[38:39]
; %bb.701:
	v_bfe_u32 v3, v2, 20, 1
	s_mov_b32 s40, 0x407ffff
	v_add3_u32 v3, v2, v3, s40
	v_lshrrev_b32_e32 v6, 20, v3
	v_and_b32_e32 v3, 0xff00000, v3
	s_mov_b32 s40, 0x7f00000
	v_mov_b32_e32 v7, 0x7e
	v_cmp_ne_u32_e32 vcc, s40, v3
	v_cndmask_b32_e32 v3, v7, v6, vcc
; %bb.702:
	s_andn2_saveexec_b64 s[38:39], s[38:39]
; %bb.703:
	s_mov_b32 s40, 0x46800000
	v_add_f32_e64 v3, |v2|, s40
; %bb.704:
	s_or_b64 exec, exec, s[38:39]
                                        ; implicit-def: $vgpr6
.LBB134_705:
	s_andn2_saveexec_b64 s[36:37], s[36:37]
; %bb.706:
	s_mov_b32 s38, 0x7f800000
	v_mov_b32_e32 v3, 0x7e
	v_mov_b32_e32 v7, 0x7f
	v_cmp_lt_u32_e32 vcc, s38, v6
	v_cndmask_b32_e32 v3, v3, v7, vcc
; %bb.707:
	s_or_b64 exec, exec, s[36:37]
	v_lshrrev_b32_e32 v2, 24, v2
	s_movk_i32 s36, 0x80
	v_and_or_b32 v2, v2, s36, v3
	global_store_byte v[4:5], v2, off
.LBB134_708:
	s_mov_b64 s[36:37], 0
.LBB134_709:
	s_andn2_b64 vcc, exec, s[36:37]
	s_cbranch_vccnz .LBB134_719
; %bb.710:
	v_cvt_f32_f64_e32 v2, v[0:1]
	s_mov_b32 s36, 0x47800000
                                        ; implicit-def: $vgpr3
	v_and_b32_e32 v6, 0x7fffffff, v2
	v_cmp_gt_u32_e32 vcc, s36, v6
	s_and_saveexec_b64 s[36:37], vcc
	s_xor_b64 s[36:37], exec, s[36:37]
	s_cbranch_execz .LBB134_716
; %bb.711:
	s_mov_b32 s38, 0x387fffff
	v_cmp_lt_u32_e32 vcc, s38, v6
                                        ; implicit-def: $vgpr3
	s_and_saveexec_b64 s[38:39], vcc
	s_xor_b64 s[38:39], exec, s[38:39]
; %bb.712:
	v_bfe_u32 v3, v2, 21, 1
	s_mov_b32 s40, 0x80fffff
	v_add3_u32 v3, v2, v3, s40
	v_lshrrev_b32_e32 v3, 21, v3
; %bb.713:
	s_andn2_saveexec_b64 s[38:39], s[38:39]
; %bb.714:
	s_mov_b32 s40, 0x43000000
	v_add_f32_e64 v3, |v2|, s40
; %bb.715:
	s_or_b64 exec, exec, s[38:39]
                                        ; implicit-def: $vgpr6
.LBB134_716:
	s_andn2_saveexec_b64 s[36:37], s[36:37]
; %bb.717:
	s_mov_b32 s38, 0x7f800000
	v_mov_b32_e32 v3, 0x7c
	v_mov_b32_e32 v7, 0x7f
	v_cmp_lt_u32_e32 vcc, s38, v6
	v_cndmask_b32_e32 v3, v3, v7, vcc
; %bb.718:
	s_or_b64 exec, exec, s[36:37]
	v_lshrrev_b32_e32 v2, 24, v2
	s_movk_i32 s36, 0x80
	v_and_or_b32 v2, v2, s36, v3
	global_store_byte v[4:5], v2, off
.LBB134_719:
	s_mov_b64 s[38:39], 0
	s_mov_b64 s[36:37], -1
.LBB134_720:
	s_andn2_b64 vcc, exec, s[38:39]
	s_cbranch_vccnz .LBB134_728
; %bb.721:
	s_cmp_gt_i32 s43, 14
	s_mov_b64 s[38:39], -1
	s_cbranch_scc0 .LBB134_725
; %bb.722:
	s_cmp_eq_u32 s43, 15
	s_mov_b64 s[0:1], -1
	s_cbranch_scc0 .LBB134_724
; %bb.723:
	v_cvt_f32_f64_e32 v2, v[0:1]
	s_movk_i32 s0, 0x7fff
	v_mov_b32_e32 v3, 0x7fc0
	s_mov_b64 s[36:37], -1
	v_bfe_u32 v6, v2, 16, 1
	v_cmp_o_f32_e32 vcc, v2, v2
	v_add3_u32 v2, v2, v6, s0
	v_cndmask_b32_sdwa v2, v3, v2, vcc dst_sel:DWORD dst_unused:UNUSED_PAD src0_sel:DWORD src1_sel:WORD_1
	global_store_short v[4:5], v2, off
	s_mov_b64 s[0:1], 0
.LBB134_724:
	s_mov_b64 s[38:39], 0
.LBB134_725:
	s_and_b64 vcc, exec, s[38:39]
	s_cbranch_vccz .LBB134_728
; %bb.726:
	s_cmp_eq_u32 s43, 11
	s_mov_b64 s[0:1], -1
	s_cbranch_scc0 .LBB134_728
; %bb.727:
	v_cmp_neq_f64_e32 vcc, 0, v[0:1]
	s_mov_b64 s[0:1], 0
	s_mov_b64 s[36:37], -1
	v_cndmask_b32_e64 v2, 0, 1, vcc
	global_store_byte v[4:5], v2, off
.LBB134_728:
	s_mov_b64 s[38:39], 0
.LBB134_729:
	s_and_b64 vcc, exec, s[38:39]
	s_cbranch_vccz .LBB134_768
; %bb.730:
	s_and_b32 s38, 0xffff, s42
	s_cmp_lt_i32 s38, 5
	s_mov_b64 s[36:37], -1
	s_cbranch_scc1 .LBB134_751
; %bb.731:
	s_cmp_lt_i32 s38, 8
	s_cbranch_scc1 .LBB134_741
; %bb.732:
	s_cmp_lt_i32 s38, 9
	s_cbranch_scc1 .LBB134_738
; %bb.733:
	s_cmp_gt_i32 s38, 9
	s_cbranch_scc0 .LBB134_735
; %bb.734:
	v_mov_b32_e32 v2, 0
	v_mov_b32_e32 v3, v2
	s_mov_b64 s[36:37], 0
	global_store_dwordx4 v[4:5], v[0:3], off
.LBB134_735:
	s_andn2_b64 vcc, exec, s[36:37]
	s_cbranch_vccnz .LBB134_737
; %bb.736:
	v_cvt_f32_f64_e32 v2, v[0:1]
	v_mov_b32_e32 v3, 0
	global_store_dwordx2 v[4:5], v[2:3], off
.LBB134_737:
	s_mov_b64 s[36:37], 0
.LBB134_738:
	s_andn2_b64 vcc, exec, s[36:37]
	s_cbranch_vccnz .LBB134_740
; %bb.739:
	s_movk_i32 s36, 0x1ff
	v_and_or_b32 v2, v1, s36, v0
	v_cmp_ne_u32_e32 vcc, 0, v2
	v_cndmask_b32_e64 v2, 0, 1, vcc
	v_lshrrev_b32_e32 v3, 8, v1
	s_movk_i32 s36, 0xffe
	v_bfe_u32 v6, v1, 20, 11
	v_and_or_b32 v2, v3, s36, v2
	v_sub_u32_e32 v7, 0x3f1, v6
	v_or_b32_e32 v3, 0x1000, v2
	v_med3_i32 v7, v7, 0, 13
	v_lshrrev_b32_e32 v8, v7, v3
	v_lshlrev_b32_e32 v7, v7, v8
	v_cmp_ne_u32_e32 vcc, v7, v3
	v_cndmask_b32_e64 v3, 0, 1, vcc
	v_add_u32_e32 v6, 0xfffffc10, v6
	v_or_b32_e32 v3, v8, v3
	v_lshl_or_b32 v7, v6, 12, v2
	v_cmp_gt_i32_e32 vcc, 1, v6
	v_cndmask_b32_e32 v3, v7, v3, vcc
	v_and_b32_e32 v7, 7, v3
	v_cmp_lt_i32_e32 vcc, 5, v7
	v_cndmask_b32_e64 v8, 0, 1, vcc
	v_cmp_eq_u32_e32 vcc, 3, v7
	v_cndmask_b32_e64 v7, 0, 1, vcc
	v_or_b32_e32 v7, v7, v8
	v_lshrrev_b32_e32 v3, 2, v3
	v_add_u32_e32 v3, v3, v7
	v_mov_b32_e32 v7, 0x7c00
	v_cmp_gt_i32_e32 vcc, 31, v6
	v_cndmask_b32_e32 v3, v7, v3, vcc
	v_mov_b32_e32 v8, 0x7e00
	v_cmp_ne_u32_e32 vcc, 0, v2
	s_movk_i32 s36, 0x40f
	v_cndmask_b32_e32 v2, v7, v8, vcc
	v_cmp_eq_u32_e32 vcc, s36, v6
	v_cndmask_b32_e32 v2, v3, v2, vcc
	v_lshrrev_b32_e32 v3, 16, v1
	s_mov_b32 s36, 0x8000
	v_and_or_b32 v2, v3, s36, v2
	v_and_b32_e32 v2, 0xffff, v2
	global_store_dword v[4:5], v2, off
.LBB134_740:
	s_mov_b64 s[36:37], 0
.LBB134_741:
	s_andn2_b64 vcc, exec, s[36:37]
	s_cbranch_vccnz .LBB134_750
; %bb.742:
	s_cmp_lt_i32 s38, 6
	s_mov_b64 s[36:37], -1
	s_cbranch_scc1 .LBB134_748
; %bb.743:
	s_cmp_gt_i32 s38, 6
	s_cbranch_scc0 .LBB134_745
; %bb.744:
	s_mov_b64 s[36:37], 0
	global_store_dwordx2 v[4:5], v[0:1], off
.LBB134_745:
	s_andn2_b64 vcc, exec, s[36:37]
	s_cbranch_vccnz .LBB134_747
; %bb.746:
	v_cvt_f32_f64_e32 v2, v[0:1]
	global_store_dword v[4:5], v2, off
.LBB134_747:
	s_mov_b64 s[36:37], 0
.LBB134_748:
	s_andn2_b64 vcc, exec, s[36:37]
	s_cbranch_vccnz .LBB134_750
; %bb.749:
	s_movk_i32 s36, 0x1ff
	v_and_or_b32 v2, v1, s36, v0
	v_cmp_ne_u32_e32 vcc, 0, v2
	v_cndmask_b32_e64 v2, 0, 1, vcc
	v_lshrrev_b32_e32 v3, 8, v1
	s_movk_i32 s36, 0xffe
	v_bfe_u32 v6, v1, 20, 11
	v_and_or_b32 v2, v3, s36, v2
	v_sub_u32_e32 v7, 0x3f1, v6
	v_or_b32_e32 v3, 0x1000, v2
	v_med3_i32 v7, v7, 0, 13
	v_lshrrev_b32_e32 v8, v7, v3
	v_lshlrev_b32_e32 v7, v7, v8
	v_cmp_ne_u32_e32 vcc, v7, v3
	v_cndmask_b32_e64 v3, 0, 1, vcc
	v_add_u32_e32 v6, 0xfffffc10, v6
	v_or_b32_e32 v3, v8, v3
	v_lshl_or_b32 v7, v6, 12, v2
	v_cmp_gt_i32_e32 vcc, 1, v6
	v_cndmask_b32_e32 v3, v7, v3, vcc
	v_and_b32_e32 v7, 7, v3
	v_cmp_lt_i32_e32 vcc, 5, v7
	v_cndmask_b32_e64 v8, 0, 1, vcc
	v_cmp_eq_u32_e32 vcc, 3, v7
	v_cndmask_b32_e64 v7, 0, 1, vcc
	v_or_b32_e32 v7, v7, v8
	v_lshrrev_b32_e32 v3, 2, v3
	v_add_u32_e32 v3, v3, v7
	v_mov_b32_e32 v7, 0x7c00
	v_cmp_gt_i32_e32 vcc, 31, v6
	v_cndmask_b32_e32 v3, v7, v3, vcc
	v_mov_b32_e32 v8, 0x7e00
	v_cmp_ne_u32_e32 vcc, 0, v2
	s_movk_i32 s36, 0x40f
	v_cndmask_b32_e32 v2, v7, v8, vcc
	v_cmp_eq_u32_e32 vcc, s36, v6
	v_cndmask_b32_e32 v2, v3, v2, vcc
	v_lshrrev_b32_e32 v3, 16, v1
	s_mov_b32 s36, 0x8000
	v_and_or_b32 v2, v3, s36, v2
	global_store_short v[4:5], v2, off
.LBB134_750:
	s_mov_b64 s[36:37], 0
.LBB134_751:
	s_andn2_b64 vcc, exec, s[36:37]
	s_cbranch_vccnz .LBB134_767
; %bb.752:
	s_cmp_lt_i32 s38, 2
	s_mov_b64 s[36:37], -1
	s_cbranch_scc1 .LBB134_762
; %bb.753:
	s_cmp_lt_i32 s38, 3
	s_cbranch_scc1 .LBB134_759
; %bb.754:
	s_cmp_gt_i32 s38, 3
	s_cbranch_scc0 .LBB134_756
; %bb.755:
	v_trunc_f64_e32 v[2:3], v[0:1]
	s_movk_i32 s36, 0xffe0
	v_ldexp_f64 v[6:7], v[2:3], s36
	s_mov_b32 s36, 0
	s_mov_b32 s37, 0xc1f00000
	v_floor_f64_e32 v[6:7], v[6:7]
	v_fma_f64 v[2:3], v[6:7], s[36:37], v[2:3]
	v_cvt_i32_f64_e32 v7, v[6:7]
	s_mov_b64 s[36:37], 0
	v_cvt_u32_f64_e32 v6, v[2:3]
	global_store_dwordx2 v[4:5], v[6:7], off
.LBB134_756:
	s_andn2_b64 vcc, exec, s[36:37]
	s_cbranch_vccnz .LBB134_758
; %bb.757:
	v_cvt_i32_f64_e32 v2, v[0:1]
	global_store_dword v[4:5], v2, off
.LBB134_758:
	s_mov_b64 s[36:37], 0
.LBB134_759:
	s_andn2_b64 vcc, exec, s[36:37]
	s_cbranch_vccnz .LBB134_761
; %bb.760:
	v_cvt_i32_f64_e32 v2, v[0:1]
	global_store_short v[4:5], v2, off
.LBB134_761:
	s_mov_b64 s[36:37], 0
.LBB134_762:
	s_andn2_b64 vcc, exec, s[36:37]
	s_cbranch_vccnz .LBB134_767
; %bb.763:
	s_cmp_gt_i32 s38, 0
	s_mov_b64 s[36:37], -1
	s_cbranch_scc0 .LBB134_765
; %bb.764:
	v_cvt_i32_f64_e32 v2, v[0:1]
	s_mov_b64 s[36:37], 0
	global_store_byte v[4:5], v2, off
.LBB134_765:
	s_andn2_b64 vcc, exec, s[36:37]
	s_cbranch_vccnz .LBB134_767
; %bb.766:
	v_trunc_f64_e32 v[0:1], v[0:1]
	s_movk_i32 s36, 0xffe0
	v_ldexp_f64 v[2:3], v[0:1], s36
	s_mov_b32 s36, 0
	s_mov_b32 s37, 0xc1f00000
	v_floor_f64_e32 v[2:3], v[2:3]
	v_fma_f64 v[0:1], v[2:3], s[36:37], v[0:1]
	v_cvt_u32_f64_e32 v0, v[0:1]
	global_store_byte v[4:5], v0, off
.LBB134_767:
	s_mov_b64 s[36:37], -1
.LBB134_768:
	s_andn2_b64 vcc, exec, s[36:37]
	s_cbranch_vccnz .LBB134_770
; %bb.769:
	v_add_u32_e32 v10, 0x80, v10
	s_mov_b64 s[38:39], -1
	s_branch .LBB134_771
.LBB134_770:
	s_mov_b64 s[38:39], 0
                                        ; implicit-def: $vgpr10
.LBB134_771:
	s_andn2_b64 s[36:37], s[26:27], exec
	s_and_b64 s[0:1], s[0:1], exec
	s_or_b64 s[36:37], s[36:37], s[0:1]
	s_andn2_b64 s[0:1], s[24:25], exec
	s_and_b64 s[34:35], s[34:35], exec
	s_or_b64 s[0:1], s[0:1], s[34:35]
	s_orn2_b64 s[40:41], s[38:39], exec
.LBB134_772:
	s_or_b64 exec, exec, s[30:31]
	s_mov_b64 s[38:39], 0
	s_mov_b64 s[34:35], 0
	s_mov_b64 s[42:43], 0
                                        ; implicit-def: $vgpr0_vgpr1
                                        ; implicit-def: $vgpr2_vgpr3
	s_and_saveexec_b64 s[30:31], s[40:41]
	s_cbranch_execz .LBB134_857
; %bb.773:
	v_cmp_gt_i32_e32 vcc, s44, v10
	s_mov_b64 s[40:41], 0
	s_mov_b64 s[44:45], s[0:1]
	;; [unrolled: 1-line block ×3, first 2 shown]
                                        ; implicit-def: $vgpr0_vgpr1
                                        ; implicit-def: $vgpr2_vgpr3
	s_and_saveexec_b64 s[34:35], vcc
	s_cbranch_execz .LBB134_856
; %bb.774:
	v_mul_lo_u32 v0, v10, s17
	v_mov_b32_e32 v1, s11
	s_and_b32 s49, 0xffff, s48
	s_cmp_lt_i32 s49, 11
	s_waitcnt vmcnt(0)
	v_ashrrev_i32_e32 v2, 31, v0
	v_add_co_u32_e32 v0, vcc, s10, v0
	v_addc_co_u32_e32 v1, vcc, v1, v2, vcc
	s_cbranch_scc1 .LBB134_781
; %bb.775:
	s_cmp_gt_i32 s49, 25
	s_cbranch_scc0 .LBB134_782
; %bb.776:
	s_cmp_gt_i32 s49, 28
	s_cbranch_scc0 .LBB134_783
	;; [unrolled: 3-line block ×4, first 2 shown]
; %bb.779:
	s_cmp_eq_u32 s49, 46
	s_mov_b64 s[44:45], 0
	s_cbranch_scc0 .LBB134_790
; %bb.780:
	global_load_dword v2, v[0:1], off
	s_mov_b64 s[42:43], -1
	s_waitcnt vmcnt(0)
	v_lshlrev_b32_e32 v2, 16, v2
	v_cvt_f64_f32_e32 v[2:3], v2
	s_branch .LBB134_792
.LBB134_781:
	s_mov_b64 s[44:45], -1
                                        ; implicit-def: $vgpr2_vgpr3
	s_mov_b64 s[38:39], s[0:1]
	s_branch .LBB134_855
.LBB134_782:
	s_mov_b64 s[44:45], -1
	s_mov_b64 s[38:39], s[0:1]
                                        ; implicit-def: $vgpr2_vgpr3
	s_branch .LBB134_823
.LBB134_783:
	s_mov_b64 s[44:45], -1
	s_mov_b64 s[38:39], s[0:1]
                                        ; implicit-def: $vgpr2_vgpr3
	s_branch .LBB134_802
.LBB134_784:
	s_mov_b64 s[44:45], -1
	s_mov_b64 s[38:39], s[0:1]
                                        ; implicit-def: $vgpr2_vgpr3
	s_branch .LBB134_797
.LBB134_785:
	s_andn2_saveexec_b64 s[40:41], s[40:41]
	s_cbranch_execz .LBB134_681
.LBB134_786:
	s_mov_b32 s45, 0x46000000
	v_add_f32_e64 v3, |v2|, s45
	v_and_b32_e32 v3, 0xff, v3
	v_cmp_ne_u32_e32 vcc, 0, v3
	s_andn2_b64 s[38:39], s[38:39], exec
	s_and_b64 s[46:47], vcc, exec
	s_or_b64 s[38:39], s[38:39], s[46:47]
	s_or_b64 exec, exec, s[40:41]
	v_mov_b32_e32 v6, 0
	s_and_saveexec_b64 s[40:41], s[38:39]
	s_cbranch_execnz .LBB134_682
	s_branch .LBB134_683
.LBB134_787:
	s_mov_b64 s[44:45], -1
	s_mov_b64 s[38:39], s[0:1]
	s_branch .LBB134_791
.LBB134_788:
	s_andn2_saveexec_b64 s[40:41], s[40:41]
	s_cbranch_execz .LBB134_694
.LBB134_789:
	s_mov_b32 s45, 0x42800000
	v_add_f32_e64 v3, |v2|, s45
	v_and_b32_e32 v3, 0xff, v3
	v_cmp_ne_u32_e32 vcc, 0, v3
	s_andn2_b64 s[38:39], s[38:39], exec
	s_and_b64 s[46:47], vcc, exec
	s_or_b64 s[38:39], s[38:39], s[46:47]
	s_or_b64 exec, exec, s[40:41]
	v_mov_b32_e32 v6, 0
	s_and_saveexec_b64 s[40:41], s[38:39]
	s_cbranch_execnz .LBB134_695
	s_branch .LBB134_696
.LBB134_790:
	s_mov_b64 s[38:39], -1
.LBB134_791:
                                        ; implicit-def: $vgpr2_vgpr3
.LBB134_792:
	s_and_b64 vcc, exec, s[44:45]
	s_cbranch_vccz .LBB134_796
; %bb.793:
	s_cmp_eq_u32 s49, 44
	s_cbranch_scc0 .LBB134_795
; %bb.794:
	global_load_ubyte v4, v[0:1], off
	s_movk_i32 s42, 0xff
	v_bfrev_b32_e32 v5, 4
	v_mov_b32_e32 v6, 0x7ff80000
	v_bfrev_b32_e32 v7, 28
	s_mov_b64 s[38:39], 0
	s_waitcnt vmcnt(0)
	v_lshlrev_b32_e32 v2, 23, v4
	v_cvt_f64_f32_e32 v[2:3], v2
	v_cmp_ne_u32_e32 vcc, s42, v4
	s_mov_b64 s[42:43], -1
	v_cndmask_b32_e32 v2, v5, v2, vcc
	v_cndmask_b32_e32 v3, v6, v3, vcc
	v_cmp_ne_u32_e32 vcc, 0, v4
	v_cndmask_b32_e32 v3, v7, v3, vcc
	v_cndmask_b32_e32 v2, 0, v2, vcc
	s_branch .LBB134_796
.LBB134_795:
	s_mov_b64 s[38:39], -1
                                        ; implicit-def: $vgpr2_vgpr3
.LBB134_796:
	s_mov_b64 s[44:45], 0
.LBB134_797:
	s_and_b64 vcc, exec, s[44:45]
	s_cbranch_vccz .LBB134_801
; %bb.798:
	s_cmp_eq_u32 s49, 29
	s_cbranch_scc0 .LBB134_800
; %bb.799:
	global_load_dwordx2 v[2:3], v[0:1], off
	s_mov_b64 s[38:39], 0
	s_mov_b64 s[42:43], -1
	s_mov_b64 s[44:45], 0
	s_waitcnt vmcnt(0)
	v_cvt_f64_u32_e32 v[3:4], v3
	v_cvt_f64_u32_e32 v[5:6], v2
	v_ldexp_f64 v[3:4], v[3:4], 32
	v_add_f64 v[2:3], v[3:4], v[5:6]
	s_branch .LBB134_802
.LBB134_800:
	s_mov_b64 s[38:39], -1
                                        ; implicit-def: $vgpr2_vgpr3
.LBB134_801:
	s_mov_b64 s[44:45], 0
.LBB134_802:
	s_and_b64 vcc, exec, s[44:45]
	s_cbranch_vccz .LBB134_822
; %bb.803:
	s_cmp_lt_i32 s49, 27
	s_cbranch_scc1 .LBB134_806
; %bb.804:
	s_cmp_gt_i32 s49, 27
	s_cbranch_scc0 .LBB134_807
; %bb.805:
	global_load_dword v2, v[0:1], off
	s_mov_b64 s[42:43], 0
	s_waitcnt vmcnt(0)
	v_cvt_f64_u32_e32 v[2:3], v2
	s_branch .LBB134_808
.LBB134_806:
	s_mov_b64 s[42:43], -1
                                        ; implicit-def: $vgpr2_vgpr3
	s_branch .LBB134_811
.LBB134_807:
	s_mov_b64 s[42:43], -1
                                        ; implicit-def: $vgpr2_vgpr3
.LBB134_808:
	s_andn2_b64 vcc, exec, s[42:43]
	s_cbranch_vccnz .LBB134_810
; %bb.809:
	global_load_ushort v2, v[0:1], off
	s_waitcnt vmcnt(0)
	v_cvt_f64_u32_e32 v[2:3], v2
.LBB134_810:
	s_mov_b64 s[42:43], 0
.LBB134_811:
	s_andn2_b64 vcc, exec, s[42:43]
	s_cbranch_vccnz .LBB134_821
; %bb.812:
	global_load_ubyte v4, v[0:1], off
	s_movk_i32 s42, 0x7f
	s_waitcnt vmcnt(0)
	v_cmp_lt_i16_e32 vcc, s42, v4
	s_mov_b64 s[42:43], 0
	s_and_saveexec_b64 s[44:45], vcc
	s_xor_b64 s[44:45], exec, s[44:45]
	s_cbranch_execz .LBB134_816
; %bb.813:
	s_movk_i32 s42, 0x80
	v_cmp_eq_u16_e32 vcc, s42, v4
	s_mov_b64 s[42:43], -1
	s_and_saveexec_b64 s[46:47], vcc
; %bb.814:
	s_xor_b64 s[42:43], exec, -1
; %bb.815:
	s_or_b64 exec, exec, s[46:47]
	s_and_b64 s[42:43], s[42:43], exec
.LBB134_816:
	s_or_saveexec_b64 s[44:45], s[44:45]
	v_bfrev_b32_e32 v2, 4
	v_mov_b32_e32 v3, 0x7ff80000
	s_xor_b64 exec, exec, s[44:45]
; %bb.817:
	v_cmp_ne_u16_e32 vcc, 0, v4
	v_mov_b32_e32 v2, 0
	s_andn2_b64 s[42:43], s[42:43], exec
	s_and_b64 s[46:47], vcc, exec
	v_mov_b32_e32 v3, 0
	s_or_b64 s[42:43], s[42:43], s[46:47]
; %bb.818:
	s_or_b64 exec, exec, s[44:45]
	s_and_saveexec_b64 s[44:45], s[42:43]
	s_cbranch_execz .LBB134_820
; %bb.819:
	v_and_b32_e32 v3, 0xffff, v4
	v_lshlrev_b32_e32 v2, 24, v4
	v_and_b32_e32 v4, 7, v3
	v_ffbh_u32_e32 v6, v4
	v_min_u32_e32 v6, 32, v6
	v_subrev_u32_e32 v7, 28, v6
	v_bfe_u32 v5, v3, 3, 4
	v_lshlrev_b32_e32 v3, v7, v3
	v_sub_u32_e32 v6, 29, v6
	v_and_b32_e32 v3, 7, v3
	v_cmp_eq_u32_e32 vcc, 0, v5
	v_cndmask_b32_e32 v5, v5, v6, vcc
	v_cndmask_b32_e32 v3, v4, v3, vcc
	v_mov_b32_e32 v4, 0x3b800000
	v_lshlrev_b32_e32 v3, 20, v3
	v_and_b32_e32 v2, 0x80000000, v2
	v_lshl_add_u32 v4, v5, 23, v4
	v_or3_b32 v2, v2, v4, v3
	v_cvt_f64_f32_e32 v[2:3], v2
.LBB134_820:
	s_or_b64 exec, exec, s[44:45]
.LBB134_821:
	s_mov_b64 s[42:43], -1
.LBB134_822:
	s_mov_b64 s[44:45], 0
.LBB134_823:
	s_and_b64 vcc, exec, s[44:45]
	s_cbranch_vccz .LBB134_854
; %bb.824:
	s_cmp_gt_i32 s49, 22
	s_cbranch_scc0 .LBB134_836
; %bb.825:
	s_cmp_lt_i32 s49, 24
	s_cbranch_scc1 .LBB134_837
; %bb.826:
	s_cmp_gt_i32 s49, 24
	s_cbranch_scc0 .LBB134_838
; %bb.827:
	global_load_ubyte v4, v[0:1], off
	s_movk_i32 s40, 0x7f
	s_waitcnt vmcnt(0)
	v_cmp_lt_i16_e32 vcc, s40, v4
	s_mov_b64 s[40:41], 0
	s_and_saveexec_b64 s[42:43], vcc
	s_xor_b64 s[42:43], exec, s[42:43]
	s_cbranch_execz .LBB134_831
; %bb.828:
	s_movk_i32 s40, 0x80
	v_cmp_eq_u16_e32 vcc, s40, v4
	s_mov_b64 s[40:41], -1
	s_and_saveexec_b64 s[44:45], vcc
; %bb.829:
	s_xor_b64 s[40:41], exec, -1
; %bb.830:
	s_or_b64 exec, exec, s[44:45]
	s_and_b64 s[40:41], s[40:41], exec
.LBB134_831:
	s_or_saveexec_b64 s[42:43], s[42:43]
	v_bfrev_b32_e32 v2, 4
	v_mov_b32_e32 v3, 0x7ff80000
	s_xor_b64 exec, exec, s[42:43]
; %bb.832:
	v_cmp_ne_u16_e32 vcc, 0, v4
	v_mov_b32_e32 v2, 0
	s_andn2_b64 s[40:41], s[40:41], exec
	s_and_b64 s[44:45], vcc, exec
	v_mov_b32_e32 v3, 0
	s_or_b64 s[40:41], s[40:41], s[44:45]
; %bb.833:
	s_or_b64 exec, exec, s[42:43]
	s_and_saveexec_b64 s[42:43], s[40:41]
	s_cbranch_execz .LBB134_835
; %bb.834:
	v_and_b32_e32 v3, 0xffff, v4
	v_lshlrev_b32_e32 v2, 24, v4
	v_and_b32_e32 v4, 3, v3
	v_ffbh_u32_e32 v6, v4
	v_min_u32_e32 v6, 32, v6
	v_subrev_u32_e32 v7, 29, v6
	v_bfe_u32 v5, v3, 2, 5
	v_lshlrev_b32_e32 v3, v7, v3
	v_sub_u32_e32 v6, 30, v6
	v_and_b32_e32 v3, 3, v3
	v_cmp_eq_u32_e32 vcc, 0, v5
	v_cndmask_b32_e32 v5, v5, v6, vcc
	v_cndmask_b32_e32 v3, v4, v3, vcc
	v_mov_b32_e32 v4, 0x37800000
	v_lshlrev_b32_e32 v3, 21, v3
	v_and_b32_e32 v2, 0x80000000, v2
	v_lshl_add_u32 v4, v5, 23, v4
	v_or3_b32 v2, v2, v4, v3
	v_cvt_f64_f32_e32 v[2:3], v2
.LBB134_835:
	s_or_b64 exec, exec, s[42:43]
	s_mov_b64 s[40:41], 0
	s_branch .LBB134_839
.LBB134_836:
	s_mov_b64 s[40:41], -1
                                        ; implicit-def: $vgpr2_vgpr3
	s_branch .LBB134_845
.LBB134_837:
	s_mov_b64 s[40:41], -1
                                        ; implicit-def: $vgpr2_vgpr3
	s_branch .LBB134_842
.LBB134_838:
	s_mov_b64 s[40:41], -1
                                        ; implicit-def: $vgpr2_vgpr3
.LBB134_839:
	s_and_b64 vcc, exec, s[40:41]
	s_cbranch_vccz .LBB134_841
; %bb.840:
	global_load_ubyte v2, v[0:1], off
	s_mov_b32 s40, 0x7f800000
	s_waitcnt vmcnt(0)
	v_lshlrev_b32_e32 v2, 24, v2
	v_and_b32_e32 v3, 0x7f000000, v2
	v_ffbh_u32_e32 v4, v3
	v_min_u32_e32 v4, 32, v4
	v_sub_u32_e64 v4, v4, 4 clamp
	v_lshlrev_b32_e32 v6, v4, v3
	v_lshlrev_b32_e32 v4, 23, v4
	v_lshrrev_b32_e32 v6, 4, v6
	v_add_u32_e32 v5, 0x1000000, v3
	v_sub_u32_e32 v4, v6, v4
	v_ashrrev_i32_e32 v5, 8, v5
	v_add_u32_e32 v4, 0x3c000000, v4
	v_and_or_b32 v4, v5, s40, v4
	v_cmp_ne_u32_e32 vcc, 0, v3
	v_cndmask_b32_e32 v3, 0, v4, vcc
	s_brev_b32 s40, 1
	v_and_or_b32 v2, v2, s40, v3
	v_cvt_f64_f32_e32 v[2:3], v2
.LBB134_841:
	s_mov_b64 s[40:41], 0
.LBB134_842:
	s_andn2_b64 vcc, exec, s[40:41]
	s_cbranch_vccnz .LBB134_844
; %bb.843:
	global_load_ubyte v2, v[0:1], off
	s_movk_i32 s40, 0x7f00
	s_brev_b32 s41, 16
	s_waitcnt vmcnt(0)
	v_lshlrev_b16_e32 v3, 8, v2
	v_lshlrev_b32_e32 v2, 25, v2
	v_lshrrev_b32_e32 v4, 4, v2
	v_and_or_b32 v5, v3, s40, 0.5
	v_or_b32_e32 v4, 0x70000000, v4
	v_add_f32_e32 v5, -0.5, v5
	v_mul_f32_e32 v4, 0x7800000, v4
	v_cmp_gt_u32_e32 vcc, s41, v2
	v_bfe_i32 v3, v3, 0, 16
	v_cndmask_b32_e32 v2, v4, v5, vcc
	s_brev_b32 s40, 1
	v_and_or_b32 v2, v3, s40, v2
	v_cvt_f64_f32_e32 v[2:3], v2
.LBB134_844:
	s_mov_b64 s[40:41], 0
	s_mov_b64 s[42:43], -1
.LBB134_845:
	s_andn2_b64 vcc, exec, s[40:41]
	s_mov_b64 s[40:41], 0
	s_cbranch_vccnz .LBB134_854
; %bb.846:
	s_cmp_gt_i32 s49, 14
	s_cbranch_scc0 .LBB134_849
; %bb.847:
	s_cmp_eq_u32 s49, 15
	s_cbranch_scc0 .LBB134_850
; %bb.848:
	global_load_ushort v2, v[0:1], off
	s_mov_b64 s[38:39], 0
	s_mov_b64 s[42:43], -1
	s_waitcnt vmcnt(0)
	v_lshlrev_b32_e32 v2, 16, v2
	v_cvt_f64_f32_e32 v[2:3], v2
	s_branch .LBB134_851
.LBB134_849:
	s_mov_b64 s[44:45], -1
                                        ; implicit-def: $vgpr2_vgpr3
	s_branch .LBB134_852
.LBB134_850:
	s_mov_b64 s[38:39], -1
                                        ; implicit-def: $vgpr2_vgpr3
.LBB134_851:
	s_mov_b64 s[44:45], 0
.LBB134_852:
	s_and_b64 vcc, exec, s[44:45]
	s_cbranch_vccz .LBB134_854
; %bb.853:
	s_cmp_lg_u32 s49, 11
	s_cselect_b64 s[44:45], -1, 0
	s_andn2_b64 s[38:39], s[38:39], exec
	s_and_b64 s[44:45], s[44:45], exec
	s_mov_b64 s[40:41], -1
	s_or_b64 s[38:39], s[38:39], s[44:45]
.LBB134_854:
	s_mov_b64 s[44:45], 0
.LBB134_855:
	s_and_b64 s[46:47], s[44:45], exec
	s_andn2_b64 s[44:45], s[0:1], exec
	s_and_b64 s[38:39], s[38:39], exec
	s_and_b64 s[42:43], s[42:43], exec
	;; [unrolled: 1-line block ×3, first 2 shown]
	s_or_b64 s[44:45], s[44:45], s[38:39]
.LBB134_856:
	s_or_b64 exec, exec, s[34:35]
	s_and_b64 s[38:39], s[40:41], exec
	s_andn2_b64 s[0:1], s[0:1], exec
	s_and_b64 s[40:41], s[44:45], exec
	s_and_b64 s[42:43], s[42:43], exec
	;; [unrolled: 1-line block ×3, first 2 shown]
	s_or_b64 s[0:1], s[0:1], s[40:41]
.LBB134_857:
	s_or_b64 exec, exec, s[30:31]
	s_andn2_b64 s[26:27], s[26:27], exec
	s_and_b64 s[30:31], s[36:37], exec
	s_andn2_b64 s[24:25], s[24:25], exec
	s_and_b64 s[0:1], s[0:1], exec
	s_or_b64 s[26:27], s[26:27], s[30:31]
	s_and_b64 s[36:37], s[42:43], exec
	s_and_b64 s[34:35], s[34:35], exec
	;; [unrolled: 1-line block ×3, first 2 shown]
	s_or_b64 s[24:25], s[24:25], s[0:1]
.LBB134_858:
	s_or_b64 exec, exec, s[28:29]
	s_andn2_b64 s[0:1], s[18:19], exec
	s_and_b64 s[18:19], s[26:27], exec
	s_andn2_b64 s[20:21], s[20:21], exec
	s_and_b64 s[24:25], s[24:25], exec
	s_or_b64 s[18:19], s[0:1], s[18:19]
	s_and_b64 s[0:1], s[36:37], exec
	s_and_b64 s[28:29], s[34:35], exec
	;; [unrolled: 1-line block ×3, first 2 shown]
	s_or_b64 s[20:21], s[20:21], s[24:25]
	s_or_b64 exec, exec, s[22:23]
	s_mov_b64 s[22:23], 0
	s_and_saveexec_b64 s[24:25], s[20:21]
	s_cbranch_execz .LBB134_262
.LBB134_859:
	s_mov_b64 s[22:23], exec
	s_andn2_b64 s[26:27], s[26:27], exec
	s_trap 2
	s_or_b64 exec, exec, s[24:25]
	s_and_saveexec_b64 s[20:21], s[26:27]
	s_xor_b64 s[20:21], exec, s[20:21]
	s_cbranch_execnz .LBB134_263
.LBB134_860:
	s_or_b64 exec, exec, s[20:21]
	s_and_saveexec_b64 s[20:21], s[28:29]
	s_cbranch_execz .LBB134_906
.LBB134_861:
	s_sext_i32_i16 s24, s48
	s_cmp_lt_i32 s24, 5
	s_cbranch_scc1 .LBB134_866
; %bb.862:
	s_cmp_lt_i32 s24, 8
	s_cbranch_scc1 .LBB134_867
; %bb.863:
	;; [unrolled: 3-line block ×3, first 2 shown]
	s_cmp_gt_i32 s24, 9
	s_cbranch_scc0 .LBB134_869
; %bb.865:
	global_load_dwordx2 v[2:3], v[0:1], off
	s_mov_b64 s[24:25], 0
	s_branch .LBB134_870
.LBB134_866:
                                        ; implicit-def: $vgpr2_vgpr3
	s_branch .LBB134_887
.LBB134_867:
                                        ; implicit-def: $vgpr2_vgpr3
	s_branch .LBB134_876
.LBB134_868:
	s_mov_b64 s[24:25], -1
                                        ; implicit-def: $vgpr2_vgpr3
	s_branch .LBB134_873
.LBB134_869:
	s_mov_b64 s[24:25], -1
                                        ; implicit-def: $vgpr2_vgpr3
.LBB134_870:
	s_andn2_b64 vcc, exec, s[24:25]
	s_cbranch_vccnz .LBB134_872
; %bb.871:
	global_load_dword v2, v[0:1], off
	s_waitcnt vmcnt(0)
	v_cvt_f64_f32_e32 v[2:3], v2
.LBB134_872:
	s_mov_b64 s[24:25], 0
.LBB134_873:
	s_andn2_b64 vcc, exec, s[24:25]
	s_cbranch_vccnz .LBB134_875
; %bb.874:
	global_load_dword v2, v[0:1], off
	s_waitcnt vmcnt(0)
	v_cvt_f32_f16_e32 v2, v2
	v_cvt_f64_f32_e32 v[2:3], v2
.LBB134_875:
	s_cbranch_execnz .LBB134_886
.LBB134_876:
	s_sext_i32_i16 s24, s48
	s_cmp_lt_i32 s24, 6
	s_cbranch_scc1 .LBB134_879
; %bb.877:
	s_cmp_gt_i32 s24, 6
	s_cbranch_scc0 .LBB134_880
; %bb.878:
	global_load_dwordx2 v[2:3], v[0:1], off
	s_mov_b64 s[24:25], 0
	s_branch .LBB134_881
.LBB134_879:
	s_mov_b64 s[24:25], -1
                                        ; implicit-def: $vgpr2_vgpr3
	s_branch .LBB134_884
.LBB134_880:
	s_mov_b64 s[24:25], -1
                                        ; implicit-def: $vgpr2_vgpr3
.LBB134_881:
	s_andn2_b64 vcc, exec, s[24:25]
	s_cbranch_vccnz .LBB134_883
; %bb.882:
	global_load_dword v2, v[0:1], off
	s_waitcnt vmcnt(0)
	v_cvt_f64_f32_e32 v[2:3], v2
.LBB134_883:
	s_mov_b64 s[24:25], 0
.LBB134_884:
	s_andn2_b64 vcc, exec, s[24:25]
	s_cbranch_vccnz .LBB134_886
; %bb.885:
	global_load_ushort v2, v[0:1], off
	s_waitcnt vmcnt(0)
	v_cvt_f32_f16_e32 v2, v2
	v_cvt_f64_f32_e32 v[2:3], v2
.LBB134_886:
	s_cbranch_execnz .LBB134_905
.LBB134_887:
	s_sext_i32_i16 s24, s48
	s_cmp_lt_i32 s24, 2
	s_cbranch_scc1 .LBB134_891
; %bb.888:
	s_cmp_lt_i32 s24, 3
	s_cbranch_scc1 .LBB134_892
; %bb.889:
	s_cmp_gt_i32 s24, 3
	s_cbranch_scc0 .LBB134_893
; %bb.890:
	global_load_dwordx2 v[2:3], v[0:1], off
	s_mov_b64 s[24:25], 0
	s_waitcnt vmcnt(0)
	v_cvt_f64_i32_e32 v[3:4], v3
	v_cvt_f64_u32_e32 v[5:6], v2
	v_ldexp_f64 v[3:4], v[3:4], 32
	v_add_f64 v[2:3], v[3:4], v[5:6]
	s_branch .LBB134_894
.LBB134_891:
                                        ; implicit-def: $vgpr2_vgpr3
	s_branch .LBB134_900
.LBB134_892:
	s_mov_b64 s[24:25], -1
                                        ; implicit-def: $vgpr2_vgpr3
	s_branch .LBB134_897
.LBB134_893:
	s_mov_b64 s[24:25], -1
                                        ; implicit-def: $vgpr2_vgpr3
.LBB134_894:
	s_andn2_b64 vcc, exec, s[24:25]
	s_cbranch_vccnz .LBB134_896
; %bb.895:
	global_load_dword v2, v[0:1], off
	s_waitcnt vmcnt(0)
	v_cvt_f64_i32_e32 v[2:3], v2
.LBB134_896:
	s_mov_b64 s[24:25], 0
.LBB134_897:
	s_andn2_b64 vcc, exec, s[24:25]
	s_cbranch_vccnz .LBB134_899
; %bb.898:
	global_load_sshort v2, v[0:1], off
	s_waitcnt vmcnt(0)
	v_cvt_f64_i32_e32 v[2:3], v2
.LBB134_899:
	s_cbranch_execnz .LBB134_905
.LBB134_900:
	s_sext_i32_i16 s24, s48
	s_cmp_gt_i32 s24, 0
	s_cbranch_scc0 .LBB134_902
; %bb.901:
	global_load_sbyte v2, v[0:1], off
	s_mov_b64 s[24:25], 0
	s_waitcnt vmcnt(0)
	v_cvt_f64_i32_e32 v[2:3], v2
	s_branch .LBB134_903
.LBB134_902:
	s_mov_b64 s[24:25], -1
                                        ; implicit-def: $vgpr2_vgpr3
.LBB134_903:
	s_andn2_b64 vcc, exec, s[24:25]
	s_cbranch_vccnz .LBB134_905
; %bb.904:
	global_load_ubyte v0, v[0:1], off
	s_waitcnt vmcnt(0)
	v_cvt_f64_u32_e32 v[2:3], v0
.LBB134_905:
	s_or_b64 s[0:1], s[0:1], exec
.LBB134_906:
	s_or_b64 exec, exec, s[20:21]
	s_mov_b64 s[26:27], 0
	s_mov_b64 s[24:25], 0
                                        ; implicit-def: $sgpr34
                                        ; implicit-def: $vgpr4_vgpr5
                                        ; implicit-def: $vgpr0_vgpr1
	s_and_saveexec_b64 s[20:21], s[0:1]
	s_cbranch_execz .LBB134_914
; %bb.907:
	s_waitcnt vmcnt(0)
	v_cmp_nge_f64_e32 vcc, s[12:13], v[2:3]
	v_mul_lo_u32 v2, v10, s16
	v_mov_b32_e32 v0, s15
	v_mov_b32_e32 v1, s3
	;; [unrolled: 1-line block ×4, first 2 shown]
	v_ashrrev_i32_e32 v5, 31, v2
	s_and_b32 s34, s33, 0xff
	v_cndmask_b32_e32 v1, v0, v1, vcc
	v_cndmask_b32_e32 v0, v3, v4, vcc
	v_mov_b32_e32 v3, s9
	v_add_co_u32_e32 v4, vcc, s8, v2
	s_cmp_lt_i32 s34, 11
	v_addc_co_u32_e32 v5, vcc, v3, v5, vcc
	s_cbranch_scc1 .LBB134_917
; %bb.908:
	s_and_b32 s35, 0xffff, s34
	s_mov_b64 s[26:27], -1
	s_cmp_gt_i32 s35, 25
	s_mov_b64 s[0:1], s[18:19]
	s_cbranch_scc0 .LBB134_945
; %bb.909:
	s_mov_b64 s[24:25], -1
	s_cmp_gt_i32 s35, 28
	s_mov_b64 s[0:1], s[18:19]
	s_cbranch_scc0 .LBB134_929
; %bb.910:
	s_cmp_gt_i32 s35, 43
	s_mov_b64 s[0:1], s[18:19]
	s_cbranch_scc0 .LBB134_925
; %bb.911:
	s_cmp_gt_i32 s35, 45
	s_mov_b64 s[0:1], s[18:19]
	s_cbranch_scc0 .LBB134_919
; %bb.912:
	s_cmp_eq_u32 s35, 46
	s_mov_b64 s[0:1], -1
	s_cbranch_scc0 .LBB134_918
; %bb.913:
	v_cvt_f32_f64_e32 v2, v[0:1]
	s_movk_i32 s0, 0x7fff
	v_mov_b32_e32 v3, 0x7fc0
	s_mov_b64 s[24:25], 0
	v_bfe_u32 v6, v2, 16, 1
	v_cmp_o_f32_e32 vcc, v2, v2
	v_add3_u32 v2, v2, v6, s0
	v_cndmask_b32_sdwa v2, v3, v2, vcc dst_sel:DWORD dst_unused:UNUSED_PAD src0_sel:DWORD src1_sel:WORD_1
	global_store_dword v[4:5], v2, off
	s_mov_b64 s[0:1], 0
	s_branch .LBB134_919
.LBB134_914:
	s_or_b64 exec, exec, s[20:21]
	s_and_saveexec_b64 s[0:1], s[18:19]
	s_cbranch_execnz .LBB134_987
.LBB134_915:
	s_or_b64 exec, exec, s[0:1]
	s_and_saveexec_b64 s[0:1], s[26:27]
	s_xor_b64 s[0:1], exec, s[0:1]
	s_cbranch_execz .LBB134_988
.LBB134_916:
	v_cmp_neq_f64_e32 vcc, 0, v[0:1]
	s_waitcnt vmcnt(0)
	v_cndmask_b32_e64 v2, 0, 1, vcc
	global_store_byte v[4:5], v2, off
	s_or_b64 exec, exec, s[0:1]
	s_and_saveexec_b64 s[0:1], s[24:25]
	s_xor_b64 s[0:1], exec, s[0:1]
	s_cbranch_execz .LBB134_1026
	s_branch .LBB134_989
.LBB134_917:
	s_mov_b64 s[24:25], -1
	s_mov_b64 s[0:1], s[18:19]
	s_branch .LBB134_986
.LBB134_918:
	s_mov_b64 s[24:25], 0
.LBB134_919:
	s_and_b64 vcc, exec, s[24:25]
	s_cbranch_vccz .LBB134_924
; %bb.920:
	s_cmp_eq_u32 s35, 44
	s_mov_b64 s[0:1], -1
	s_cbranch_scc0 .LBB134_924
; %bb.921:
	v_cvt_f32_f64_e32 v2, v[0:1]
	s_movk_i32 s0, 0xff
	v_mov_b32_e32 v6, 0xff
	v_bfe_u32 v3, v2, 23, 8
	v_cmp_ne_u32_e32 vcc, s0, v3
	s_and_saveexec_b64 s[24:25], vcc
; %bb.922:
	s_mov_b32 s0, 0x3fffff
	v_lshrrev_b32_e32 v6, 23, v2
	v_and_b32_e32 v7, 0x400000, v2
	v_and_or_b32 v2, v2, s0, v3
	v_cmp_ne_u32_e32 vcc, 0, v7
	v_cmp_ne_u32_e64 s[0:1], 0, v2
	s_and_b64 s[0:1], vcc, s[0:1]
	v_cndmask_b32_e64 v2, 0, 1, s[0:1]
	v_add_u32_e32 v6, v6, v2
; %bb.923:
	s_or_b64 exec, exec, s[24:25]
	s_mov_b64 s[0:1], 0
	global_store_byte v[4:5], v6, off
.LBB134_924:
	s_mov_b64 s[24:25], 0
.LBB134_925:
	s_and_b64 vcc, exec, s[24:25]
	s_cbranch_vccz .LBB134_928
; %bb.926:
	s_cmp_eq_u32 s35, 29
	s_mov_b64 s[0:1], -1
	s_cbranch_scc0 .LBB134_928
; %bb.927:
	v_trunc_f64_e32 v[2:3], v[0:1]
	s_movk_i32 s0, 0xffe0
	s_mov_b64 s[24:25], 0
	v_ldexp_f64 v[6:7], v[2:3], s0
	s_mov_b32 s0, 0
	s_mov_b32 s1, 0xc1f00000
	v_floor_f64_e32 v[6:7], v[6:7]
	v_fma_f64 v[2:3], v[6:7], s[0:1], v[2:3]
	v_cvt_u32_f64_e32 v7, v[6:7]
	s_mov_b64 s[0:1], 0
	v_cvt_u32_f64_e32 v6, v[2:3]
	global_store_dwordx2 v[4:5], v[6:7], off
	s_branch .LBB134_929
.LBB134_928:
	s_mov_b64 s[24:25], 0
.LBB134_929:
	s_and_b64 vcc, exec, s[24:25]
	s_cbranch_vccz .LBB134_944
; %bb.930:
	s_cmp_lt_i32 s35, 27
	s_mov_b64 s[24:25], -1
	s_cbranch_scc1 .LBB134_936
; %bb.931:
	v_cvt_u32_f64_e32 v2, v[0:1]
	s_cmp_gt_i32 s35, 27
	s_cbranch_scc0 .LBB134_933
; %bb.932:
	s_mov_b64 s[24:25], 0
	global_store_dword v[4:5], v2, off
.LBB134_933:
	s_andn2_b64 vcc, exec, s[24:25]
	s_cbranch_vccnz .LBB134_935
; %bb.934:
	global_store_short v[4:5], v2, off
.LBB134_935:
	s_mov_b64 s[24:25], 0
.LBB134_936:
	s_andn2_b64 vcc, exec, s[24:25]
	s_cbranch_vccnz .LBB134_944
; %bb.937:
	v_cvt_f32_f64_e32 v2, v[0:1]
	s_mov_b32 s24, 0x43800000
	v_mov_b32_e32 v6, 0x80
	v_and_b32_e32 v3, 0x7fffffff, v2
	v_cmp_gt_u32_e32 vcc, s24, v3
	s_and_saveexec_b64 s[24:25], vcc
	s_cbranch_execz .LBB134_943
; %bb.938:
	s_mov_b32 s26, 0x3bffffff
	v_cmp_lt_u32_e32 vcc, s26, v3
	s_mov_b64 s[26:27], 0
                                        ; implicit-def: $vgpr3
	s_and_saveexec_b64 s[28:29], vcc
	s_xor_b64 s[28:29], exec, s[28:29]
	s_cbranch_execz .LBB134_1041
; %bb.939:
	v_bfe_u32 v3, v2, 20, 1
	s_mov_b32 s30, 0x487ffff
	v_add3_u32 v3, v2, v3, s30
	s_mov_b64 s[26:27], exec
	v_lshrrev_b32_e32 v3, 20, v3
	s_andn2_saveexec_b64 s[28:29], s[28:29]
	s_cbranch_execnz .LBB134_1042
.LBB134_940:
	s_or_b64 exec, exec, s[28:29]
	v_mov_b32_e32 v6, 0
	s_and_saveexec_b64 s[28:29], s[26:27]
.LBB134_941:
	v_lshrrev_b32_e32 v2, 24, v2
	s_movk_i32 s26, 0x80
	v_and_or_b32 v6, v2, s26, v3
.LBB134_942:
	s_or_b64 exec, exec, s[28:29]
.LBB134_943:
	s_or_b64 exec, exec, s[24:25]
	global_store_byte v[4:5], v6, off
.LBB134_944:
	s_mov_b64 s[26:27], 0
.LBB134_945:
	s_mov_b64 s[24:25], 0
	s_and_b64 vcc, exec, s[26:27]
	s_cbranch_vccz .LBB134_985
; %bb.946:
	s_cmp_gt_i32 s35, 22
	s_mov_b64 s[26:27], -1
	s_cbranch_scc0 .LBB134_978
; %bb.947:
	s_cmp_lt_i32 s35, 24
	s_cbranch_scc1 .LBB134_967
; %bb.948:
	s_cmp_gt_i32 s35, 24
	s_cbranch_scc0 .LBB134_956
; %bb.949:
	v_cvt_f32_f64_e32 v2, v[0:1]
	s_mov_b32 s26, 0x47800000
	v_mov_b32_e32 v6, 0x80
	v_and_b32_e32 v3, 0x7fffffff, v2
	v_cmp_gt_u32_e32 vcc, s26, v3
	s_and_saveexec_b64 s[26:27], vcc
	s_cbranch_execz .LBB134_955
; %bb.950:
	s_mov_b32 s28, 0x37ffffff
	v_cmp_lt_u32_e32 vcc, s28, v3
	s_mov_b64 s[28:29], 0
                                        ; implicit-def: $vgpr3
	s_and_saveexec_b64 s[30:31], vcc
	s_xor_b64 s[30:31], exec, s[30:31]
	s_cbranch_execz .LBB134_1166
; %bb.951:
	v_bfe_u32 v3, v2, 21, 1
	s_mov_b32 s36, 0x88fffff
	v_add3_u32 v3, v2, v3, s36
	s_mov_b64 s[28:29], exec
	v_lshrrev_b32_e32 v3, 21, v3
	s_andn2_saveexec_b64 s[30:31], s[30:31]
	s_cbranch_execnz .LBB134_1167
.LBB134_952:
	s_or_b64 exec, exec, s[30:31]
	v_mov_b32_e32 v6, 0
	s_and_saveexec_b64 s[30:31], s[28:29]
.LBB134_953:
	v_lshrrev_b32_e32 v2, 24, v2
	s_movk_i32 s28, 0x80
	v_and_or_b32 v6, v2, s28, v3
.LBB134_954:
	s_or_b64 exec, exec, s[30:31]
.LBB134_955:
	s_or_b64 exec, exec, s[26:27]
	s_mov_b64 s[26:27], 0
	global_store_byte v[4:5], v6, off
.LBB134_956:
	s_and_b64 vcc, exec, s[26:27]
	s_cbranch_vccz .LBB134_966
; %bb.957:
	v_cvt_f32_f64_e32 v2, v[0:1]
	s_mov_b32 s26, 0x43f00000
                                        ; implicit-def: $vgpr3
	v_and_b32_e32 v6, 0x7fffffff, v2
	v_cmp_gt_u32_e32 vcc, s26, v6
	s_and_saveexec_b64 s[26:27], vcc
	s_xor_b64 s[26:27], exec, s[26:27]
	s_cbranch_execz .LBB134_963
; %bb.958:
	s_mov_b32 s28, 0x3c7fffff
	v_cmp_lt_u32_e32 vcc, s28, v6
                                        ; implicit-def: $vgpr3
	s_and_saveexec_b64 s[28:29], vcc
	s_xor_b64 s[28:29], exec, s[28:29]
; %bb.959:
	v_bfe_u32 v3, v2, 20, 1
	s_mov_b32 s30, 0x407ffff
	v_add3_u32 v3, v2, v3, s30
	v_lshrrev_b32_e32 v6, 20, v3
	v_and_b32_e32 v3, 0xff00000, v3
	s_mov_b32 s30, 0x7f00000
	v_mov_b32_e32 v7, 0x7e
	v_cmp_ne_u32_e32 vcc, s30, v3
	v_cndmask_b32_e32 v3, v7, v6, vcc
; %bb.960:
	s_andn2_saveexec_b64 s[28:29], s[28:29]
; %bb.961:
	s_mov_b32 s30, 0x46800000
	v_add_f32_e64 v3, |v2|, s30
; %bb.962:
	s_or_b64 exec, exec, s[28:29]
                                        ; implicit-def: $vgpr6
.LBB134_963:
	s_andn2_saveexec_b64 s[26:27], s[26:27]
; %bb.964:
	s_mov_b32 s28, 0x7f800000
	v_mov_b32_e32 v3, 0x7e
	v_mov_b32_e32 v7, 0x7f
	v_cmp_lt_u32_e32 vcc, s28, v6
	v_cndmask_b32_e32 v3, v3, v7, vcc
; %bb.965:
	s_or_b64 exec, exec, s[26:27]
	v_lshrrev_b32_e32 v2, 24, v2
	s_movk_i32 s26, 0x80
	v_and_or_b32 v2, v2, s26, v3
	global_store_byte v[4:5], v2, off
.LBB134_966:
	s_mov_b64 s[26:27], 0
.LBB134_967:
	s_andn2_b64 vcc, exec, s[26:27]
	s_cbranch_vccnz .LBB134_977
; %bb.968:
	v_cvt_f32_f64_e32 v2, v[0:1]
	s_mov_b32 s26, 0x47800000
                                        ; implicit-def: $vgpr3
	v_and_b32_e32 v6, 0x7fffffff, v2
	v_cmp_gt_u32_e32 vcc, s26, v6
	s_and_saveexec_b64 s[26:27], vcc
	s_xor_b64 s[26:27], exec, s[26:27]
	s_cbranch_execz .LBB134_974
; %bb.969:
	s_mov_b32 s28, 0x387fffff
	v_cmp_lt_u32_e32 vcc, s28, v6
                                        ; implicit-def: $vgpr3
	s_and_saveexec_b64 s[28:29], vcc
	s_xor_b64 s[28:29], exec, s[28:29]
; %bb.970:
	v_bfe_u32 v3, v2, 21, 1
	s_mov_b32 s30, 0x80fffff
	v_add3_u32 v3, v2, v3, s30
	v_lshrrev_b32_e32 v3, 21, v3
; %bb.971:
	s_andn2_saveexec_b64 s[28:29], s[28:29]
; %bb.972:
	s_mov_b32 s30, 0x43000000
	v_add_f32_e64 v3, |v2|, s30
; %bb.973:
	s_or_b64 exec, exec, s[28:29]
                                        ; implicit-def: $vgpr6
.LBB134_974:
	s_andn2_saveexec_b64 s[26:27], s[26:27]
; %bb.975:
	s_mov_b32 s28, 0x7f800000
	v_mov_b32_e32 v3, 0x7c
	v_mov_b32_e32 v7, 0x7f
	v_cmp_lt_u32_e32 vcc, s28, v6
	v_cndmask_b32_e32 v3, v3, v7, vcc
; %bb.976:
	s_or_b64 exec, exec, s[26:27]
	v_lshrrev_b32_e32 v2, 24, v2
	s_movk_i32 s26, 0x80
	v_and_or_b32 v2, v2, s26, v3
	global_store_byte v[4:5], v2, off
.LBB134_977:
	s_mov_b64 s[26:27], 0
.LBB134_978:
	s_andn2_b64 vcc, exec, s[26:27]
	s_mov_b64 s[26:27], 0
	s_cbranch_vccnz .LBB134_986
; %bb.979:
	s_cmp_gt_i32 s35, 14
	s_mov_b64 s[28:29], -1
	s_cbranch_scc0 .LBB134_983
; %bb.980:
	s_cmp_eq_u32 s35, 15
	s_mov_b64 s[0:1], -1
	s_cbranch_scc0 .LBB134_982
; %bb.981:
	v_cvt_f32_f64_e32 v2, v[0:1]
	s_movk_i32 s0, 0x7fff
	v_mov_b32_e32 v3, 0x7fc0
	v_bfe_u32 v6, v2, 16, 1
	v_cmp_o_f32_e32 vcc, v2, v2
	v_add3_u32 v2, v2, v6, s0
	v_cndmask_b32_sdwa v2, v3, v2, vcc dst_sel:DWORD dst_unused:UNUSED_PAD src0_sel:DWORD src1_sel:WORD_1
	global_store_short v[4:5], v2, off
	s_mov_b64 s[0:1], 0
.LBB134_982:
	s_mov_b64 s[28:29], 0
.LBB134_983:
	s_and_b64 vcc, exec, s[28:29]
	s_cbranch_vccz .LBB134_986
; %bb.984:
	s_cmp_lg_u32 s35, 11
	s_cselect_b64 s[28:29], -1, 0
	s_andn2_b64 s[0:1], s[0:1], exec
	s_and_b64 s[28:29], s[28:29], exec
	s_mov_b64 s[26:27], -1
	s_or_b64 s[0:1], s[0:1], s[28:29]
	s_branch .LBB134_986
.LBB134_985:
	s_mov_b64 s[26:27], 0
.LBB134_986:
	s_andn2_b64 s[18:19], s[18:19], exec
	s_and_b64 s[0:1], s[0:1], exec
	s_and_b64 s[24:25], s[24:25], exec
	;; [unrolled: 1-line block ×3, first 2 shown]
	s_or_b64 s[18:19], s[18:19], s[0:1]
	s_or_b64 exec, exec, s[20:21]
	s_and_saveexec_b64 s[0:1], s[18:19]
	s_cbranch_execz .LBB134_915
.LBB134_987:
	s_or_b64 s[22:23], s[22:23], exec
	s_andn2_b64 s[26:27], s[26:27], exec
	s_trap 2
	s_or_b64 exec, exec, s[0:1]
	s_and_saveexec_b64 s[0:1], s[26:27]
	s_xor_b64 s[0:1], exec, s[0:1]
	s_cbranch_execnz .LBB134_916
.LBB134_988:
	s_or_b64 exec, exec, s[0:1]
	s_and_saveexec_b64 s[0:1], s[24:25]
	s_xor_b64 s[0:1], exec, s[0:1]
	s_cbranch_execz .LBB134_1026
.LBB134_989:
	s_sext_i32_i16 s20, s34
	s_cmp_lt_i32 s20, 5
	s_mov_b64 s[18:19], -1
	s_cbranch_scc1 .LBB134_1010
; %bb.990:
	s_cmp_lt_i32 s20, 8
	s_cbranch_scc1 .LBB134_1000
; %bb.991:
	s_cmp_lt_i32 s20, 9
	s_cbranch_scc1 .LBB134_997
; %bb.992:
	s_cmp_gt_i32 s20, 9
	s_cbranch_scc0 .LBB134_994
; %bb.993:
	s_waitcnt vmcnt(0)
	v_mov_b32_e32 v2, 0
	v_mov_b32_e32 v3, v2
	s_mov_b64 s[18:19], 0
	global_store_dwordx4 v[4:5], v[0:3], off
.LBB134_994:
	s_andn2_b64 vcc, exec, s[18:19]
	s_cbranch_vccnz .LBB134_996
; %bb.995:
	s_waitcnt vmcnt(0)
	v_cvt_f32_f64_e32 v2, v[0:1]
	v_mov_b32_e32 v3, 0
	global_store_dwordx2 v[4:5], v[2:3], off
.LBB134_996:
	s_mov_b64 s[18:19], 0
.LBB134_997:
	s_andn2_b64 vcc, exec, s[18:19]
	s_cbranch_vccnz .LBB134_999
; %bb.998:
	s_movk_i32 s18, 0x1ff
	s_waitcnt vmcnt(0)
	v_and_or_b32 v2, v1, s18, v0
	v_cmp_ne_u32_e32 vcc, 0, v2
	v_cndmask_b32_e64 v2, 0, 1, vcc
	v_lshrrev_b32_e32 v3, 8, v1
	s_movk_i32 s18, 0xffe
	v_bfe_u32 v6, v1, 20, 11
	v_and_or_b32 v2, v3, s18, v2
	v_sub_u32_e32 v7, 0x3f1, v6
	v_or_b32_e32 v3, 0x1000, v2
	v_med3_i32 v7, v7, 0, 13
	v_lshrrev_b32_e32 v8, v7, v3
	v_lshlrev_b32_e32 v7, v7, v8
	v_cmp_ne_u32_e32 vcc, v7, v3
	v_cndmask_b32_e64 v3, 0, 1, vcc
	v_add_u32_e32 v6, 0xfffffc10, v6
	v_or_b32_e32 v3, v8, v3
	v_lshl_or_b32 v7, v6, 12, v2
	v_cmp_gt_i32_e32 vcc, 1, v6
	v_cndmask_b32_e32 v3, v7, v3, vcc
	v_and_b32_e32 v7, 7, v3
	v_cmp_lt_i32_e32 vcc, 5, v7
	v_cndmask_b32_e64 v8, 0, 1, vcc
	v_cmp_eq_u32_e32 vcc, 3, v7
	v_cndmask_b32_e64 v7, 0, 1, vcc
	v_or_b32_e32 v7, v7, v8
	v_lshrrev_b32_e32 v3, 2, v3
	v_add_u32_e32 v3, v3, v7
	v_mov_b32_e32 v7, 0x7c00
	v_cmp_gt_i32_e32 vcc, 31, v6
	v_cndmask_b32_e32 v3, v7, v3, vcc
	v_mov_b32_e32 v8, 0x7e00
	v_cmp_ne_u32_e32 vcc, 0, v2
	s_movk_i32 s18, 0x40f
	v_cndmask_b32_e32 v2, v7, v8, vcc
	v_cmp_eq_u32_e32 vcc, s18, v6
	v_cndmask_b32_e32 v2, v3, v2, vcc
	v_lshrrev_b32_e32 v3, 16, v1
	s_mov_b32 s18, 0x8000
	v_and_or_b32 v2, v3, s18, v2
	v_and_b32_e32 v2, 0xffff, v2
	global_store_dword v[4:5], v2, off
.LBB134_999:
	s_mov_b64 s[18:19], 0
.LBB134_1000:
	s_andn2_b64 vcc, exec, s[18:19]
	s_cbranch_vccnz .LBB134_1009
; %bb.1001:
	s_sext_i32_i16 s20, s34
	s_cmp_lt_i32 s20, 6
	s_mov_b64 s[18:19], -1
	s_cbranch_scc1 .LBB134_1007
; %bb.1002:
	s_cmp_gt_i32 s20, 6
	s_cbranch_scc0 .LBB134_1004
; %bb.1003:
	s_mov_b64 s[18:19], 0
	global_store_dwordx2 v[4:5], v[0:1], off
.LBB134_1004:
	s_andn2_b64 vcc, exec, s[18:19]
	s_cbranch_vccnz .LBB134_1006
; %bb.1005:
	s_waitcnt vmcnt(0)
	v_cvt_f32_f64_e32 v2, v[0:1]
	global_store_dword v[4:5], v2, off
.LBB134_1006:
	s_mov_b64 s[18:19], 0
.LBB134_1007:
	s_andn2_b64 vcc, exec, s[18:19]
	s_cbranch_vccnz .LBB134_1009
; %bb.1008:
	s_movk_i32 s18, 0x1ff
	s_waitcnt vmcnt(0)
	v_and_or_b32 v2, v1, s18, v0
	v_cmp_ne_u32_e32 vcc, 0, v2
	v_cndmask_b32_e64 v2, 0, 1, vcc
	v_lshrrev_b32_e32 v3, 8, v1
	s_movk_i32 s18, 0xffe
	v_bfe_u32 v6, v1, 20, 11
	v_and_or_b32 v2, v3, s18, v2
	v_sub_u32_e32 v7, 0x3f1, v6
	v_or_b32_e32 v3, 0x1000, v2
	v_med3_i32 v7, v7, 0, 13
	v_lshrrev_b32_e32 v8, v7, v3
	v_lshlrev_b32_e32 v7, v7, v8
	v_cmp_ne_u32_e32 vcc, v7, v3
	v_cndmask_b32_e64 v3, 0, 1, vcc
	v_add_u32_e32 v6, 0xfffffc10, v6
	v_or_b32_e32 v3, v8, v3
	v_lshl_or_b32 v7, v6, 12, v2
	v_cmp_gt_i32_e32 vcc, 1, v6
	v_cndmask_b32_e32 v3, v7, v3, vcc
	v_and_b32_e32 v7, 7, v3
	v_cmp_lt_i32_e32 vcc, 5, v7
	v_cndmask_b32_e64 v8, 0, 1, vcc
	v_cmp_eq_u32_e32 vcc, 3, v7
	v_cndmask_b32_e64 v7, 0, 1, vcc
	v_or_b32_e32 v7, v7, v8
	v_lshrrev_b32_e32 v3, 2, v3
	v_add_u32_e32 v3, v3, v7
	v_mov_b32_e32 v7, 0x7c00
	v_cmp_gt_i32_e32 vcc, 31, v6
	v_cndmask_b32_e32 v3, v7, v3, vcc
	v_mov_b32_e32 v8, 0x7e00
	v_cmp_ne_u32_e32 vcc, 0, v2
	s_movk_i32 s18, 0x40f
	v_cndmask_b32_e32 v2, v7, v8, vcc
	v_cmp_eq_u32_e32 vcc, s18, v6
	v_cndmask_b32_e32 v2, v3, v2, vcc
	v_lshrrev_b32_e32 v3, 16, v1
	s_mov_b32 s18, 0x8000
	v_and_or_b32 v2, v3, s18, v2
	global_store_short v[4:5], v2, off
.LBB134_1009:
	s_mov_b64 s[18:19], 0
.LBB134_1010:
	s_andn2_b64 vcc, exec, s[18:19]
	s_cbranch_vccnz .LBB134_1026
; %bb.1011:
	s_sext_i32_i16 s20, s34
	s_cmp_lt_i32 s20, 2
	s_mov_b64 s[18:19], -1
	s_cbranch_scc1 .LBB134_1021
; %bb.1012:
	s_cmp_lt_i32 s20, 3
	s_cbranch_scc1 .LBB134_1018
; %bb.1013:
	s_cmp_gt_i32 s20, 3
	s_cbranch_scc0 .LBB134_1015
; %bb.1014:
	s_waitcnt vmcnt(0)
	v_trunc_f64_e32 v[2:3], v[0:1]
	s_movk_i32 s18, 0xffe0
	v_ldexp_f64 v[6:7], v[2:3], s18
	s_mov_b32 s18, 0
	s_mov_b32 s19, 0xc1f00000
	v_floor_f64_e32 v[6:7], v[6:7]
	v_fma_f64 v[2:3], v[6:7], s[18:19], v[2:3]
	v_cvt_i32_f64_e32 v7, v[6:7]
	s_mov_b64 s[18:19], 0
	v_cvt_u32_f64_e32 v6, v[2:3]
	global_store_dwordx2 v[4:5], v[6:7], off
.LBB134_1015:
	s_andn2_b64 vcc, exec, s[18:19]
	s_cbranch_vccnz .LBB134_1017
; %bb.1016:
	s_waitcnt vmcnt(0)
	v_cvt_i32_f64_e32 v2, v[0:1]
	global_store_dword v[4:5], v2, off
.LBB134_1017:
	s_mov_b64 s[18:19], 0
.LBB134_1018:
	s_andn2_b64 vcc, exec, s[18:19]
	s_cbranch_vccnz .LBB134_1020
; %bb.1019:
	s_waitcnt vmcnt(0)
	v_cvt_i32_f64_e32 v2, v[0:1]
	global_store_short v[4:5], v2, off
.LBB134_1020:
	s_mov_b64 s[18:19], 0
.LBB134_1021:
	s_andn2_b64 vcc, exec, s[18:19]
	s_cbranch_vccnz .LBB134_1026
; %bb.1022:
	s_sext_i32_i16 s18, s34
	s_cmp_gt_i32 s18, 0
	s_mov_b64 s[18:19], -1
	s_cbranch_scc0 .LBB134_1024
; %bb.1023:
	s_waitcnt vmcnt(0)
	v_cvt_i32_f64_e32 v2, v[0:1]
	s_mov_b64 s[18:19], 0
	global_store_byte v[4:5], v2, off
.LBB134_1024:
	s_andn2_b64 vcc, exec, s[18:19]
	s_cbranch_vccnz .LBB134_1026
; %bb.1025:
	v_trunc_f64_e32 v[0:1], v[0:1]
	s_movk_i32 s18, 0xffe0
	s_waitcnt vmcnt(0)
	v_ldexp_f64 v[2:3], v[0:1], s18
	s_mov_b32 s18, 0
	s_mov_b32 s19, 0xc1f00000
	v_floor_f64_e32 v[2:3], v[2:3]
	v_fma_f64 v[0:1], v[2:3], s[18:19], v[0:1]
	v_cvt_u32_f64_e32 v0, v[0:1]
	global_store_byte v[4:5], v0, off
.LBB134_1026:
	s_or_b64 exec, exec, s[0:1]
	s_and_b64 s[18:19], s[22:23], exec
                                        ; implicit-def: $vgpr10
.LBB134_1027:
	s_or_saveexec_b64 s[6:7], s[6:7]
	s_mov_b64 s[0:1], 0
                                        ; implicit-def: $sgpr26
                                        ; implicit-def: $vgpr4_vgpr5
                                        ; implicit-def: $vgpr0_vgpr1
	s_xor_b64 exec, exec, s[6:7]
	s_cbranch_execz .LBB134_1975
; %bb.1028:
	v_mul_lo_u32 v4, s17, v10
	v_mov_b32_e32 v0, s11
	s_and_b32 s28, 0xffff, s48
	s_cmp_lt_i32 s28, 11
	v_ashrrev_i32_e32 v1, 31, v4
	s_waitcnt vmcnt(0)
	v_add_co_u32_e32 v2, vcc, s10, v4
	v_addc_co_u32_e32 v3, vcc, v0, v1, vcc
	s_cbranch_scc1 .LBB134_1035
; %bb.1029:
	s_cmp_gt_i32 s28, 25
	s_cbranch_scc0 .LBB134_1037
; %bb.1030:
	s_cmp_gt_i32 s28, 28
	s_cbranch_scc0 .LBB134_1038
	;; [unrolled: 3-line block ×4, first 2 shown]
; %bb.1033:
	s_cmp_eq_u32 s28, 46
	s_mov_b64 s[20:21], 0
	s_cbranch_scc0 .LBB134_1043
; %bb.1034:
	global_load_dword v0, v[2:3], off
	s_mov_b64 s[22:23], -1
	s_waitcnt vmcnt(0)
	v_lshlrev_b32_e32 v0, 16, v0
	v_cvt_f64_f32_e32 v[0:1], v0
	s_branch .LBB134_1044
.LBB134_1035:
	s_mov_b64 s[22:23], 0
                                        ; implicit-def: $vgpr0_vgpr1
	s_mov_b64 s[20:21], s[18:19]
	s_cbranch_execnz .LBB134_1107
.LBB134_1036:
	s_andn2_b64 vcc, exec, s[22:23]
                                        ; implicit-def: $vgpr2_vgpr3
	s_cbranch_vccz .LBB134_1152
	s_branch .LBB134_1973
.LBB134_1037:
	s_mov_b64 s[22:23], 0
                                        ; implicit-def: $vgpr0_vgpr1
	s_cbranch_execnz .LBB134_1074
	s_branch .LBB134_1103
.LBB134_1038:
	s_mov_b64 s[20:21], -1
	s_mov_b64 s[22:23], 0
                                        ; implicit-def: $vgpr0_vgpr1
	s_branch .LBB134_1053
.LBB134_1039:
	s_mov_b64 s[22:23], 0
                                        ; implicit-def: $vgpr0_vgpr1
	s_cbranch_execnz .LBB134_1049
	s_branch .LBB134_1052
.LBB134_1040:
	s_mov_b64 s[20:21], -1
	s_mov_b64 s[22:23], 0
                                        ; implicit-def: $vgpr0_vgpr1
	s_branch .LBB134_1044
.LBB134_1041:
	s_andn2_saveexec_b64 s[28:29], s[28:29]
	s_cbranch_execz .LBB134_940
.LBB134_1042:
	s_mov_b32 s30, 0x46000000
	v_add_f32_e64 v3, |v2|, s30
	v_and_b32_e32 v3, 0xff, v3
	v_cmp_ne_u32_e32 vcc, 0, v3
	s_andn2_b64 s[26:27], s[26:27], exec
	s_and_b64 s[30:31], vcc, exec
	s_or_b64 s[26:27], s[26:27], s[30:31]
	s_or_b64 exec, exec, s[28:29]
	v_mov_b32_e32 v6, 0
	s_and_saveexec_b64 s[28:29], s[26:27]
	s_cbranch_execnz .LBB134_941
	s_branch .LBB134_942
.LBB134_1043:
	s_mov_b64 s[0:1], -1
                                        ; implicit-def: $vgpr0_vgpr1
	s_mov_b64 s[22:23], 0
.LBB134_1044:
	s_and_b64 vcc, exec, s[20:21]
	s_cbranch_vccz .LBB134_1047
; %bb.1045:
	s_cmp_eq_u32 s28, 44
	s_cbranch_scc0 .LBB134_1048
; %bb.1046:
	global_load_ubyte v5, v[2:3], off
	s_movk_i32 s20, 0xff
	v_bfrev_b32_e32 v6, 4
	v_mov_b32_e32 v7, 0x7ff80000
	v_bfrev_b32_e32 v8, 28
	s_mov_b64 s[0:1], 0
	s_mov_b64 s[22:23], -1
	s_waitcnt vmcnt(0)
	v_lshlrev_b32_e32 v0, 23, v5
	v_cvt_f64_f32_e32 v[0:1], v0
	v_cmp_ne_u32_e32 vcc, s20, v5
	v_cndmask_b32_e32 v0, v6, v0, vcc
	v_cndmask_b32_e32 v1, v7, v1, vcc
	v_cmp_ne_u32_e32 vcc, 0, v5
	v_cndmask_b32_e32 v1, v8, v1, vcc
	v_cndmask_b32_e32 v0, 0, v0, vcc
.LBB134_1047:
	s_branch .LBB134_1052
.LBB134_1048:
	s_mov_b64 s[0:1], -1
                                        ; implicit-def: $vgpr0_vgpr1
	s_branch .LBB134_1052
.LBB134_1049:
	s_cmp_eq_u32 s28, 29
	s_cbranch_scc0 .LBB134_1051
; %bb.1050:
	global_load_dwordx2 v[0:1], v[2:3], off
	s_mov_b64 s[0:1], 0
	s_mov_b64 s[22:23], -1
	s_mov_b64 s[20:21], 0
	s_waitcnt vmcnt(0)
	v_cvt_f64_u32_e32 v[5:6], v1
	v_cvt_f64_u32_e32 v[0:1], v0
	v_ldexp_f64 v[5:6], v[5:6], 32
	v_add_f64 v[0:1], v[5:6], v[0:1]
	s_branch .LBB134_1053
.LBB134_1051:
	s_mov_b64 s[0:1], -1
                                        ; implicit-def: $vgpr0_vgpr1
.LBB134_1052:
	s_mov_b64 s[20:21], 0
.LBB134_1053:
	s_and_b64 vcc, exec, s[20:21]
	s_cbranch_vccz .LBB134_1073
; %bb.1054:
	s_cmp_lt_i32 s28, 27
	s_cbranch_scc1 .LBB134_1057
; %bb.1055:
	s_cmp_gt_i32 s28, 27
	s_cbranch_scc0 .LBB134_1058
; %bb.1056:
	global_load_dword v0, v[2:3], off
	s_mov_b64 s[20:21], 0
	s_waitcnt vmcnt(0)
	v_cvt_f64_u32_e32 v[0:1], v0
	s_branch .LBB134_1059
.LBB134_1057:
	s_mov_b64 s[20:21], -1
                                        ; implicit-def: $vgpr0_vgpr1
	s_branch .LBB134_1062
.LBB134_1058:
	s_mov_b64 s[20:21], -1
                                        ; implicit-def: $vgpr0_vgpr1
.LBB134_1059:
	s_andn2_b64 vcc, exec, s[20:21]
	s_cbranch_vccnz .LBB134_1061
; %bb.1060:
	global_load_ushort v0, v[2:3], off
	s_waitcnt vmcnt(0)
	v_cvt_f64_u32_e32 v[0:1], v0
.LBB134_1061:
	s_mov_b64 s[20:21], 0
.LBB134_1062:
	s_andn2_b64 vcc, exec, s[20:21]
	s_cbranch_vccnz .LBB134_1072
; %bb.1063:
	global_load_ubyte v5, v[2:3], off
	s_movk_i32 s20, 0x7f
	s_waitcnt vmcnt(0)
	v_cmp_lt_i16_e32 vcc, s20, v5
	s_mov_b64 s[20:21], 0
	s_and_saveexec_b64 s[22:23], vcc
	s_xor_b64 s[22:23], exec, s[22:23]
	s_cbranch_execz .LBB134_1067
; %bb.1064:
	s_movk_i32 s20, 0x80
	v_cmp_eq_u16_e32 vcc, s20, v5
	s_mov_b64 s[20:21], -1
	s_and_saveexec_b64 s[24:25], vcc
; %bb.1065:
	s_xor_b64 s[20:21], exec, -1
; %bb.1066:
	s_or_b64 exec, exec, s[24:25]
	s_and_b64 s[20:21], s[20:21], exec
.LBB134_1067:
	s_or_saveexec_b64 s[22:23], s[22:23]
	v_bfrev_b32_e32 v0, 4
	v_mov_b32_e32 v1, 0x7ff80000
	s_xor_b64 exec, exec, s[22:23]
; %bb.1068:
	v_cmp_ne_u16_e32 vcc, 0, v5
	v_mov_b32_e32 v0, 0
	s_andn2_b64 s[20:21], s[20:21], exec
	s_and_b64 s[24:25], vcc, exec
	v_mov_b32_e32 v1, 0
	s_or_b64 s[20:21], s[20:21], s[24:25]
; %bb.1069:
	s_or_b64 exec, exec, s[22:23]
	s_and_saveexec_b64 s[22:23], s[20:21]
	s_cbranch_execz .LBB134_1071
; %bb.1070:
	v_and_b32_e32 v1, 0xffff, v5
	v_lshlrev_b32_e32 v0, 24, v5
	v_and_b32_e32 v5, 7, v1
	v_ffbh_u32_e32 v7, v5
	v_min_u32_e32 v7, 32, v7
	v_subrev_u32_e32 v8, 28, v7
	v_bfe_u32 v6, v1, 3, 4
	v_lshlrev_b32_e32 v1, v8, v1
	v_sub_u32_e32 v7, 29, v7
	v_and_b32_e32 v1, 7, v1
	v_cmp_eq_u32_e32 vcc, 0, v6
	v_cndmask_b32_e32 v6, v6, v7, vcc
	v_cndmask_b32_e32 v1, v5, v1, vcc
	v_mov_b32_e32 v5, 0x3b800000
	v_lshlrev_b32_e32 v1, 20, v1
	v_and_b32_e32 v0, 0x80000000, v0
	v_lshl_add_u32 v5, v6, 23, v5
	v_or3_b32 v0, v0, v5, v1
	v_cvt_f64_f32_e32 v[0:1], v0
.LBB134_1071:
	s_or_b64 exec, exec, s[22:23]
.LBB134_1072:
	s_mov_b64 s[22:23], -1
.LBB134_1073:
	s_branch .LBB134_1103
.LBB134_1074:
	s_cmp_gt_i32 s28, 22
	s_cbranch_scc0 .LBB134_1086
; %bb.1075:
	s_cmp_lt_i32 s28, 24
	s_cbranch_scc1 .LBB134_1087
; %bb.1076:
	s_cmp_gt_i32 s28, 24
	s_cbranch_scc0 .LBB134_1088
; %bb.1077:
	global_load_ubyte v5, v[2:3], off
	s_movk_i32 s4, 0x7f
	s_waitcnt vmcnt(0)
	v_cmp_lt_i16_e32 vcc, s4, v5
	s_mov_b64 s[4:5], 0
	s_and_saveexec_b64 s[20:21], vcc
	s_xor_b64 s[20:21], exec, s[20:21]
	s_cbranch_execz .LBB134_1081
; %bb.1078:
	s_movk_i32 s4, 0x80
	v_cmp_eq_u16_e32 vcc, s4, v5
	s_mov_b64 s[4:5], -1
	s_and_saveexec_b64 s[22:23], vcc
; %bb.1079:
	s_xor_b64 s[4:5], exec, -1
; %bb.1080:
	s_or_b64 exec, exec, s[22:23]
	s_and_b64 s[4:5], s[4:5], exec
.LBB134_1081:
	s_or_saveexec_b64 s[20:21], s[20:21]
	v_bfrev_b32_e32 v0, 4
	v_mov_b32_e32 v1, 0x7ff80000
	s_xor_b64 exec, exec, s[20:21]
; %bb.1082:
	v_cmp_ne_u16_e32 vcc, 0, v5
	v_mov_b32_e32 v0, 0
	s_andn2_b64 s[4:5], s[4:5], exec
	s_and_b64 s[22:23], vcc, exec
	v_mov_b32_e32 v1, 0
	s_or_b64 s[4:5], s[4:5], s[22:23]
; %bb.1083:
	s_or_b64 exec, exec, s[20:21]
	s_and_saveexec_b64 s[20:21], s[4:5]
	s_cbranch_execz .LBB134_1085
; %bb.1084:
	v_and_b32_e32 v1, 0xffff, v5
	v_lshlrev_b32_e32 v0, 24, v5
	v_and_b32_e32 v5, 3, v1
	v_ffbh_u32_e32 v7, v5
	v_min_u32_e32 v7, 32, v7
	v_subrev_u32_e32 v8, 29, v7
	v_bfe_u32 v6, v1, 2, 5
	v_lshlrev_b32_e32 v1, v8, v1
	v_sub_u32_e32 v7, 30, v7
	v_and_b32_e32 v1, 3, v1
	v_cmp_eq_u32_e32 vcc, 0, v6
	v_cndmask_b32_e32 v6, v6, v7, vcc
	v_cndmask_b32_e32 v1, v5, v1, vcc
	v_mov_b32_e32 v5, 0x37800000
	v_lshlrev_b32_e32 v1, 21, v1
	v_and_b32_e32 v0, 0x80000000, v0
	v_lshl_add_u32 v5, v6, 23, v5
	v_or3_b32 v0, v0, v5, v1
	v_cvt_f64_f32_e32 v[0:1], v0
.LBB134_1085:
	s_or_b64 exec, exec, s[20:21]
	s_mov_b64 s[4:5], 0
	s_branch .LBB134_1089
.LBB134_1086:
                                        ; implicit-def: $vgpr0_vgpr1
	s_mov_b64 s[4:5], 0
	s_branch .LBB134_1095
.LBB134_1087:
	s_mov_b64 s[4:5], -1
                                        ; implicit-def: $vgpr0_vgpr1
	s_branch .LBB134_1092
.LBB134_1088:
	s_mov_b64 s[4:5], -1
                                        ; implicit-def: $vgpr0_vgpr1
.LBB134_1089:
	s_and_b64 vcc, exec, s[4:5]
	s_cbranch_vccz .LBB134_1091
; %bb.1090:
	global_load_ubyte v0, v[2:3], off
	s_mov_b32 s4, 0x7f800000
	s_waitcnt vmcnt(0)
	v_lshlrev_b32_e32 v0, 24, v0
	v_and_b32_e32 v1, 0x7f000000, v0
	v_ffbh_u32_e32 v5, v1
	v_min_u32_e32 v5, 32, v5
	v_sub_u32_e64 v5, v5, 4 clamp
	v_lshlrev_b32_e32 v7, v5, v1
	v_lshlrev_b32_e32 v5, 23, v5
	v_lshrrev_b32_e32 v7, 4, v7
	v_add_u32_e32 v6, 0x1000000, v1
	v_sub_u32_e32 v5, v7, v5
	v_ashrrev_i32_e32 v6, 8, v6
	v_add_u32_e32 v5, 0x3c000000, v5
	v_and_or_b32 v5, v6, s4, v5
	v_cmp_ne_u32_e32 vcc, 0, v1
	v_cndmask_b32_e32 v1, 0, v5, vcc
	s_brev_b32 s4, 1
	v_and_or_b32 v0, v0, s4, v1
	v_cvt_f64_f32_e32 v[0:1], v0
.LBB134_1091:
	s_mov_b64 s[4:5], 0
.LBB134_1092:
	s_andn2_b64 vcc, exec, s[4:5]
	s_cbranch_vccnz .LBB134_1094
; %bb.1093:
	global_load_ubyte v0, v[2:3], off
	s_movk_i32 s4, 0x7f00
	s_brev_b32 s5, 16
	s_waitcnt vmcnt(0)
	v_lshlrev_b16_e32 v1, 8, v0
	v_lshlrev_b32_e32 v0, 25, v0
	v_lshrrev_b32_e32 v5, 4, v0
	v_and_or_b32 v6, v1, s4, 0.5
	v_or_b32_e32 v5, 0x70000000, v5
	v_add_f32_e32 v6, -0.5, v6
	v_mul_f32_e32 v5, 0x7800000, v5
	v_cmp_gt_u32_e32 vcc, s5, v0
	v_bfe_i32 v1, v1, 0, 16
	v_cndmask_b32_e32 v0, v5, v6, vcc
	s_brev_b32 s4, 1
	v_and_or_b32 v0, v1, s4, v0
	v_cvt_f64_f32_e32 v[0:1], v0
.LBB134_1094:
	s_mov_b64 s[22:23], -1
	s_mov_b64 s[4:5], 0
	s_cbranch_execnz .LBB134_1103
.LBB134_1095:
	s_cmp_gt_i32 s28, 14
	s_cbranch_scc0 .LBB134_1098
; %bb.1096:
	s_cmp_eq_u32 s28, 15
	s_cbranch_scc0 .LBB134_1099
; %bb.1097:
	global_load_ushort v0, v[2:3], off
	s_mov_b64 s[0:1], 0
	s_mov_b64 s[22:23], -1
	s_waitcnt vmcnt(0)
	v_lshlrev_b32_e32 v0, 16, v0
	v_cvt_f64_f32_e32 v[0:1], v0
	s_branch .LBB134_1100
.LBB134_1098:
	s_mov_b64 s[20:21], -1
                                        ; implicit-def: $vgpr0_vgpr1
	s_branch .LBB134_1101
.LBB134_1099:
	s_mov_b64 s[0:1], -1
                                        ; implicit-def: $vgpr0_vgpr1
.LBB134_1100:
	s_mov_b64 s[20:21], 0
.LBB134_1101:
	s_and_b64 vcc, exec, s[20:21]
	s_cbranch_vccz .LBB134_1103
; %bb.1102:
	s_cmp_lg_u32 s28, 11
	s_mov_b64 s[4:5], -1
	s_cselect_b64 s[0:1], -1, 0
.LBB134_1103:
	s_and_b64 vcc, exec, s[0:1]
	s_mov_b64 s[20:21], s[18:19]
	s_cbranch_vccnz .LBB134_1164
; %bb.1104:
	s_andn2_b64 vcc, exec, s[4:5]
	s_cbranch_vccnz .LBB134_1106
.LBB134_1105:
	global_load_ubyte v1, v[2:3], off
	v_mov_b32_e32 v5, 0x3ff00000
	v_mov_b32_e32 v0, 0
	s_mov_b64 s[22:23], -1
	s_waitcnt vmcnt(0)
	v_cmp_ne_u16_e32 vcc, 0, v1
	v_cndmask_b32_e32 v1, 0, v5, vcc
.LBB134_1106:
	s_branch .LBB134_1036
.LBB134_1107:
	s_cmp_lt_i32 s28, 5
	s_cbranch_scc1 .LBB134_1112
; %bb.1108:
	s_cmp_lt_i32 s28, 8
	s_cbranch_scc1 .LBB134_1113
; %bb.1109:
	;; [unrolled: 3-line block ×3, first 2 shown]
	s_cmp_gt_i32 s28, 9
	s_cbranch_scc0 .LBB134_1115
; %bb.1111:
	global_load_dwordx2 v[0:1], v[2:3], off
	s_mov_b64 s[0:1], 0
	s_branch .LBB134_1116
.LBB134_1112:
                                        ; implicit-def: $vgpr0_vgpr1
	s_branch .LBB134_1133
.LBB134_1113:
                                        ; implicit-def: $vgpr0_vgpr1
	s_branch .LBB134_1122
.LBB134_1114:
	s_mov_b64 s[0:1], -1
                                        ; implicit-def: $vgpr0_vgpr1
	s_branch .LBB134_1119
.LBB134_1115:
	s_mov_b64 s[0:1], -1
                                        ; implicit-def: $vgpr0_vgpr1
.LBB134_1116:
	s_andn2_b64 vcc, exec, s[0:1]
	s_cbranch_vccnz .LBB134_1118
; %bb.1117:
	global_load_dword v0, v[2:3], off
	s_waitcnt vmcnt(0)
	v_cvt_f64_f32_e32 v[0:1], v0
.LBB134_1118:
	s_mov_b64 s[0:1], 0
.LBB134_1119:
	s_andn2_b64 vcc, exec, s[0:1]
	s_cbranch_vccnz .LBB134_1121
; %bb.1120:
	global_load_dword v0, v[2:3], off
	s_waitcnt vmcnt(0)
	v_cvt_f32_f16_e32 v0, v0
	v_cvt_f64_f32_e32 v[0:1], v0
.LBB134_1121:
	s_cbranch_execnz .LBB134_1132
.LBB134_1122:
	s_cmp_lt_i32 s28, 6
	s_cbranch_scc1 .LBB134_1125
; %bb.1123:
	s_cmp_gt_i32 s28, 6
	s_cbranch_scc0 .LBB134_1126
; %bb.1124:
	global_load_dwordx2 v[0:1], v[2:3], off
	s_mov_b64 s[0:1], 0
	s_branch .LBB134_1127
.LBB134_1125:
	s_mov_b64 s[0:1], -1
                                        ; implicit-def: $vgpr0_vgpr1
	s_branch .LBB134_1130
.LBB134_1126:
	s_mov_b64 s[0:1], -1
                                        ; implicit-def: $vgpr0_vgpr1
.LBB134_1127:
	s_andn2_b64 vcc, exec, s[0:1]
	s_cbranch_vccnz .LBB134_1129
; %bb.1128:
	global_load_dword v0, v[2:3], off
	s_waitcnt vmcnt(0)
	v_cvt_f64_f32_e32 v[0:1], v0
.LBB134_1129:
	s_mov_b64 s[0:1], 0
.LBB134_1130:
	s_andn2_b64 vcc, exec, s[0:1]
	s_cbranch_vccnz .LBB134_1132
; %bb.1131:
	global_load_ushort v0, v[2:3], off
	s_waitcnt vmcnt(0)
	v_cvt_f32_f16_e32 v0, v0
	v_cvt_f64_f32_e32 v[0:1], v0
.LBB134_1132:
	s_cbranch_execnz .LBB134_1151
.LBB134_1133:
	s_cmp_lt_i32 s28, 2
	s_cbranch_scc1 .LBB134_1137
; %bb.1134:
	s_cmp_lt_i32 s28, 3
	s_cbranch_scc1 .LBB134_1138
; %bb.1135:
	s_cmp_gt_i32 s28, 3
	s_cbranch_scc0 .LBB134_1139
; %bb.1136:
	global_load_dwordx2 v[0:1], v[2:3], off
	s_mov_b64 s[0:1], 0
	s_waitcnt vmcnt(0)
	v_cvt_f64_i32_e32 v[5:6], v1
	v_cvt_f64_u32_e32 v[0:1], v0
	v_ldexp_f64 v[5:6], v[5:6], 32
	v_add_f64 v[0:1], v[5:6], v[0:1]
	s_branch .LBB134_1140
.LBB134_1137:
                                        ; implicit-def: $vgpr0_vgpr1
	s_branch .LBB134_1146
.LBB134_1138:
	s_mov_b64 s[0:1], -1
                                        ; implicit-def: $vgpr0_vgpr1
	s_branch .LBB134_1143
.LBB134_1139:
	s_mov_b64 s[0:1], -1
                                        ; implicit-def: $vgpr0_vgpr1
.LBB134_1140:
	s_andn2_b64 vcc, exec, s[0:1]
	s_cbranch_vccnz .LBB134_1142
; %bb.1141:
	global_load_dword v0, v[2:3], off
	s_waitcnt vmcnt(0)
	v_cvt_f64_i32_e32 v[0:1], v0
.LBB134_1142:
	s_mov_b64 s[0:1], 0
.LBB134_1143:
	s_andn2_b64 vcc, exec, s[0:1]
	s_cbranch_vccnz .LBB134_1145
; %bb.1144:
	global_load_sshort v0, v[2:3], off
	s_waitcnt vmcnt(0)
	v_cvt_f64_i32_e32 v[0:1], v0
.LBB134_1145:
	s_cbranch_execnz .LBB134_1151
.LBB134_1146:
	s_cmp_gt_i32 s28, 0
	s_cbranch_scc0 .LBB134_1148
; %bb.1147:
	global_load_sbyte v0, v[2:3], off
	s_mov_b64 s[0:1], 0
	s_waitcnt vmcnt(0)
	v_cvt_f64_i32_e32 v[0:1], v0
	s_branch .LBB134_1149
.LBB134_1148:
	s_mov_b64 s[0:1], -1
                                        ; implicit-def: $vgpr0_vgpr1
.LBB134_1149:
	s_andn2_b64 vcc, exec, s[0:1]
	s_cbranch_vccnz .LBB134_1151
; %bb.1150:
	global_load_ubyte v0, v[2:3], off
	s_waitcnt vmcnt(0)
	v_cvt_f64_u32_e32 v[0:1], v0
.LBB134_1151:
                                        ; implicit-def: $vgpr2_vgpr3
.LBB134_1152:
	s_lshl_b32 s17, s17, 7
	v_add_u32_e32 v4, s17, v4
	v_ashrrev_i32_e32 v3, 31, v4
	v_mov_b32_e32 v5, s11
	v_add_co_u32_e32 v2, vcc, s10, v4
	s_cmp_lt_i32 s28, 11
	v_addc_co_u32_e32 v3, vcc, v5, v3, vcc
	s_cbranch_scc1 .LBB134_1159
; %bb.1153:
	s_cmp_gt_i32 s28, 25
	s_mov_b64 s[4:5], 0
	s_cbranch_scc0 .LBB134_1161
; %bb.1154:
	s_cmp_gt_i32 s28, 28
	s_cbranch_scc0 .LBB134_1162
; %bb.1155:
	s_cmp_gt_i32 s28, 43
	;; [unrolled: 3-line block ×3, first 2 shown]
	s_cbranch_scc0 .LBB134_1165
; %bb.1157:
	s_cmp_eq_u32 s28, 46
	s_mov_b64 s[24:25], 0
	s_cbranch_scc0 .LBB134_1168
; %bb.1158:
	global_load_dword v5, v[2:3], off
	s_mov_b64 s[0:1], 0
	s_mov_b64 s[22:23], -1
	s_waitcnt vmcnt(0)
	v_lshlrev_b32_e32 v5, 16, v5
	v_cvt_f64_f32_e32 v[8:9], v5
	s_branch .LBB134_1169
.LBB134_1159:
	s_mov_b64 s[22:23], 0
                                        ; implicit-def: $vgpr8_vgpr9
	s_cbranch_execnz .LBB134_1234
.LBB134_1160:
	s_andn2_b64 vcc, exec, s[22:23]
	s_cbranch_vccnz .LBB134_1973
	s_branch .LBB134_1281
.LBB134_1161:
	s_mov_b64 s[22:23], 0
	s_mov_b64 s[0:1], 0
                                        ; implicit-def: $vgpr8_vgpr9
	s_cbranch_execnz .LBB134_1200
	s_branch .LBB134_1230
.LBB134_1162:
	s_mov_b64 s[24:25], -1
	s_mov_b64 s[22:23], 0
	s_mov_b64 s[0:1], 0
                                        ; implicit-def: $vgpr8_vgpr9
	s_branch .LBB134_1179
.LBB134_1163:
	s_mov_b64 s[24:25], -1
	s_mov_b64 s[22:23], 0
	s_mov_b64 s[0:1], 0
                                        ; implicit-def: $vgpr8_vgpr9
	s_branch .LBB134_1174
.LBB134_1164:
	s_or_b64 s[20:21], s[18:19], exec
	s_trap 2
	s_cbranch_execz .LBB134_1105
	s_branch .LBB134_1106
.LBB134_1165:
	s_mov_b64 s[24:25], -1
	s_mov_b64 s[22:23], 0
	s_mov_b64 s[0:1], 0
                                        ; implicit-def: $vgpr8_vgpr9
	s_branch .LBB134_1169
.LBB134_1166:
	s_andn2_saveexec_b64 s[30:31], s[30:31]
	s_cbranch_execz .LBB134_952
.LBB134_1167:
	s_mov_b32 s36, 0x42800000
	v_add_f32_e64 v3, |v2|, s36
	v_and_b32_e32 v3, 0xff, v3
	v_cmp_ne_u32_e32 vcc, 0, v3
	s_andn2_b64 s[28:29], s[28:29], exec
	s_and_b64 s[36:37], vcc, exec
	s_or_b64 s[28:29], s[28:29], s[36:37]
	s_or_b64 exec, exec, s[30:31]
	v_mov_b32_e32 v6, 0
	s_and_saveexec_b64 s[30:31], s[28:29]
	s_cbranch_execnz .LBB134_953
	s_branch .LBB134_954
.LBB134_1168:
	s_mov_b64 s[0:1], -1
                                        ; implicit-def: $vgpr8_vgpr9
	s_mov_b64 s[22:23], 0
.LBB134_1169:
	s_and_b64 vcc, exec, s[24:25]
	s_cbranch_vccz .LBB134_1173
; %bb.1170:
	s_cmp_eq_u32 s28, 44
	s_cbranch_scc0 .LBB134_1172
; %bb.1171:
	global_load_ubyte v7, v[2:3], off
	s_movk_i32 s22, 0xff
	v_bfrev_b32_e32 v8, 4
	v_mov_b32_e32 v9, 0x7ff80000
	v_bfrev_b32_e32 v11, 28
	s_mov_b64 s[0:1], 0
	s_waitcnt vmcnt(0)
	v_lshlrev_b32_e32 v5, 23, v7
	v_cvt_f64_f32_e32 v[5:6], v5
	v_cmp_ne_u32_e32 vcc, s22, v7
	s_mov_b64 s[22:23], -1
	v_cndmask_b32_e32 v5, v8, v5, vcc
	v_cndmask_b32_e32 v6, v9, v6, vcc
	v_cmp_ne_u32_e32 vcc, 0, v7
	v_cndmask_b32_e32 v9, v11, v6, vcc
	v_cndmask_b32_e32 v8, 0, v5, vcc
	s_branch .LBB134_1173
.LBB134_1172:
	s_mov_b64 s[0:1], -1
                                        ; implicit-def: $vgpr8_vgpr9
.LBB134_1173:
	s_mov_b64 s[24:25], 0
.LBB134_1174:
	s_and_b64 vcc, exec, s[24:25]
	s_cbranch_vccz .LBB134_1178
; %bb.1175:
	s_cmp_eq_u32 s28, 29
	s_cbranch_scc0 .LBB134_1177
; %bb.1176:
	global_load_dwordx2 v[5:6], v[2:3], off
	s_mov_b64 s[0:1], 0
	s_mov_b64 s[22:23], -1
	s_mov_b64 s[24:25], 0
	s_waitcnt vmcnt(0)
	v_cvt_f64_u32_e32 v[6:7], v6
	v_cvt_f64_u32_e32 v[8:9], v5
	v_ldexp_f64 v[6:7], v[6:7], 32
	v_add_f64 v[8:9], v[6:7], v[8:9]
	s_branch .LBB134_1179
.LBB134_1177:
	s_mov_b64 s[0:1], -1
                                        ; implicit-def: $vgpr8_vgpr9
.LBB134_1178:
	s_mov_b64 s[24:25], 0
.LBB134_1179:
	s_and_b64 vcc, exec, s[24:25]
	s_cbranch_vccz .LBB134_1199
; %bb.1180:
	s_cmp_lt_i32 s28, 27
	s_cbranch_scc1 .LBB134_1183
; %bb.1181:
	s_cmp_gt_i32 s28, 27
	s_cbranch_scc0 .LBB134_1184
; %bb.1182:
	global_load_dword v5, v[2:3], off
	s_mov_b64 s[22:23], 0
	s_waitcnt vmcnt(0)
	v_cvt_f64_u32_e32 v[8:9], v5
	s_branch .LBB134_1185
.LBB134_1183:
	s_mov_b64 s[22:23], -1
                                        ; implicit-def: $vgpr8_vgpr9
	s_branch .LBB134_1188
.LBB134_1184:
	s_mov_b64 s[22:23], -1
                                        ; implicit-def: $vgpr8_vgpr9
.LBB134_1185:
	s_andn2_b64 vcc, exec, s[22:23]
	s_cbranch_vccnz .LBB134_1187
; %bb.1186:
	global_load_ushort v5, v[2:3], off
	s_waitcnt vmcnt(0)
	v_cvt_f64_u32_e32 v[8:9], v5
.LBB134_1187:
	s_mov_b64 s[22:23], 0
.LBB134_1188:
	s_andn2_b64 vcc, exec, s[22:23]
	s_cbranch_vccnz .LBB134_1198
; %bb.1189:
	global_load_ubyte v5, v[2:3], off
	s_movk_i32 s22, 0x7f
	s_waitcnt vmcnt(0)
	v_cmp_lt_i16_e32 vcc, s22, v5
	s_mov_b64 s[22:23], 0
	s_and_saveexec_b64 s[24:25], vcc
	s_xor_b64 s[24:25], exec, s[24:25]
	s_cbranch_execz .LBB134_1193
; %bb.1190:
	s_movk_i32 s22, 0x80
	v_cmp_eq_u16_e32 vcc, s22, v5
	s_mov_b64 s[22:23], -1
	s_and_saveexec_b64 s[26:27], vcc
; %bb.1191:
	s_xor_b64 s[22:23], exec, -1
; %bb.1192:
	s_or_b64 exec, exec, s[26:27]
	s_and_b64 s[22:23], s[22:23], exec
.LBB134_1193:
	s_or_saveexec_b64 s[24:25], s[24:25]
	v_bfrev_b32_e32 v8, 4
	v_mov_b32_e32 v9, 0x7ff80000
	s_xor_b64 exec, exec, s[24:25]
; %bb.1194:
	v_cmp_ne_u16_e32 vcc, 0, v5
	v_mov_b32_e32 v8, 0
	s_andn2_b64 s[22:23], s[22:23], exec
	s_and_b64 s[26:27], vcc, exec
	v_mov_b32_e32 v9, 0
	s_or_b64 s[22:23], s[22:23], s[26:27]
; %bb.1195:
	s_or_b64 exec, exec, s[24:25]
	s_and_saveexec_b64 s[24:25], s[22:23]
	s_cbranch_execz .LBB134_1197
; %bb.1196:
	v_lshlrev_b32_e32 v6, 24, v5
	v_and_b32_e32 v5, 0xffff, v5
	v_and_b32_e32 v7, 7, v5
	v_ffbh_u32_e32 v9, v7
	v_min_u32_e32 v9, 32, v9
	v_subrev_u32_e32 v11, 28, v9
	v_bfe_u32 v8, v5, 3, 4
	v_lshlrev_b32_e32 v5, v11, v5
	v_sub_u32_e32 v9, 29, v9
	v_and_b32_e32 v5, 7, v5
	v_cmp_eq_u32_e32 vcc, 0, v8
	v_cndmask_b32_e32 v8, v8, v9, vcc
	v_cndmask_b32_e32 v5, v7, v5, vcc
	v_mov_b32_e32 v7, 0x3b800000
	v_lshlrev_b32_e32 v5, 20, v5
	v_and_b32_e32 v6, 0x80000000, v6
	v_lshl_add_u32 v7, v8, 23, v7
	v_or3_b32 v5, v6, v7, v5
	v_cvt_f64_f32_e32 v[8:9], v5
.LBB134_1197:
	s_or_b64 exec, exec, s[24:25]
.LBB134_1198:
	s_mov_b64 s[22:23], -1
.LBB134_1199:
	s_branch .LBB134_1230
.LBB134_1200:
	s_cmp_gt_i32 s28, 22
	s_cbranch_scc0 .LBB134_1212
; %bb.1201:
	s_cmp_lt_i32 s28, 24
	s_cbranch_scc1 .LBB134_1213
; %bb.1202:
	s_cmp_gt_i32 s28, 24
	s_cbranch_scc0 .LBB134_1214
; %bb.1203:
	global_load_ubyte v5, v[2:3], off
	s_movk_i32 s4, 0x7f
	s_waitcnt vmcnt(0)
	v_cmp_lt_i16_e32 vcc, s4, v5
	s_mov_b64 s[4:5], 0
	s_and_saveexec_b64 s[22:23], vcc
	s_xor_b64 s[22:23], exec, s[22:23]
	s_cbranch_execz .LBB134_1207
; %bb.1204:
	s_movk_i32 s4, 0x80
	v_cmp_eq_u16_e32 vcc, s4, v5
	s_mov_b64 s[4:5], -1
	s_and_saveexec_b64 s[24:25], vcc
; %bb.1205:
	s_xor_b64 s[4:5], exec, -1
; %bb.1206:
	s_or_b64 exec, exec, s[24:25]
	s_and_b64 s[4:5], s[4:5], exec
.LBB134_1207:
	s_or_saveexec_b64 s[22:23], s[22:23]
	v_bfrev_b32_e32 v8, 4
	v_mov_b32_e32 v9, 0x7ff80000
	s_xor_b64 exec, exec, s[22:23]
; %bb.1208:
	v_cmp_ne_u16_e32 vcc, 0, v5
	v_mov_b32_e32 v8, 0
	s_andn2_b64 s[4:5], s[4:5], exec
	s_and_b64 s[24:25], vcc, exec
	v_mov_b32_e32 v9, 0
	s_or_b64 s[4:5], s[4:5], s[24:25]
; %bb.1209:
	s_or_b64 exec, exec, s[22:23]
	s_and_saveexec_b64 s[22:23], s[4:5]
	s_cbranch_execz .LBB134_1211
; %bb.1210:
	v_lshlrev_b32_e32 v6, 24, v5
	v_and_b32_e32 v5, 0xffff, v5
	v_and_b32_e32 v7, 3, v5
	v_ffbh_u32_e32 v9, v7
	v_min_u32_e32 v9, 32, v9
	v_subrev_u32_e32 v11, 29, v9
	v_bfe_u32 v8, v5, 2, 5
	v_lshlrev_b32_e32 v5, v11, v5
	v_sub_u32_e32 v9, 30, v9
	v_and_b32_e32 v5, 3, v5
	v_cmp_eq_u32_e32 vcc, 0, v8
	v_cndmask_b32_e32 v8, v8, v9, vcc
	v_cndmask_b32_e32 v5, v7, v5, vcc
	v_mov_b32_e32 v7, 0x37800000
	v_lshlrev_b32_e32 v5, 21, v5
	v_and_b32_e32 v6, 0x80000000, v6
	v_lshl_add_u32 v7, v8, 23, v7
	v_or3_b32 v5, v6, v7, v5
	v_cvt_f64_f32_e32 v[8:9], v5
.LBB134_1211:
	s_or_b64 exec, exec, s[22:23]
	s_mov_b64 s[4:5], 0
	s_branch .LBB134_1215
.LBB134_1212:
	s_mov_b64 s[4:5], -1
                                        ; implicit-def: $vgpr8_vgpr9
	s_branch .LBB134_1221
.LBB134_1213:
	s_mov_b64 s[4:5], -1
                                        ; implicit-def: $vgpr8_vgpr9
	s_branch .LBB134_1218
.LBB134_1214:
	s_mov_b64 s[4:5], -1
                                        ; implicit-def: $vgpr8_vgpr9
.LBB134_1215:
	s_and_b64 vcc, exec, s[4:5]
	s_cbranch_vccz .LBB134_1217
; %bb.1216:
	global_load_ubyte v5, v[2:3], off
	s_mov_b32 s4, 0x7f800000
	s_waitcnt vmcnt(0)
	v_lshlrev_b32_e32 v5, 24, v5
	v_and_b32_e32 v6, 0x7f000000, v5
	v_ffbh_u32_e32 v7, v6
	v_min_u32_e32 v7, 32, v7
	v_sub_u32_e64 v7, v7, 4 clamp
	v_lshlrev_b32_e32 v9, v7, v6
	v_lshlrev_b32_e32 v7, 23, v7
	v_lshrrev_b32_e32 v9, 4, v9
	v_add_u32_e32 v8, 0x1000000, v6
	v_sub_u32_e32 v7, v9, v7
	v_ashrrev_i32_e32 v8, 8, v8
	v_add_u32_e32 v7, 0x3c000000, v7
	v_and_or_b32 v7, v8, s4, v7
	v_cmp_ne_u32_e32 vcc, 0, v6
	v_cndmask_b32_e32 v6, 0, v7, vcc
	s_brev_b32 s4, 1
	v_and_or_b32 v5, v5, s4, v6
	v_cvt_f64_f32_e32 v[8:9], v5
.LBB134_1217:
	s_mov_b64 s[4:5], 0
.LBB134_1218:
	s_andn2_b64 vcc, exec, s[4:5]
	s_cbranch_vccnz .LBB134_1220
; %bb.1219:
	global_load_ubyte v5, v[2:3], off
	s_movk_i32 s4, 0x7f00
	s_brev_b32 s5, 16
	s_waitcnt vmcnt(0)
	v_lshlrev_b16_e32 v6, 8, v5
	v_lshlrev_b32_e32 v5, 25, v5
	v_lshrrev_b32_e32 v7, 4, v5
	v_and_or_b32 v8, v6, s4, 0.5
	v_or_b32_e32 v7, 0x70000000, v7
	v_add_f32_e32 v8, -0.5, v8
	v_mul_f32_e32 v7, 0x7800000, v7
	v_cmp_gt_u32_e32 vcc, s5, v5
	v_bfe_i32 v6, v6, 0, 16
	v_cndmask_b32_e32 v5, v7, v8, vcc
	s_brev_b32 s4, 1
	v_and_or_b32 v5, v6, s4, v5
	v_cvt_f64_f32_e32 v[8:9], v5
.LBB134_1220:
	s_mov_b64 s[4:5], 0
	s_mov_b64 s[22:23], -1
.LBB134_1221:
	s_andn2_b64 vcc, exec, s[4:5]
	s_mov_b64 s[4:5], 0
	s_cbranch_vccnz .LBB134_1230
; %bb.1222:
	s_cmp_gt_i32 s28, 14
	s_cbranch_scc0 .LBB134_1225
; %bb.1223:
	s_cmp_eq_u32 s28, 15
	s_cbranch_scc0 .LBB134_1226
; %bb.1224:
	global_load_ushort v5, v[2:3], off
	s_mov_b64 s[0:1], 0
	s_mov_b64 s[22:23], -1
	s_waitcnt vmcnt(0)
	v_lshlrev_b32_e32 v5, 16, v5
	v_cvt_f64_f32_e32 v[8:9], v5
	s_branch .LBB134_1227
.LBB134_1225:
	s_mov_b64 s[24:25], -1
                                        ; implicit-def: $vgpr8_vgpr9
	s_branch .LBB134_1228
.LBB134_1226:
	s_mov_b64 s[0:1], -1
                                        ; implicit-def: $vgpr8_vgpr9
.LBB134_1227:
	s_mov_b64 s[24:25], 0
.LBB134_1228:
	s_and_b64 vcc, exec, s[24:25]
	s_cbranch_vccz .LBB134_1230
; %bb.1229:
	s_cmp_lg_u32 s28, 11
	s_mov_b64 s[4:5], -1
	s_cselect_b64 s[0:1], -1, 0
.LBB134_1230:
	s_and_b64 vcc, exec, s[0:1]
	s_cbranch_vccnz .LBB134_1293
; %bb.1231:
	s_andn2_b64 vcc, exec, s[4:5]
	s_cbranch_vccnz .LBB134_1233
.LBB134_1232:
	global_load_ubyte v5, v[2:3], off
	v_mov_b32_e32 v6, 0x3ff00000
	v_mov_b32_e32 v8, 0
	s_mov_b64 s[22:23], -1
	s_waitcnt vmcnt(0)
	v_cmp_ne_u16_e32 vcc, 0, v5
	v_cndmask_b32_e32 v9, 0, v6, vcc
.LBB134_1233:
	s_branch .LBB134_1160
.LBB134_1234:
	s_cmp_lt_i32 s28, 5
	s_cbranch_scc1 .LBB134_1239
; %bb.1235:
	s_cmp_lt_i32 s28, 8
	s_cbranch_scc1 .LBB134_1240
; %bb.1236:
	s_cmp_lt_i32 s28, 9
	s_cbranch_scc1 .LBB134_1241
; %bb.1237:
	s_cmp_gt_i32 s28, 9
	s_cbranch_scc0 .LBB134_1242
; %bb.1238:
	global_load_dwordx2 v[8:9], v[2:3], off
	s_mov_b64 s[0:1], 0
	s_branch .LBB134_1243
.LBB134_1239:
                                        ; implicit-def: $vgpr8_vgpr9
	s_branch .LBB134_1261
.LBB134_1240:
	s_mov_b64 s[0:1], -1
                                        ; implicit-def: $vgpr8_vgpr9
	s_branch .LBB134_1249
.LBB134_1241:
	s_mov_b64 s[0:1], -1
                                        ; implicit-def: $vgpr8_vgpr9
	s_branch .LBB134_1246
.LBB134_1242:
	s_mov_b64 s[0:1], -1
                                        ; implicit-def: $vgpr8_vgpr9
.LBB134_1243:
	s_andn2_b64 vcc, exec, s[0:1]
	s_cbranch_vccnz .LBB134_1245
; %bb.1244:
	global_load_dword v5, v[2:3], off
	s_waitcnt vmcnt(0)
	v_cvt_f64_f32_e32 v[8:9], v5
.LBB134_1245:
	s_mov_b64 s[0:1], 0
.LBB134_1246:
	s_andn2_b64 vcc, exec, s[0:1]
	s_cbranch_vccnz .LBB134_1248
; %bb.1247:
	global_load_dword v5, v[2:3], off
	s_waitcnt vmcnt(0)
	v_cvt_f32_f16_e32 v5, v5
	v_cvt_f64_f32_e32 v[8:9], v5
.LBB134_1248:
	s_mov_b64 s[0:1], 0
.LBB134_1249:
	s_andn2_b64 vcc, exec, s[0:1]
	s_cbranch_vccnz .LBB134_1260
; %bb.1250:
	s_cmp_lt_i32 s28, 6
	s_cbranch_scc1 .LBB134_1253
; %bb.1251:
	s_cmp_gt_i32 s28, 6
	s_cbranch_scc0 .LBB134_1254
; %bb.1252:
	global_load_dwordx2 v[8:9], v[2:3], off
	s_mov_b64 s[0:1], 0
	s_branch .LBB134_1255
.LBB134_1253:
	s_mov_b64 s[0:1], -1
                                        ; implicit-def: $vgpr8_vgpr9
	s_branch .LBB134_1258
.LBB134_1254:
	s_mov_b64 s[0:1], -1
                                        ; implicit-def: $vgpr8_vgpr9
.LBB134_1255:
	s_andn2_b64 vcc, exec, s[0:1]
	s_cbranch_vccnz .LBB134_1257
; %bb.1256:
	global_load_dword v5, v[2:3], off
	s_waitcnt vmcnt(0)
	v_cvt_f64_f32_e32 v[8:9], v5
.LBB134_1257:
	s_mov_b64 s[0:1], 0
.LBB134_1258:
	s_andn2_b64 vcc, exec, s[0:1]
	s_cbranch_vccnz .LBB134_1260
; %bb.1259:
	global_load_ushort v5, v[2:3], off
	s_waitcnt vmcnt(0)
	v_cvt_f32_f16_e32 v5, v5
	v_cvt_f64_f32_e32 v[8:9], v5
.LBB134_1260:
	s_cbranch_execnz .LBB134_1280
.LBB134_1261:
	s_cmp_lt_i32 s28, 2
	s_cbranch_scc1 .LBB134_1265
; %bb.1262:
	s_cmp_lt_i32 s28, 3
	s_cbranch_scc1 .LBB134_1266
; %bb.1263:
	s_cmp_gt_i32 s28, 3
	s_cbranch_scc0 .LBB134_1267
; %bb.1264:
	global_load_dwordx2 v[5:6], v[2:3], off
	s_mov_b64 s[0:1], 0
	s_waitcnt vmcnt(0)
	v_cvt_f64_i32_e32 v[6:7], v6
	v_cvt_f64_u32_e32 v[8:9], v5
	v_ldexp_f64 v[6:7], v[6:7], 32
	v_add_f64 v[8:9], v[6:7], v[8:9]
	s_branch .LBB134_1268
.LBB134_1265:
	s_mov_b64 s[0:1], -1
                                        ; implicit-def: $vgpr8_vgpr9
	s_branch .LBB134_1274
.LBB134_1266:
	s_mov_b64 s[0:1], -1
                                        ; implicit-def: $vgpr8_vgpr9
	s_branch .LBB134_1271
.LBB134_1267:
	s_mov_b64 s[0:1], -1
                                        ; implicit-def: $vgpr8_vgpr9
.LBB134_1268:
	s_andn2_b64 vcc, exec, s[0:1]
	s_cbranch_vccnz .LBB134_1270
; %bb.1269:
	global_load_dword v5, v[2:3], off
	s_waitcnt vmcnt(0)
	v_cvt_f64_i32_e32 v[8:9], v5
.LBB134_1270:
	s_mov_b64 s[0:1], 0
.LBB134_1271:
	s_andn2_b64 vcc, exec, s[0:1]
	s_cbranch_vccnz .LBB134_1273
; %bb.1272:
	global_load_sshort v5, v[2:3], off
	s_waitcnt vmcnt(0)
	v_cvt_f64_i32_e32 v[8:9], v5
.LBB134_1273:
	s_mov_b64 s[0:1], 0
.LBB134_1274:
	s_andn2_b64 vcc, exec, s[0:1]
	s_cbranch_vccnz .LBB134_1280
; %bb.1275:
	s_cmp_gt_i32 s28, 0
	s_cbranch_scc0 .LBB134_1277
; %bb.1276:
	global_load_sbyte v5, v[2:3], off
	s_mov_b64 s[0:1], 0
	s_waitcnt vmcnt(0)
	v_cvt_f64_i32_e32 v[8:9], v5
	s_branch .LBB134_1278
.LBB134_1277:
	s_mov_b64 s[0:1], -1
                                        ; implicit-def: $vgpr8_vgpr9
.LBB134_1278:
	s_andn2_b64 vcc, exec, s[0:1]
	s_cbranch_vccnz .LBB134_1280
; %bb.1279:
	global_load_ubyte v2, v[2:3], off
	s_waitcnt vmcnt(0)
	v_cvt_f64_u32_e32 v[8:9], v2
.LBB134_1280:
.LBB134_1281:
	v_add_u32_e32 v4, s17, v4
	v_ashrrev_i32_e32 v3, 31, v4
	v_mov_b32_e32 v5, s11
	v_add_co_u32_e32 v2, vcc, s10, v4
	s_cmp_lt_i32 s28, 11
	v_addc_co_u32_e32 v3, vcc, v5, v3, vcc
	s_cbranch_scc1 .LBB134_1288
; %bb.1282:
	s_cmp_gt_i32 s28, 25
	s_mov_b64 s[4:5], 0
	s_cbranch_scc0 .LBB134_1290
; %bb.1283:
	s_cmp_gt_i32 s28, 28
	s_cbranch_scc0 .LBB134_1291
; %bb.1284:
	s_cmp_gt_i32 s28, 43
	;; [unrolled: 3-line block ×3, first 2 shown]
	s_cbranch_scc0 .LBB134_1294
; %bb.1286:
	s_cmp_eq_u32 s28, 46
	s_mov_b64 s[24:25], 0
	s_cbranch_scc0 .LBB134_1295
; %bb.1287:
	global_load_dword v5, v[2:3], off
	s_mov_b64 s[0:1], 0
	s_mov_b64 s[22:23], -1
	s_waitcnt vmcnt(0)
	v_lshlrev_b32_e32 v5, 16, v5
	v_cvt_f64_f32_e32 v[6:7], v5
	s_branch .LBB134_1296
.LBB134_1288:
	s_mov_b64 s[22:23], 0
                                        ; implicit-def: $vgpr6_vgpr7
	s_cbranch_execnz .LBB134_1362
.LBB134_1289:
	s_andn2_b64 vcc, exec, s[22:23]
	s_cbranch_vccnz .LBB134_1973
	s_branch .LBB134_1410
.LBB134_1290:
	s_mov_b64 s[24:25], -1
	s_mov_b64 s[22:23], 0
	s_mov_b64 s[0:1], 0
                                        ; implicit-def: $vgpr6_vgpr7
	s_branch .LBB134_1327
.LBB134_1291:
	s_mov_b64 s[24:25], -1
	s_mov_b64 s[22:23], 0
	s_mov_b64 s[0:1], 0
                                        ; implicit-def: $vgpr6_vgpr7
	s_branch .LBB134_1306
.LBB134_1292:
	s_mov_b64 s[24:25], -1
	s_mov_b64 s[22:23], 0
	s_mov_b64 s[0:1], 0
                                        ; implicit-def: $vgpr6_vgpr7
	s_branch .LBB134_1301
.LBB134_1293:
	s_trap 2
	s_or_b64 s[20:21], s[20:21], exec
	s_cbranch_execz .LBB134_1232
	s_branch .LBB134_1233
.LBB134_1294:
	s_mov_b64 s[24:25], -1
	s_mov_b64 s[22:23], 0
	s_mov_b64 s[0:1], 0
                                        ; implicit-def: $vgpr6_vgpr7
	s_branch .LBB134_1296
.LBB134_1295:
	s_mov_b64 s[0:1], -1
                                        ; implicit-def: $vgpr6_vgpr7
	s_mov_b64 s[22:23], 0
.LBB134_1296:
	s_and_b64 vcc, exec, s[24:25]
	s_cbranch_vccz .LBB134_1300
; %bb.1297:
	s_cmp_eq_u32 s28, 44
	s_cbranch_scc0 .LBB134_1299
; %bb.1298:
	global_load_ubyte v7, v[2:3], off
	s_movk_i32 s22, 0xff
	v_bfrev_b32_e32 v11, 4
	v_mov_b32_e32 v12, 0x7ff80000
	v_bfrev_b32_e32 v13, 28
	s_mov_b64 s[0:1], 0
	s_waitcnt vmcnt(0)
	v_lshlrev_b32_e32 v5, 23, v7
	v_cvt_f64_f32_e32 v[5:6], v5
	v_cmp_ne_u32_e32 vcc, s22, v7
	s_mov_b64 s[22:23], -1
	v_cndmask_b32_e32 v5, v11, v5, vcc
	v_cndmask_b32_e32 v6, v12, v6, vcc
	v_cmp_ne_u32_e32 vcc, 0, v7
	v_cndmask_b32_e32 v7, v13, v6, vcc
	v_cndmask_b32_e32 v6, 0, v5, vcc
	s_branch .LBB134_1300
.LBB134_1299:
	s_mov_b64 s[0:1], -1
                                        ; implicit-def: $vgpr6_vgpr7
.LBB134_1300:
	s_mov_b64 s[24:25], 0
.LBB134_1301:
	s_and_b64 vcc, exec, s[24:25]
	s_cbranch_vccz .LBB134_1305
; %bb.1302:
	s_cmp_eq_u32 s28, 29
	s_cbranch_scc0 .LBB134_1304
; %bb.1303:
	global_load_dwordx2 v[5:6], v[2:3], off
	s_mov_b64 s[0:1], 0
	s_mov_b64 s[22:23], -1
	s_mov_b64 s[24:25], 0
	s_waitcnt vmcnt(0)
	v_cvt_f64_u32_e32 v[6:7], v6
	v_cvt_f64_u32_e32 v[11:12], v5
	v_ldexp_f64 v[6:7], v[6:7], 32
	v_add_f64 v[6:7], v[6:7], v[11:12]
	s_branch .LBB134_1306
.LBB134_1304:
	s_mov_b64 s[0:1], -1
                                        ; implicit-def: $vgpr6_vgpr7
.LBB134_1305:
	s_mov_b64 s[24:25], 0
.LBB134_1306:
	s_and_b64 vcc, exec, s[24:25]
	s_cbranch_vccz .LBB134_1326
; %bb.1307:
	s_cmp_lt_i32 s28, 27
	s_cbranch_scc1 .LBB134_1310
; %bb.1308:
	s_cmp_gt_i32 s28, 27
	s_cbranch_scc0 .LBB134_1311
; %bb.1309:
	global_load_dword v5, v[2:3], off
	s_mov_b64 s[22:23], 0
	s_waitcnt vmcnt(0)
	v_cvt_f64_u32_e32 v[6:7], v5
	s_branch .LBB134_1312
.LBB134_1310:
	s_mov_b64 s[22:23], -1
                                        ; implicit-def: $vgpr6_vgpr7
	s_branch .LBB134_1315
.LBB134_1311:
	s_mov_b64 s[22:23], -1
                                        ; implicit-def: $vgpr6_vgpr7
.LBB134_1312:
	s_andn2_b64 vcc, exec, s[22:23]
	s_cbranch_vccnz .LBB134_1314
; %bb.1313:
	global_load_ushort v5, v[2:3], off
	s_waitcnt vmcnt(0)
	v_cvt_f64_u32_e32 v[6:7], v5
.LBB134_1314:
	s_mov_b64 s[22:23], 0
.LBB134_1315:
	s_andn2_b64 vcc, exec, s[22:23]
	s_cbranch_vccnz .LBB134_1325
; %bb.1316:
	global_load_ubyte v5, v[2:3], off
	s_movk_i32 s22, 0x7f
	s_waitcnt vmcnt(0)
	v_cmp_lt_i16_e32 vcc, s22, v5
	s_mov_b64 s[22:23], 0
	s_and_saveexec_b64 s[24:25], vcc
	s_xor_b64 s[24:25], exec, s[24:25]
	s_cbranch_execz .LBB134_1320
; %bb.1317:
	s_movk_i32 s22, 0x80
	v_cmp_eq_u16_e32 vcc, s22, v5
	s_mov_b64 s[22:23], -1
	s_and_saveexec_b64 s[26:27], vcc
; %bb.1318:
	s_xor_b64 s[22:23], exec, -1
; %bb.1319:
	s_or_b64 exec, exec, s[26:27]
	s_and_b64 s[22:23], s[22:23], exec
.LBB134_1320:
	s_or_saveexec_b64 s[24:25], s[24:25]
	v_bfrev_b32_e32 v6, 4
	v_mov_b32_e32 v7, 0x7ff80000
	s_xor_b64 exec, exec, s[24:25]
; %bb.1321:
	v_cmp_ne_u16_e32 vcc, 0, v5
	v_mov_b32_e32 v6, 0
	s_andn2_b64 s[22:23], s[22:23], exec
	s_and_b64 s[26:27], vcc, exec
	v_mov_b32_e32 v7, 0
	s_or_b64 s[22:23], s[22:23], s[26:27]
; %bb.1322:
	s_or_b64 exec, exec, s[24:25]
	s_and_saveexec_b64 s[24:25], s[22:23]
	s_cbranch_execz .LBB134_1324
; %bb.1323:
	v_lshlrev_b32_e32 v6, 24, v5
	v_and_b32_e32 v5, 0xffff, v5
	v_and_b32_e32 v7, 7, v5
	v_ffbh_u32_e32 v12, v7
	v_min_u32_e32 v12, 32, v12
	v_subrev_u32_e32 v13, 28, v12
	v_bfe_u32 v11, v5, 3, 4
	v_lshlrev_b32_e32 v5, v13, v5
	v_sub_u32_e32 v12, 29, v12
	v_and_b32_e32 v5, 7, v5
	v_cmp_eq_u32_e32 vcc, 0, v11
	v_cndmask_b32_e32 v11, v11, v12, vcc
	v_cndmask_b32_e32 v5, v7, v5, vcc
	v_mov_b32_e32 v7, 0x3b800000
	v_lshlrev_b32_e32 v5, 20, v5
	v_and_b32_e32 v6, 0x80000000, v6
	v_lshl_add_u32 v7, v11, 23, v7
	v_or3_b32 v5, v6, v7, v5
	v_cvt_f64_f32_e32 v[6:7], v5
.LBB134_1324:
	s_or_b64 exec, exec, s[24:25]
.LBB134_1325:
	s_mov_b64 s[22:23], -1
.LBB134_1326:
	s_mov_b64 s[24:25], 0
.LBB134_1327:
	s_and_b64 vcc, exec, s[24:25]
	s_cbranch_vccz .LBB134_1358
; %bb.1328:
	s_cmp_gt_i32 s28, 22
	s_cbranch_scc0 .LBB134_1340
; %bb.1329:
	s_cmp_lt_i32 s28, 24
	s_cbranch_scc1 .LBB134_1341
; %bb.1330:
	s_cmp_gt_i32 s28, 24
	s_cbranch_scc0 .LBB134_1342
; %bb.1331:
	global_load_ubyte v5, v[2:3], off
	s_movk_i32 s4, 0x7f
	s_waitcnt vmcnt(0)
	v_cmp_lt_i16_e32 vcc, s4, v5
	s_mov_b64 s[4:5], 0
	s_and_saveexec_b64 s[22:23], vcc
	s_xor_b64 s[22:23], exec, s[22:23]
	s_cbranch_execz .LBB134_1335
; %bb.1332:
	s_movk_i32 s4, 0x80
	v_cmp_eq_u16_e32 vcc, s4, v5
	s_mov_b64 s[4:5], -1
	s_and_saveexec_b64 s[24:25], vcc
; %bb.1333:
	s_xor_b64 s[4:5], exec, -1
; %bb.1334:
	s_or_b64 exec, exec, s[24:25]
	s_and_b64 s[4:5], s[4:5], exec
.LBB134_1335:
	s_or_saveexec_b64 s[22:23], s[22:23]
	v_bfrev_b32_e32 v6, 4
	v_mov_b32_e32 v7, 0x7ff80000
	s_xor_b64 exec, exec, s[22:23]
; %bb.1336:
	v_cmp_ne_u16_e32 vcc, 0, v5
	v_mov_b32_e32 v6, 0
	s_andn2_b64 s[4:5], s[4:5], exec
	s_and_b64 s[24:25], vcc, exec
	v_mov_b32_e32 v7, 0
	s_or_b64 s[4:5], s[4:5], s[24:25]
; %bb.1337:
	s_or_b64 exec, exec, s[22:23]
	s_and_saveexec_b64 s[22:23], s[4:5]
	s_cbranch_execz .LBB134_1339
; %bb.1338:
	v_lshlrev_b32_e32 v6, 24, v5
	v_and_b32_e32 v5, 0xffff, v5
	v_and_b32_e32 v7, 3, v5
	v_ffbh_u32_e32 v12, v7
	v_min_u32_e32 v12, 32, v12
	v_subrev_u32_e32 v13, 29, v12
	v_bfe_u32 v11, v5, 2, 5
	v_lshlrev_b32_e32 v5, v13, v5
	v_sub_u32_e32 v12, 30, v12
	v_and_b32_e32 v5, 3, v5
	v_cmp_eq_u32_e32 vcc, 0, v11
	v_cndmask_b32_e32 v11, v11, v12, vcc
	v_cndmask_b32_e32 v5, v7, v5, vcc
	v_mov_b32_e32 v7, 0x37800000
	v_lshlrev_b32_e32 v5, 21, v5
	v_and_b32_e32 v6, 0x80000000, v6
	v_lshl_add_u32 v7, v11, 23, v7
	v_or3_b32 v5, v6, v7, v5
	v_cvt_f64_f32_e32 v[6:7], v5
.LBB134_1339:
	s_or_b64 exec, exec, s[22:23]
	s_mov_b64 s[4:5], 0
	s_branch .LBB134_1343
.LBB134_1340:
	s_mov_b64 s[4:5], -1
                                        ; implicit-def: $vgpr6_vgpr7
	s_branch .LBB134_1349
.LBB134_1341:
	s_mov_b64 s[4:5], -1
                                        ; implicit-def: $vgpr6_vgpr7
	s_branch .LBB134_1346
.LBB134_1342:
	s_mov_b64 s[4:5], -1
                                        ; implicit-def: $vgpr6_vgpr7
.LBB134_1343:
	s_and_b64 vcc, exec, s[4:5]
	s_cbranch_vccz .LBB134_1345
; %bb.1344:
	global_load_ubyte v5, v[2:3], off
	s_mov_b32 s4, 0x7f800000
	s_waitcnt vmcnt(0)
	v_lshlrev_b32_e32 v5, 24, v5
	v_and_b32_e32 v6, 0x7f000000, v5
	v_ffbh_u32_e32 v7, v6
	v_min_u32_e32 v7, 32, v7
	v_sub_u32_e64 v7, v7, 4 clamp
	v_lshlrev_b32_e32 v12, v7, v6
	v_lshlrev_b32_e32 v7, 23, v7
	v_lshrrev_b32_e32 v12, 4, v12
	v_add_u32_e32 v11, 0x1000000, v6
	v_sub_u32_e32 v7, v12, v7
	v_ashrrev_i32_e32 v11, 8, v11
	v_add_u32_e32 v7, 0x3c000000, v7
	v_and_or_b32 v7, v11, s4, v7
	v_cmp_ne_u32_e32 vcc, 0, v6
	v_cndmask_b32_e32 v6, 0, v7, vcc
	s_brev_b32 s4, 1
	v_and_or_b32 v5, v5, s4, v6
	v_cvt_f64_f32_e32 v[6:7], v5
.LBB134_1345:
	s_mov_b64 s[4:5], 0
.LBB134_1346:
	s_andn2_b64 vcc, exec, s[4:5]
	s_cbranch_vccnz .LBB134_1348
; %bb.1347:
	global_load_ubyte v5, v[2:3], off
	s_movk_i32 s4, 0x7f00
	s_brev_b32 s5, 16
	s_waitcnt vmcnt(0)
	v_lshlrev_b16_e32 v6, 8, v5
	v_lshlrev_b32_e32 v5, 25, v5
	v_lshrrev_b32_e32 v7, 4, v5
	v_and_or_b32 v11, v6, s4, 0.5
	v_or_b32_e32 v7, 0x70000000, v7
	v_add_f32_e32 v11, -0.5, v11
	v_mul_f32_e32 v7, 0x7800000, v7
	v_cmp_gt_u32_e32 vcc, s5, v5
	v_bfe_i32 v6, v6, 0, 16
	v_cndmask_b32_e32 v5, v7, v11, vcc
	s_brev_b32 s4, 1
	v_and_or_b32 v5, v6, s4, v5
	v_cvt_f64_f32_e32 v[6:7], v5
.LBB134_1348:
	s_mov_b64 s[4:5], 0
	s_mov_b64 s[22:23], -1
.LBB134_1349:
	s_andn2_b64 vcc, exec, s[4:5]
	s_mov_b64 s[4:5], 0
	s_cbranch_vccnz .LBB134_1358
; %bb.1350:
	s_cmp_gt_i32 s28, 14
	s_cbranch_scc0 .LBB134_1353
; %bb.1351:
	s_cmp_eq_u32 s28, 15
	s_cbranch_scc0 .LBB134_1354
; %bb.1352:
	global_load_ushort v5, v[2:3], off
	s_mov_b64 s[0:1], 0
	s_mov_b64 s[22:23], -1
	s_waitcnt vmcnt(0)
	v_lshlrev_b32_e32 v5, 16, v5
	v_cvt_f64_f32_e32 v[6:7], v5
	s_branch .LBB134_1355
.LBB134_1353:
	s_mov_b64 s[24:25], -1
                                        ; implicit-def: $vgpr6_vgpr7
	s_branch .LBB134_1356
.LBB134_1354:
	s_mov_b64 s[0:1], -1
                                        ; implicit-def: $vgpr6_vgpr7
.LBB134_1355:
	s_mov_b64 s[24:25], 0
.LBB134_1356:
	s_and_b64 vcc, exec, s[24:25]
	s_cbranch_vccz .LBB134_1358
; %bb.1357:
	s_cmp_lg_u32 s28, 11
	s_mov_b64 s[4:5], -1
	s_cselect_b64 s[0:1], -1, 0
.LBB134_1358:
	s_and_b64 vcc, exec, s[0:1]
	s_cbranch_vccnz .LBB134_1421
; %bb.1359:
	s_andn2_b64 vcc, exec, s[4:5]
	s_cbranch_vccnz .LBB134_1361
.LBB134_1360:
	global_load_ubyte v5, v[2:3], off
	v_mov_b32_e32 v7, 0x3ff00000
	v_mov_b32_e32 v6, 0
	s_mov_b64 s[22:23], -1
	s_waitcnt vmcnt(0)
	v_cmp_ne_u16_e32 vcc, 0, v5
	v_cndmask_b32_e32 v7, 0, v7, vcc
.LBB134_1361:
	s_branch .LBB134_1289
.LBB134_1362:
	s_cmp_lt_i32 s28, 5
	s_cbranch_scc1 .LBB134_1367
; %bb.1363:
	s_cmp_lt_i32 s28, 8
	s_cbranch_scc1 .LBB134_1368
; %bb.1364:
	;; [unrolled: 3-line block ×3, first 2 shown]
	s_cmp_gt_i32 s28, 9
	s_cbranch_scc0 .LBB134_1370
; %bb.1366:
	global_load_dwordx2 v[6:7], v[2:3], off
	s_mov_b64 s[0:1], 0
	s_branch .LBB134_1371
.LBB134_1367:
	s_mov_b64 s[0:1], -1
                                        ; implicit-def: $vgpr6_vgpr7
	s_branch .LBB134_1389
.LBB134_1368:
	s_mov_b64 s[0:1], -1
                                        ; implicit-def: $vgpr6_vgpr7
	s_branch .LBB134_1377
.LBB134_1369:
	s_mov_b64 s[0:1], -1
                                        ; implicit-def: $vgpr6_vgpr7
	s_branch .LBB134_1374
.LBB134_1370:
	s_mov_b64 s[0:1], -1
                                        ; implicit-def: $vgpr6_vgpr7
.LBB134_1371:
	s_andn2_b64 vcc, exec, s[0:1]
	s_cbranch_vccnz .LBB134_1373
; %bb.1372:
	global_load_dword v5, v[2:3], off
	s_waitcnt vmcnt(0)
	v_cvt_f64_f32_e32 v[6:7], v5
.LBB134_1373:
	s_mov_b64 s[0:1], 0
.LBB134_1374:
	s_andn2_b64 vcc, exec, s[0:1]
	s_cbranch_vccnz .LBB134_1376
; %bb.1375:
	global_load_dword v5, v[2:3], off
	s_waitcnt vmcnt(0)
	v_cvt_f32_f16_e32 v5, v5
	v_cvt_f64_f32_e32 v[6:7], v5
.LBB134_1376:
	s_mov_b64 s[0:1], 0
.LBB134_1377:
	s_andn2_b64 vcc, exec, s[0:1]
	s_cbranch_vccnz .LBB134_1388
; %bb.1378:
	s_cmp_lt_i32 s28, 6
	s_cbranch_scc1 .LBB134_1381
; %bb.1379:
	s_cmp_gt_i32 s28, 6
	s_cbranch_scc0 .LBB134_1382
; %bb.1380:
	global_load_dwordx2 v[6:7], v[2:3], off
	s_mov_b64 s[0:1], 0
	s_branch .LBB134_1383
.LBB134_1381:
	s_mov_b64 s[0:1], -1
                                        ; implicit-def: $vgpr6_vgpr7
	s_branch .LBB134_1386
.LBB134_1382:
	s_mov_b64 s[0:1], -1
                                        ; implicit-def: $vgpr6_vgpr7
.LBB134_1383:
	s_andn2_b64 vcc, exec, s[0:1]
	s_cbranch_vccnz .LBB134_1385
; %bb.1384:
	global_load_dword v5, v[2:3], off
	s_waitcnt vmcnt(0)
	v_cvt_f64_f32_e32 v[6:7], v5
.LBB134_1385:
	s_mov_b64 s[0:1], 0
.LBB134_1386:
	s_andn2_b64 vcc, exec, s[0:1]
	s_cbranch_vccnz .LBB134_1388
; %bb.1387:
	global_load_ushort v5, v[2:3], off
	s_waitcnt vmcnt(0)
	v_cvt_f32_f16_e32 v5, v5
	v_cvt_f64_f32_e32 v[6:7], v5
.LBB134_1388:
	s_mov_b64 s[0:1], 0
.LBB134_1389:
	s_andn2_b64 vcc, exec, s[0:1]
	s_cbranch_vccnz .LBB134_1409
; %bb.1390:
	s_cmp_lt_i32 s28, 2
	s_cbranch_scc1 .LBB134_1394
; %bb.1391:
	s_cmp_lt_i32 s28, 3
	s_cbranch_scc1 .LBB134_1395
; %bb.1392:
	s_cmp_gt_i32 s28, 3
	s_cbranch_scc0 .LBB134_1396
; %bb.1393:
	global_load_dwordx2 v[5:6], v[2:3], off
	s_mov_b64 s[0:1], 0
	s_waitcnt vmcnt(0)
	v_cvt_f64_i32_e32 v[6:7], v6
	v_cvt_f64_u32_e32 v[11:12], v5
	v_ldexp_f64 v[6:7], v[6:7], 32
	v_add_f64 v[6:7], v[6:7], v[11:12]
	s_branch .LBB134_1397
.LBB134_1394:
	s_mov_b64 s[0:1], -1
                                        ; implicit-def: $vgpr6_vgpr7
	s_branch .LBB134_1403
.LBB134_1395:
	s_mov_b64 s[0:1], -1
                                        ; implicit-def: $vgpr6_vgpr7
	s_branch .LBB134_1400
.LBB134_1396:
	s_mov_b64 s[0:1], -1
                                        ; implicit-def: $vgpr6_vgpr7
.LBB134_1397:
	s_andn2_b64 vcc, exec, s[0:1]
	s_cbranch_vccnz .LBB134_1399
; %bb.1398:
	global_load_dword v5, v[2:3], off
	s_waitcnt vmcnt(0)
	v_cvt_f64_i32_e32 v[6:7], v5
.LBB134_1399:
	s_mov_b64 s[0:1], 0
.LBB134_1400:
	s_andn2_b64 vcc, exec, s[0:1]
	s_cbranch_vccnz .LBB134_1402
; %bb.1401:
	global_load_sshort v5, v[2:3], off
	s_waitcnt vmcnt(0)
	v_cvt_f64_i32_e32 v[6:7], v5
.LBB134_1402:
	s_mov_b64 s[0:1], 0
.LBB134_1403:
	s_andn2_b64 vcc, exec, s[0:1]
	s_cbranch_vccnz .LBB134_1409
; %bb.1404:
	s_cmp_gt_i32 s28, 0
	s_cbranch_scc0 .LBB134_1406
; %bb.1405:
	global_load_sbyte v5, v[2:3], off
	s_mov_b64 s[0:1], 0
	s_waitcnt vmcnt(0)
	v_cvt_f64_i32_e32 v[6:7], v5
	s_branch .LBB134_1407
.LBB134_1406:
	s_mov_b64 s[0:1], -1
                                        ; implicit-def: $vgpr6_vgpr7
.LBB134_1407:
	s_andn2_b64 vcc, exec, s[0:1]
	s_cbranch_vccnz .LBB134_1409
; %bb.1408:
	global_load_ubyte v2, v[2:3], off
	s_waitcnt vmcnt(0)
	v_cvt_f64_u32_e32 v[6:7], v2
.LBB134_1409:
.LBB134_1410:
	v_add_u32_e32 v2, s17, v4
	v_ashrrev_i32_e32 v3, 31, v2
	v_mov_b32_e32 v4, s11
	v_add_co_u32_e32 v2, vcc, s10, v2
	s_cmp_lt_i32 s28, 11
	v_addc_co_u32_e32 v3, vcc, v4, v3, vcc
	s_cbranch_scc1 .LBB134_1417
; %bb.1411:
	s_cmp_gt_i32 s28, 25
	s_mov_b64 s[4:5], 0
	s_cbranch_scc0 .LBB134_1418
; %bb.1412:
	s_cmp_gt_i32 s28, 28
	s_cbranch_scc0 .LBB134_1419
; %bb.1413:
	s_cmp_gt_i32 s28, 43
	;; [unrolled: 3-line block ×3, first 2 shown]
	s_cbranch_scc0 .LBB134_1422
; %bb.1415:
	s_cmp_eq_u32 s28, 46
	s_mov_b64 s[22:23], 0
	s_cbranch_scc0 .LBB134_1423
; %bb.1416:
	global_load_dword v4, v[2:3], off
	s_mov_b64 s[0:1], 0
	s_mov_b64 s[10:11], -1
	s_waitcnt vmcnt(0)
	v_lshlrev_b32_e32 v4, 16, v4
	v_cvt_f64_f32_e32 v[4:5], v4
	s_branch .LBB134_1424
.LBB134_1417:
	s_mov_b64 s[0:1], -1
	s_mov_b64 s[10:11], 0
                                        ; implicit-def: $vgpr4_vgpr5
	s_branch .LBB134_1490
.LBB134_1418:
	s_mov_b64 s[22:23], -1
	s_mov_b64 s[10:11], 0
	s_mov_b64 s[0:1], 0
                                        ; implicit-def: $vgpr4_vgpr5
	s_branch .LBB134_1455
.LBB134_1419:
	s_mov_b64 s[22:23], -1
	s_mov_b64 s[10:11], 0
	s_mov_b64 s[0:1], 0
                                        ; implicit-def: $vgpr4_vgpr5
	s_branch .LBB134_1434
.LBB134_1420:
	s_mov_b64 s[22:23], -1
	s_mov_b64 s[10:11], 0
	s_mov_b64 s[0:1], 0
                                        ; implicit-def: $vgpr4_vgpr5
	s_branch .LBB134_1429
.LBB134_1421:
	s_trap 2
	s_or_b64 s[20:21], s[20:21], exec
	s_cbranch_execz .LBB134_1360
	s_branch .LBB134_1361
.LBB134_1422:
	s_mov_b64 s[22:23], -1
	s_mov_b64 s[10:11], 0
	s_mov_b64 s[0:1], 0
                                        ; implicit-def: $vgpr4_vgpr5
	s_branch .LBB134_1424
.LBB134_1423:
	s_mov_b64 s[0:1], -1
                                        ; implicit-def: $vgpr4_vgpr5
	s_mov_b64 s[10:11], 0
.LBB134_1424:
	s_and_b64 vcc, exec, s[22:23]
	s_cbranch_vccz .LBB134_1428
; %bb.1425:
	s_cmp_eq_u32 s28, 44
	s_cbranch_scc0 .LBB134_1427
; %bb.1426:
	global_load_ubyte v11, v[2:3], off
	s_movk_i32 s10, 0xff
	v_bfrev_b32_e32 v12, 4
	v_mov_b32_e32 v13, 0x7ff80000
	v_bfrev_b32_e32 v14, 28
	s_mov_b64 s[0:1], 0
	s_waitcnt vmcnt(0)
	v_lshlrev_b32_e32 v4, 23, v11
	v_cvt_f64_f32_e32 v[4:5], v4
	v_cmp_ne_u32_e32 vcc, s10, v11
	s_mov_b64 s[10:11], -1
	v_cndmask_b32_e32 v4, v12, v4, vcc
	v_cndmask_b32_e32 v5, v13, v5, vcc
	v_cmp_ne_u32_e32 vcc, 0, v11
	v_cndmask_b32_e32 v5, v14, v5, vcc
	v_cndmask_b32_e32 v4, 0, v4, vcc
	s_branch .LBB134_1428
.LBB134_1427:
	s_mov_b64 s[0:1], -1
                                        ; implicit-def: $vgpr4_vgpr5
.LBB134_1428:
	s_mov_b64 s[22:23], 0
.LBB134_1429:
	s_and_b64 vcc, exec, s[22:23]
	s_cbranch_vccz .LBB134_1433
; %bb.1430:
	s_cmp_eq_u32 s28, 29
	s_cbranch_scc0 .LBB134_1432
; %bb.1431:
	global_load_dwordx2 v[4:5], v[2:3], off
	s_mov_b64 s[0:1], 0
	s_mov_b64 s[10:11], -1
	s_mov_b64 s[22:23], 0
	s_waitcnt vmcnt(0)
	v_cvt_f64_u32_e32 v[11:12], v5
	v_cvt_f64_u32_e32 v[4:5], v4
	v_ldexp_f64 v[11:12], v[11:12], 32
	v_add_f64 v[4:5], v[11:12], v[4:5]
	s_branch .LBB134_1434
.LBB134_1432:
	s_mov_b64 s[0:1], -1
                                        ; implicit-def: $vgpr4_vgpr5
.LBB134_1433:
	s_mov_b64 s[22:23], 0
.LBB134_1434:
	s_and_b64 vcc, exec, s[22:23]
	s_cbranch_vccz .LBB134_1454
; %bb.1435:
	s_cmp_lt_i32 s28, 27
	s_cbranch_scc1 .LBB134_1438
; %bb.1436:
	s_cmp_gt_i32 s28, 27
	s_cbranch_scc0 .LBB134_1439
; %bb.1437:
	global_load_dword v4, v[2:3], off
	s_mov_b64 s[10:11], 0
	s_waitcnt vmcnt(0)
	v_cvt_f64_u32_e32 v[4:5], v4
	s_branch .LBB134_1440
.LBB134_1438:
	s_mov_b64 s[10:11], -1
                                        ; implicit-def: $vgpr4_vgpr5
	s_branch .LBB134_1443
.LBB134_1439:
	s_mov_b64 s[10:11], -1
                                        ; implicit-def: $vgpr4_vgpr5
.LBB134_1440:
	s_andn2_b64 vcc, exec, s[10:11]
	s_cbranch_vccnz .LBB134_1442
; %bb.1441:
	global_load_ushort v4, v[2:3], off
	s_waitcnt vmcnt(0)
	v_cvt_f64_u32_e32 v[4:5], v4
.LBB134_1442:
	s_mov_b64 s[10:11], 0
.LBB134_1443:
	s_andn2_b64 vcc, exec, s[10:11]
	s_cbranch_vccnz .LBB134_1453
; %bb.1444:
	global_load_ubyte v11, v[2:3], off
	s_movk_i32 s10, 0x7f
	s_waitcnt vmcnt(0)
	v_cmp_lt_i16_e32 vcc, s10, v11
	s_mov_b64 s[10:11], 0
	s_and_saveexec_b64 s[22:23], vcc
	s_xor_b64 s[22:23], exec, s[22:23]
	s_cbranch_execz .LBB134_1448
; %bb.1445:
	s_movk_i32 s10, 0x80
	v_cmp_eq_u16_e32 vcc, s10, v11
	s_mov_b64 s[10:11], -1
	s_and_saveexec_b64 s[24:25], vcc
; %bb.1446:
	s_xor_b64 s[10:11], exec, -1
; %bb.1447:
	s_or_b64 exec, exec, s[24:25]
	s_and_b64 s[10:11], s[10:11], exec
.LBB134_1448:
	s_or_saveexec_b64 s[22:23], s[22:23]
	v_bfrev_b32_e32 v4, 4
	v_mov_b32_e32 v5, 0x7ff80000
	s_xor_b64 exec, exec, s[22:23]
; %bb.1449:
	v_cmp_ne_u16_e32 vcc, 0, v11
	v_mov_b32_e32 v4, 0
	s_andn2_b64 s[10:11], s[10:11], exec
	s_and_b64 s[24:25], vcc, exec
	v_mov_b32_e32 v5, 0
	s_or_b64 s[10:11], s[10:11], s[24:25]
; %bb.1450:
	s_or_b64 exec, exec, s[22:23]
	s_and_saveexec_b64 s[22:23], s[10:11]
	s_cbranch_execz .LBB134_1452
; %bb.1451:
	v_and_b32_e32 v5, 0xffff, v11
	v_lshlrev_b32_e32 v4, 24, v11
	v_and_b32_e32 v11, 7, v5
	v_ffbh_u32_e32 v13, v11
	v_min_u32_e32 v13, 32, v13
	v_subrev_u32_e32 v14, 28, v13
	v_bfe_u32 v12, v5, 3, 4
	v_lshlrev_b32_e32 v5, v14, v5
	v_sub_u32_e32 v13, 29, v13
	v_and_b32_e32 v5, 7, v5
	v_cmp_eq_u32_e32 vcc, 0, v12
	v_cndmask_b32_e32 v12, v12, v13, vcc
	v_cndmask_b32_e32 v5, v11, v5, vcc
	v_mov_b32_e32 v11, 0x3b800000
	v_lshlrev_b32_e32 v5, 20, v5
	v_and_b32_e32 v4, 0x80000000, v4
	v_lshl_add_u32 v11, v12, 23, v11
	v_or3_b32 v4, v4, v11, v5
	v_cvt_f64_f32_e32 v[4:5], v4
.LBB134_1452:
	s_or_b64 exec, exec, s[22:23]
.LBB134_1453:
	s_mov_b64 s[10:11], -1
.LBB134_1454:
	s_mov_b64 s[22:23], 0
.LBB134_1455:
	s_and_b64 vcc, exec, s[22:23]
	s_cbranch_vccz .LBB134_1486
; %bb.1456:
	s_cmp_gt_i32 s28, 22
	s_cbranch_scc0 .LBB134_1468
; %bb.1457:
	s_cmp_lt_i32 s28, 24
	s_cbranch_scc1 .LBB134_1469
; %bb.1458:
	s_cmp_gt_i32 s28, 24
	s_cbranch_scc0 .LBB134_1470
; %bb.1459:
	global_load_ubyte v11, v[2:3], off
	s_movk_i32 s4, 0x7f
	s_waitcnt vmcnt(0)
	v_cmp_lt_i16_e32 vcc, s4, v11
	s_mov_b64 s[4:5], 0
	s_and_saveexec_b64 s[10:11], vcc
	s_xor_b64 s[10:11], exec, s[10:11]
	s_cbranch_execz .LBB134_1463
; %bb.1460:
	s_movk_i32 s4, 0x80
	v_cmp_eq_u16_e32 vcc, s4, v11
	s_mov_b64 s[4:5], -1
	s_and_saveexec_b64 s[22:23], vcc
; %bb.1461:
	s_xor_b64 s[4:5], exec, -1
; %bb.1462:
	s_or_b64 exec, exec, s[22:23]
	s_and_b64 s[4:5], s[4:5], exec
.LBB134_1463:
	s_or_saveexec_b64 s[10:11], s[10:11]
	v_bfrev_b32_e32 v4, 4
	v_mov_b32_e32 v5, 0x7ff80000
	s_xor_b64 exec, exec, s[10:11]
; %bb.1464:
	v_cmp_ne_u16_e32 vcc, 0, v11
	v_mov_b32_e32 v4, 0
	s_andn2_b64 s[4:5], s[4:5], exec
	s_and_b64 s[22:23], vcc, exec
	v_mov_b32_e32 v5, 0
	s_or_b64 s[4:5], s[4:5], s[22:23]
; %bb.1465:
	s_or_b64 exec, exec, s[10:11]
	s_and_saveexec_b64 s[10:11], s[4:5]
	s_cbranch_execz .LBB134_1467
; %bb.1466:
	v_and_b32_e32 v5, 0xffff, v11
	v_lshlrev_b32_e32 v4, 24, v11
	v_and_b32_e32 v11, 3, v5
	v_ffbh_u32_e32 v13, v11
	v_min_u32_e32 v13, 32, v13
	v_subrev_u32_e32 v14, 29, v13
	v_bfe_u32 v12, v5, 2, 5
	v_lshlrev_b32_e32 v5, v14, v5
	v_sub_u32_e32 v13, 30, v13
	v_and_b32_e32 v5, 3, v5
	v_cmp_eq_u32_e32 vcc, 0, v12
	v_cndmask_b32_e32 v12, v12, v13, vcc
	v_cndmask_b32_e32 v5, v11, v5, vcc
	v_mov_b32_e32 v11, 0x37800000
	v_lshlrev_b32_e32 v5, 21, v5
	v_and_b32_e32 v4, 0x80000000, v4
	v_lshl_add_u32 v11, v12, 23, v11
	v_or3_b32 v4, v4, v11, v5
	v_cvt_f64_f32_e32 v[4:5], v4
.LBB134_1467:
	s_or_b64 exec, exec, s[10:11]
	s_mov_b64 s[4:5], 0
	s_branch .LBB134_1471
.LBB134_1468:
	s_mov_b64 s[4:5], -1
                                        ; implicit-def: $vgpr4_vgpr5
	s_branch .LBB134_1477
.LBB134_1469:
	s_mov_b64 s[4:5], -1
                                        ; implicit-def: $vgpr4_vgpr5
	s_branch .LBB134_1474
.LBB134_1470:
	s_mov_b64 s[4:5], -1
                                        ; implicit-def: $vgpr4_vgpr5
.LBB134_1471:
	s_and_b64 vcc, exec, s[4:5]
	s_cbranch_vccz .LBB134_1473
; %bb.1472:
	global_load_ubyte v4, v[2:3], off
	s_mov_b32 s4, 0x7f800000
	s_waitcnt vmcnt(0)
	v_lshlrev_b32_e32 v4, 24, v4
	v_and_b32_e32 v5, 0x7f000000, v4
	v_ffbh_u32_e32 v11, v5
	v_min_u32_e32 v11, 32, v11
	v_sub_u32_e64 v11, v11, 4 clamp
	v_lshlrev_b32_e32 v13, v11, v5
	v_lshlrev_b32_e32 v11, 23, v11
	v_lshrrev_b32_e32 v13, 4, v13
	v_add_u32_e32 v12, 0x1000000, v5
	v_sub_u32_e32 v11, v13, v11
	v_ashrrev_i32_e32 v12, 8, v12
	v_add_u32_e32 v11, 0x3c000000, v11
	v_and_or_b32 v11, v12, s4, v11
	v_cmp_ne_u32_e32 vcc, 0, v5
	v_cndmask_b32_e32 v5, 0, v11, vcc
	s_brev_b32 s4, 1
	v_and_or_b32 v4, v4, s4, v5
	v_cvt_f64_f32_e32 v[4:5], v4
.LBB134_1473:
	s_mov_b64 s[4:5], 0
.LBB134_1474:
	s_andn2_b64 vcc, exec, s[4:5]
	s_cbranch_vccnz .LBB134_1476
; %bb.1475:
	global_load_ubyte v4, v[2:3], off
	s_movk_i32 s4, 0x7f00
	s_brev_b32 s5, 16
	s_waitcnt vmcnt(0)
	v_lshlrev_b16_e32 v5, 8, v4
	v_lshlrev_b32_e32 v4, 25, v4
	v_lshrrev_b32_e32 v11, 4, v4
	v_and_or_b32 v12, v5, s4, 0.5
	v_or_b32_e32 v11, 0x70000000, v11
	v_add_f32_e32 v12, -0.5, v12
	v_mul_f32_e32 v11, 0x7800000, v11
	v_cmp_gt_u32_e32 vcc, s5, v4
	v_bfe_i32 v5, v5, 0, 16
	v_cndmask_b32_e32 v4, v11, v12, vcc
	s_brev_b32 s4, 1
	v_and_or_b32 v4, v5, s4, v4
	v_cvt_f64_f32_e32 v[4:5], v4
.LBB134_1476:
	s_mov_b64 s[4:5], 0
	s_mov_b64 s[10:11], -1
.LBB134_1477:
	s_andn2_b64 vcc, exec, s[4:5]
	s_mov_b64 s[4:5], 0
	s_cbranch_vccnz .LBB134_1486
; %bb.1478:
	s_cmp_gt_i32 s28, 14
	s_cbranch_scc0 .LBB134_1481
; %bb.1479:
	s_cmp_eq_u32 s28, 15
	s_cbranch_scc0 .LBB134_1482
; %bb.1480:
	global_load_ushort v4, v[2:3], off
	s_mov_b64 s[0:1], 0
	s_mov_b64 s[10:11], -1
	s_waitcnt vmcnt(0)
	v_lshlrev_b32_e32 v4, 16, v4
	v_cvt_f64_f32_e32 v[4:5], v4
	s_branch .LBB134_1483
.LBB134_1481:
	s_mov_b64 s[22:23], -1
                                        ; implicit-def: $vgpr4_vgpr5
	s_branch .LBB134_1484
.LBB134_1482:
	s_mov_b64 s[0:1], -1
                                        ; implicit-def: $vgpr4_vgpr5
.LBB134_1483:
	s_mov_b64 s[22:23], 0
.LBB134_1484:
	s_and_b64 vcc, exec, s[22:23]
	s_cbranch_vccz .LBB134_1486
; %bb.1485:
	s_cmp_lg_u32 s28, 11
	s_mov_b64 s[4:5], -1
	s_cselect_b64 s[0:1], -1, 0
.LBB134_1486:
	s_and_b64 vcc, exec, s[0:1]
	s_cbranch_vccnz .LBB134_2019
; %bb.1487:
	s_andn2_b64 vcc, exec, s[4:5]
	s_cbranch_vccnz .LBB134_1489
.LBB134_1488:
	global_load_ubyte v5, v[2:3], off
	v_mov_b32_e32 v11, 0x3ff00000
	v_mov_b32_e32 v4, 0
	s_mov_b64 s[10:11], -1
	s_waitcnt vmcnt(0)
	v_cmp_ne_u16_e32 vcc, 0, v5
	v_cndmask_b32_e32 v5, 0, v11, vcc
.LBB134_1489:
	s_mov_b64 s[0:1], 0
.LBB134_1490:
	s_and_b64 vcc, exec, s[0:1]
	s_cbranch_vccz .LBB134_1539
; %bb.1491:
	s_cmp_lt_i32 s28, 5
	s_cbranch_scc1 .LBB134_1496
; %bb.1492:
	s_cmp_lt_i32 s28, 8
	s_cbranch_scc1 .LBB134_1497
	;; [unrolled: 3-line block ×3, first 2 shown]
; %bb.1494:
	s_cmp_gt_i32 s28, 9
	s_cbranch_scc0 .LBB134_1499
; %bb.1495:
	global_load_dwordx2 v[4:5], v[2:3], off
	s_mov_b64 s[0:1], 0
	s_branch .LBB134_1500
.LBB134_1496:
	s_mov_b64 s[0:1], -1
                                        ; implicit-def: $vgpr4_vgpr5
	s_branch .LBB134_1518
.LBB134_1497:
	s_mov_b64 s[0:1], -1
                                        ; implicit-def: $vgpr4_vgpr5
	s_branch .LBB134_1506
.LBB134_1498:
	s_mov_b64 s[0:1], -1
                                        ; implicit-def: $vgpr4_vgpr5
	s_branch .LBB134_1503
.LBB134_1499:
	s_mov_b64 s[0:1], -1
                                        ; implicit-def: $vgpr4_vgpr5
.LBB134_1500:
	s_andn2_b64 vcc, exec, s[0:1]
	s_cbranch_vccnz .LBB134_1502
; %bb.1501:
	global_load_dword v4, v[2:3], off
	s_waitcnt vmcnt(0)
	v_cvt_f64_f32_e32 v[4:5], v4
.LBB134_1502:
	s_mov_b64 s[0:1], 0
.LBB134_1503:
	s_andn2_b64 vcc, exec, s[0:1]
	s_cbranch_vccnz .LBB134_1505
; %bb.1504:
	global_load_dword v4, v[2:3], off
	s_waitcnt vmcnt(0)
	v_cvt_f32_f16_e32 v4, v4
	v_cvt_f64_f32_e32 v[4:5], v4
.LBB134_1505:
	s_mov_b64 s[0:1], 0
.LBB134_1506:
	s_andn2_b64 vcc, exec, s[0:1]
	s_cbranch_vccnz .LBB134_1517
; %bb.1507:
	s_cmp_lt_i32 s28, 6
	s_cbranch_scc1 .LBB134_1510
; %bb.1508:
	s_cmp_gt_i32 s28, 6
	s_cbranch_scc0 .LBB134_1511
; %bb.1509:
	global_load_dwordx2 v[4:5], v[2:3], off
	s_mov_b64 s[0:1], 0
	s_branch .LBB134_1512
.LBB134_1510:
	s_mov_b64 s[0:1], -1
                                        ; implicit-def: $vgpr4_vgpr5
	s_branch .LBB134_1515
.LBB134_1511:
	s_mov_b64 s[0:1], -1
                                        ; implicit-def: $vgpr4_vgpr5
.LBB134_1512:
	s_andn2_b64 vcc, exec, s[0:1]
	s_cbranch_vccnz .LBB134_1514
; %bb.1513:
	global_load_dword v4, v[2:3], off
	s_waitcnt vmcnt(0)
	v_cvt_f64_f32_e32 v[4:5], v4
.LBB134_1514:
	s_mov_b64 s[0:1], 0
.LBB134_1515:
	s_andn2_b64 vcc, exec, s[0:1]
	s_cbranch_vccnz .LBB134_1517
; %bb.1516:
	global_load_ushort v4, v[2:3], off
	s_waitcnt vmcnt(0)
	v_cvt_f32_f16_e32 v4, v4
	v_cvt_f64_f32_e32 v[4:5], v4
.LBB134_1517:
	s_mov_b64 s[0:1], 0
.LBB134_1518:
	s_andn2_b64 vcc, exec, s[0:1]
	s_cbranch_vccnz .LBB134_1538
; %bb.1519:
	s_cmp_lt_i32 s28, 2
	s_cbranch_scc1 .LBB134_1523
; %bb.1520:
	s_cmp_lt_i32 s28, 3
	s_cbranch_scc1 .LBB134_1524
; %bb.1521:
	s_cmp_gt_i32 s28, 3
	s_cbranch_scc0 .LBB134_1525
; %bb.1522:
	global_load_dwordx2 v[4:5], v[2:3], off
	s_mov_b64 s[0:1], 0
	s_waitcnt vmcnt(0)
	v_cvt_f64_i32_e32 v[11:12], v5
	v_cvt_f64_u32_e32 v[4:5], v4
	v_ldexp_f64 v[11:12], v[11:12], 32
	v_add_f64 v[4:5], v[11:12], v[4:5]
	s_branch .LBB134_1526
.LBB134_1523:
	s_mov_b64 s[0:1], -1
                                        ; implicit-def: $vgpr4_vgpr5
	s_branch .LBB134_1532
.LBB134_1524:
	s_mov_b64 s[0:1], -1
                                        ; implicit-def: $vgpr4_vgpr5
	s_branch .LBB134_1529
.LBB134_1525:
	s_mov_b64 s[0:1], -1
                                        ; implicit-def: $vgpr4_vgpr5
.LBB134_1526:
	s_andn2_b64 vcc, exec, s[0:1]
	s_cbranch_vccnz .LBB134_1528
; %bb.1527:
	global_load_dword v4, v[2:3], off
	s_waitcnt vmcnt(0)
	v_cvt_f64_i32_e32 v[4:5], v4
.LBB134_1528:
	s_mov_b64 s[0:1], 0
.LBB134_1529:
	s_andn2_b64 vcc, exec, s[0:1]
	s_cbranch_vccnz .LBB134_1531
; %bb.1530:
	global_load_sshort v4, v[2:3], off
	s_waitcnt vmcnt(0)
	v_cvt_f64_i32_e32 v[4:5], v4
.LBB134_1531:
	s_mov_b64 s[0:1], 0
.LBB134_1532:
	s_andn2_b64 vcc, exec, s[0:1]
	s_cbranch_vccnz .LBB134_1538
; %bb.1533:
	s_cmp_gt_i32 s28, 0
	s_cbranch_scc0 .LBB134_1535
; %bb.1534:
	global_load_sbyte v4, v[2:3], off
	s_mov_b64 s[0:1], 0
	s_waitcnt vmcnt(0)
	v_cvt_f64_i32_e32 v[4:5], v4
	s_branch .LBB134_1536
.LBB134_1535:
	s_mov_b64 s[0:1], -1
                                        ; implicit-def: $vgpr4_vgpr5
.LBB134_1536:
	s_andn2_b64 vcc, exec, s[0:1]
	s_cbranch_vccnz .LBB134_1538
; %bb.1537:
	global_load_ubyte v2, v[2:3], off
	s_waitcnt vmcnt(0)
	v_cvt_f64_u32_e32 v[4:5], v2
.LBB134_1538:
	s_mov_b64 s[10:11], -1
.LBB134_1539:
	s_andn2_b64 vcc, exec, s[10:11]
	s_cbranch_vccnz .LBB134_1973
; %bb.1540:
	s_waitcnt vmcnt(0)
	v_cmp_nge_f64_e32 vcc, s[12:13], v[0:1]
	v_mul_lo_u32 v12, s16, v10
	v_mov_b32_e32 v2, s15
	v_mov_b32_e32 v3, s3
	;; [unrolled: 1-line block ×4, first 2 shown]
	s_and_b32 s26, s33, 0xff
	s_cmp_lt_i32 s26, 11
	v_cndmask_b32_e32 v1, v2, v3, vcc
	v_ashrrev_i32_e32 v2, 31, v12
	v_cndmask_b32_e32 v0, v0, v10, vcc
	v_mov_b32_e32 v3, s9
	v_add_co_u32_e32 v10, vcc, s8, v12
	v_addc_co_u32_e32 v11, vcc, v3, v2, vcc
	s_cbranch_scc1 .LBB134_1618
; %bb.1541:
	s_and_b32 s17, 0xffff, s26
	s_mov_b64 s[22:23], -1
	s_mov_b64 s[4:5], 0
	s_cmp_gt_i32 s17, 25
	s_mov_b64 s[10:11], 0
	s_mov_b64 s[0:1], 0
	s_cbranch_scc0 .LBB134_1574
; %bb.1542:
	s_cmp_gt_i32 s17, 28
	s_cbranch_scc0 .LBB134_1557
; %bb.1543:
	s_cmp_gt_i32 s17, 43
	;; [unrolled: 3-line block ×3, first 2 shown]
	s_cbranch_scc0 .LBB134_1547
; %bb.1545:
	s_mov_b64 s[0:1], -1
	s_mov_b64 s[22:23], 0
	s_cmp_eq_u32 s17, 46
	s_cbranch_scc0 .LBB134_1547
; %bb.1546:
	v_cvt_f32_f64_e32 v2, v[0:1]
	s_movk_i32 s0, 0x7fff
	v_mov_b32_e32 v3, 0x7fc0
	s_mov_b64 s[10:11], -1
	v_bfe_u32 v13, v2, 16, 1
	v_cmp_o_f32_e32 vcc, v2, v2
	v_add3_u32 v2, v2, v13, s0
	v_cndmask_b32_sdwa v2, v3, v2, vcc dst_sel:DWORD dst_unused:UNUSED_PAD src0_sel:DWORD src1_sel:WORD_1
	global_store_dword v[10:11], v2, off
	s_mov_b64 s[0:1], 0
.LBB134_1547:
	s_and_b64 vcc, exec, s[22:23]
	s_cbranch_vccz .LBB134_1552
; %bb.1548:
	s_cmp_eq_u32 s17, 44
	s_mov_b64 s[0:1], -1
	s_cbranch_scc0 .LBB134_1552
; %bb.1549:
	v_cvt_f32_f64_e32 v2, v[0:1]
	s_movk_i32 s0, 0xff
	v_mov_b32_e32 v13, 0xff
	v_bfe_u32 v3, v2, 23, 8
	v_cmp_ne_u32_e32 vcc, s0, v3
	s_and_saveexec_b64 s[10:11], vcc
; %bb.1550:
	s_mov_b32 s0, 0x3fffff
	v_lshrrev_b32_e32 v13, 23, v2
	v_and_b32_e32 v14, 0x400000, v2
	v_and_or_b32 v2, v2, s0, v3
	v_cmp_ne_u32_e32 vcc, 0, v14
	v_cmp_ne_u32_e64 s[0:1], 0, v2
	s_and_b64 s[0:1], vcc, s[0:1]
	v_cndmask_b32_e64 v2, 0, 1, s[0:1]
	v_add_u32_e32 v13, v13, v2
; %bb.1551:
	s_or_b64 exec, exec, s[10:11]
	s_mov_b64 s[0:1], 0
	s_mov_b64 s[10:11], -1
	global_store_byte v[10:11], v13, off
.LBB134_1552:
	s_mov_b64 s[22:23], 0
.LBB134_1553:
	s_and_b64 vcc, exec, s[22:23]
	s_cbranch_vccz .LBB134_1556
; %bb.1554:
	s_cmp_eq_u32 s17, 29
	s_mov_b64 s[0:1], -1
	s_cbranch_scc0 .LBB134_1556
; %bb.1555:
	v_trunc_f64_e32 v[2:3], v[0:1]
	s_movk_i32 s0, 0xffe0
	s_mov_b64 s[10:11], -1
	v_ldexp_f64 v[13:14], v[2:3], s0
	s_mov_b32 s0, 0
	s_mov_b32 s1, 0xc1f00000
	v_floor_f64_e32 v[13:14], v[13:14]
	v_fma_f64 v[2:3], v[13:14], s[0:1], v[2:3]
	v_cvt_u32_f64_e32 v14, v[13:14]
	s_mov_b64 s[0:1], 0
	v_cvt_u32_f64_e32 v13, v[2:3]
	global_store_dwordx2 v[10:11], v[13:14], off
.LBB134_1556:
	s_mov_b64 s[22:23], 0
.LBB134_1557:
	s_and_b64 vcc, exec, s[22:23]
	s_cbranch_vccz .LBB134_1573
; %bb.1558:
	s_cmp_lt_i32 s17, 27
	s_mov_b64 s[10:11], -1
	s_cbranch_scc1 .LBB134_1564
; %bb.1559:
	v_cvt_u32_f64_e32 v2, v[0:1]
	s_cmp_gt_i32 s17, 27
	s_cbranch_scc0 .LBB134_1561
; %bb.1560:
	s_mov_b64 s[10:11], 0
	global_store_dword v[10:11], v2, off
.LBB134_1561:
	s_andn2_b64 vcc, exec, s[10:11]
	s_cbranch_vccnz .LBB134_1563
; %bb.1562:
	global_store_short v[10:11], v2, off
.LBB134_1563:
	s_mov_b64 s[10:11], 0
.LBB134_1564:
	s_andn2_b64 vcc, exec, s[10:11]
	s_cbranch_vccnz .LBB134_1572
; %bb.1565:
	v_cvt_f32_f64_e32 v2, v[0:1]
	s_mov_b32 s10, 0x43800000
	v_mov_b32_e32 v13, 0x80
	v_and_b32_e32 v3, 0x7fffffff, v2
	v_cmp_gt_u32_e32 vcc, s10, v3
	s_and_saveexec_b64 s[10:11], vcc
	s_cbranch_execz .LBB134_1571
; %bb.1566:
	s_mov_b32 s22, 0x3bffffff
	v_cmp_lt_u32_e32 vcc, s22, v3
	s_mov_b64 s[22:23], 0
                                        ; implicit-def: $vgpr3
	s_and_saveexec_b64 s[24:25], vcc
	s_xor_b64 s[24:25], exec, s[24:25]
	s_cbranch_execz .LBB134_2020
; %bb.1567:
	v_bfe_u32 v3, v2, 20, 1
	s_mov_b32 s27, 0x487ffff
	v_add3_u32 v3, v2, v3, s27
	s_mov_b64 s[22:23], exec
	v_lshrrev_b32_e32 v3, 20, v3
	s_andn2_saveexec_b64 s[24:25], s[24:25]
	s_cbranch_execnz .LBB134_2021
.LBB134_1568:
	s_or_b64 exec, exec, s[24:25]
	v_mov_b32_e32 v13, 0
	s_and_saveexec_b64 s[24:25], s[22:23]
.LBB134_1569:
	v_lshrrev_b32_e32 v2, 24, v2
	s_movk_i32 s22, 0x80
	v_and_or_b32 v13, v2, s22, v3
.LBB134_1570:
	s_or_b64 exec, exec, s[24:25]
.LBB134_1571:
	s_or_b64 exec, exec, s[10:11]
	global_store_byte v[10:11], v13, off
.LBB134_1572:
	s_mov_b64 s[10:11], -1
.LBB134_1573:
	s_mov_b64 s[22:23], 0
.LBB134_1574:
	s_and_b64 vcc, exec, s[22:23]
	s_cbranch_vccz .LBB134_1614
; %bb.1575:
	s_cmp_gt_i32 s17, 22
	s_mov_b64 s[4:5], -1
	s_cbranch_scc0 .LBB134_1607
; %bb.1576:
	s_cmp_lt_i32 s17, 24
	s_cbranch_scc1 .LBB134_1596
; %bb.1577:
	s_cmp_gt_i32 s17, 24
	s_cbranch_scc0 .LBB134_1585
; %bb.1578:
	v_cvt_f32_f64_e32 v2, v[0:1]
	s_mov_b32 s4, 0x47800000
	v_mov_b32_e32 v13, 0x80
	v_and_b32_e32 v3, 0x7fffffff, v2
	v_cmp_gt_u32_e32 vcc, s4, v3
	s_and_saveexec_b64 s[4:5], vcc
	s_cbranch_execz .LBB134_1584
; %bb.1579:
	s_mov_b32 s10, 0x37ffffff
	v_cmp_lt_u32_e32 vcc, s10, v3
	s_mov_b64 s[10:11], 0
                                        ; implicit-def: $vgpr3
	s_and_saveexec_b64 s[22:23], vcc
	s_xor_b64 s[22:23], exec, s[22:23]
	s_cbranch_execz .LBB134_2023
; %bb.1580:
	v_bfe_u32 v3, v2, 21, 1
	s_mov_b32 s24, 0x88fffff
	v_add3_u32 v3, v2, v3, s24
	s_mov_b64 s[10:11], exec
	v_lshrrev_b32_e32 v3, 21, v3
	s_andn2_saveexec_b64 s[22:23], s[22:23]
	s_cbranch_execnz .LBB134_2024
.LBB134_1581:
	s_or_b64 exec, exec, s[22:23]
	v_mov_b32_e32 v13, 0
	s_and_saveexec_b64 s[22:23], s[10:11]
.LBB134_1582:
	v_lshrrev_b32_e32 v2, 24, v2
	s_movk_i32 s10, 0x80
	v_and_or_b32 v13, v2, s10, v3
.LBB134_1583:
	s_or_b64 exec, exec, s[22:23]
.LBB134_1584:
	s_or_b64 exec, exec, s[4:5]
	s_mov_b64 s[4:5], 0
	global_store_byte v[10:11], v13, off
.LBB134_1585:
	s_and_b64 vcc, exec, s[4:5]
	s_cbranch_vccz .LBB134_1595
; %bb.1586:
	v_cvt_f32_f64_e32 v2, v[0:1]
	s_mov_b32 s4, 0x43f00000
                                        ; implicit-def: $vgpr3
	v_and_b32_e32 v13, 0x7fffffff, v2
	v_cmp_gt_u32_e32 vcc, s4, v13
	s_and_saveexec_b64 s[4:5], vcc
	s_xor_b64 s[4:5], exec, s[4:5]
	s_cbranch_execz .LBB134_1592
; %bb.1587:
	s_mov_b32 s10, 0x3c7fffff
	v_cmp_lt_u32_e32 vcc, s10, v13
                                        ; implicit-def: $vgpr3
	s_and_saveexec_b64 s[10:11], vcc
	s_xor_b64 s[10:11], exec, s[10:11]
; %bb.1588:
	v_bfe_u32 v3, v2, 20, 1
	s_mov_b32 s22, 0x407ffff
	v_add3_u32 v3, v2, v3, s22
	v_lshrrev_b32_e32 v13, 20, v3
	v_and_b32_e32 v3, 0xff00000, v3
	s_mov_b32 s22, 0x7f00000
	v_mov_b32_e32 v14, 0x7e
	v_cmp_ne_u32_e32 vcc, s22, v3
	v_cndmask_b32_e32 v3, v14, v13, vcc
; %bb.1589:
	s_andn2_saveexec_b64 s[10:11], s[10:11]
; %bb.1590:
	s_mov_b32 s22, 0x46800000
	v_add_f32_e64 v3, |v2|, s22
; %bb.1591:
	s_or_b64 exec, exec, s[10:11]
                                        ; implicit-def: $vgpr13
.LBB134_1592:
	s_andn2_saveexec_b64 s[4:5], s[4:5]
; %bb.1593:
	s_mov_b32 s10, 0x7f800000
	v_mov_b32_e32 v3, 0x7e
	v_mov_b32_e32 v14, 0x7f
	v_cmp_lt_u32_e32 vcc, s10, v13
	v_cndmask_b32_e32 v3, v3, v14, vcc
; %bb.1594:
	s_or_b64 exec, exec, s[4:5]
	v_lshrrev_b32_e32 v2, 24, v2
	s_movk_i32 s4, 0x80
	v_and_or_b32 v2, v2, s4, v3
	global_store_byte v[10:11], v2, off
.LBB134_1595:
	s_mov_b64 s[4:5], 0
.LBB134_1596:
	s_andn2_b64 vcc, exec, s[4:5]
	s_cbranch_vccnz .LBB134_1606
; %bb.1597:
	v_cvt_f32_f64_e32 v2, v[0:1]
	s_mov_b32 s4, 0x47800000
                                        ; implicit-def: $vgpr3
	v_and_b32_e32 v13, 0x7fffffff, v2
	v_cmp_gt_u32_e32 vcc, s4, v13
	s_and_saveexec_b64 s[4:5], vcc
	s_xor_b64 s[4:5], exec, s[4:5]
	s_cbranch_execz .LBB134_1603
; %bb.1598:
	s_mov_b32 s10, 0x387fffff
	v_cmp_lt_u32_e32 vcc, s10, v13
                                        ; implicit-def: $vgpr3
	s_and_saveexec_b64 s[10:11], vcc
	s_xor_b64 s[10:11], exec, s[10:11]
; %bb.1599:
	v_bfe_u32 v3, v2, 21, 1
	s_mov_b32 s22, 0x80fffff
	v_add3_u32 v3, v2, v3, s22
	v_lshrrev_b32_e32 v3, 21, v3
; %bb.1600:
	s_andn2_saveexec_b64 s[10:11], s[10:11]
; %bb.1601:
	s_mov_b32 s22, 0x43000000
	v_add_f32_e64 v3, |v2|, s22
; %bb.1602:
	s_or_b64 exec, exec, s[10:11]
                                        ; implicit-def: $vgpr13
.LBB134_1603:
	s_andn2_saveexec_b64 s[4:5], s[4:5]
; %bb.1604:
	s_mov_b32 s10, 0x7f800000
	v_mov_b32_e32 v3, 0x7c
	v_mov_b32_e32 v14, 0x7f
	v_cmp_lt_u32_e32 vcc, s10, v13
	v_cndmask_b32_e32 v3, v3, v14, vcc
; %bb.1605:
	s_or_b64 exec, exec, s[4:5]
	v_lshrrev_b32_e32 v2, 24, v2
	s_movk_i32 s4, 0x80
	v_and_or_b32 v2, v2, s4, v3
	global_store_byte v[10:11], v2, off
.LBB134_1606:
	s_mov_b64 s[4:5], 0
	s_mov_b64 s[10:11], -1
.LBB134_1607:
	s_andn2_b64 vcc, exec, s[4:5]
	s_mov_b64 s[4:5], 0
	s_cbranch_vccnz .LBB134_1614
; %bb.1608:
	s_cmp_gt_i32 s17, 14
	s_mov_b64 s[22:23], -1
	s_cbranch_scc0 .LBB134_1612
; %bb.1609:
	s_cmp_eq_u32 s17, 15
	s_mov_b64 s[0:1], -1
	s_cbranch_scc0 .LBB134_1611
; %bb.1610:
	v_cvt_f32_f64_e32 v2, v[0:1]
	s_movk_i32 s0, 0x7fff
	v_mov_b32_e32 v3, 0x7fc0
	s_mov_b64 s[10:11], -1
	v_bfe_u32 v13, v2, 16, 1
	v_cmp_o_f32_e32 vcc, v2, v2
	v_add3_u32 v2, v2, v13, s0
	v_cndmask_b32_sdwa v2, v3, v2, vcc dst_sel:DWORD dst_unused:UNUSED_PAD src0_sel:DWORD src1_sel:WORD_1
	global_store_short v[10:11], v2, off
	s_mov_b64 s[0:1], 0
.LBB134_1611:
	s_mov_b64 s[22:23], 0
.LBB134_1612:
	s_and_b64 vcc, exec, s[22:23]
	s_cbranch_vccz .LBB134_1614
; %bb.1613:
	s_cmp_lg_u32 s17, 11
	s_mov_b64 s[4:5], -1
	s_cselect_b64 s[0:1], -1, 0
.LBB134_1614:
	s_and_b64 vcc, exec, s[0:1]
	s_cbranch_vccnz .LBB134_2022
; %bb.1615:
	s_andn2_b64 vcc, exec, s[4:5]
	s_cbranch_vccnz .LBB134_1617
.LBB134_1616:
	v_cmp_neq_f64_e32 vcc, 0, v[0:1]
	s_mov_b64 s[10:11], -1
	v_cndmask_b32_e64 v2, 0, 1, vcc
	global_store_byte v[10:11], v2, off
.LBB134_1617:
	s_mov_b64 s[0:1], 0
	s_branch .LBB134_1619
.LBB134_1618:
	s_mov_b64 s[0:1], -1
	s_mov_b64 s[10:11], 0
.LBB134_1619:
	s_and_b64 vcc, exec, s[0:1]
	s_cbranch_vccz .LBB134_1658
; %bb.1620:
	s_and_b32 s4, 0xffff, s26
	s_cmp_lt_i32 s4, 5
	s_mov_b64 s[0:1], -1
	s_cbranch_scc1 .LBB134_1641
; %bb.1621:
	s_cmp_lt_i32 s4, 8
	s_cbranch_scc1 .LBB134_1631
; %bb.1622:
	s_cmp_lt_i32 s4, 9
	s_cbranch_scc1 .LBB134_1628
; %bb.1623:
	s_cmp_gt_i32 s4, 9
	s_cbranch_scc0 .LBB134_1625
; %bb.1624:
	v_mov_b32_e32 v2, 0
	v_mov_b32_e32 v3, v2
	global_store_dwordx4 v[10:11], v[0:3], off
	s_mov_b64 s[0:1], 0
.LBB134_1625:
	s_andn2_b64 vcc, exec, s[0:1]
	s_cbranch_vccnz .LBB134_1627
; %bb.1626:
	v_cvt_f32_f64_e32 v2, v[0:1]
	v_mov_b32_e32 v3, 0
	global_store_dwordx2 v[10:11], v[2:3], off
.LBB134_1627:
	s_mov_b64 s[0:1], 0
.LBB134_1628:
	s_andn2_b64 vcc, exec, s[0:1]
	s_cbranch_vccnz .LBB134_1630
; %bb.1629:
	s_movk_i32 s0, 0x1ff
	v_and_or_b32 v2, v1, s0, v0
	v_cmp_ne_u32_e32 vcc, 0, v2
	v_cndmask_b32_e64 v2, 0, 1, vcc
	v_lshrrev_b32_e32 v3, 8, v1
	s_movk_i32 s0, 0xffe
	v_bfe_u32 v13, v1, 20, 11
	v_and_or_b32 v2, v3, s0, v2
	v_sub_u32_e32 v14, 0x3f1, v13
	v_or_b32_e32 v3, 0x1000, v2
	v_med3_i32 v14, v14, 0, 13
	v_lshrrev_b32_e32 v15, v14, v3
	v_lshlrev_b32_e32 v14, v14, v15
	v_cmp_ne_u32_e32 vcc, v14, v3
	v_cndmask_b32_e64 v3, 0, 1, vcc
	v_add_u32_e32 v13, 0xfffffc10, v13
	v_or_b32_e32 v3, v15, v3
	v_lshl_or_b32 v14, v13, 12, v2
	v_cmp_gt_i32_e32 vcc, 1, v13
	v_cndmask_b32_e32 v3, v14, v3, vcc
	v_and_b32_e32 v14, 7, v3
	v_cmp_lt_i32_e32 vcc, 5, v14
	v_cndmask_b32_e64 v15, 0, 1, vcc
	v_cmp_eq_u32_e32 vcc, 3, v14
	v_cndmask_b32_e64 v14, 0, 1, vcc
	v_or_b32_e32 v14, v14, v15
	v_lshrrev_b32_e32 v3, 2, v3
	v_add_u32_e32 v3, v3, v14
	v_mov_b32_e32 v14, 0x7c00
	v_cmp_gt_i32_e32 vcc, 31, v13
	v_cndmask_b32_e32 v3, v14, v3, vcc
	v_mov_b32_e32 v15, 0x7e00
	v_cmp_ne_u32_e32 vcc, 0, v2
	s_movk_i32 s0, 0x40f
	v_cndmask_b32_e32 v2, v14, v15, vcc
	v_cmp_eq_u32_e32 vcc, s0, v13
	v_cndmask_b32_e32 v2, v3, v2, vcc
	v_lshrrev_b32_e32 v3, 16, v1
	s_mov_b32 s0, 0x8000
	v_and_or_b32 v2, v3, s0, v2
	v_and_b32_e32 v2, 0xffff, v2
	global_store_dword v[10:11], v2, off
.LBB134_1630:
	s_mov_b64 s[0:1], 0
.LBB134_1631:
	s_andn2_b64 vcc, exec, s[0:1]
	s_cbranch_vccnz .LBB134_1640
; %bb.1632:
	s_cmp_lt_i32 s4, 6
	s_mov_b64 s[0:1], -1
	s_cbranch_scc1 .LBB134_1638
; %bb.1633:
	s_cmp_gt_i32 s4, 6
	s_cbranch_scc0 .LBB134_1635
; %bb.1634:
	global_store_dwordx2 v[10:11], v[0:1], off
	s_mov_b64 s[0:1], 0
.LBB134_1635:
	s_andn2_b64 vcc, exec, s[0:1]
	s_cbranch_vccnz .LBB134_1637
; %bb.1636:
	v_cvt_f32_f64_e32 v2, v[0:1]
	global_store_dword v[10:11], v2, off
.LBB134_1637:
	s_mov_b64 s[0:1], 0
.LBB134_1638:
	s_andn2_b64 vcc, exec, s[0:1]
	s_cbranch_vccnz .LBB134_1640
; %bb.1639:
	s_movk_i32 s0, 0x1ff
	v_and_or_b32 v2, v1, s0, v0
	v_cmp_ne_u32_e32 vcc, 0, v2
	v_cndmask_b32_e64 v2, 0, 1, vcc
	v_lshrrev_b32_e32 v3, 8, v1
	s_movk_i32 s0, 0xffe
	v_bfe_u32 v13, v1, 20, 11
	v_and_or_b32 v2, v3, s0, v2
	v_sub_u32_e32 v14, 0x3f1, v13
	v_or_b32_e32 v3, 0x1000, v2
	v_med3_i32 v14, v14, 0, 13
	v_lshrrev_b32_e32 v15, v14, v3
	v_lshlrev_b32_e32 v14, v14, v15
	v_cmp_ne_u32_e32 vcc, v14, v3
	v_cndmask_b32_e64 v3, 0, 1, vcc
	v_add_u32_e32 v13, 0xfffffc10, v13
	v_or_b32_e32 v3, v15, v3
	v_lshl_or_b32 v14, v13, 12, v2
	v_cmp_gt_i32_e32 vcc, 1, v13
	v_cndmask_b32_e32 v3, v14, v3, vcc
	v_and_b32_e32 v14, 7, v3
	v_cmp_lt_i32_e32 vcc, 5, v14
	v_cndmask_b32_e64 v15, 0, 1, vcc
	v_cmp_eq_u32_e32 vcc, 3, v14
	v_cndmask_b32_e64 v14, 0, 1, vcc
	v_or_b32_e32 v14, v14, v15
	v_lshrrev_b32_e32 v3, 2, v3
	v_add_u32_e32 v3, v3, v14
	v_mov_b32_e32 v14, 0x7c00
	v_cmp_gt_i32_e32 vcc, 31, v13
	v_cndmask_b32_e32 v3, v14, v3, vcc
	v_mov_b32_e32 v15, 0x7e00
	v_cmp_ne_u32_e32 vcc, 0, v2
	s_movk_i32 s0, 0x40f
	v_cndmask_b32_e32 v2, v14, v15, vcc
	v_cmp_eq_u32_e32 vcc, s0, v13
	v_cndmask_b32_e32 v2, v3, v2, vcc
	v_lshrrev_b32_e32 v3, 16, v1
	s_mov_b32 s0, 0x8000
	v_and_or_b32 v2, v3, s0, v2
	global_store_short v[10:11], v2, off
.LBB134_1640:
	s_mov_b64 s[0:1], 0
.LBB134_1641:
	s_andn2_b64 vcc, exec, s[0:1]
	s_cbranch_vccnz .LBB134_1657
; %bb.1642:
	s_cmp_lt_i32 s4, 2
	s_mov_b64 s[0:1], -1
	s_cbranch_scc1 .LBB134_1652
; %bb.1643:
	s_cmp_lt_i32 s4, 3
	s_cbranch_scc1 .LBB134_1649
; %bb.1644:
	s_cmp_gt_i32 s4, 3
	s_cbranch_scc0 .LBB134_1646
; %bb.1645:
	v_trunc_f64_e32 v[2:3], v[0:1]
	s_movk_i32 s0, 0xffe0
	v_ldexp_f64 v[13:14], v[2:3], s0
	s_mov_b32 s0, 0
	s_mov_b32 s1, 0xc1f00000
	v_floor_f64_e32 v[13:14], v[13:14]
	v_fma_f64 v[2:3], v[13:14], s[0:1], v[2:3]
	v_cvt_i32_f64_e32 v14, v[13:14]
	s_mov_b64 s[0:1], 0
	v_cvt_u32_f64_e32 v13, v[2:3]
	global_store_dwordx2 v[10:11], v[13:14], off
.LBB134_1646:
	s_andn2_b64 vcc, exec, s[0:1]
	s_cbranch_vccnz .LBB134_1648
; %bb.1647:
	v_cvt_i32_f64_e32 v2, v[0:1]
	global_store_dword v[10:11], v2, off
.LBB134_1648:
	s_mov_b64 s[0:1], 0
.LBB134_1649:
	s_andn2_b64 vcc, exec, s[0:1]
	s_cbranch_vccnz .LBB134_1651
; %bb.1650:
	v_cvt_i32_f64_e32 v2, v[0:1]
	global_store_short v[10:11], v2, off
.LBB134_1651:
	s_mov_b64 s[0:1], 0
.LBB134_1652:
	s_andn2_b64 vcc, exec, s[0:1]
	s_cbranch_vccnz .LBB134_1657
; %bb.1653:
	s_cmp_gt_i32 s4, 0
	s_mov_b64 s[0:1], -1
	s_cbranch_scc0 .LBB134_1655
; %bb.1654:
	v_cvt_i32_f64_e32 v2, v[0:1]
	s_mov_b64 s[0:1], 0
	global_store_byte v[10:11], v2, off
.LBB134_1655:
	s_andn2_b64 vcc, exec, s[0:1]
	s_cbranch_vccnz .LBB134_1657
; %bb.1656:
	v_trunc_f64_e32 v[0:1], v[0:1]
	s_movk_i32 s0, 0xffe0
	v_ldexp_f64 v[2:3], v[0:1], s0
	s_mov_b32 s0, 0
	s_mov_b32 s1, 0xc1f00000
	v_floor_f64_e32 v[2:3], v[2:3]
	v_fma_f64 v[0:1], v[2:3], s[0:1], v[0:1]
	v_cvt_u32_f64_e32 v0, v[0:1]
	global_store_byte v[10:11], v0, off
.LBB134_1657:
	s_mov_b64 s[10:11], -1
.LBB134_1658:
	s_andn2_b64 vcc, exec, s[10:11]
	s_cbranch_vccnz .LBB134_1973
; %bb.1659:
	v_cmp_nge_f64_e32 vcc, s[12:13], v[8:9]
	s_lshl_b32 s24, s16, 7
	v_mov_b32_e32 v0, s15
	v_mov_b32_e32 v1, s3
	;; [unrolled: 1-line block ×4, first 2 shown]
	v_add_u32_e32 v10, s24, v12
	s_cmp_lt_i32 s26, 11
	v_cndmask_b32_e32 v1, v0, v1, vcc
	v_cndmask_b32_e32 v0, v2, v3, vcc
	v_ashrrev_i32_e32 v2, 31, v10
	v_mov_b32_e32 v3, s9
	v_add_co_u32_e32 v8, vcc, s8, v10
	v_addc_co_u32_e32 v9, vcc, v3, v2, vcc
	s_cbranch_scc1 .LBB134_1737
; %bb.1660:
	s_and_b32 s25, 0xffff, s26
	s_mov_b64 s[16:17], -1
	s_mov_b64 s[4:5], 0
	s_cmp_gt_i32 s25, 25
	s_mov_b64 s[10:11], 0
	s_mov_b64 s[0:1], 0
	s_cbranch_scc0 .LBB134_1693
; %bb.1661:
	s_cmp_gt_i32 s25, 28
	s_cbranch_scc0 .LBB134_1676
; %bb.1662:
	s_cmp_gt_i32 s25, 43
	;; [unrolled: 3-line block ×3, first 2 shown]
	s_cbranch_scc0 .LBB134_1666
; %bb.1664:
	s_mov_b64 s[0:1], -1
	s_mov_b64 s[16:17], 0
	s_cmp_eq_u32 s25, 46
	s_cbranch_scc0 .LBB134_1666
; %bb.1665:
	v_cvt_f32_f64_e32 v2, v[0:1]
	s_movk_i32 s0, 0x7fff
	v_mov_b32_e32 v3, 0x7fc0
	s_mov_b64 s[10:11], -1
	v_bfe_u32 v11, v2, 16, 1
	v_cmp_o_f32_e32 vcc, v2, v2
	v_add3_u32 v2, v2, v11, s0
	v_cndmask_b32_sdwa v2, v3, v2, vcc dst_sel:DWORD dst_unused:UNUSED_PAD src0_sel:DWORD src1_sel:WORD_1
	global_store_dword v[8:9], v2, off
	s_mov_b64 s[0:1], 0
.LBB134_1666:
	s_and_b64 vcc, exec, s[16:17]
	s_cbranch_vccz .LBB134_1671
; %bb.1667:
	s_cmp_eq_u32 s25, 44
	s_mov_b64 s[0:1], -1
	s_cbranch_scc0 .LBB134_1671
; %bb.1668:
	v_cvt_f32_f64_e32 v2, v[0:1]
	s_movk_i32 s0, 0xff
	v_mov_b32_e32 v11, 0xff
	v_bfe_u32 v3, v2, 23, 8
	v_cmp_ne_u32_e32 vcc, s0, v3
	s_and_saveexec_b64 s[10:11], vcc
; %bb.1669:
	s_mov_b32 s0, 0x3fffff
	v_lshrrev_b32_e32 v11, 23, v2
	v_and_b32_e32 v12, 0x400000, v2
	v_and_or_b32 v2, v2, s0, v3
	v_cmp_ne_u32_e32 vcc, 0, v12
	v_cmp_ne_u32_e64 s[0:1], 0, v2
	s_and_b64 s[0:1], vcc, s[0:1]
	v_cndmask_b32_e64 v2, 0, 1, s[0:1]
	v_add_u32_e32 v11, v11, v2
; %bb.1670:
	s_or_b64 exec, exec, s[10:11]
	s_mov_b64 s[0:1], 0
	s_mov_b64 s[10:11], -1
	global_store_byte v[8:9], v11, off
.LBB134_1671:
	s_mov_b64 s[16:17], 0
.LBB134_1672:
	s_and_b64 vcc, exec, s[16:17]
	s_cbranch_vccz .LBB134_1675
; %bb.1673:
	s_cmp_eq_u32 s25, 29
	s_mov_b64 s[0:1], -1
	s_cbranch_scc0 .LBB134_1675
; %bb.1674:
	v_trunc_f64_e32 v[2:3], v[0:1]
	s_movk_i32 s0, 0xffe0
	s_mov_b64 s[10:11], -1
	v_ldexp_f64 v[11:12], v[2:3], s0
	s_mov_b32 s0, 0
	s_mov_b32 s1, 0xc1f00000
	v_floor_f64_e32 v[11:12], v[11:12]
	v_fma_f64 v[2:3], v[11:12], s[0:1], v[2:3]
	v_cvt_u32_f64_e32 v12, v[11:12]
	s_mov_b64 s[0:1], 0
	v_cvt_u32_f64_e32 v11, v[2:3]
	global_store_dwordx2 v[8:9], v[11:12], off
.LBB134_1675:
	s_mov_b64 s[16:17], 0
.LBB134_1676:
	s_and_b64 vcc, exec, s[16:17]
	s_cbranch_vccz .LBB134_1692
; %bb.1677:
	s_cmp_lt_i32 s25, 27
	s_mov_b64 s[10:11], -1
	s_cbranch_scc1 .LBB134_1683
; %bb.1678:
	v_cvt_u32_f64_e32 v2, v[0:1]
	s_cmp_gt_i32 s25, 27
	s_cbranch_scc0 .LBB134_1680
; %bb.1679:
	s_mov_b64 s[10:11], 0
	global_store_dword v[8:9], v2, off
.LBB134_1680:
	s_andn2_b64 vcc, exec, s[10:11]
	s_cbranch_vccnz .LBB134_1682
; %bb.1681:
	global_store_short v[8:9], v2, off
.LBB134_1682:
	s_mov_b64 s[10:11], 0
.LBB134_1683:
	s_andn2_b64 vcc, exec, s[10:11]
	s_cbranch_vccnz .LBB134_1691
; %bb.1684:
	v_cvt_f32_f64_e32 v2, v[0:1]
	s_mov_b32 s10, 0x43800000
	v_mov_b32_e32 v11, 0x80
	v_and_b32_e32 v3, 0x7fffffff, v2
	v_cmp_gt_u32_e32 vcc, s10, v3
	s_and_saveexec_b64 s[10:11], vcc
	s_cbranch_execz .LBB134_1690
; %bb.1685:
	s_mov_b32 s16, 0x3bffffff
	v_cmp_lt_u32_e32 vcc, s16, v3
	s_mov_b64 s[16:17], 0
                                        ; implicit-def: $vgpr3
	s_and_saveexec_b64 s[22:23], vcc
	s_xor_b64 s[22:23], exec, s[22:23]
	s_cbranch_execz .LBB134_2025
; %bb.1686:
	v_bfe_u32 v3, v2, 20, 1
	s_mov_b32 s27, 0x487ffff
	v_add3_u32 v3, v2, v3, s27
	s_mov_b64 s[16:17], exec
	v_lshrrev_b32_e32 v3, 20, v3
	s_andn2_saveexec_b64 s[22:23], s[22:23]
	s_cbranch_execnz .LBB134_2026
.LBB134_1687:
	s_or_b64 exec, exec, s[22:23]
	v_mov_b32_e32 v11, 0
	s_and_saveexec_b64 s[22:23], s[16:17]
.LBB134_1688:
	v_lshrrev_b32_e32 v2, 24, v2
	s_movk_i32 s16, 0x80
	v_and_or_b32 v11, v2, s16, v3
.LBB134_1689:
	s_or_b64 exec, exec, s[22:23]
.LBB134_1690:
	s_or_b64 exec, exec, s[10:11]
	global_store_byte v[8:9], v11, off
.LBB134_1691:
	s_mov_b64 s[10:11], -1
.LBB134_1692:
	s_mov_b64 s[16:17], 0
.LBB134_1693:
	s_and_b64 vcc, exec, s[16:17]
	s_cbranch_vccz .LBB134_1733
; %bb.1694:
	s_cmp_gt_i32 s25, 22
	s_mov_b64 s[4:5], -1
	s_cbranch_scc0 .LBB134_1726
; %bb.1695:
	s_cmp_lt_i32 s25, 24
	s_cbranch_scc1 .LBB134_1715
; %bb.1696:
	s_cmp_gt_i32 s25, 24
	s_cbranch_scc0 .LBB134_1704
; %bb.1697:
	v_cvt_f32_f64_e32 v2, v[0:1]
	s_mov_b32 s4, 0x47800000
	v_mov_b32_e32 v11, 0x80
	v_and_b32_e32 v3, 0x7fffffff, v2
	v_cmp_gt_u32_e32 vcc, s4, v3
	s_and_saveexec_b64 s[4:5], vcc
	s_cbranch_execz .LBB134_1703
; %bb.1698:
	s_mov_b32 s10, 0x37ffffff
	v_cmp_lt_u32_e32 vcc, s10, v3
	s_mov_b64 s[10:11], 0
                                        ; implicit-def: $vgpr3
	s_and_saveexec_b64 s[16:17], vcc
	s_xor_b64 s[16:17], exec, s[16:17]
	s_cbranch_execz .LBB134_2028
; %bb.1699:
	v_bfe_u32 v3, v2, 21, 1
	s_mov_b32 s22, 0x88fffff
	v_add3_u32 v3, v2, v3, s22
	s_mov_b64 s[10:11], exec
	v_lshrrev_b32_e32 v3, 21, v3
	s_andn2_saveexec_b64 s[16:17], s[16:17]
	s_cbranch_execnz .LBB134_2029
.LBB134_1700:
	s_or_b64 exec, exec, s[16:17]
	v_mov_b32_e32 v11, 0
	s_and_saveexec_b64 s[16:17], s[10:11]
.LBB134_1701:
	v_lshrrev_b32_e32 v2, 24, v2
	s_movk_i32 s10, 0x80
	v_and_or_b32 v11, v2, s10, v3
.LBB134_1702:
	s_or_b64 exec, exec, s[16:17]
.LBB134_1703:
	s_or_b64 exec, exec, s[4:5]
	s_mov_b64 s[4:5], 0
	global_store_byte v[8:9], v11, off
.LBB134_1704:
	s_and_b64 vcc, exec, s[4:5]
	s_cbranch_vccz .LBB134_1714
; %bb.1705:
	v_cvt_f32_f64_e32 v2, v[0:1]
	s_mov_b32 s4, 0x43f00000
                                        ; implicit-def: $vgpr3
	v_and_b32_e32 v11, 0x7fffffff, v2
	v_cmp_gt_u32_e32 vcc, s4, v11
	s_and_saveexec_b64 s[4:5], vcc
	s_xor_b64 s[4:5], exec, s[4:5]
	s_cbranch_execz .LBB134_1711
; %bb.1706:
	s_mov_b32 s10, 0x3c7fffff
	v_cmp_lt_u32_e32 vcc, s10, v11
                                        ; implicit-def: $vgpr3
	s_and_saveexec_b64 s[10:11], vcc
	s_xor_b64 s[10:11], exec, s[10:11]
; %bb.1707:
	v_bfe_u32 v3, v2, 20, 1
	s_mov_b32 s16, 0x407ffff
	v_add3_u32 v3, v2, v3, s16
	v_lshrrev_b32_e32 v11, 20, v3
	v_and_b32_e32 v3, 0xff00000, v3
	s_mov_b32 s16, 0x7f00000
	v_mov_b32_e32 v12, 0x7e
	v_cmp_ne_u32_e32 vcc, s16, v3
	v_cndmask_b32_e32 v3, v12, v11, vcc
; %bb.1708:
	s_andn2_saveexec_b64 s[10:11], s[10:11]
; %bb.1709:
	s_mov_b32 s16, 0x46800000
	v_add_f32_e64 v3, |v2|, s16
; %bb.1710:
	s_or_b64 exec, exec, s[10:11]
                                        ; implicit-def: $vgpr11
.LBB134_1711:
	s_andn2_saveexec_b64 s[4:5], s[4:5]
; %bb.1712:
	s_mov_b32 s10, 0x7f800000
	v_mov_b32_e32 v3, 0x7e
	v_mov_b32_e32 v12, 0x7f
	v_cmp_lt_u32_e32 vcc, s10, v11
	v_cndmask_b32_e32 v3, v3, v12, vcc
; %bb.1713:
	s_or_b64 exec, exec, s[4:5]
	v_lshrrev_b32_e32 v2, 24, v2
	s_movk_i32 s4, 0x80
	v_and_or_b32 v2, v2, s4, v3
	global_store_byte v[8:9], v2, off
.LBB134_1714:
	s_mov_b64 s[4:5], 0
.LBB134_1715:
	s_andn2_b64 vcc, exec, s[4:5]
	s_cbranch_vccnz .LBB134_1725
; %bb.1716:
	v_cvt_f32_f64_e32 v2, v[0:1]
	s_mov_b32 s4, 0x47800000
                                        ; implicit-def: $vgpr3
	v_and_b32_e32 v11, 0x7fffffff, v2
	v_cmp_gt_u32_e32 vcc, s4, v11
	s_and_saveexec_b64 s[4:5], vcc
	s_xor_b64 s[4:5], exec, s[4:5]
	s_cbranch_execz .LBB134_1722
; %bb.1717:
	s_mov_b32 s10, 0x387fffff
	v_cmp_lt_u32_e32 vcc, s10, v11
                                        ; implicit-def: $vgpr3
	s_and_saveexec_b64 s[10:11], vcc
	s_xor_b64 s[10:11], exec, s[10:11]
; %bb.1718:
	v_bfe_u32 v3, v2, 21, 1
	s_mov_b32 s16, 0x80fffff
	v_add3_u32 v3, v2, v3, s16
	v_lshrrev_b32_e32 v3, 21, v3
; %bb.1719:
	s_andn2_saveexec_b64 s[10:11], s[10:11]
; %bb.1720:
	s_mov_b32 s16, 0x43000000
	v_add_f32_e64 v3, |v2|, s16
; %bb.1721:
	s_or_b64 exec, exec, s[10:11]
                                        ; implicit-def: $vgpr11
.LBB134_1722:
	s_andn2_saveexec_b64 s[4:5], s[4:5]
; %bb.1723:
	s_mov_b32 s10, 0x7f800000
	v_mov_b32_e32 v3, 0x7c
	v_mov_b32_e32 v12, 0x7f
	v_cmp_lt_u32_e32 vcc, s10, v11
	v_cndmask_b32_e32 v3, v3, v12, vcc
; %bb.1724:
	s_or_b64 exec, exec, s[4:5]
	v_lshrrev_b32_e32 v2, 24, v2
	s_movk_i32 s4, 0x80
	v_and_or_b32 v2, v2, s4, v3
	global_store_byte v[8:9], v2, off
.LBB134_1725:
	s_mov_b64 s[4:5], 0
	s_mov_b64 s[10:11], -1
.LBB134_1726:
	s_andn2_b64 vcc, exec, s[4:5]
	s_mov_b64 s[4:5], 0
	s_cbranch_vccnz .LBB134_1733
; %bb.1727:
	s_cmp_gt_i32 s25, 14
	s_mov_b64 s[16:17], -1
	s_cbranch_scc0 .LBB134_1731
; %bb.1728:
	s_cmp_eq_u32 s25, 15
	s_mov_b64 s[0:1], -1
	s_cbranch_scc0 .LBB134_1730
; %bb.1729:
	v_cvt_f32_f64_e32 v2, v[0:1]
	s_movk_i32 s0, 0x7fff
	v_mov_b32_e32 v3, 0x7fc0
	s_mov_b64 s[10:11], -1
	v_bfe_u32 v11, v2, 16, 1
	v_cmp_o_f32_e32 vcc, v2, v2
	v_add3_u32 v2, v2, v11, s0
	v_cndmask_b32_sdwa v2, v3, v2, vcc dst_sel:DWORD dst_unused:UNUSED_PAD src0_sel:DWORD src1_sel:WORD_1
	global_store_short v[8:9], v2, off
	s_mov_b64 s[0:1], 0
.LBB134_1730:
	s_mov_b64 s[16:17], 0
.LBB134_1731:
	s_and_b64 vcc, exec, s[16:17]
	s_cbranch_vccz .LBB134_1733
; %bb.1732:
	s_cmp_lg_u32 s25, 11
	s_mov_b64 s[4:5], -1
	s_cselect_b64 s[0:1], -1, 0
.LBB134_1733:
	s_and_b64 vcc, exec, s[0:1]
	s_cbranch_vccnz .LBB134_2027
; %bb.1734:
	s_andn2_b64 vcc, exec, s[4:5]
	s_cbranch_vccnz .LBB134_1736
.LBB134_1735:
	v_cmp_neq_f64_e32 vcc, 0, v[0:1]
	s_mov_b64 s[10:11], -1
	v_cndmask_b32_e64 v2, 0, 1, vcc
	global_store_byte v[8:9], v2, off
.LBB134_1736:
	s_mov_b64 s[0:1], 0
	s_branch .LBB134_1738
.LBB134_1737:
	s_mov_b64 s[0:1], -1
	s_mov_b64 s[10:11], 0
.LBB134_1738:
	s_and_b64 vcc, exec, s[0:1]
	s_cbranch_vccz .LBB134_1777
; %bb.1739:
	s_and_b32 s4, 0xffff, s26
	s_cmp_lt_i32 s4, 5
	s_mov_b64 s[0:1], -1
	s_cbranch_scc1 .LBB134_1760
; %bb.1740:
	s_cmp_lt_i32 s4, 8
	s_cbranch_scc1 .LBB134_1750
; %bb.1741:
	s_cmp_lt_i32 s4, 9
	s_cbranch_scc1 .LBB134_1747
; %bb.1742:
	s_cmp_gt_i32 s4, 9
	s_cbranch_scc0 .LBB134_1744
; %bb.1743:
	v_mov_b32_e32 v2, 0
	v_mov_b32_e32 v3, v2
	global_store_dwordx4 v[8:9], v[0:3], off
	s_mov_b64 s[0:1], 0
.LBB134_1744:
	s_andn2_b64 vcc, exec, s[0:1]
	s_cbranch_vccnz .LBB134_1746
; %bb.1745:
	v_cvt_f32_f64_e32 v2, v[0:1]
	v_mov_b32_e32 v3, 0
	global_store_dwordx2 v[8:9], v[2:3], off
.LBB134_1746:
	s_mov_b64 s[0:1], 0
.LBB134_1747:
	s_andn2_b64 vcc, exec, s[0:1]
	s_cbranch_vccnz .LBB134_1749
; %bb.1748:
	s_movk_i32 s0, 0x1ff
	v_and_or_b32 v2, v1, s0, v0
	v_cmp_ne_u32_e32 vcc, 0, v2
	v_cndmask_b32_e64 v2, 0, 1, vcc
	v_lshrrev_b32_e32 v3, 8, v1
	s_movk_i32 s0, 0xffe
	v_bfe_u32 v11, v1, 20, 11
	v_and_or_b32 v2, v3, s0, v2
	v_sub_u32_e32 v12, 0x3f1, v11
	v_or_b32_e32 v3, 0x1000, v2
	v_med3_i32 v12, v12, 0, 13
	v_lshrrev_b32_e32 v13, v12, v3
	v_lshlrev_b32_e32 v12, v12, v13
	v_cmp_ne_u32_e32 vcc, v12, v3
	v_cndmask_b32_e64 v3, 0, 1, vcc
	v_add_u32_e32 v11, 0xfffffc10, v11
	v_or_b32_e32 v3, v13, v3
	v_lshl_or_b32 v12, v11, 12, v2
	v_cmp_gt_i32_e32 vcc, 1, v11
	v_cndmask_b32_e32 v3, v12, v3, vcc
	v_and_b32_e32 v12, 7, v3
	v_cmp_lt_i32_e32 vcc, 5, v12
	v_cndmask_b32_e64 v13, 0, 1, vcc
	v_cmp_eq_u32_e32 vcc, 3, v12
	v_cndmask_b32_e64 v12, 0, 1, vcc
	v_or_b32_e32 v12, v12, v13
	v_lshrrev_b32_e32 v3, 2, v3
	v_add_u32_e32 v3, v3, v12
	v_mov_b32_e32 v12, 0x7c00
	v_cmp_gt_i32_e32 vcc, 31, v11
	v_cndmask_b32_e32 v3, v12, v3, vcc
	v_mov_b32_e32 v13, 0x7e00
	v_cmp_ne_u32_e32 vcc, 0, v2
	s_movk_i32 s0, 0x40f
	v_cndmask_b32_e32 v2, v12, v13, vcc
	v_cmp_eq_u32_e32 vcc, s0, v11
	v_cndmask_b32_e32 v2, v3, v2, vcc
	v_lshrrev_b32_e32 v3, 16, v1
	s_mov_b32 s0, 0x8000
	v_and_or_b32 v2, v3, s0, v2
	v_and_b32_e32 v2, 0xffff, v2
	global_store_dword v[8:9], v2, off
.LBB134_1749:
	s_mov_b64 s[0:1], 0
.LBB134_1750:
	s_andn2_b64 vcc, exec, s[0:1]
	s_cbranch_vccnz .LBB134_1759
; %bb.1751:
	s_cmp_lt_i32 s4, 6
	s_mov_b64 s[0:1], -1
	s_cbranch_scc1 .LBB134_1757
; %bb.1752:
	s_cmp_gt_i32 s4, 6
	s_cbranch_scc0 .LBB134_1754
; %bb.1753:
	global_store_dwordx2 v[8:9], v[0:1], off
	s_mov_b64 s[0:1], 0
.LBB134_1754:
	s_andn2_b64 vcc, exec, s[0:1]
	s_cbranch_vccnz .LBB134_1756
; %bb.1755:
	v_cvt_f32_f64_e32 v2, v[0:1]
	global_store_dword v[8:9], v2, off
.LBB134_1756:
	s_mov_b64 s[0:1], 0
.LBB134_1757:
	s_andn2_b64 vcc, exec, s[0:1]
	s_cbranch_vccnz .LBB134_1759
; %bb.1758:
	s_movk_i32 s0, 0x1ff
	v_and_or_b32 v2, v1, s0, v0
	v_cmp_ne_u32_e32 vcc, 0, v2
	v_cndmask_b32_e64 v2, 0, 1, vcc
	v_lshrrev_b32_e32 v3, 8, v1
	s_movk_i32 s0, 0xffe
	v_bfe_u32 v11, v1, 20, 11
	v_and_or_b32 v2, v3, s0, v2
	v_sub_u32_e32 v12, 0x3f1, v11
	v_or_b32_e32 v3, 0x1000, v2
	v_med3_i32 v12, v12, 0, 13
	v_lshrrev_b32_e32 v13, v12, v3
	v_lshlrev_b32_e32 v12, v12, v13
	v_cmp_ne_u32_e32 vcc, v12, v3
	v_cndmask_b32_e64 v3, 0, 1, vcc
	v_add_u32_e32 v11, 0xfffffc10, v11
	v_or_b32_e32 v3, v13, v3
	v_lshl_or_b32 v12, v11, 12, v2
	v_cmp_gt_i32_e32 vcc, 1, v11
	v_cndmask_b32_e32 v3, v12, v3, vcc
	v_and_b32_e32 v12, 7, v3
	v_cmp_lt_i32_e32 vcc, 5, v12
	v_cndmask_b32_e64 v13, 0, 1, vcc
	v_cmp_eq_u32_e32 vcc, 3, v12
	v_cndmask_b32_e64 v12, 0, 1, vcc
	v_or_b32_e32 v12, v12, v13
	v_lshrrev_b32_e32 v3, 2, v3
	v_add_u32_e32 v3, v3, v12
	v_mov_b32_e32 v12, 0x7c00
	v_cmp_gt_i32_e32 vcc, 31, v11
	v_cndmask_b32_e32 v3, v12, v3, vcc
	v_mov_b32_e32 v13, 0x7e00
	v_cmp_ne_u32_e32 vcc, 0, v2
	s_movk_i32 s0, 0x40f
	v_cndmask_b32_e32 v2, v12, v13, vcc
	v_cmp_eq_u32_e32 vcc, s0, v11
	v_cndmask_b32_e32 v2, v3, v2, vcc
	v_lshrrev_b32_e32 v3, 16, v1
	s_mov_b32 s0, 0x8000
	v_and_or_b32 v2, v3, s0, v2
	global_store_short v[8:9], v2, off
.LBB134_1759:
	s_mov_b64 s[0:1], 0
.LBB134_1760:
	s_andn2_b64 vcc, exec, s[0:1]
	s_cbranch_vccnz .LBB134_1776
; %bb.1761:
	s_cmp_lt_i32 s4, 2
	s_mov_b64 s[0:1], -1
	s_cbranch_scc1 .LBB134_1771
; %bb.1762:
	s_cmp_lt_i32 s4, 3
	s_cbranch_scc1 .LBB134_1768
; %bb.1763:
	s_cmp_gt_i32 s4, 3
	s_cbranch_scc0 .LBB134_1765
; %bb.1764:
	v_trunc_f64_e32 v[2:3], v[0:1]
	s_movk_i32 s0, 0xffe0
	v_ldexp_f64 v[11:12], v[2:3], s0
	s_mov_b32 s0, 0
	s_mov_b32 s1, 0xc1f00000
	v_floor_f64_e32 v[11:12], v[11:12]
	v_fma_f64 v[2:3], v[11:12], s[0:1], v[2:3]
	v_cvt_i32_f64_e32 v12, v[11:12]
	s_mov_b64 s[0:1], 0
	v_cvt_u32_f64_e32 v11, v[2:3]
	global_store_dwordx2 v[8:9], v[11:12], off
.LBB134_1765:
	s_andn2_b64 vcc, exec, s[0:1]
	s_cbranch_vccnz .LBB134_1767
; %bb.1766:
	v_cvt_i32_f64_e32 v2, v[0:1]
	global_store_dword v[8:9], v2, off
.LBB134_1767:
	s_mov_b64 s[0:1], 0
.LBB134_1768:
	s_andn2_b64 vcc, exec, s[0:1]
	s_cbranch_vccnz .LBB134_1770
; %bb.1769:
	v_cvt_i32_f64_e32 v2, v[0:1]
	global_store_short v[8:9], v2, off
.LBB134_1770:
	s_mov_b64 s[0:1], 0
.LBB134_1771:
	s_andn2_b64 vcc, exec, s[0:1]
	s_cbranch_vccnz .LBB134_1776
; %bb.1772:
	s_cmp_gt_i32 s4, 0
	s_mov_b64 s[0:1], -1
	s_cbranch_scc0 .LBB134_1774
; %bb.1773:
	v_cvt_i32_f64_e32 v2, v[0:1]
	s_mov_b64 s[0:1], 0
	global_store_byte v[8:9], v2, off
.LBB134_1774:
	s_andn2_b64 vcc, exec, s[0:1]
	s_cbranch_vccnz .LBB134_1776
; %bb.1775:
	v_trunc_f64_e32 v[0:1], v[0:1]
	s_movk_i32 s0, 0xffe0
	v_ldexp_f64 v[2:3], v[0:1], s0
	s_mov_b32 s0, 0
	s_mov_b32 s1, 0xc1f00000
	v_floor_f64_e32 v[2:3], v[2:3]
	v_fma_f64 v[0:1], v[2:3], s[0:1], v[0:1]
	v_cvt_u32_f64_e32 v0, v[0:1]
	global_store_byte v[8:9], v0, off
.LBB134_1776:
	s_mov_b64 s[10:11], -1
.LBB134_1777:
	s_andn2_b64 vcc, exec, s[10:11]
	s_cbranch_vccnz .LBB134_1973
; %bb.1778:
	v_cmp_nge_f64_e32 vcc, s[12:13], v[6:7]
	v_mov_b32_e32 v0, s15
	v_mov_b32_e32 v1, s3
	;; [unrolled: 1-line block ×4, first 2 shown]
	v_add_u32_e32 v8, s24, v10
	v_ashrrev_i32_e32 v7, 31, v8
	s_cmp_lt_i32 s26, 11
	v_cndmask_b32_e32 v1, v0, v1, vcc
	v_cndmask_b32_e32 v0, v2, v3, vcc
	v_mov_b32_e32 v2, s9
	v_add_co_u32_e32 v6, vcc, s8, v8
	v_addc_co_u32_e32 v7, vcc, v2, v7, vcc
	s_cbranch_scc1 .LBB134_1856
; %bb.1779:
	s_and_b32 s25, 0xffff, s26
	s_mov_b64 s[16:17], -1
	s_mov_b64 s[4:5], 0
	s_cmp_gt_i32 s25, 25
	s_mov_b64 s[10:11], 0
	s_mov_b64 s[0:1], 0
	s_cbranch_scc0 .LBB134_1812
; %bb.1780:
	s_cmp_gt_i32 s25, 28
	s_cbranch_scc0 .LBB134_1795
; %bb.1781:
	s_cmp_gt_i32 s25, 43
	;; [unrolled: 3-line block ×3, first 2 shown]
	s_cbranch_scc0 .LBB134_1785
; %bb.1783:
	s_mov_b64 s[0:1], -1
	s_mov_b64 s[16:17], 0
	s_cmp_eq_u32 s25, 46
	s_cbranch_scc0 .LBB134_1785
; %bb.1784:
	v_cvt_f32_f64_e32 v2, v[0:1]
	s_movk_i32 s0, 0x7fff
	v_mov_b32_e32 v3, 0x7fc0
	s_mov_b64 s[10:11], -1
	v_bfe_u32 v9, v2, 16, 1
	v_cmp_o_f32_e32 vcc, v2, v2
	v_add3_u32 v2, v2, v9, s0
	v_cndmask_b32_sdwa v2, v3, v2, vcc dst_sel:DWORD dst_unused:UNUSED_PAD src0_sel:DWORD src1_sel:WORD_1
	global_store_dword v[6:7], v2, off
	s_mov_b64 s[0:1], 0
.LBB134_1785:
	s_and_b64 vcc, exec, s[16:17]
	s_cbranch_vccz .LBB134_1790
; %bb.1786:
	s_cmp_eq_u32 s25, 44
	s_mov_b64 s[0:1], -1
	s_cbranch_scc0 .LBB134_1790
; %bb.1787:
	v_cvt_f32_f64_e32 v2, v[0:1]
	s_movk_i32 s0, 0xff
	v_mov_b32_e32 v9, 0xff
	v_bfe_u32 v3, v2, 23, 8
	v_cmp_ne_u32_e32 vcc, s0, v3
	s_and_saveexec_b64 s[10:11], vcc
; %bb.1788:
	s_mov_b32 s0, 0x3fffff
	v_lshrrev_b32_e32 v9, 23, v2
	v_and_b32_e32 v10, 0x400000, v2
	v_and_or_b32 v2, v2, s0, v3
	v_cmp_ne_u32_e32 vcc, 0, v10
	v_cmp_ne_u32_e64 s[0:1], 0, v2
	s_and_b64 s[0:1], vcc, s[0:1]
	v_cndmask_b32_e64 v2, 0, 1, s[0:1]
	v_add_u32_e32 v9, v9, v2
; %bb.1789:
	s_or_b64 exec, exec, s[10:11]
	s_mov_b64 s[0:1], 0
	s_mov_b64 s[10:11], -1
	global_store_byte v[6:7], v9, off
.LBB134_1790:
	s_mov_b64 s[16:17], 0
.LBB134_1791:
	s_and_b64 vcc, exec, s[16:17]
	s_cbranch_vccz .LBB134_1794
; %bb.1792:
	s_cmp_eq_u32 s25, 29
	s_mov_b64 s[0:1], -1
	s_cbranch_scc0 .LBB134_1794
; %bb.1793:
	v_trunc_f64_e32 v[2:3], v[0:1]
	s_movk_i32 s0, 0xffe0
	s_mov_b64 s[10:11], -1
	v_ldexp_f64 v[9:10], v[2:3], s0
	s_mov_b32 s0, 0
	s_mov_b32 s1, 0xc1f00000
	v_floor_f64_e32 v[9:10], v[9:10]
	v_fma_f64 v[2:3], v[9:10], s[0:1], v[2:3]
	v_cvt_u32_f64_e32 v10, v[9:10]
	s_mov_b64 s[0:1], 0
	v_cvt_u32_f64_e32 v9, v[2:3]
	global_store_dwordx2 v[6:7], v[9:10], off
.LBB134_1794:
	s_mov_b64 s[16:17], 0
.LBB134_1795:
	s_and_b64 vcc, exec, s[16:17]
	s_cbranch_vccz .LBB134_1811
; %bb.1796:
	s_cmp_lt_i32 s25, 27
	s_mov_b64 s[10:11], -1
	s_cbranch_scc1 .LBB134_1802
; %bb.1797:
	v_cvt_u32_f64_e32 v2, v[0:1]
	s_cmp_gt_i32 s25, 27
	s_cbranch_scc0 .LBB134_1799
; %bb.1798:
	s_mov_b64 s[10:11], 0
	global_store_dword v[6:7], v2, off
.LBB134_1799:
	s_andn2_b64 vcc, exec, s[10:11]
	s_cbranch_vccnz .LBB134_1801
; %bb.1800:
	global_store_short v[6:7], v2, off
.LBB134_1801:
	s_mov_b64 s[10:11], 0
.LBB134_1802:
	s_andn2_b64 vcc, exec, s[10:11]
	s_cbranch_vccnz .LBB134_1810
; %bb.1803:
	v_cvt_f32_f64_e32 v2, v[0:1]
	s_mov_b32 s10, 0x43800000
	v_mov_b32_e32 v9, 0x80
	v_and_b32_e32 v3, 0x7fffffff, v2
	v_cmp_gt_u32_e32 vcc, s10, v3
	s_and_saveexec_b64 s[10:11], vcc
	s_cbranch_execz .LBB134_1809
; %bb.1804:
	s_mov_b32 s16, 0x3bffffff
	v_cmp_lt_u32_e32 vcc, s16, v3
	s_mov_b64 s[16:17], 0
                                        ; implicit-def: $vgpr3
	s_and_saveexec_b64 s[22:23], vcc
	s_xor_b64 s[22:23], exec, s[22:23]
	s_cbranch_execz .LBB134_2030
; %bb.1805:
	v_bfe_u32 v3, v2, 20, 1
	s_mov_b32 s27, 0x487ffff
	v_add3_u32 v3, v2, v3, s27
	s_mov_b64 s[16:17], exec
	v_lshrrev_b32_e32 v3, 20, v3
	s_andn2_saveexec_b64 s[22:23], s[22:23]
	s_cbranch_execnz .LBB134_2031
.LBB134_1806:
	s_or_b64 exec, exec, s[22:23]
	v_mov_b32_e32 v9, 0
	s_and_saveexec_b64 s[22:23], s[16:17]
.LBB134_1807:
	v_lshrrev_b32_e32 v2, 24, v2
	s_movk_i32 s16, 0x80
	v_and_or_b32 v9, v2, s16, v3
.LBB134_1808:
	s_or_b64 exec, exec, s[22:23]
.LBB134_1809:
	s_or_b64 exec, exec, s[10:11]
	global_store_byte v[6:7], v9, off
.LBB134_1810:
	s_mov_b64 s[10:11], -1
.LBB134_1811:
	s_mov_b64 s[16:17], 0
.LBB134_1812:
	s_and_b64 vcc, exec, s[16:17]
	s_cbranch_vccz .LBB134_1852
; %bb.1813:
	s_cmp_gt_i32 s25, 22
	s_mov_b64 s[4:5], -1
	s_cbranch_scc0 .LBB134_1845
; %bb.1814:
	s_cmp_lt_i32 s25, 24
	s_cbranch_scc1 .LBB134_1834
; %bb.1815:
	s_cmp_gt_i32 s25, 24
	s_cbranch_scc0 .LBB134_1823
; %bb.1816:
	v_cvt_f32_f64_e32 v2, v[0:1]
	s_mov_b32 s4, 0x47800000
	v_mov_b32_e32 v9, 0x80
	v_and_b32_e32 v3, 0x7fffffff, v2
	v_cmp_gt_u32_e32 vcc, s4, v3
	s_and_saveexec_b64 s[4:5], vcc
	s_cbranch_execz .LBB134_1822
; %bb.1817:
	s_mov_b32 s10, 0x37ffffff
	v_cmp_lt_u32_e32 vcc, s10, v3
	s_mov_b64 s[10:11], 0
                                        ; implicit-def: $vgpr3
	s_and_saveexec_b64 s[16:17], vcc
	s_xor_b64 s[16:17], exec, s[16:17]
	s_cbranch_execz .LBB134_2033
; %bb.1818:
	v_bfe_u32 v3, v2, 21, 1
	s_mov_b32 s22, 0x88fffff
	v_add3_u32 v3, v2, v3, s22
	s_mov_b64 s[10:11], exec
	v_lshrrev_b32_e32 v3, 21, v3
	s_andn2_saveexec_b64 s[16:17], s[16:17]
	s_cbranch_execnz .LBB134_2034
.LBB134_1819:
	s_or_b64 exec, exec, s[16:17]
	v_mov_b32_e32 v9, 0
	s_and_saveexec_b64 s[16:17], s[10:11]
.LBB134_1820:
	v_lshrrev_b32_e32 v2, 24, v2
	s_movk_i32 s10, 0x80
	v_and_or_b32 v9, v2, s10, v3
.LBB134_1821:
	s_or_b64 exec, exec, s[16:17]
.LBB134_1822:
	s_or_b64 exec, exec, s[4:5]
	s_mov_b64 s[4:5], 0
	global_store_byte v[6:7], v9, off
.LBB134_1823:
	s_and_b64 vcc, exec, s[4:5]
	s_cbranch_vccz .LBB134_1833
; %bb.1824:
	v_cvt_f32_f64_e32 v2, v[0:1]
	s_mov_b32 s4, 0x43f00000
                                        ; implicit-def: $vgpr3
	v_and_b32_e32 v9, 0x7fffffff, v2
	v_cmp_gt_u32_e32 vcc, s4, v9
	s_and_saveexec_b64 s[4:5], vcc
	s_xor_b64 s[4:5], exec, s[4:5]
	s_cbranch_execz .LBB134_1830
; %bb.1825:
	s_mov_b32 s10, 0x3c7fffff
	v_cmp_lt_u32_e32 vcc, s10, v9
                                        ; implicit-def: $vgpr3
	s_and_saveexec_b64 s[10:11], vcc
	s_xor_b64 s[10:11], exec, s[10:11]
; %bb.1826:
	v_bfe_u32 v3, v2, 20, 1
	s_mov_b32 s16, 0x407ffff
	v_add3_u32 v3, v2, v3, s16
	v_lshrrev_b32_e32 v9, 20, v3
	v_and_b32_e32 v3, 0xff00000, v3
	s_mov_b32 s16, 0x7f00000
	v_mov_b32_e32 v10, 0x7e
	v_cmp_ne_u32_e32 vcc, s16, v3
	v_cndmask_b32_e32 v3, v10, v9, vcc
; %bb.1827:
	s_andn2_saveexec_b64 s[10:11], s[10:11]
; %bb.1828:
	s_mov_b32 s16, 0x46800000
	v_add_f32_e64 v3, |v2|, s16
; %bb.1829:
	s_or_b64 exec, exec, s[10:11]
                                        ; implicit-def: $vgpr9
.LBB134_1830:
	s_andn2_saveexec_b64 s[4:5], s[4:5]
; %bb.1831:
	s_mov_b32 s10, 0x7f800000
	v_mov_b32_e32 v3, 0x7e
	v_mov_b32_e32 v10, 0x7f
	v_cmp_lt_u32_e32 vcc, s10, v9
	v_cndmask_b32_e32 v3, v3, v10, vcc
; %bb.1832:
	s_or_b64 exec, exec, s[4:5]
	v_lshrrev_b32_e32 v2, 24, v2
	s_movk_i32 s4, 0x80
	v_and_or_b32 v2, v2, s4, v3
	global_store_byte v[6:7], v2, off
.LBB134_1833:
	s_mov_b64 s[4:5], 0
.LBB134_1834:
	s_andn2_b64 vcc, exec, s[4:5]
	s_cbranch_vccnz .LBB134_1844
; %bb.1835:
	v_cvt_f32_f64_e32 v2, v[0:1]
	s_mov_b32 s4, 0x47800000
                                        ; implicit-def: $vgpr3
	v_and_b32_e32 v9, 0x7fffffff, v2
	v_cmp_gt_u32_e32 vcc, s4, v9
	s_and_saveexec_b64 s[4:5], vcc
	s_xor_b64 s[4:5], exec, s[4:5]
	s_cbranch_execz .LBB134_1841
; %bb.1836:
	s_mov_b32 s10, 0x387fffff
	v_cmp_lt_u32_e32 vcc, s10, v9
                                        ; implicit-def: $vgpr3
	s_and_saveexec_b64 s[10:11], vcc
	s_xor_b64 s[10:11], exec, s[10:11]
; %bb.1837:
	v_bfe_u32 v3, v2, 21, 1
	s_mov_b32 s16, 0x80fffff
	v_add3_u32 v3, v2, v3, s16
	v_lshrrev_b32_e32 v3, 21, v3
; %bb.1838:
	s_andn2_saveexec_b64 s[10:11], s[10:11]
; %bb.1839:
	s_mov_b32 s16, 0x43000000
	v_add_f32_e64 v3, |v2|, s16
; %bb.1840:
	s_or_b64 exec, exec, s[10:11]
                                        ; implicit-def: $vgpr9
.LBB134_1841:
	s_andn2_saveexec_b64 s[4:5], s[4:5]
; %bb.1842:
	s_mov_b32 s10, 0x7f800000
	v_mov_b32_e32 v3, 0x7c
	v_mov_b32_e32 v10, 0x7f
	v_cmp_lt_u32_e32 vcc, s10, v9
	v_cndmask_b32_e32 v3, v3, v10, vcc
; %bb.1843:
	s_or_b64 exec, exec, s[4:5]
	v_lshrrev_b32_e32 v2, 24, v2
	s_movk_i32 s4, 0x80
	v_and_or_b32 v2, v2, s4, v3
	global_store_byte v[6:7], v2, off
.LBB134_1844:
	s_mov_b64 s[4:5], 0
	s_mov_b64 s[10:11], -1
.LBB134_1845:
	s_andn2_b64 vcc, exec, s[4:5]
	s_mov_b64 s[4:5], 0
	s_cbranch_vccnz .LBB134_1852
; %bb.1846:
	s_cmp_gt_i32 s25, 14
	s_mov_b64 s[16:17], -1
	s_cbranch_scc0 .LBB134_1850
; %bb.1847:
	s_cmp_eq_u32 s25, 15
	s_mov_b64 s[0:1], -1
	s_cbranch_scc0 .LBB134_1849
; %bb.1848:
	v_cvt_f32_f64_e32 v2, v[0:1]
	s_movk_i32 s0, 0x7fff
	v_mov_b32_e32 v3, 0x7fc0
	s_mov_b64 s[10:11], -1
	v_bfe_u32 v9, v2, 16, 1
	v_cmp_o_f32_e32 vcc, v2, v2
	v_add3_u32 v2, v2, v9, s0
	v_cndmask_b32_sdwa v2, v3, v2, vcc dst_sel:DWORD dst_unused:UNUSED_PAD src0_sel:DWORD src1_sel:WORD_1
	global_store_short v[6:7], v2, off
	s_mov_b64 s[0:1], 0
.LBB134_1849:
	s_mov_b64 s[16:17], 0
.LBB134_1850:
	s_and_b64 vcc, exec, s[16:17]
	s_cbranch_vccz .LBB134_1852
; %bb.1851:
	s_cmp_lg_u32 s25, 11
	s_mov_b64 s[4:5], -1
	s_cselect_b64 s[0:1], -1, 0
.LBB134_1852:
	s_and_b64 vcc, exec, s[0:1]
	s_cbranch_vccnz .LBB134_2032
; %bb.1853:
	s_andn2_b64 vcc, exec, s[4:5]
	s_cbranch_vccnz .LBB134_1855
.LBB134_1854:
	v_cmp_neq_f64_e32 vcc, 0, v[0:1]
	s_mov_b64 s[10:11], -1
	v_cndmask_b32_e64 v2, 0, 1, vcc
	global_store_byte v[6:7], v2, off
.LBB134_1855:
	s_mov_b64 s[0:1], 0
	s_branch .LBB134_1857
.LBB134_1856:
	s_mov_b64 s[0:1], -1
	s_mov_b64 s[10:11], 0
.LBB134_1857:
	s_and_b64 vcc, exec, s[0:1]
	s_cbranch_vccz .LBB134_1896
; %bb.1858:
	s_and_b32 s4, 0xffff, s26
	s_cmp_lt_i32 s4, 5
	s_mov_b64 s[0:1], -1
	s_cbranch_scc1 .LBB134_1879
; %bb.1859:
	s_cmp_lt_i32 s4, 8
	s_cbranch_scc1 .LBB134_1869
; %bb.1860:
	s_cmp_lt_i32 s4, 9
	s_cbranch_scc1 .LBB134_1866
; %bb.1861:
	s_cmp_gt_i32 s4, 9
	s_cbranch_scc0 .LBB134_1863
; %bb.1862:
	v_mov_b32_e32 v2, 0
	v_mov_b32_e32 v3, v2
	global_store_dwordx4 v[6:7], v[0:3], off
	s_mov_b64 s[0:1], 0
.LBB134_1863:
	s_andn2_b64 vcc, exec, s[0:1]
	s_cbranch_vccnz .LBB134_1865
; %bb.1864:
	v_cvt_f32_f64_e32 v2, v[0:1]
	v_mov_b32_e32 v3, 0
	global_store_dwordx2 v[6:7], v[2:3], off
.LBB134_1865:
	s_mov_b64 s[0:1], 0
.LBB134_1866:
	s_andn2_b64 vcc, exec, s[0:1]
	s_cbranch_vccnz .LBB134_1868
; %bb.1867:
	s_movk_i32 s0, 0x1ff
	v_and_or_b32 v2, v1, s0, v0
	v_cmp_ne_u32_e32 vcc, 0, v2
	v_cndmask_b32_e64 v2, 0, 1, vcc
	v_lshrrev_b32_e32 v3, 8, v1
	s_movk_i32 s0, 0xffe
	v_bfe_u32 v9, v1, 20, 11
	v_and_or_b32 v2, v3, s0, v2
	v_sub_u32_e32 v10, 0x3f1, v9
	v_or_b32_e32 v3, 0x1000, v2
	v_med3_i32 v10, v10, 0, 13
	v_lshrrev_b32_e32 v11, v10, v3
	v_lshlrev_b32_e32 v10, v10, v11
	v_cmp_ne_u32_e32 vcc, v10, v3
	v_cndmask_b32_e64 v3, 0, 1, vcc
	v_add_u32_e32 v9, 0xfffffc10, v9
	v_or_b32_e32 v3, v11, v3
	v_lshl_or_b32 v10, v9, 12, v2
	v_cmp_gt_i32_e32 vcc, 1, v9
	v_cndmask_b32_e32 v3, v10, v3, vcc
	v_and_b32_e32 v10, 7, v3
	v_cmp_lt_i32_e32 vcc, 5, v10
	v_cndmask_b32_e64 v11, 0, 1, vcc
	v_cmp_eq_u32_e32 vcc, 3, v10
	v_cndmask_b32_e64 v10, 0, 1, vcc
	v_or_b32_e32 v10, v10, v11
	v_lshrrev_b32_e32 v3, 2, v3
	v_add_u32_e32 v3, v3, v10
	v_mov_b32_e32 v10, 0x7c00
	v_cmp_gt_i32_e32 vcc, 31, v9
	v_cndmask_b32_e32 v3, v10, v3, vcc
	v_mov_b32_e32 v11, 0x7e00
	v_cmp_ne_u32_e32 vcc, 0, v2
	s_movk_i32 s0, 0x40f
	v_cndmask_b32_e32 v2, v10, v11, vcc
	v_cmp_eq_u32_e32 vcc, s0, v9
	v_cndmask_b32_e32 v2, v3, v2, vcc
	v_lshrrev_b32_e32 v3, 16, v1
	s_mov_b32 s0, 0x8000
	v_and_or_b32 v2, v3, s0, v2
	v_and_b32_e32 v2, 0xffff, v2
	global_store_dword v[6:7], v2, off
.LBB134_1868:
	s_mov_b64 s[0:1], 0
.LBB134_1869:
	s_andn2_b64 vcc, exec, s[0:1]
	s_cbranch_vccnz .LBB134_1878
; %bb.1870:
	s_cmp_lt_i32 s4, 6
	s_mov_b64 s[0:1], -1
	s_cbranch_scc1 .LBB134_1876
; %bb.1871:
	s_cmp_gt_i32 s4, 6
	s_cbranch_scc0 .LBB134_1873
; %bb.1872:
	global_store_dwordx2 v[6:7], v[0:1], off
	s_mov_b64 s[0:1], 0
.LBB134_1873:
	s_andn2_b64 vcc, exec, s[0:1]
	s_cbranch_vccnz .LBB134_1875
; %bb.1874:
	v_cvt_f32_f64_e32 v2, v[0:1]
	global_store_dword v[6:7], v2, off
.LBB134_1875:
	s_mov_b64 s[0:1], 0
.LBB134_1876:
	s_andn2_b64 vcc, exec, s[0:1]
	s_cbranch_vccnz .LBB134_1878
; %bb.1877:
	s_movk_i32 s0, 0x1ff
	v_and_or_b32 v2, v1, s0, v0
	v_cmp_ne_u32_e32 vcc, 0, v2
	v_cndmask_b32_e64 v2, 0, 1, vcc
	v_lshrrev_b32_e32 v3, 8, v1
	s_movk_i32 s0, 0xffe
	v_bfe_u32 v9, v1, 20, 11
	v_and_or_b32 v2, v3, s0, v2
	v_sub_u32_e32 v10, 0x3f1, v9
	v_or_b32_e32 v3, 0x1000, v2
	v_med3_i32 v10, v10, 0, 13
	v_lshrrev_b32_e32 v11, v10, v3
	v_lshlrev_b32_e32 v10, v10, v11
	v_cmp_ne_u32_e32 vcc, v10, v3
	v_cndmask_b32_e64 v3, 0, 1, vcc
	v_add_u32_e32 v9, 0xfffffc10, v9
	v_or_b32_e32 v3, v11, v3
	v_lshl_or_b32 v10, v9, 12, v2
	v_cmp_gt_i32_e32 vcc, 1, v9
	v_cndmask_b32_e32 v3, v10, v3, vcc
	v_and_b32_e32 v10, 7, v3
	v_cmp_lt_i32_e32 vcc, 5, v10
	v_cndmask_b32_e64 v11, 0, 1, vcc
	v_cmp_eq_u32_e32 vcc, 3, v10
	v_cndmask_b32_e64 v10, 0, 1, vcc
	v_or_b32_e32 v10, v10, v11
	v_lshrrev_b32_e32 v3, 2, v3
	v_add_u32_e32 v3, v3, v10
	v_mov_b32_e32 v10, 0x7c00
	v_cmp_gt_i32_e32 vcc, 31, v9
	v_cndmask_b32_e32 v3, v10, v3, vcc
	v_mov_b32_e32 v11, 0x7e00
	v_cmp_ne_u32_e32 vcc, 0, v2
	s_movk_i32 s0, 0x40f
	v_cndmask_b32_e32 v2, v10, v11, vcc
	v_cmp_eq_u32_e32 vcc, s0, v9
	v_cndmask_b32_e32 v2, v3, v2, vcc
	v_lshrrev_b32_e32 v3, 16, v1
	s_mov_b32 s0, 0x8000
	v_and_or_b32 v2, v3, s0, v2
	global_store_short v[6:7], v2, off
.LBB134_1878:
	s_mov_b64 s[0:1], 0
.LBB134_1879:
	s_andn2_b64 vcc, exec, s[0:1]
	s_cbranch_vccnz .LBB134_1895
; %bb.1880:
	s_cmp_lt_i32 s4, 2
	s_mov_b64 s[0:1], -1
	s_cbranch_scc1 .LBB134_1890
; %bb.1881:
	s_cmp_lt_i32 s4, 3
	s_cbranch_scc1 .LBB134_1887
; %bb.1882:
	s_cmp_gt_i32 s4, 3
	s_cbranch_scc0 .LBB134_1884
; %bb.1883:
	v_trunc_f64_e32 v[2:3], v[0:1]
	s_movk_i32 s0, 0xffe0
	v_ldexp_f64 v[9:10], v[2:3], s0
	s_mov_b32 s0, 0
	s_mov_b32 s1, 0xc1f00000
	v_floor_f64_e32 v[9:10], v[9:10]
	v_fma_f64 v[2:3], v[9:10], s[0:1], v[2:3]
	v_cvt_i32_f64_e32 v10, v[9:10]
	s_mov_b64 s[0:1], 0
	v_cvt_u32_f64_e32 v9, v[2:3]
	global_store_dwordx2 v[6:7], v[9:10], off
.LBB134_1884:
	s_andn2_b64 vcc, exec, s[0:1]
	s_cbranch_vccnz .LBB134_1886
; %bb.1885:
	v_cvt_i32_f64_e32 v2, v[0:1]
	global_store_dword v[6:7], v2, off
.LBB134_1886:
	s_mov_b64 s[0:1], 0
.LBB134_1887:
	s_andn2_b64 vcc, exec, s[0:1]
	s_cbranch_vccnz .LBB134_1889
; %bb.1888:
	v_cvt_i32_f64_e32 v2, v[0:1]
	global_store_short v[6:7], v2, off
.LBB134_1889:
	s_mov_b64 s[0:1], 0
.LBB134_1890:
	s_andn2_b64 vcc, exec, s[0:1]
	s_cbranch_vccnz .LBB134_1895
; %bb.1891:
	s_cmp_gt_i32 s4, 0
	s_mov_b64 s[0:1], -1
	s_cbranch_scc0 .LBB134_1893
; %bb.1892:
	v_cvt_i32_f64_e32 v2, v[0:1]
	s_mov_b64 s[0:1], 0
	global_store_byte v[6:7], v2, off
.LBB134_1893:
	s_andn2_b64 vcc, exec, s[0:1]
	s_cbranch_vccnz .LBB134_1895
; %bb.1894:
	v_trunc_f64_e32 v[0:1], v[0:1]
	s_movk_i32 s0, 0xffe0
	v_ldexp_f64 v[2:3], v[0:1], s0
	s_mov_b32 s0, 0
	s_mov_b32 s1, 0xc1f00000
	v_floor_f64_e32 v[2:3], v[2:3]
	v_fma_f64 v[0:1], v[2:3], s[0:1], v[0:1]
	v_cvt_u32_f64_e32 v0, v[0:1]
	global_store_byte v[6:7], v0, off
.LBB134_1895:
	s_mov_b64 s[10:11], -1
.LBB134_1896:
	s_andn2_b64 vcc, exec, s[10:11]
	s_cbranch_vccnz .LBB134_1973
; %bb.1897:
	v_cmp_nge_f64_e32 vcc, s[12:13], v[4:5]
	v_mov_b32_e32 v0, s15
	v_mov_b32_e32 v1, s3
	;; [unrolled: 1-line block ×4, first 2 shown]
	v_add_u32_e32 v4, s24, v8
	v_ashrrev_i32_e32 v5, 31, v4
	s_cmp_lt_i32 s26, 11
	v_cndmask_b32_e32 v1, v0, v1, vcc
	v_cndmask_b32_e32 v0, v2, v3, vcc
	v_mov_b32_e32 v2, s9
	v_add_co_u32_e32 v4, vcc, s8, v4
	v_addc_co_u32_e32 v5, vcc, v2, v5, vcc
	s_cbranch_scc1 .LBB134_2018
; %bb.1898:
	s_and_b32 s12, 0xffff, s26
	s_mov_b64 s[4:5], -1
	s_mov_b64 s[2:3], 0
	s_cmp_gt_i32 s12, 25
	s_mov_b64 s[0:1], 0
	s_cbranch_scc0 .LBB134_1931
; %bb.1899:
	s_cmp_gt_i32 s12, 28
	s_cbranch_scc0 .LBB134_1915
; %bb.1900:
	s_cmp_gt_i32 s12, 43
	;; [unrolled: 3-line block ×3, first 2 shown]
	s_cbranch_scc0 .LBB134_1905
; %bb.1902:
	s_cmp_eq_u32 s12, 46
	s_mov_b64 s[0:1], -1
	s_cbranch_scc0 .LBB134_1904
; %bb.1903:
	v_cvt_f32_f64_e32 v2, v[0:1]
	s_movk_i32 s0, 0x7fff
	v_mov_b32_e32 v3, 0x7fc0
	v_bfe_u32 v6, v2, 16, 1
	v_cmp_o_f32_e32 vcc, v2, v2
	v_add3_u32 v2, v2, v6, s0
	v_cndmask_b32_sdwa v2, v3, v2, vcc dst_sel:DWORD dst_unused:UNUSED_PAD src0_sel:DWORD src1_sel:WORD_1
	global_store_dword v[4:5], v2, off
	s_mov_b64 s[0:1], 0
.LBB134_1904:
	s_mov_b64 s[4:5], 0
.LBB134_1905:
	s_and_b64 vcc, exec, s[4:5]
	s_cbranch_vccz .LBB134_1910
; %bb.1906:
	s_cmp_eq_u32 s12, 44
	s_mov_b64 s[0:1], -1
	s_cbranch_scc0 .LBB134_1910
; %bb.1907:
	v_cvt_f32_f64_e32 v2, v[0:1]
	s_movk_i32 s0, 0xff
	v_mov_b32_e32 v6, 0xff
	v_bfe_u32 v3, v2, 23, 8
	v_cmp_ne_u32_e32 vcc, s0, v3
	s_and_saveexec_b64 s[4:5], vcc
; %bb.1908:
	s_mov_b32 s0, 0x3fffff
	v_lshrrev_b32_e32 v6, 23, v2
	v_and_b32_e32 v7, 0x400000, v2
	v_and_or_b32 v2, v2, s0, v3
	v_cmp_ne_u32_e32 vcc, 0, v7
	v_cmp_ne_u32_e64 s[0:1], 0, v2
	s_and_b64 s[0:1], vcc, s[0:1]
	v_cndmask_b32_e64 v2, 0, 1, s[0:1]
	v_add_u32_e32 v6, v6, v2
; %bb.1909:
	s_or_b64 exec, exec, s[4:5]
	s_mov_b64 s[0:1], 0
	global_store_byte v[4:5], v6, off
.LBB134_1910:
	s_mov_b64 s[4:5], 0
.LBB134_1911:
	s_and_b64 vcc, exec, s[4:5]
	s_cbranch_vccz .LBB134_1914
; %bb.1912:
	s_cmp_eq_u32 s12, 29
	s_mov_b64 s[0:1], -1
	s_cbranch_scc0 .LBB134_1914
; %bb.1913:
	v_trunc_f64_e32 v[2:3], v[0:1]
	s_movk_i32 s0, 0xffe0
	v_ldexp_f64 v[6:7], v[2:3], s0
	s_mov_b32 s0, 0
	s_mov_b32 s1, 0xc1f00000
	v_floor_f64_e32 v[6:7], v[6:7]
	v_fma_f64 v[2:3], v[6:7], s[0:1], v[2:3]
	v_cvt_u32_f64_e32 v7, v[6:7]
	s_mov_b64 s[0:1], 0
	v_cvt_u32_f64_e32 v6, v[2:3]
	global_store_dwordx2 v[4:5], v[6:7], off
.LBB134_1914:
	s_mov_b64 s[4:5], 0
.LBB134_1915:
	s_and_b64 vcc, exec, s[4:5]
	s_cbranch_vccz .LBB134_1930
; %bb.1916:
	s_cmp_lt_i32 s12, 27
	s_mov_b64 s[4:5], -1
	s_cbranch_scc1 .LBB134_1922
; %bb.1917:
	v_cvt_u32_f64_e32 v2, v[0:1]
	s_cmp_gt_i32 s12, 27
	s_cbranch_scc0 .LBB134_1919
; %bb.1918:
	global_store_dword v[4:5], v2, off
	s_mov_b64 s[4:5], 0
.LBB134_1919:
	s_andn2_b64 vcc, exec, s[4:5]
	s_cbranch_vccnz .LBB134_1921
; %bb.1920:
	global_store_short v[4:5], v2, off
.LBB134_1921:
	s_mov_b64 s[4:5], 0
.LBB134_1922:
	s_andn2_b64 vcc, exec, s[4:5]
	s_cbranch_vccnz .LBB134_1930
; %bb.1923:
	v_cvt_f32_f64_e32 v2, v[0:1]
	s_mov_b32 s4, 0x43800000
	v_mov_b32_e32 v6, 0x80
	v_and_b32_e32 v3, 0x7fffffff, v2
	v_cmp_gt_u32_e32 vcc, s4, v3
	s_and_saveexec_b64 s[4:5], vcc
	s_cbranch_execz .LBB134_1929
; %bb.1924:
	s_mov_b32 s8, 0x3bffffff
	v_cmp_lt_u32_e32 vcc, s8, v3
	s_mov_b64 s[8:9], 0
                                        ; implicit-def: $vgpr3
	s_and_saveexec_b64 s[10:11], vcc
	s_xor_b64 s[10:11], exec, s[10:11]
	s_cbranch_execz .LBB134_2035
; %bb.1925:
	v_bfe_u32 v3, v2, 20, 1
	s_mov_b32 s13, 0x487ffff
	v_add3_u32 v3, v2, v3, s13
	s_mov_b64 s[8:9], exec
	v_lshrrev_b32_e32 v3, 20, v3
	s_andn2_saveexec_b64 s[10:11], s[10:11]
	s_cbranch_execnz .LBB134_2036
.LBB134_1926:
	s_or_b64 exec, exec, s[10:11]
	v_mov_b32_e32 v6, 0
	s_and_saveexec_b64 s[10:11], s[8:9]
.LBB134_1927:
	v_lshrrev_b32_e32 v2, 24, v2
	s_movk_i32 s8, 0x80
	v_and_or_b32 v6, v2, s8, v3
.LBB134_1928:
	s_or_b64 exec, exec, s[10:11]
.LBB134_1929:
	s_or_b64 exec, exec, s[4:5]
	global_store_byte v[4:5], v6, off
.LBB134_1930:
	s_mov_b64 s[4:5], 0
.LBB134_1931:
	s_and_b64 vcc, exec, s[4:5]
	s_cbranch_vccz .LBB134_1971
; %bb.1932:
	s_cmp_gt_i32 s12, 22
	s_mov_b64 s[2:3], -1
	s_cbranch_scc0 .LBB134_1964
; %bb.1933:
	s_cmp_lt_i32 s12, 24
	s_cbranch_scc1 .LBB134_1953
; %bb.1934:
	s_cmp_gt_i32 s12, 24
	s_cbranch_scc0 .LBB134_1942
; %bb.1935:
	v_cvt_f32_f64_e32 v2, v[0:1]
	s_mov_b32 s2, 0x47800000
	v_mov_b32_e32 v6, 0x80
	v_and_b32_e32 v3, 0x7fffffff, v2
	v_cmp_gt_u32_e32 vcc, s2, v3
	s_and_saveexec_b64 s[2:3], vcc
	s_cbranch_execz .LBB134_1941
; %bb.1936:
	s_mov_b32 s4, 0x37ffffff
	v_cmp_lt_u32_e32 vcc, s4, v3
	s_mov_b64 s[4:5], 0
                                        ; implicit-def: $vgpr3
	s_and_saveexec_b64 s[8:9], vcc
	s_xor_b64 s[8:9], exec, s[8:9]
	s_cbranch_execz .LBB134_2038
; %bb.1937:
	v_bfe_u32 v3, v2, 21, 1
	s_mov_b32 s10, 0x88fffff
	v_add3_u32 v3, v2, v3, s10
	s_mov_b64 s[4:5], exec
	v_lshrrev_b32_e32 v3, 21, v3
	s_andn2_saveexec_b64 s[8:9], s[8:9]
	s_cbranch_execnz .LBB134_2039
.LBB134_1938:
	s_or_b64 exec, exec, s[8:9]
	v_mov_b32_e32 v6, 0
	s_and_saveexec_b64 s[8:9], s[4:5]
.LBB134_1939:
	v_lshrrev_b32_e32 v2, 24, v2
	s_movk_i32 s4, 0x80
	v_and_or_b32 v6, v2, s4, v3
.LBB134_1940:
	s_or_b64 exec, exec, s[8:9]
.LBB134_1941:
	s_or_b64 exec, exec, s[2:3]
	s_mov_b64 s[2:3], 0
	global_store_byte v[4:5], v6, off
.LBB134_1942:
	s_and_b64 vcc, exec, s[2:3]
	s_cbranch_vccz .LBB134_1952
; %bb.1943:
	v_cvt_f32_f64_e32 v2, v[0:1]
	s_mov_b32 s2, 0x43f00000
                                        ; implicit-def: $vgpr3
	v_and_b32_e32 v6, 0x7fffffff, v2
	v_cmp_gt_u32_e32 vcc, s2, v6
	s_and_saveexec_b64 s[2:3], vcc
	s_xor_b64 s[2:3], exec, s[2:3]
	s_cbranch_execz .LBB134_1949
; %bb.1944:
	s_mov_b32 s4, 0x3c7fffff
	v_cmp_lt_u32_e32 vcc, s4, v6
                                        ; implicit-def: $vgpr3
	s_and_saveexec_b64 s[4:5], vcc
	s_xor_b64 s[4:5], exec, s[4:5]
; %bb.1945:
	v_bfe_u32 v3, v2, 20, 1
	s_mov_b32 s8, 0x407ffff
	v_add3_u32 v3, v2, v3, s8
	v_lshrrev_b32_e32 v6, 20, v3
	v_and_b32_e32 v3, 0xff00000, v3
	s_mov_b32 s8, 0x7f00000
	v_mov_b32_e32 v7, 0x7e
	v_cmp_ne_u32_e32 vcc, s8, v3
	v_cndmask_b32_e32 v3, v7, v6, vcc
; %bb.1946:
	s_andn2_saveexec_b64 s[4:5], s[4:5]
; %bb.1947:
	s_mov_b32 s8, 0x46800000
	v_add_f32_e64 v3, |v2|, s8
; %bb.1948:
	s_or_b64 exec, exec, s[4:5]
                                        ; implicit-def: $vgpr6
.LBB134_1949:
	s_andn2_saveexec_b64 s[2:3], s[2:3]
; %bb.1950:
	s_mov_b32 s4, 0x7f800000
	v_mov_b32_e32 v3, 0x7e
	v_mov_b32_e32 v7, 0x7f
	v_cmp_lt_u32_e32 vcc, s4, v6
	v_cndmask_b32_e32 v3, v3, v7, vcc
; %bb.1951:
	s_or_b64 exec, exec, s[2:3]
	v_lshrrev_b32_e32 v2, 24, v2
	s_movk_i32 s2, 0x80
	v_and_or_b32 v2, v2, s2, v3
	global_store_byte v[4:5], v2, off
.LBB134_1952:
	s_mov_b64 s[2:3], 0
.LBB134_1953:
	s_andn2_b64 vcc, exec, s[2:3]
	s_cbranch_vccnz .LBB134_1963
; %bb.1954:
	v_cvt_f32_f64_e32 v2, v[0:1]
	s_mov_b32 s2, 0x47800000
                                        ; implicit-def: $vgpr3
	v_and_b32_e32 v6, 0x7fffffff, v2
	v_cmp_gt_u32_e32 vcc, s2, v6
	s_and_saveexec_b64 s[2:3], vcc
	s_xor_b64 s[2:3], exec, s[2:3]
	s_cbranch_execz .LBB134_1960
; %bb.1955:
	s_mov_b32 s4, 0x387fffff
	v_cmp_lt_u32_e32 vcc, s4, v6
                                        ; implicit-def: $vgpr3
	s_and_saveexec_b64 s[4:5], vcc
	s_xor_b64 s[4:5], exec, s[4:5]
; %bb.1956:
	v_bfe_u32 v3, v2, 21, 1
	s_mov_b32 s8, 0x80fffff
	v_add3_u32 v3, v2, v3, s8
	v_lshrrev_b32_e32 v3, 21, v3
; %bb.1957:
	s_andn2_saveexec_b64 s[4:5], s[4:5]
; %bb.1958:
	s_mov_b32 s8, 0x43000000
	v_add_f32_e64 v3, |v2|, s8
; %bb.1959:
	s_or_b64 exec, exec, s[4:5]
                                        ; implicit-def: $vgpr6
.LBB134_1960:
	s_andn2_saveexec_b64 s[2:3], s[2:3]
; %bb.1961:
	s_mov_b32 s4, 0x7f800000
	v_mov_b32_e32 v3, 0x7c
	v_mov_b32_e32 v7, 0x7f
	v_cmp_lt_u32_e32 vcc, s4, v6
	v_cndmask_b32_e32 v3, v3, v7, vcc
; %bb.1962:
	s_or_b64 exec, exec, s[2:3]
	v_lshrrev_b32_e32 v2, 24, v2
	s_movk_i32 s2, 0x80
	v_and_or_b32 v2, v2, s2, v3
	global_store_byte v[4:5], v2, off
.LBB134_1963:
	s_mov_b64 s[2:3], 0
.LBB134_1964:
	s_andn2_b64 vcc, exec, s[2:3]
	s_mov_b64 s[2:3], 0
	s_cbranch_vccnz .LBB134_1971
; %bb.1965:
	s_cmp_gt_i32 s12, 14
	s_mov_b64 s[4:5], -1
	s_cbranch_scc0 .LBB134_1969
; %bb.1966:
	s_cmp_eq_u32 s12, 15
	s_mov_b64 s[0:1], -1
	s_cbranch_scc0 .LBB134_1968
; %bb.1967:
	v_cvt_f32_f64_e32 v2, v[0:1]
	s_movk_i32 s0, 0x7fff
	v_mov_b32_e32 v3, 0x7fc0
	v_bfe_u32 v6, v2, 16, 1
	v_cmp_o_f32_e32 vcc, v2, v2
	v_add3_u32 v2, v2, v6, s0
	v_cndmask_b32_sdwa v2, v3, v2, vcc dst_sel:DWORD dst_unused:UNUSED_PAD src0_sel:DWORD src1_sel:WORD_1
	global_store_short v[4:5], v2, off
	s_mov_b64 s[0:1], 0
.LBB134_1968:
	s_mov_b64 s[4:5], 0
.LBB134_1969:
	s_and_b64 vcc, exec, s[4:5]
	s_cbranch_vccz .LBB134_1971
; %bb.1970:
	s_cmp_lg_u32 s12, 11
	s_mov_b64 s[2:3], -1
	s_cselect_b64 s[0:1], -1, 0
.LBB134_1971:
	s_and_b64 vcc, exec, s[0:1]
	s_cbranch_vccnz .LBB134_2037
.LBB134_1972:
	s_mov_b64 s[0:1], 0
	s_branch .LBB134_1974
.LBB134_1973:
	s_mov_b64 s[0:1], 0
	s_mov_b64 s[2:3], 0
                                        ; implicit-def: $sgpr26
                                        ; implicit-def: $vgpr4_vgpr5
                                        ; implicit-def: $vgpr0_vgpr1
.LBB134_1974:
	s_and_b64 s[4:5], s[2:3], exec
	s_andn2_b64 s[2:3], s[18:19], exec
	s_and_b64 s[8:9], s[20:21], exec
	s_and_b64 s[0:1], s[0:1], exec
	s_or_b64 s[18:19], s[2:3], s[8:9]
.LBB134_1975:
	s_or_b64 exec, exec, s[6:7]
	s_and_saveexec_b64 s[2:3], s[18:19]
	s_cbranch_execz .LBB134_1978
; %bb.1976:
	; divergent unreachable
	s_or_b64 exec, exec, s[2:3]
	s_and_saveexec_b64 s[2:3], s[4:5]
	s_xor_b64 s[2:3], exec, s[2:3]
	s_cbranch_execnz .LBB134_1979
.LBB134_1977:
	s_or_b64 exec, exec, s[2:3]
	s_and_saveexec_b64 s[2:3], s[0:1]
	s_cbranch_execnz .LBB134_1980
	s_branch .LBB134_2017
.LBB134_1978:
	s_or_b64 exec, exec, s[2:3]
	s_and_saveexec_b64 s[2:3], s[4:5]
	s_xor_b64 s[2:3], exec, s[2:3]
	s_cbranch_execz .LBB134_1977
.LBB134_1979:
	s_waitcnt vmcnt(0)
	v_cmp_neq_f64_e32 vcc, 0, v[0:1]
	v_cndmask_b32_e64 v2, 0, 1, vcc
	global_store_byte v[4:5], v2, off
	s_or_b64 exec, exec, s[2:3]
	s_and_saveexec_b64 s[2:3], s[0:1]
	s_cbranch_execz .LBB134_2017
.LBB134_1980:
	s_sext_i32_i16 s2, s26
	s_cmp_lt_i32 s2, 5
	s_mov_b64 s[0:1], -1
	s_cbranch_scc1 .LBB134_2001
; %bb.1981:
	s_cmp_lt_i32 s2, 8
	s_cbranch_scc1 .LBB134_1991
; %bb.1982:
	s_cmp_lt_i32 s2, 9
	s_cbranch_scc1 .LBB134_1988
; %bb.1983:
	s_cmp_gt_i32 s2, 9
	s_cbranch_scc0 .LBB134_1985
; %bb.1984:
	s_waitcnt vmcnt(0)
	v_mov_b32_e32 v2, 0
	v_mov_b32_e32 v3, v2
	global_store_dwordx4 v[4:5], v[0:3], off
	s_mov_b64 s[0:1], 0
.LBB134_1985:
	s_andn2_b64 vcc, exec, s[0:1]
	s_cbranch_vccnz .LBB134_1987
; %bb.1986:
	s_waitcnt vmcnt(0)
	v_cvt_f32_f64_e32 v2, v[0:1]
	v_mov_b32_e32 v3, 0
	global_store_dwordx2 v[4:5], v[2:3], off
.LBB134_1987:
	s_mov_b64 s[0:1], 0
.LBB134_1988:
	s_andn2_b64 vcc, exec, s[0:1]
	s_cbranch_vccnz .LBB134_1990
; %bb.1989:
	s_movk_i32 s0, 0x1ff
	s_waitcnt vmcnt(0)
	v_and_or_b32 v2, v1, s0, v0
	v_cmp_ne_u32_e32 vcc, 0, v2
	v_cndmask_b32_e64 v2, 0, 1, vcc
	v_lshrrev_b32_e32 v3, 8, v1
	s_movk_i32 s0, 0xffe
	v_bfe_u32 v6, v1, 20, 11
	v_and_or_b32 v2, v3, s0, v2
	v_sub_u32_e32 v7, 0x3f1, v6
	v_or_b32_e32 v3, 0x1000, v2
	v_med3_i32 v7, v7, 0, 13
	v_lshrrev_b32_e32 v8, v7, v3
	v_lshlrev_b32_e32 v7, v7, v8
	v_cmp_ne_u32_e32 vcc, v7, v3
	v_cndmask_b32_e64 v3, 0, 1, vcc
	v_add_u32_e32 v6, 0xfffffc10, v6
	v_or_b32_e32 v3, v8, v3
	v_lshl_or_b32 v7, v6, 12, v2
	v_cmp_gt_i32_e32 vcc, 1, v6
	v_cndmask_b32_e32 v3, v7, v3, vcc
	v_and_b32_e32 v7, 7, v3
	v_cmp_lt_i32_e32 vcc, 5, v7
	v_cndmask_b32_e64 v8, 0, 1, vcc
	v_cmp_eq_u32_e32 vcc, 3, v7
	v_cndmask_b32_e64 v7, 0, 1, vcc
	v_or_b32_e32 v7, v7, v8
	v_lshrrev_b32_e32 v3, 2, v3
	v_add_u32_e32 v3, v3, v7
	v_mov_b32_e32 v7, 0x7c00
	v_cmp_gt_i32_e32 vcc, 31, v6
	v_cndmask_b32_e32 v3, v7, v3, vcc
	v_mov_b32_e32 v8, 0x7e00
	v_cmp_ne_u32_e32 vcc, 0, v2
	s_movk_i32 s0, 0x40f
	v_cndmask_b32_e32 v2, v7, v8, vcc
	v_cmp_eq_u32_e32 vcc, s0, v6
	v_cndmask_b32_e32 v2, v3, v2, vcc
	v_lshrrev_b32_e32 v3, 16, v1
	s_mov_b32 s0, 0x8000
	v_and_or_b32 v2, v3, s0, v2
	v_and_b32_e32 v2, 0xffff, v2
	global_store_dword v[4:5], v2, off
.LBB134_1990:
	s_mov_b64 s[0:1], 0
.LBB134_1991:
	s_andn2_b64 vcc, exec, s[0:1]
	s_cbranch_vccnz .LBB134_2000
; %bb.1992:
	s_sext_i32_i16 s2, s26
	s_cmp_lt_i32 s2, 6
	s_mov_b64 s[0:1], -1
	s_cbranch_scc1 .LBB134_1998
; %bb.1993:
	s_cmp_gt_i32 s2, 6
	s_cbranch_scc0 .LBB134_1995
; %bb.1994:
	s_waitcnt vmcnt(0)
	global_store_dwordx2 v[4:5], v[0:1], off
	s_mov_b64 s[0:1], 0
.LBB134_1995:
	s_andn2_b64 vcc, exec, s[0:1]
	s_cbranch_vccnz .LBB134_1997
; %bb.1996:
	s_waitcnt vmcnt(0)
	v_cvt_f32_f64_e32 v2, v[0:1]
	global_store_dword v[4:5], v2, off
.LBB134_1997:
	s_mov_b64 s[0:1], 0
.LBB134_1998:
	s_andn2_b64 vcc, exec, s[0:1]
	s_cbranch_vccnz .LBB134_2000
; %bb.1999:
	s_movk_i32 s0, 0x1ff
	s_waitcnt vmcnt(0)
	v_and_or_b32 v2, v1, s0, v0
	v_cmp_ne_u32_e32 vcc, 0, v2
	v_cndmask_b32_e64 v2, 0, 1, vcc
	v_lshrrev_b32_e32 v3, 8, v1
	s_movk_i32 s0, 0xffe
	v_bfe_u32 v6, v1, 20, 11
	v_and_or_b32 v2, v3, s0, v2
	v_sub_u32_e32 v7, 0x3f1, v6
	v_or_b32_e32 v3, 0x1000, v2
	v_med3_i32 v7, v7, 0, 13
	v_lshrrev_b32_e32 v8, v7, v3
	v_lshlrev_b32_e32 v7, v7, v8
	v_cmp_ne_u32_e32 vcc, v7, v3
	v_cndmask_b32_e64 v3, 0, 1, vcc
	v_add_u32_e32 v6, 0xfffffc10, v6
	v_or_b32_e32 v3, v8, v3
	v_lshl_or_b32 v7, v6, 12, v2
	v_cmp_gt_i32_e32 vcc, 1, v6
	v_cndmask_b32_e32 v3, v7, v3, vcc
	v_and_b32_e32 v7, 7, v3
	v_cmp_lt_i32_e32 vcc, 5, v7
	v_cndmask_b32_e64 v8, 0, 1, vcc
	v_cmp_eq_u32_e32 vcc, 3, v7
	v_cndmask_b32_e64 v7, 0, 1, vcc
	v_or_b32_e32 v7, v7, v8
	v_lshrrev_b32_e32 v3, 2, v3
	v_add_u32_e32 v3, v3, v7
	v_mov_b32_e32 v7, 0x7c00
	v_cmp_gt_i32_e32 vcc, 31, v6
	v_cndmask_b32_e32 v3, v7, v3, vcc
	v_mov_b32_e32 v8, 0x7e00
	v_cmp_ne_u32_e32 vcc, 0, v2
	s_movk_i32 s0, 0x40f
	v_cndmask_b32_e32 v2, v7, v8, vcc
	v_cmp_eq_u32_e32 vcc, s0, v6
	v_cndmask_b32_e32 v2, v3, v2, vcc
	v_lshrrev_b32_e32 v3, 16, v1
	s_mov_b32 s0, 0x8000
	v_and_or_b32 v2, v3, s0, v2
	global_store_short v[4:5], v2, off
.LBB134_2000:
	s_mov_b64 s[0:1], 0
.LBB134_2001:
	s_andn2_b64 vcc, exec, s[0:1]
	s_cbranch_vccnz .LBB134_2017
; %bb.2002:
	s_sext_i32_i16 s2, s26
	s_cmp_lt_i32 s2, 2
	s_mov_b64 s[0:1], -1
	s_cbranch_scc1 .LBB134_2012
; %bb.2003:
	s_cmp_lt_i32 s2, 3
	s_cbranch_scc1 .LBB134_2009
; %bb.2004:
	s_cmp_gt_i32 s2, 3
	s_cbranch_scc0 .LBB134_2006
; %bb.2005:
	s_waitcnt vmcnt(0)
	v_trunc_f64_e32 v[2:3], v[0:1]
	s_movk_i32 s0, 0xffe0
	v_ldexp_f64 v[6:7], v[2:3], s0
	s_mov_b32 s0, 0
	s_mov_b32 s1, 0xc1f00000
	v_floor_f64_e32 v[6:7], v[6:7]
	v_fma_f64 v[2:3], v[6:7], s[0:1], v[2:3]
	v_cvt_i32_f64_e32 v7, v[6:7]
	s_mov_b64 s[0:1], 0
	v_cvt_u32_f64_e32 v6, v[2:3]
	global_store_dwordx2 v[4:5], v[6:7], off
.LBB134_2006:
	s_andn2_b64 vcc, exec, s[0:1]
	s_cbranch_vccnz .LBB134_2008
; %bb.2007:
	s_waitcnt vmcnt(0)
	v_cvt_i32_f64_e32 v2, v[0:1]
	global_store_dword v[4:5], v2, off
.LBB134_2008:
	s_mov_b64 s[0:1], 0
.LBB134_2009:
	s_andn2_b64 vcc, exec, s[0:1]
	s_cbranch_vccnz .LBB134_2011
; %bb.2010:
	s_waitcnt vmcnt(0)
	v_cvt_i32_f64_e32 v2, v[0:1]
	global_store_short v[4:5], v2, off
.LBB134_2011:
	s_mov_b64 s[0:1], 0
.LBB134_2012:
	s_andn2_b64 vcc, exec, s[0:1]
	s_cbranch_vccnz .LBB134_2017
; %bb.2013:
	s_sext_i32_i16 s0, s26
	s_cmp_gt_i32 s0, 0
	s_mov_b64 s[0:1], -1
	s_cbranch_scc0 .LBB134_2015
; %bb.2014:
	s_waitcnt vmcnt(0)
	v_cvt_i32_f64_e32 v2, v[0:1]
	s_mov_b64 s[0:1], 0
	global_store_byte v[4:5], v2, off
.LBB134_2015:
	s_andn2_b64 vcc, exec, s[0:1]
	s_cbranch_vccnz .LBB134_2017
; %bb.2016:
	s_waitcnt vmcnt(0)
	v_trunc_f64_e32 v[0:1], v[0:1]
	s_movk_i32 s0, 0xffe0
	v_ldexp_f64 v[2:3], v[0:1], s0
	s_mov_b32 s0, 0
	s_mov_b32 s1, 0xc1f00000
	v_floor_f64_e32 v[2:3], v[2:3]
	v_fma_f64 v[0:1], v[2:3], s[0:1], v[0:1]
	v_cvt_u32_f64_e32 v0, v[0:1]
	global_store_byte v[4:5], v0, off
	s_endpgm
.LBB134_2017:
	s_endpgm
.LBB134_2018:
	s_mov_b64 s[2:3], 0
	s_mov_b64 s[0:1], -1
	s_branch .LBB134_1974
.LBB134_2019:
	s_trap 2
	s_or_b64 s[20:21], s[20:21], exec
	s_cbranch_execz .LBB134_1488
	s_branch .LBB134_1489
.LBB134_2020:
	s_andn2_saveexec_b64 s[24:25], s[24:25]
	s_cbranch_execz .LBB134_1568
.LBB134_2021:
	s_mov_b32 s27, 0x46000000
	v_add_f32_e64 v3, |v2|, s27
	v_and_b32_e32 v3, 0xff, v3
	v_cmp_ne_u32_e32 vcc, 0, v3
	s_andn2_b64 s[22:23], s[22:23], exec
	s_and_b64 s[28:29], vcc, exec
	s_or_b64 s[22:23], s[22:23], s[28:29]
	s_or_b64 exec, exec, s[24:25]
	v_mov_b32_e32 v13, 0
	s_and_saveexec_b64 s[24:25], s[22:23]
	s_cbranch_execnz .LBB134_1569
	s_branch .LBB134_1570
.LBB134_2022:
	s_trap 2
	s_or_b64 s[20:21], s[20:21], exec
	s_cbranch_execz .LBB134_1616
	s_branch .LBB134_1617
.LBB134_2023:
	s_andn2_saveexec_b64 s[22:23], s[22:23]
	s_cbranch_execz .LBB134_1581
.LBB134_2024:
	s_mov_b32 s24, 0x42800000
	v_add_f32_e64 v3, |v2|, s24
	v_and_b32_e32 v3, 0xff, v3
	v_cmp_ne_u32_e32 vcc, 0, v3
	s_andn2_b64 s[10:11], s[10:11], exec
	s_and_b64 s[24:25], vcc, exec
	s_or_b64 s[10:11], s[10:11], s[24:25]
	s_or_b64 exec, exec, s[22:23]
	v_mov_b32_e32 v13, 0
	s_and_saveexec_b64 s[22:23], s[10:11]
	s_cbranch_execnz .LBB134_1582
	s_branch .LBB134_1583
.LBB134_2025:
	s_andn2_saveexec_b64 s[22:23], s[22:23]
	s_cbranch_execz .LBB134_1687
.LBB134_2026:
	s_mov_b32 s27, 0x46000000
	v_add_f32_e64 v3, |v2|, s27
	v_and_b32_e32 v3, 0xff, v3
	v_cmp_ne_u32_e32 vcc, 0, v3
	s_andn2_b64 s[16:17], s[16:17], exec
	s_and_b64 s[28:29], vcc, exec
	s_or_b64 s[16:17], s[16:17], s[28:29]
	s_or_b64 exec, exec, s[22:23]
	v_mov_b32_e32 v11, 0
	s_and_saveexec_b64 s[22:23], s[16:17]
	s_cbranch_execnz .LBB134_1688
	s_branch .LBB134_1689
.LBB134_2027:
	s_trap 2
	s_or_b64 s[20:21], s[20:21], exec
	s_cbranch_execz .LBB134_1735
	s_branch .LBB134_1736
.LBB134_2028:
	s_andn2_saveexec_b64 s[16:17], s[16:17]
	s_cbranch_execz .LBB134_1700
.LBB134_2029:
	s_mov_b32 s22, 0x42800000
	v_add_f32_e64 v3, |v2|, s22
	v_and_b32_e32 v3, 0xff, v3
	v_cmp_ne_u32_e32 vcc, 0, v3
	s_andn2_b64 s[10:11], s[10:11], exec
	s_and_b64 s[22:23], vcc, exec
	s_or_b64 s[10:11], s[10:11], s[22:23]
	s_or_b64 exec, exec, s[16:17]
	v_mov_b32_e32 v11, 0
	s_and_saveexec_b64 s[16:17], s[10:11]
	s_cbranch_execnz .LBB134_1701
	s_branch .LBB134_1702
.LBB134_2030:
	s_andn2_saveexec_b64 s[22:23], s[22:23]
	s_cbranch_execz .LBB134_1806
.LBB134_2031:
	s_mov_b32 s27, 0x46000000
	v_add_f32_e64 v3, |v2|, s27
	v_and_b32_e32 v3, 0xff, v3
	v_cmp_ne_u32_e32 vcc, 0, v3
	s_andn2_b64 s[16:17], s[16:17], exec
	s_and_b64 s[28:29], vcc, exec
	s_or_b64 s[16:17], s[16:17], s[28:29]
	s_or_b64 exec, exec, s[22:23]
	v_mov_b32_e32 v9, 0
	s_and_saveexec_b64 s[22:23], s[16:17]
	s_cbranch_execnz .LBB134_1807
	s_branch .LBB134_1808
.LBB134_2032:
	s_trap 2
	s_or_b64 s[20:21], s[20:21], exec
	s_cbranch_execz .LBB134_1854
	s_branch .LBB134_1855
.LBB134_2033:
	s_andn2_saveexec_b64 s[16:17], s[16:17]
	s_cbranch_execz .LBB134_1819
.LBB134_2034:
	s_mov_b32 s22, 0x42800000
	v_add_f32_e64 v3, |v2|, s22
	v_and_b32_e32 v3, 0xff, v3
	v_cmp_ne_u32_e32 vcc, 0, v3
	s_andn2_b64 s[10:11], s[10:11], exec
	s_and_b64 s[22:23], vcc, exec
	s_or_b64 s[10:11], s[10:11], s[22:23]
	s_or_b64 exec, exec, s[16:17]
	v_mov_b32_e32 v9, 0
	s_and_saveexec_b64 s[16:17], s[10:11]
	s_cbranch_execnz .LBB134_1820
	s_branch .LBB134_1821
.LBB134_2035:
	s_andn2_saveexec_b64 s[10:11], s[10:11]
	s_cbranch_execz .LBB134_1926
.LBB134_2036:
	s_mov_b32 s13, 0x46000000
	v_add_f32_e64 v3, |v2|, s13
	v_and_b32_e32 v3, 0xff, v3
	v_cmp_ne_u32_e32 vcc, 0, v3
	s_andn2_b64 s[8:9], s[8:9], exec
	s_and_b64 s[14:15], vcc, exec
	s_or_b64 s[8:9], s[8:9], s[14:15]
	s_or_b64 exec, exec, s[10:11]
	v_mov_b32_e32 v6, 0
	s_and_saveexec_b64 s[10:11], s[8:9]
	s_cbranch_execnz .LBB134_1927
	s_branch .LBB134_1928
.LBB134_2037:
	s_mov_b64 s[2:3], 0
	s_or_b64 s[20:21], s[20:21], exec
	s_trap 2
	s_branch .LBB134_1972
.LBB134_2038:
	s_andn2_saveexec_b64 s[8:9], s[8:9]
	s_cbranch_execz .LBB134_1938
.LBB134_2039:
	s_mov_b32 s10, 0x42800000
	v_add_f32_e64 v3, |v2|, s10
	v_and_b32_e32 v3, 0xff, v3
	v_cmp_ne_u32_e32 vcc, 0, v3
	s_andn2_b64 s[4:5], s[4:5], exec
	s_and_b64 s[10:11], vcc, exec
	s_or_b64 s[4:5], s[4:5], s[10:11]
	s_or_b64 exec, exec, s[8:9]
	v_mov_b32_e32 v6, 0
	s_and_saveexec_b64 s[8:9], s[4:5]
	s_cbranch_execnz .LBB134_1939
	s_branch .LBB134_1940
	.section	.rodata,"a",@progbits
	.p2align	6, 0x0
	.amdhsa_kernel _ZN2at6native32elementwise_kernel_manual_unrollILi128ELi4EZNS0_15gpu_kernel_implINS0_13BUnaryFunctorIdddZNS0_12_GLOBAL__N_121threshold_kernel_implIdEEvRNS_18TensorIteratorBaseET_S8_EUlddE_EEEEvS7_RKS8_EUlibE_EEviT1_
		.amdhsa_group_segment_fixed_size 0
		.amdhsa_private_segment_fixed_size 0
		.amdhsa_kernarg_size 64
		.amdhsa_user_sgpr_count 6
		.amdhsa_user_sgpr_private_segment_buffer 1
		.amdhsa_user_sgpr_dispatch_ptr 0
		.amdhsa_user_sgpr_queue_ptr 0
		.amdhsa_user_sgpr_kernarg_segment_ptr 1
		.amdhsa_user_sgpr_dispatch_id 0
		.amdhsa_user_sgpr_flat_scratch_init 0
		.amdhsa_user_sgpr_private_segment_size 0
		.amdhsa_uses_dynamic_stack 0
		.amdhsa_system_sgpr_private_segment_wavefront_offset 0
		.amdhsa_system_sgpr_workgroup_id_x 1
		.amdhsa_system_sgpr_workgroup_id_y 0
		.amdhsa_system_sgpr_workgroup_id_z 0
		.amdhsa_system_sgpr_workgroup_info 0
		.amdhsa_system_vgpr_workitem_id 0
		.amdhsa_next_free_vgpr 16
		.amdhsa_next_free_sgpr 50
		.amdhsa_reserve_vcc 1
		.amdhsa_reserve_flat_scratch 0
		.amdhsa_float_round_mode_32 0
		.amdhsa_float_round_mode_16_64 0
		.amdhsa_float_denorm_mode_32 3
		.amdhsa_float_denorm_mode_16_64 3
		.amdhsa_dx10_clamp 1
		.amdhsa_ieee_mode 1
		.amdhsa_fp16_overflow 0
		.amdhsa_exception_fp_ieee_invalid_op 0
		.amdhsa_exception_fp_denorm_src 0
		.amdhsa_exception_fp_ieee_div_zero 0
		.amdhsa_exception_fp_ieee_overflow 0
		.amdhsa_exception_fp_ieee_underflow 0
		.amdhsa_exception_fp_ieee_inexact 0
		.amdhsa_exception_int_div_zero 0
	.end_amdhsa_kernel
	.section	.text._ZN2at6native32elementwise_kernel_manual_unrollILi128ELi4EZNS0_15gpu_kernel_implINS0_13BUnaryFunctorIdddZNS0_12_GLOBAL__N_121threshold_kernel_implIdEEvRNS_18TensorIteratorBaseET_S8_EUlddE_EEEEvS7_RKS8_EUlibE_EEviT1_,"axG",@progbits,_ZN2at6native32elementwise_kernel_manual_unrollILi128ELi4EZNS0_15gpu_kernel_implINS0_13BUnaryFunctorIdddZNS0_12_GLOBAL__N_121threshold_kernel_implIdEEvRNS_18TensorIteratorBaseET_S8_EUlddE_EEEEvS7_RKS8_EUlibE_EEviT1_,comdat
.Lfunc_end134:
	.size	_ZN2at6native32elementwise_kernel_manual_unrollILi128ELi4EZNS0_15gpu_kernel_implINS0_13BUnaryFunctorIdddZNS0_12_GLOBAL__N_121threshold_kernel_implIdEEvRNS_18TensorIteratorBaseET_S8_EUlddE_EEEEvS7_RKS8_EUlibE_EEviT1_, .Lfunc_end134-_ZN2at6native32elementwise_kernel_manual_unrollILi128ELi4EZNS0_15gpu_kernel_implINS0_13BUnaryFunctorIdddZNS0_12_GLOBAL__N_121threshold_kernel_implIdEEvRNS_18TensorIteratorBaseET_S8_EUlddE_EEEEvS7_RKS8_EUlibE_EEviT1_
                                        ; -- End function
	.set _ZN2at6native32elementwise_kernel_manual_unrollILi128ELi4EZNS0_15gpu_kernel_implINS0_13BUnaryFunctorIdddZNS0_12_GLOBAL__N_121threshold_kernel_implIdEEvRNS_18TensorIteratorBaseET_S8_EUlddE_EEEEvS7_RKS8_EUlibE_EEviT1_.num_vgpr, 16
	.set _ZN2at6native32elementwise_kernel_manual_unrollILi128ELi4EZNS0_15gpu_kernel_implINS0_13BUnaryFunctorIdddZNS0_12_GLOBAL__N_121threshold_kernel_implIdEEvRNS_18TensorIteratorBaseET_S8_EUlddE_EEEEvS7_RKS8_EUlibE_EEviT1_.num_agpr, 0
	.set _ZN2at6native32elementwise_kernel_manual_unrollILi128ELi4EZNS0_15gpu_kernel_implINS0_13BUnaryFunctorIdddZNS0_12_GLOBAL__N_121threshold_kernel_implIdEEvRNS_18TensorIteratorBaseET_S8_EUlddE_EEEEvS7_RKS8_EUlibE_EEviT1_.numbered_sgpr, 50
	.set _ZN2at6native32elementwise_kernel_manual_unrollILi128ELi4EZNS0_15gpu_kernel_implINS0_13BUnaryFunctorIdddZNS0_12_GLOBAL__N_121threshold_kernel_implIdEEvRNS_18TensorIteratorBaseET_S8_EUlddE_EEEEvS7_RKS8_EUlibE_EEviT1_.num_named_barrier, 0
	.set _ZN2at6native32elementwise_kernel_manual_unrollILi128ELi4EZNS0_15gpu_kernel_implINS0_13BUnaryFunctorIdddZNS0_12_GLOBAL__N_121threshold_kernel_implIdEEvRNS_18TensorIteratorBaseET_S8_EUlddE_EEEEvS7_RKS8_EUlibE_EEviT1_.private_seg_size, 0
	.set _ZN2at6native32elementwise_kernel_manual_unrollILi128ELi4EZNS0_15gpu_kernel_implINS0_13BUnaryFunctorIdddZNS0_12_GLOBAL__N_121threshold_kernel_implIdEEvRNS_18TensorIteratorBaseET_S8_EUlddE_EEEEvS7_RKS8_EUlibE_EEviT1_.uses_vcc, 1
	.set _ZN2at6native32elementwise_kernel_manual_unrollILi128ELi4EZNS0_15gpu_kernel_implINS0_13BUnaryFunctorIdddZNS0_12_GLOBAL__N_121threshold_kernel_implIdEEvRNS_18TensorIteratorBaseET_S8_EUlddE_EEEEvS7_RKS8_EUlibE_EEviT1_.uses_flat_scratch, 0
	.set _ZN2at6native32elementwise_kernel_manual_unrollILi128ELi4EZNS0_15gpu_kernel_implINS0_13BUnaryFunctorIdddZNS0_12_GLOBAL__N_121threshold_kernel_implIdEEvRNS_18TensorIteratorBaseET_S8_EUlddE_EEEEvS7_RKS8_EUlibE_EEviT1_.has_dyn_sized_stack, 0
	.set _ZN2at6native32elementwise_kernel_manual_unrollILi128ELi4EZNS0_15gpu_kernel_implINS0_13BUnaryFunctorIdddZNS0_12_GLOBAL__N_121threshold_kernel_implIdEEvRNS_18TensorIteratorBaseET_S8_EUlddE_EEEEvS7_RKS8_EUlibE_EEviT1_.has_recursion, 0
	.set _ZN2at6native32elementwise_kernel_manual_unrollILi128ELi4EZNS0_15gpu_kernel_implINS0_13BUnaryFunctorIdddZNS0_12_GLOBAL__N_121threshold_kernel_implIdEEvRNS_18TensorIteratorBaseET_S8_EUlddE_EEEEvS7_RKS8_EUlibE_EEviT1_.has_indirect_call, 0
	.section	.AMDGPU.csdata,"",@progbits
; Kernel info:
; codeLenInByte = 35620
; TotalNumSgprs: 54
; NumVgprs: 16
; ScratchSize: 0
; MemoryBound: 1
; FloatMode: 240
; IeeeMode: 1
; LDSByteSize: 0 bytes/workgroup (compile time only)
; SGPRBlocks: 6
; VGPRBlocks: 3
; NumSGPRsForWavesPerEU: 54
; NumVGPRsForWavesPerEU: 16
; Occupancy: 10
; WaveLimiterHint : 0
; COMPUTE_PGM_RSRC2:SCRATCH_EN: 0
; COMPUTE_PGM_RSRC2:USER_SGPR: 6
; COMPUTE_PGM_RSRC2:TRAP_HANDLER: 0
; COMPUTE_PGM_RSRC2:TGID_X_EN: 1
; COMPUTE_PGM_RSRC2:TGID_Y_EN: 0
; COMPUTE_PGM_RSRC2:TGID_Z_EN: 0
; COMPUTE_PGM_RSRC2:TIDIG_COMP_CNT: 0
	.section	.text._ZN2at6native32elementwise_kernel_manual_unrollILi128ELi4EZNS0_15gpu_kernel_implINS0_13BUnaryFunctorIdddZNS0_12_GLOBAL__N_121threshold_kernel_implIdEEvRNS_18TensorIteratorBaseET_S8_EUlddE_EEEEvS7_RKS8_EUlibE0_EEviT1_,"axG",@progbits,_ZN2at6native32elementwise_kernel_manual_unrollILi128ELi4EZNS0_15gpu_kernel_implINS0_13BUnaryFunctorIdddZNS0_12_GLOBAL__N_121threshold_kernel_implIdEEvRNS_18TensorIteratorBaseET_S8_EUlddE_EEEEvS7_RKS8_EUlibE0_EEviT1_,comdat
	.globl	_ZN2at6native32elementwise_kernel_manual_unrollILi128ELi4EZNS0_15gpu_kernel_implINS0_13BUnaryFunctorIdddZNS0_12_GLOBAL__N_121threshold_kernel_implIdEEvRNS_18TensorIteratorBaseET_S8_EUlddE_EEEEvS7_RKS8_EUlibE0_EEviT1_ ; -- Begin function _ZN2at6native32elementwise_kernel_manual_unrollILi128ELi4EZNS0_15gpu_kernel_implINS0_13BUnaryFunctorIdddZNS0_12_GLOBAL__N_121threshold_kernel_implIdEEvRNS_18TensorIteratorBaseET_S8_EUlddE_EEEEvS7_RKS8_EUlibE0_EEviT1_
	.p2align	8
	.type	_ZN2at6native32elementwise_kernel_manual_unrollILi128ELi4EZNS0_15gpu_kernel_implINS0_13BUnaryFunctorIdddZNS0_12_GLOBAL__N_121threshold_kernel_implIdEEvRNS_18TensorIteratorBaseET_S8_EUlddE_EEEEvS7_RKS8_EUlibE0_EEviT1_,@function
_ZN2at6native32elementwise_kernel_manual_unrollILi128ELi4EZNS0_15gpu_kernel_implINS0_13BUnaryFunctorIdddZNS0_12_GLOBAL__N_121threshold_kernel_implIdEEvRNS_18TensorIteratorBaseET_S8_EUlddE_EEEEvS7_RKS8_EUlibE0_EEviT1_: ; @_ZN2at6native32elementwise_kernel_manual_unrollILi128ELi4EZNS0_15gpu_kernel_implINS0_13BUnaryFunctorIdddZNS0_12_GLOBAL__N_121threshold_kernel_implIdEEvRNS_18TensorIteratorBaseET_S8_EUlddE_EEEEvS7_RKS8_EUlibE0_EEviT1_
; %bb.0:
	s_load_dword s76, s[4:5], 0x0
	s_load_dword s33, s[4:5], 0x8
	s_add_u32 s34, s4, 8
	s_addc_u32 s35, s5, 0
	v_lshl_or_b32 v10, s6, 9, v0
	v_or_b32_e32 v13, 0x180, v10
	s_waitcnt lgkmcnt(0)
	s_add_i32 s78, s33, -1
	s_cmp_gt_u32 s78, 1
	v_cmp_le_i32_e32 vcc, s76, v13
	s_cselect_b64 s[44:45], -1, 0
	s_mov_b64 s[6:7], 0
	s_mov_b64 s[28:29], 0
	s_and_saveexec_b64 s[0:1], vcc
	s_xor_b64 s[46:47], exec, s[0:1]
	s_cbranch_execz .LBB135_1086
; %bb.1:
	s_cmp_lg_u32 s33, 0
	s_load_dwordx4 s[36:39], s[34:35], 0x4
	s_load_dwordx2 s[50:51], s[34:35], 0x14
	s_load_dwordx2 s[48:49], s[34:35], 0x168
	s_load_dword s79, s[34:35], 0x170
	s_load_dwordx4 s[40:43], s[34:35], 0xc4
	s_load_dwordx8 s[8:15], s[34:35], 0x148
	s_cselect_b64 s[56:57], -1, 0
	s_add_u32 s54, s34, 0xc4
	s_addc_u32 s55, s35, 0
	s_min_u32 s81, s78, 15
	s_cmp_gt_u32 s33, 1
	s_cselect_b64 s[52:53], -1, 0
	s_waitcnt lgkmcnt(0)
	s_bfe_u32 s80, s79, 0x80008
	v_cmp_gt_i32_e32 vcc, s76, v10
	s_mov_b64 s[2:3], -1
	s_mov_b64 s[66:67], 0
	s_mov_b64 s[60:61], 0
	;; [unrolled: 1-line block ×3, first 2 shown]
	s_and_saveexec_b64 s[62:63], vcc
	s_cbranch_execz .LBB135_266
; %bb.2:
	s_andn2_b64 vcc, exec, s[44:45]
	s_cbranch_vccnz .LBB135_7
; %bb.3:
	s_andn2_b64 vcc, exec, s[56:57]
	s_cbranch_vccnz .LBB135_8
; %bb.4:
	s_add_i32 s65, s81, 1
	s_cmp_eq_u32 s78, 2
	s_cbranch_scc1 .LBB135_9
; %bb.5:
	s_and_b32 s64, s65, 28
	v_mov_b32_e32 v0, 0
	s_mov_b32 s68, 0
	s_mov_b64 s[58:59], s[34:35]
	s_mov_b64 s[60:61], s[54:55]
	v_mov_b32_e32 v2, 0
	v_mov_b32_e32 v1, v10
.LBB135_6:                              ; =>This Inner Loop Header: Depth=1
	s_load_dwordx8 s[24:31], s[58:59], 0x4
	s_load_dwordx4 s[0:3], s[58:59], 0x24
	s_load_dwordx8 s[16:23], s[60:61], 0x0
	s_add_u32 s58, s58, 48
	s_addc_u32 s59, s59, 0
	s_waitcnt lgkmcnt(0)
	v_mul_hi_u32 v3, s25, v1
	s_add_i32 s68, s68, 4
	s_add_u32 s60, s60, 32
	s_addc_u32 s61, s61, 0
	v_add_u32_e32 v3, v1, v3
	v_lshrrev_b32_e32 v3, s26, v3
	v_mul_lo_u32 v4, v3, s24
	v_mul_hi_u32 v5, s28, v3
	s_cmp_lg_u32 s64, s68
	v_sub_u32_e32 v1, v1, v4
	v_add_u32_e32 v4, v3, v5
	v_mul_lo_u32 v5, v1, s16
	v_mul_lo_u32 v6, v1, s17
	v_lshrrev_b32_e32 v1, s29, v4
	v_mul_lo_u32 v4, v1, s27
	v_mul_hi_u32 v7, s31, v1
	v_sub_u32_e32 v3, v3, v4
	v_add_u32_e32 v4, v1, v7
	v_lshrrev_b32_e32 v4, s0, v4
	v_mul_hi_u32 v8, s2, v4
	v_mul_lo_u32 v9, v4, s30
	v_mul_lo_u32 v7, v3, s18
	;; [unrolled: 1-line block ×3, first 2 shown]
	v_sub_u32_e32 v9, v1, v9
	v_add_u32_e32 v1, v4, v8
	v_lshrrev_b32_e32 v1, s3, v1
	v_mul_lo_u32 v8, v1, s1
	v_mul_lo_u32 v11, v9, s20
	;; [unrolled: 1-line block ×3, first 2 shown]
	v_add3_u32 v2, v5, v2, v7
	v_sub_u32_e32 v4, v4, v8
	v_mul_lo_u32 v8, v4, s22
	v_mul_lo_u32 v4, v4, s23
	v_add3_u32 v0, v6, v0, v3
	v_add3_u32 v2, v11, v2, v8
	;; [unrolled: 1-line block ×3, first 2 shown]
	s_cbranch_scc1 .LBB135_6
	s_branch .LBB135_10
.LBB135_7:
                                        ; implicit-def: $vgpr2
                                        ; implicit-def: $vgpr0
	s_branch .LBB135_14
.LBB135_8:
	v_mov_b32_e32 v2, 0
	v_mov_b32_e32 v0, 0
	s_branch .LBB135_13
.LBB135_9:
	s_mov_b32 s64, 0
	v_mov_b32_e32 v2, 0
	v_mov_b32_e32 v0, 0
	;; [unrolled: 1-line block ×3, first 2 shown]
.LBB135_10:
	s_and_b32 s16, s65, 3
	s_cmp_eq_u32 s16, 0
	s_cbranch_scc1 .LBB135_13
; %bb.11:
	s_lshl_b32 s0, s64, 3
	s_add_u32 s0, s34, s0
	s_addc_u32 s1, s35, 0
	s_add_u32 s0, s0, 0xc4
	s_addc_u32 s1, s1, 0
	s_mul_i32 s2, s64, 12
	s_add_u32 s2, s34, s2
	s_addc_u32 s3, s35, 0
.LBB135_12:                             ; =>This Inner Loop Header: Depth=1
	s_load_dwordx2 s[18:19], s[2:3], 0x4
	s_load_dword s17, s[2:3], 0xc
	s_load_dwordx2 s[20:21], s[0:1], 0x0
	s_add_u32 s2, s2, 12
	s_addc_u32 s3, s3, 0
	s_waitcnt lgkmcnt(0)
	v_mul_hi_u32 v3, s19, v1
	s_add_u32 s0, s0, 8
	s_addc_u32 s1, s1, 0
	s_add_i32 s16, s16, -1
	v_add_u32_e32 v3, v1, v3
	v_lshrrev_b32_e32 v4, s17, v3
	v_mul_lo_u32 v3, v4, s18
	s_cmp_lg_u32 s16, 0
	v_sub_u32_e32 v1, v1, v3
	v_mad_u64_u32 v[2:3], s[18:19], v1, s20, v[2:3]
	v_mad_u64_u32 v[0:1], s[18:19], v1, s21, v[0:1]
	v_mov_b32_e32 v1, v4
	s_cbranch_scc1 .LBB135_12
.LBB135_13:
	s_cbranch_execnz .LBB135_16
.LBB135_14:
	v_mul_hi_u32 v0, s37, v10
	s_andn2_b64 vcc, exec, s[52:53]
	v_add_u32_e32 v0, v10, v0
	v_lshrrev_b32_e32 v1, s38, v0
	v_mul_lo_u32 v0, v1, s36
	v_sub_u32_e32 v0, v10, v0
	v_mul_lo_u32 v2, v0, s40
	v_mul_lo_u32 v0, v0, s41
	s_cbranch_vccnz .LBB135_16
; %bb.15:
	v_mul_hi_u32 v3, s50, v1
	v_add_u32_e32 v3, v1, v3
	v_lshrrev_b32_e32 v3, s51, v3
	v_mul_lo_u32 v3, v3, s39
	v_sub_u32_e32 v1, v1, v3
	v_mad_u64_u32 v[2:3], s[0:1], v1, s42, v[2:3]
	v_mad_u64_u32 v[0:1], s[0:1], v1, s43, v[0:1]
.LBB135_16:
	v_mov_b32_e32 v1, s11
	s_and_b32 s20, 0xffff, s80
	v_add_co_u32_e32 v0, vcc, s10, v0
	s_cmp_lt_i32 s20, 11
	v_addc_co_u32_e32 v1, vcc, 0, v1, vcc
	s_cbranch_scc1 .LBB135_23
; %bb.17:
	s_cmp_gt_i32 s20, 25
	s_cbranch_scc0 .LBB135_32
; %bb.18:
	s_cmp_gt_i32 s20, 28
	s_cbranch_scc0 .LBB135_35
	;; [unrolled: 3-line block ×4, first 2 shown]
; %bb.21:
	s_cmp_eq_u32 s20, 46
	s_mov_b64 s[16:17], 0
	s_cbranch_scc0 .LBB135_41
; %bb.22:
	global_load_dword v3, v[0:1], off
	s_mov_b64 s[0:1], -1
	s_mov_b64 s[2:3], 0
	s_waitcnt vmcnt(0)
	v_lshlrev_b32_e32 v3, 16, v3
	v_cvt_f64_f32_e32 v[3:4], v3
	s_branch .LBB135_43
.LBB135_23:
	s_mov_b64 s[2:3], 0
                                        ; implicit-def: $vgpr3_vgpr4
	s_mov_b64 s[0:1], 0
	s_cbranch_execnz .LBB135_216
.LBB135_24:
	s_andn2_b64 vcc, exec, s[0:1]
	s_cbranch_vccnz .LBB135_263
.LBB135_25:
	s_waitcnt vmcnt(0)
	v_cmp_nge_f64_e32 vcc, s[12:13], v[3:4]
	v_mov_b32_e32 v0, s15
	v_mov_b32_e32 v1, s49
	;; [unrolled: 1-line block ×5, first 2 shown]
	s_and_b32 s22, s79, 0xff
	s_cmp_lt_i32 s22, 11
	v_cndmask_b32_e32 v1, v0, v1, vcc
	v_cndmask_b32_e32 v0, v3, v4, vcc
	v_add_co_u32_e32 v4, vcc, s8, v2
	v_addc_co_u32_e32 v5, vcc, 0, v5, vcc
	s_cbranch_scc1 .LBB135_33
; %bb.26:
	s_and_b32 s23, 0xffff, s22
	s_cmp_gt_i32 s23, 25
	s_cbranch_scc0 .LBB135_36
; %bb.27:
	s_cmp_gt_i32 s23, 28
	s_cbranch_scc0 .LBB135_38
; %bb.28:
	s_cmp_gt_i32 s23, 43
	s_cbranch_scc0 .LBB135_40
; %bb.29:
	s_cmp_gt_i32 s23, 45
	s_cbranch_scc0 .LBB135_46
; %bb.30:
	s_mov_b64 s[18:19], 0
	s_mov_b64 s[0:1], -1
	s_cmp_eq_u32 s23, 46
	s_mov_b64 s[16:17], 0
	s_cbranch_scc0 .LBB135_47
; %bb.31:
	v_cvt_f32_f64_e32 v2, v[0:1]
	s_movk_i32 s0, 0x7fff
	v_mov_b32_e32 v3, 0x7fc0
	s_mov_b64 s[16:17], -1
	v_bfe_u32 v6, v2, 16, 1
	v_cmp_o_f32_e32 vcc, v2, v2
	v_add3_u32 v2, v2, v6, s0
	v_cndmask_b32_sdwa v2, v3, v2, vcc dst_sel:DWORD dst_unused:UNUSED_PAD src0_sel:DWORD src1_sel:WORD_1
	global_store_dword v[4:5], v2, off
	s_mov_b64 s[0:1], 0
	s_branch .LBB135_47
.LBB135_32:
	s_mov_b64 s[2:3], 0
	s_mov_b64 s[0:1], 0
                                        ; implicit-def: $vgpr3_vgpr4
	s_cbranch_execnz .LBB135_183
	s_branch .LBB135_215
.LBB135_33:
	s_mov_b64 s[0:1], 0
	s_mov_b64 s[16:17], 0
	s_cbranch_execnz .LBB135_116
.LBB135_34:
	s_andn2_b64 vcc, exec, s[16:17]
	s_cbranch_vccnz .LBB135_264
	s_branch .LBB135_154
.LBB135_35:
	s_mov_b64 s[16:17], -1
	s_mov_b64 s[2:3], 0
	s_mov_b64 s[0:1], 0
                                        ; implicit-def: $vgpr3_vgpr4
	s_branch .LBB135_162
.LBB135_36:
	s_mov_b64 s[18:19], -1
	s_mov_b64 s[0:1], 0
	s_mov_b64 s[16:17], 0
	s_branch .LBB135_74
.LBB135_37:
	s_mov_b64 s[16:17], -1
	s_mov_b64 s[2:3], 0
	s_mov_b64 s[0:1], 0
                                        ; implicit-def: $vgpr3_vgpr4
	s_branch .LBB135_157
.LBB135_38:
	s_mov_b64 s[18:19], -1
	s_mov_b64 s[0:1], 0
	s_mov_b64 s[16:17], 0
	s_branch .LBB135_57
.LBB135_39:
	s_mov_b64 s[16:17], -1
	s_mov_b64 s[2:3], 0
	s_branch .LBB135_42
.LBB135_40:
	s_mov_b64 s[18:19], -1
	s_mov_b64 s[0:1], 0
	s_mov_b64 s[16:17], 0
	s_branch .LBB135_53
.LBB135_41:
	s_mov_b64 s[2:3], -1
.LBB135_42:
	s_mov_b64 s[0:1], 0
                                        ; implicit-def: $vgpr3_vgpr4
.LBB135_43:
	s_and_b64 vcc, exec, s[16:17]
	s_cbranch_vccz .LBB135_156
; %bb.44:
	s_cmp_eq_u32 s20, 44
	s_cbranch_scc0 .LBB135_155
; %bb.45:
	global_load_ubyte v5, v[0:1], off
	s_movk_i32 s2, 0xff
	v_bfrev_b32_e32 v6, 4
	v_mov_b32_e32 v7, 0x7ff80000
	v_bfrev_b32_e32 v8, 28
	s_mov_b64 s[0:1], -1
	s_waitcnt vmcnt(0)
	v_lshlrev_b32_e32 v3, 23, v5
	v_cvt_f64_f32_e32 v[3:4], v3
	v_cmp_ne_u32_e32 vcc, s2, v5
	s_mov_b64 s[2:3], 0
	v_cndmask_b32_e32 v3, v6, v3, vcc
	v_cndmask_b32_e32 v4, v7, v4, vcc
	v_cmp_ne_u32_e32 vcc, 0, v5
	v_cndmask_b32_e32 v4, v8, v4, vcc
	v_cndmask_b32_e32 v3, 0, v3, vcc
	s_branch .LBB135_156
.LBB135_46:
	s_mov_b64 s[18:19], -1
	s_mov_b64 s[0:1], 0
	s_mov_b64 s[16:17], 0
.LBB135_47:
	s_and_b64 vcc, exec, s[18:19]
	s_cbranch_vccz .LBB135_52
; %bb.48:
	s_cmp_eq_u32 s23, 44
	s_mov_b64 s[0:1], -1
	s_cbranch_scc0 .LBB135_52
; %bb.49:
	v_cvt_f32_f64_e32 v2, v[0:1]
	s_movk_i32 s0, 0xff
	v_mov_b32_e32 v6, 0xff
	v_bfe_u32 v3, v2, 23, 8
	v_cmp_ne_u32_e32 vcc, s0, v3
	s_and_saveexec_b64 s[16:17], vcc
; %bb.50:
	s_mov_b32 s0, 0x3fffff
	v_lshrrev_b32_e32 v6, 23, v2
	v_and_b32_e32 v7, 0x400000, v2
	v_and_or_b32 v2, v2, s0, v3
	v_cmp_ne_u32_e32 vcc, 0, v7
	v_cmp_ne_u32_e64 s[0:1], 0, v2
	s_and_b64 s[0:1], vcc, s[0:1]
	v_cndmask_b32_e64 v2, 0, 1, s[0:1]
	v_add_u32_e32 v6, v6, v2
; %bb.51:
	s_or_b64 exec, exec, s[16:17]
	s_mov_b64 s[16:17], -1
	s_mov_b64 s[0:1], 0
	global_store_byte v[4:5], v6, off
.LBB135_52:
	s_mov_b64 s[18:19], 0
.LBB135_53:
	s_and_b64 vcc, exec, s[18:19]
	s_cbranch_vccz .LBB135_56
; %bb.54:
	s_cmp_eq_u32 s23, 29
	s_mov_b64 s[0:1], -1
	s_cbranch_scc0 .LBB135_56
; %bb.55:
	v_trunc_f64_e32 v[2:3], v[0:1]
	s_movk_i32 s0, 0xffe0
	s_mov_b64 s[16:17], -1
	s_mov_b64 s[18:19], 0
	v_ldexp_f64 v[6:7], v[2:3], s0
	s_mov_b32 s0, 0
	s_mov_b32 s1, 0xc1f00000
	v_floor_f64_e32 v[6:7], v[6:7]
	v_fma_f64 v[2:3], v[6:7], s[0:1], v[2:3]
	v_cvt_u32_f64_e32 v7, v[6:7]
	s_mov_b64 s[0:1], 0
	v_cvt_u32_f64_e32 v6, v[2:3]
	global_store_dwordx2 v[4:5], v[6:7], off
	s_branch .LBB135_57
.LBB135_56:
	s_mov_b64 s[18:19], 0
.LBB135_57:
	s_and_b64 vcc, exec, s[18:19]
	s_cbranch_vccz .LBB135_73
; %bb.58:
	s_cmp_lt_i32 s23, 27
	s_mov_b64 s[16:17], -1
	s_cbranch_scc1 .LBB135_64
; %bb.59:
	v_cvt_u32_f64_e32 v2, v[0:1]
	s_cmp_gt_i32 s23, 27
	s_cbranch_scc0 .LBB135_61
; %bb.60:
	s_mov_b64 s[16:17], 0
	global_store_dword v[4:5], v2, off
.LBB135_61:
	s_andn2_b64 vcc, exec, s[16:17]
	s_cbranch_vccnz .LBB135_63
; %bb.62:
	global_store_short v[4:5], v2, off
.LBB135_63:
	s_mov_b64 s[16:17], 0
.LBB135_64:
	s_andn2_b64 vcc, exec, s[16:17]
	s_cbranch_vccnz .LBB135_72
; %bb.65:
	v_cvt_f32_f64_e32 v2, v[0:1]
	s_mov_b32 s16, 0x43800000
	v_mov_b32_e32 v6, 0x80
	v_and_b32_e32 v3, 0x7fffffff, v2
	v_cmp_gt_u32_e32 vcc, s16, v3
	s_and_saveexec_b64 s[16:17], vcc
	s_cbranch_execz .LBB135_71
; %bb.66:
	s_mov_b32 s18, 0x3bffffff
	v_cmp_lt_u32_e32 vcc, s18, v3
	s_mov_b64 s[18:19], 0
                                        ; implicit-def: $vgpr3
	s_and_saveexec_b64 s[20:21], vcc
	s_xor_b64 s[20:21], exec, s[20:21]
	s_cbranch_execz .LBB135_307
; %bb.67:
	v_bfe_u32 v3, v2, 20, 1
	s_mov_b32 s24, 0x487ffff
	v_add3_u32 v3, v2, v3, s24
	s_mov_b64 s[18:19], exec
	v_lshrrev_b32_e32 v3, 20, v3
	s_andn2_saveexec_b64 s[20:21], s[20:21]
	s_cbranch_execnz .LBB135_308
.LBB135_68:
	s_or_b64 exec, exec, s[20:21]
	v_mov_b32_e32 v6, 0
	s_and_saveexec_b64 s[20:21], s[18:19]
.LBB135_69:
	v_lshrrev_b32_e32 v2, 24, v2
	s_movk_i32 s18, 0x80
	v_and_or_b32 v6, v2, s18, v3
.LBB135_70:
	s_or_b64 exec, exec, s[20:21]
.LBB135_71:
	s_or_b64 exec, exec, s[16:17]
	global_store_byte v[4:5], v6, off
.LBB135_72:
	s_mov_b64 s[16:17], -1
.LBB135_73:
	s_mov_b64 s[18:19], 0
.LBB135_74:
	s_and_b64 vcc, exec, s[18:19]
	s_cbranch_vccz .LBB135_115
; %bb.75:
	s_cmp_gt_i32 s23, 22
	s_mov_b64 s[18:19], -1
	s_cbranch_scc0 .LBB135_107
; %bb.76:
	s_cmp_lt_i32 s23, 24
	s_mov_b64 s[16:17], -1
	s_cbranch_scc1 .LBB135_96
; %bb.77:
	s_cmp_gt_i32 s23, 24
	s_cbranch_scc0 .LBB135_85
; %bb.78:
	v_cvt_f32_f64_e32 v2, v[0:1]
	s_mov_b32 s16, 0x47800000
	v_mov_b32_e32 v6, 0x80
	v_and_b32_e32 v3, 0x7fffffff, v2
	v_cmp_gt_u32_e32 vcc, s16, v3
	s_and_saveexec_b64 s[16:17], vcc
	s_cbranch_execz .LBB135_84
; %bb.79:
	s_mov_b32 s18, 0x37ffffff
	v_cmp_lt_u32_e32 vcc, s18, v3
	s_mov_b64 s[18:19], 0
                                        ; implicit-def: $vgpr3
	s_and_saveexec_b64 s[20:21], vcc
	s_xor_b64 s[20:21], exec, s[20:21]
	s_cbranch_execz .LBB135_311
; %bb.80:
	v_bfe_u32 v3, v2, 21, 1
	s_mov_b32 s24, 0x88fffff
	v_add3_u32 v3, v2, v3, s24
	s_mov_b64 s[18:19], exec
	v_lshrrev_b32_e32 v3, 21, v3
	s_andn2_saveexec_b64 s[20:21], s[20:21]
	s_cbranch_execnz .LBB135_312
.LBB135_81:
	s_or_b64 exec, exec, s[20:21]
	v_mov_b32_e32 v6, 0
	s_and_saveexec_b64 s[20:21], s[18:19]
.LBB135_82:
	v_lshrrev_b32_e32 v2, 24, v2
	s_movk_i32 s18, 0x80
	v_and_or_b32 v6, v2, s18, v3
.LBB135_83:
	s_or_b64 exec, exec, s[20:21]
.LBB135_84:
	s_or_b64 exec, exec, s[16:17]
	s_mov_b64 s[16:17], 0
	global_store_byte v[4:5], v6, off
.LBB135_85:
	s_and_b64 vcc, exec, s[16:17]
	s_cbranch_vccz .LBB135_95
; %bb.86:
	v_cvt_f32_f64_e32 v2, v[0:1]
	s_mov_b32 s16, 0x43f00000
                                        ; implicit-def: $vgpr3
	v_and_b32_e32 v6, 0x7fffffff, v2
	v_cmp_gt_u32_e32 vcc, s16, v6
	s_and_saveexec_b64 s[16:17], vcc
	s_xor_b64 s[16:17], exec, s[16:17]
	s_cbranch_execz .LBB135_92
; %bb.87:
	s_mov_b32 s18, 0x3c7fffff
	v_cmp_lt_u32_e32 vcc, s18, v6
                                        ; implicit-def: $vgpr3
	s_and_saveexec_b64 s[18:19], vcc
	s_xor_b64 s[18:19], exec, s[18:19]
; %bb.88:
	v_bfe_u32 v3, v2, 20, 1
	s_mov_b32 s20, 0x407ffff
	v_add3_u32 v3, v2, v3, s20
	v_lshrrev_b32_e32 v6, 20, v3
	v_and_b32_e32 v3, 0xff00000, v3
	s_mov_b32 s20, 0x7f00000
	v_mov_b32_e32 v7, 0x7e
	v_cmp_ne_u32_e32 vcc, s20, v3
	v_cndmask_b32_e32 v3, v7, v6, vcc
; %bb.89:
	s_andn2_saveexec_b64 s[18:19], s[18:19]
; %bb.90:
	s_mov_b32 s20, 0x46800000
	v_add_f32_e64 v3, |v2|, s20
; %bb.91:
	s_or_b64 exec, exec, s[18:19]
                                        ; implicit-def: $vgpr6
.LBB135_92:
	s_andn2_saveexec_b64 s[16:17], s[16:17]
; %bb.93:
	s_mov_b32 s18, 0x7f800000
	v_mov_b32_e32 v3, 0x7e
	v_mov_b32_e32 v7, 0x7f
	v_cmp_lt_u32_e32 vcc, s18, v6
	v_cndmask_b32_e32 v3, v3, v7, vcc
; %bb.94:
	s_or_b64 exec, exec, s[16:17]
	v_lshrrev_b32_e32 v2, 24, v2
	s_movk_i32 s16, 0x80
	v_and_or_b32 v2, v2, s16, v3
	global_store_byte v[4:5], v2, off
.LBB135_95:
	s_mov_b64 s[16:17], 0
.LBB135_96:
	s_andn2_b64 vcc, exec, s[16:17]
	s_cbranch_vccnz .LBB135_106
; %bb.97:
	v_cvt_f32_f64_e32 v2, v[0:1]
	s_mov_b32 s16, 0x47800000
                                        ; implicit-def: $vgpr3
	v_and_b32_e32 v6, 0x7fffffff, v2
	v_cmp_gt_u32_e32 vcc, s16, v6
	s_and_saveexec_b64 s[16:17], vcc
	s_xor_b64 s[16:17], exec, s[16:17]
	s_cbranch_execz .LBB135_103
; %bb.98:
	s_mov_b32 s18, 0x387fffff
	v_cmp_lt_u32_e32 vcc, s18, v6
                                        ; implicit-def: $vgpr3
	s_and_saveexec_b64 s[18:19], vcc
	s_xor_b64 s[18:19], exec, s[18:19]
; %bb.99:
	v_bfe_u32 v3, v2, 21, 1
	s_mov_b32 s20, 0x80fffff
	v_add3_u32 v3, v2, v3, s20
	v_lshrrev_b32_e32 v3, 21, v3
; %bb.100:
	s_andn2_saveexec_b64 s[18:19], s[18:19]
; %bb.101:
	s_mov_b32 s20, 0x43000000
	v_add_f32_e64 v3, |v2|, s20
; %bb.102:
	s_or_b64 exec, exec, s[18:19]
                                        ; implicit-def: $vgpr6
.LBB135_103:
	s_andn2_saveexec_b64 s[16:17], s[16:17]
; %bb.104:
	s_mov_b32 s18, 0x7f800000
	v_mov_b32_e32 v3, 0x7c
	v_mov_b32_e32 v7, 0x7f
	v_cmp_lt_u32_e32 vcc, s18, v6
	v_cndmask_b32_e32 v3, v3, v7, vcc
; %bb.105:
	s_or_b64 exec, exec, s[16:17]
	v_lshrrev_b32_e32 v2, 24, v2
	s_movk_i32 s16, 0x80
	v_and_or_b32 v2, v2, s16, v3
	global_store_byte v[4:5], v2, off
.LBB135_106:
	s_mov_b64 s[18:19], 0
	s_mov_b64 s[16:17], -1
.LBB135_107:
	s_andn2_b64 vcc, exec, s[18:19]
	s_cbranch_vccnz .LBB135_115
; %bb.108:
	s_cmp_gt_i32 s23, 14
	s_mov_b64 s[18:19], -1
	s_cbranch_scc0 .LBB135_112
; %bb.109:
	s_cmp_eq_u32 s23, 15
	s_mov_b64 s[0:1], -1
	s_cbranch_scc0 .LBB135_111
; %bb.110:
	v_cvt_f32_f64_e32 v2, v[0:1]
	s_movk_i32 s0, 0x7fff
	v_mov_b32_e32 v3, 0x7fc0
	s_mov_b64 s[16:17], -1
	v_bfe_u32 v6, v2, 16, 1
	v_cmp_o_f32_e32 vcc, v2, v2
	v_add3_u32 v2, v2, v6, s0
	v_cndmask_b32_sdwa v2, v3, v2, vcc dst_sel:DWORD dst_unused:UNUSED_PAD src0_sel:DWORD src1_sel:WORD_1
	global_store_short v[4:5], v2, off
	s_mov_b64 s[0:1], 0
.LBB135_111:
	s_mov_b64 s[18:19], 0
.LBB135_112:
	s_and_b64 vcc, exec, s[18:19]
	s_cbranch_vccz .LBB135_115
; %bb.113:
	s_cmp_eq_u32 s23, 11
	s_mov_b64 s[0:1], -1
	s_cbranch_scc0 .LBB135_115
; %bb.114:
	v_cmp_neq_f64_e32 vcc, 0, v[0:1]
	s_mov_b64 s[0:1], 0
	s_mov_b64 s[16:17], -1
	v_cndmask_b32_e64 v2, 0, 1, vcc
	global_store_byte v[4:5], v2, off
.LBB135_115:
	s_branch .LBB135_34
.LBB135_116:
	s_and_b32 s18, 0xffff, s22
	s_cmp_lt_i32 s18, 5
	s_mov_b64 s[16:17], -1
	s_cbranch_scc1 .LBB135_137
; %bb.117:
	s_cmp_lt_i32 s18, 8
	s_cbranch_scc1 .LBB135_127
; %bb.118:
	s_cmp_lt_i32 s18, 9
	s_cbranch_scc1 .LBB135_124
; %bb.119:
	s_cmp_gt_i32 s18, 9
	s_cbranch_scc0 .LBB135_121
; %bb.120:
	v_mov_b32_e32 v2, 0
	v_mov_b32_e32 v3, v2
	global_store_dwordx4 v[4:5], v[0:3], off
	s_mov_b64 s[16:17], 0
.LBB135_121:
	s_andn2_b64 vcc, exec, s[16:17]
	s_cbranch_vccnz .LBB135_123
; %bb.122:
	v_cvt_f32_f64_e32 v2, v[0:1]
	v_mov_b32_e32 v3, 0
	global_store_dwordx2 v[4:5], v[2:3], off
.LBB135_123:
	s_mov_b64 s[16:17], 0
.LBB135_124:
	s_andn2_b64 vcc, exec, s[16:17]
	s_cbranch_vccnz .LBB135_126
; %bb.125:
	s_movk_i32 s16, 0x1ff
	v_and_or_b32 v2, v1, s16, v0
	v_cmp_ne_u32_e32 vcc, 0, v2
	v_cndmask_b32_e64 v2, 0, 1, vcc
	v_lshrrev_b32_e32 v3, 8, v1
	s_movk_i32 s16, 0xffe
	v_bfe_u32 v6, v1, 20, 11
	v_and_or_b32 v2, v3, s16, v2
	v_sub_u32_e32 v7, 0x3f1, v6
	v_or_b32_e32 v3, 0x1000, v2
	v_med3_i32 v7, v7, 0, 13
	v_lshrrev_b32_e32 v8, v7, v3
	v_lshlrev_b32_e32 v7, v7, v8
	v_cmp_ne_u32_e32 vcc, v7, v3
	v_cndmask_b32_e64 v3, 0, 1, vcc
	v_add_u32_e32 v6, 0xfffffc10, v6
	v_or_b32_e32 v3, v8, v3
	v_lshl_or_b32 v7, v6, 12, v2
	v_cmp_gt_i32_e32 vcc, 1, v6
	v_cndmask_b32_e32 v3, v7, v3, vcc
	v_and_b32_e32 v7, 7, v3
	v_cmp_lt_i32_e32 vcc, 5, v7
	v_cndmask_b32_e64 v8, 0, 1, vcc
	v_cmp_eq_u32_e32 vcc, 3, v7
	v_cndmask_b32_e64 v7, 0, 1, vcc
	v_or_b32_e32 v7, v7, v8
	v_lshrrev_b32_e32 v3, 2, v3
	v_add_u32_e32 v3, v3, v7
	v_mov_b32_e32 v7, 0x7c00
	v_cmp_gt_i32_e32 vcc, 31, v6
	v_cndmask_b32_e32 v3, v7, v3, vcc
	v_mov_b32_e32 v8, 0x7e00
	v_cmp_ne_u32_e32 vcc, 0, v2
	s_movk_i32 s16, 0x40f
	v_cndmask_b32_e32 v2, v7, v8, vcc
	v_cmp_eq_u32_e32 vcc, s16, v6
	v_cndmask_b32_e32 v2, v3, v2, vcc
	v_lshrrev_b32_e32 v3, 16, v1
	s_mov_b32 s16, 0x8000
	v_and_or_b32 v2, v3, s16, v2
	v_and_b32_e32 v2, 0xffff, v2
	global_store_dword v[4:5], v2, off
.LBB135_126:
	s_mov_b64 s[16:17], 0
.LBB135_127:
	s_andn2_b64 vcc, exec, s[16:17]
	s_cbranch_vccnz .LBB135_136
; %bb.128:
	s_cmp_lt_i32 s18, 6
	s_mov_b64 s[16:17], -1
	s_cbranch_scc1 .LBB135_134
; %bb.129:
	s_cmp_gt_i32 s18, 6
	s_cbranch_scc0 .LBB135_131
; %bb.130:
	global_store_dwordx2 v[4:5], v[0:1], off
	s_mov_b64 s[16:17], 0
.LBB135_131:
	s_andn2_b64 vcc, exec, s[16:17]
	s_cbranch_vccnz .LBB135_133
; %bb.132:
	v_cvt_f32_f64_e32 v2, v[0:1]
	global_store_dword v[4:5], v2, off
.LBB135_133:
	s_mov_b64 s[16:17], 0
.LBB135_134:
	s_andn2_b64 vcc, exec, s[16:17]
	s_cbranch_vccnz .LBB135_136
; %bb.135:
	s_movk_i32 s16, 0x1ff
	v_and_or_b32 v2, v1, s16, v0
	v_cmp_ne_u32_e32 vcc, 0, v2
	v_cndmask_b32_e64 v2, 0, 1, vcc
	v_lshrrev_b32_e32 v3, 8, v1
	s_movk_i32 s16, 0xffe
	v_bfe_u32 v6, v1, 20, 11
	v_and_or_b32 v2, v3, s16, v2
	v_sub_u32_e32 v7, 0x3f1, v6
	v_or_b32_e32 v3, 0x1000, v2
	v_med3_i32 v7, v7, 0, 13
	v_lshrrev_b32_e32 v8, v7, v3
	v_lshlrev_b32_e32 v7, v7, v8
	v_cmp_ne_u32_e32 vcc, v7, v3
	v_cndmask_b32_e64 v3, 0, 1, vcc
	v_add_u32_e32 v6, 0xfffffc10, v6
	v_or_b32_e32 v3, v8, v3
	v_lshl_or_b32 v7, v6, 12, v2
	v_cmp_gt_i32_e32 vcc, 1, v6
	v_cndmask_b32_e32 v3, v7, v3, vcc
	v_and_b32_e32 v7, 7, v3
	v_cmp_lt_i32_e32 vcc, 5, v7
	v_cndmask_b32_e64 v8, 0, 1, vcc
	v_cmp_eq_u32_e32 vcc, 3, v7
	v_cndmask_b32_e64 v7, 0, 1, vcc
	v_or_b32_e32 v7, v7, v8
	v_lshrrev_b32_e32 v3, 2, v3
	v_add_u32_e32 v3, v3, v7
	v_mov_b32_e32 v7, 0x7c00
	v_cmp_gt_i32_e32 vcc, 31, v6
	v_cndmask_b32_e32 v3, v7, v3, vcc
	v_mov_b32_e32 v8, 0x7e00
	v_cmp_ne_u32_e32 vcc, 0, v2
	s_movk_i32 s16, 0x40f
	v_cndmask_b32_e32 v2, v7, v8, vcc
	v_cmp_eq_u32_e32 vcc, s16, v6
	v_cndmask_b32_e32 v2, v3, v2, vcc
	v_lshrrev_b32_e32 v3, 16, v1
	s_mov_b32 s16, 0x8000
	v_and_or_b32 v2, v3, s16, v2
	global_store_short v[4:5], v2, off
.LBB135_136:
	s_mov_b64 s[16:17], 0
.LBB135_137:
	s_andn2_b64 vcc, exec, s[16:17]
	s_cbranch_vccnz .LBB135_153
; %bb.138:
	s_cmp_lt_i32 s18, 2
	s_mov_b64 s[16:17], -1
	s_cbranch_scc1 .LBB135_148
; %bb.139:
	s_cmp_lt_i32 s18, 3
	s_cbranch_scc1 .LBB135_145
; %bb.140:
	s_cmp_gt_i32 s18, 3
	s_cbranch_scc0 .LBB135_142
; %bb.141:
	v_trunc_f64_e32 v[2:3], v[0:1]
	s_movk_i32 s16, 0xffe0
	v_ldexp_f64 v[6:7], v[2:3], s16
	s_mov_b32 s16, 0
	s_mov_b32 s17, 0xc1f00000
	v_floor_f64_e32 v[6:7], v[6:7]
	v_fma_f64 v[2:3], v[6:7], s[16:17], v[2:3]
	v_cvt_i32_f64_e32 v7, v[6:7]
	s_mov_b64 s[16:17], 0
	v_cvt_u32_f64_e32 v6, v[2:3]
	global_store_dwordx2 v[4:5], v[6:7], off
.LBB135_142:
	s_andn2_b64 vcc, exec, s[16:17]
	s_cbranch_vccnz .LBB135_144
; %bb.143:
	v_cvt_i32_f64_e32 v2, v[0:1]
	global_store_dword v[4:5], v2, off
.LBB135_144:
	s_mov_b64 s[16:17], 0
.LBB135_145:
	s_andn2_b64 vcc, exec, s[16:17]
	s_cbranch_vccnz .LBB135_147
; %bb.146:
	v_cvt_i32_f64_e32 v2, v[0:1]
	global_store_short v[4:5], v2, off
.LBB135_147:
	s_mov_b64 s[16:17], 0
.LBB135_148:
	s_andn2_b64 vcc, exec, s[16:17]
	s_cbranch_vccnz .LBB135_153
; %bb.149:
	s_cmp_gt_i32 s18, 0
	s_mov_b64 s[16:17], -1
	s_cbranch_scc0 .LBB135_151
; %bb.150:
	v_cvt_i32_f64_e32 v2, v[0:1]
	s_mov_b64 s[16:17], 0
	global_store_byte v[4:5], v2, off
.LBB135_151:
	s_andn2_b64 vcc, exec, s[16:17]
	s_cbranch_vccnz .LBB135_153
; %bb.152:
	v_trunc_f64_e32 v[0:1], v[0:1]
	s_movk_i32 s16, 0xffe0
	v_ldexp_f64 v[2:3], v[0:1], s16
	s_mov_b32 s16, 0
	s_mov_b32 s17, 0xc1f00000
	v_floor_f64_e32 v[2:3], v[2:3]
	v_fma_f64 v[0:1], v[2:3], s[16:17], v[0:1]
	v_cvt_u32_f64_e32 v0, v[0:1]
	global_store_byte v[4:5], v0, off
.LBB135_153:
.LBB135_154:
	v_add_u32_e32 v10, 0x80, v10
	s_mov_b64 s[16:17], -1
	s_branch .LBB135_265
.LBB135_155:
	s_mov_b64 s[2:3], -1
                                        ; implicit-def: $vgpr3_vgpr4
.LBB135_156:
	s_mov_b64 s[16:17], 0
.LBB135_157:
	s_and_b64 vcc, exec, s[16:17]
	s_cbranch_vccz .LBB135_161
; %bb.158:
	s_cmp_eq_u32 s20, 29
	s_cbranch_scc0 .LBB135_160
; %bb.159:
	global_load_dwordx2 v[3:4], v[0:1], off
	s_mov_b64 s[0:1], -1
	s_mov_b64 s[2:3], 0
	s_mov_b64 s[16:17], 0
	s_waitcnt vmcnt(0)
	v_cvt_f64_u32_e32 v[4:5], v4
	v_cvt_f64_u32_e32 v[6:7], v3
	v_ldexp_f64 v[4:5], v[4:5], 32
	v_add_f64 v[3:4], v[4:5], v[6:7]
	s_branch .LBB135_162
.LBB135_160:
	s_mov_b64 s[2:3], -1
                                        ; implicit-def: $vgpr3_vgpr4
.LBB135_161:
	s_mov_b64 s[16:17], 0
.LBB135_162:
	s_and_b64 vcc, exec, s[16:17]
	s_cbranch_vccz .LBB135_182
; %bb.163:
	s_cmp_lt_i32 s20, 27
	s_cbranch_scc1 .LBB135_166
; %bb.164:
	s_cmp_gt_i32 s20, 27
	s_cbranch_scc0 .LBB135_167
; %bb.165:
	global_load_dword v3, v[0:1], off
	s_mov_b64 s[0:1], 0
	s_waitcnt vmcnt(0)
	v_cvt_f64_u32_e32 v[3:4], v3
	s_branch .LBB135_168
.LBB135_166:
	s_mov_b64 s[0:1], -1
                                        ; implicit-def: $vgpr3_vgpr4
	s_branch .LBB135_171
.LBB135_167:
	s_mov_b64 s[0:1], -1
                                        ; implicit-def: $vgpr3_vgpr4
.LBB135_168:
	s_andn2_b64 vcc, exec, s[0:1]
	s_cbranch_vccnz .LBB135_170
; %bb.169:
	global_load_ushort v3, v[0:1], off
	s_waitcnt vmcnt(0)
	v_cvt_f64_u32_e32 v[3:4], v3
.LBB135_170:
	s_mov_b64 s[0:1], 0
.LBB135_171:
	s_andn2_b64 vcc, exec, s[0:1]
	s_cbranch_vccnz .LBB135_181
; %bb.172:
	global_load_ubyte v5, v[0:1], off
	s_movk_i32 s0, 0x7f
	s_waitcnt vmcnt(0)
	v_cmp_lt_i16_e32 vcc, s0, v5
	s_mov_b64 s[0:1], 0
	s_and_saveexec_b64 s[16:17], vcc
	s_xor_b64 s[16:17], exec, s[16:17]
	s_cbranch_execz .LBB135_176
; %bb.173:
	s_movk_i32 s0, 0x80
	v_cmp_eq_u16_e32 vcc, s0, v5
	s_mov_b64 s[0:1], -1
	s_and_saveexec_b64 s[18:19], vcc
; %bb.174:
	s_xor_b64 s[0:1], exec, -1
; %bb.175:
	s_or_b64 exec, exec, s[18:19]
	s_and_b64 s[0:1], s[0:1], exec
.LBB135_176:
	s_or_saveexec_b64 s[16:17], s[16:17]
	v_bfrev_b32_e32 v3, 4
	v_mov_b32_e32 v4, 0x7ff80000
	s_xor_b64 exec, exec, s[16:17]
; %bb.177:
	v_cmp_ne_u16_e32 vcc, 0, v5
	v_mov_b32_e32 v3, 0
	s_andn2_b64 s[0:1], s[0:1], exec
	s_and_b64 s[18:19], vcc, exec
	v_mov_b32_e32 v4, 0
	s_or_b64 s[0:1], s[0:1], s[18:19]
; %bb.178:
	s_or_b64 exec, exec, s[16:17]
	s_and_saveexec_b64 s[16:17], s[0:1]
	s_cbranch_execz .LBB135_180
; %bb.179:
	v_and_b32_e32 v4, 0xffff, v5
	v_lshlrev_b32_e32 v3, 24, v5
	v_and_b32_e32 v5, 7, v4
	v_ffbh_u32_e32 v7, v5
	v_min_u32_e32 v7, 32, v7
	v_subrev_u32_e32 v8, 28, v7
	v_bfe_u32 v6, v4, 3, 4
	v_lshlrev_b32_e32 v4, v8, v4
	v_sub_u32_e32 v7, 29, v7
	v_and_b32_e32 v4, 7, v4
	v_cmp_eq_u32_e32 vcc, 0, v6
	v_cndmask_b32_e32 v6, v6, v7, vcc
	v_cndmask_b32_e32 v4, v5, v4, vcc
	v_mov_b32_e32 v5, 0x3b800000
	v_lshlrev_b32_e32 v4, 20, v4
	v_and_b32_e32 v3, 0x80000000, v3
	v_lshl_add_u32 v5, v6, 23, v5
	v_or3_b32 v3, v3, v5, v4
	v_cvt_f64_f32_e32 v[3:4], v3
.LBB135_180:
	s_or_b64 exec, exec, s[16:17]
.LBB135_181:
	s_mov_b64 s[0:1], -1
.LBB135_182:
	s_branch .LBB135_215
.LBB135_183:
	s_cmp_gt_i32 s20, 22
	s_cbranch_scc0 .LBB135_195
; %bb.184:
	s_cmp_lt_i32 s20, 24
	s_cbranch_scc1 .LBB135_196
; %bb.185:
	s_cmp_gt_i32 s20, 24
	s_cbranch_scc0 .LBB135_197
; %bb.186:
	global_load_ubyte v5, v[0:1], off
	s_movk_i32 s0, 0x7f
	s_waitcnt vmcnt(0)
	v_cmp_lt_i16_e32 vcc, s0, v5
	s_mov_b64 s[0:1], 0
	s_and_saveexec_b64 s[16:17], vcc
	s_xor_b64 s[16:17], exec, s[16:17]
	s_cbranch_execz .LBB135_190
; %bb.187:
	s_movk_i32 s0, 0x80
	v_cmp_eq_u16_e32 vcc, s0, v5
	s_mov_b64 s[0:1], -1
	s_and_saveexec_b64 s[18:19], vcc
; %bb.188:
	s_xor_b64 s[0:1], exec, -1
; %bb.189:
	s_or_b64 exec, exec, s[18:19]
	s_and_b64 s[0:1], s[0:1], exec
.LBB135_190:
	s_or_saveexec_b64 s[16:17], s[16:17]
	v_bfrev_b32_e32 v3, 4
	v_mov_b32_e32 v4, 0x7ff80000
	s_xor_b64 exec, exec, s[16:17]
; %bb.191:
	v_cmp_ne_u16_e32 vcc, 0, v5
	v_mov_b32_e32 v3, 0
	s_andn2_b64 s[0:1], s[0:1], exec
	s_and_b64 s[18:19], vcc, exec
	v_mov_b32_e32 v4, 0
	s_or_b64 s[0:1], s[0:1], s[18:19]
; %bb.192:
	s_or_b64 exec, exec, s[16:17]
	s_and_saveexec_b64 s[16:17], s[0:1]
	s_cbranch_execz .LBB135_194
; %bb.193:
	v_and_b32_e32 v4, 0xffff, v5
	v_lshlrev_b32_e32 v3, 24, v5
	v_and_b32_e32 v5, 3, v4
	v_ffbh_u32_e32 v7, v5
	v_min_u32_e32 v7, 32, v7
	v_subrev_u32_e32 v8, 29, v7
	v_bfe_u32 v6, v4, 2, 5
	v_lshlrev_b32_e32 v4, v8, v4
	v_sub_u32_e32 v7, 30, v7
	v_and_b32_e32 v4, 3, v4
	v_cmp_eq_u32_e32 vcc, 0, v6
	v_cndmask_b32_e32 v6, v6, v7, vcc
	v_cndmask_b32_e32 v4, v5, v4, vcc
	v_mov_b32_e32 v5, 0x37800000
	v_lshlrev_b32_e32 v4, 21, v4
	v_and_b32_e32 v3, 0x80000000, v3
	v_lshl_add_u32 v5, v6, 23, v5
	v_or3_b32 v3, v3, v5, v4
	v_cvt_f64_f32_e32 v[3:4], v3
.LBB135_194:
	s_or_b64 exec, exec, s[16:17]
	s_mov_b64 s[0:1], 0
	s_branch .LBB135_198
.LBB135_195:
	s_mov_b64 s[16:17], -1
                                        ; implicit-def: $vgpr3_vgpr4
	s_branch .LBB135_204
.LBB135_196:
	s_mov_b64 s[0:1], -1
                                        ; implicit-def: $vgpr3_vgpr4
	s_branch .LBB135_201
.LBB135_197:
	s_mov_b64 s[0:1], -1
                                        ; implicit-def: $vgpr3_vgpr4
.LBB135_198:
	s_and_b64 vcc, exec, s[0:1]
	s_cbranch_vccz .LBB135_200
; %bb.199:
	global_load_ubyte v3, v[0:1], off
	s_mov_b32 s0, 0x7f800000
	s_waitcnt vmcnt(0)
	v_lshlrev_b32_e32 v3, 24, v3
	v_and_b32_e32 v4, 0x7f000000, v3
	v_ffbh_u32_e32 v5, v4
	v_min_u32_e32 v5, 32, v5
	v_sub_u32_e64 v5, v5, 4 clamp
	v_lshlrev_b32_e32 v7, v5, v4
	v_lshlrev_b32_e32 v5, 23, v5
	v_lshrrev_b32_e32 v7, 4, v7
	v_add_u32_e32 v6, 0x1000000, v4
	v_sub_u32_e32 v5, v7, v5
	v_ashrrev_i32_e32 v6, 8, v6
	v_add_u32_e32 v5, 0x3c000000, v5
	v_and_or_b32 v5, v6, s0, v5
	v_cmp_ne_u32_e32 vcc, 0, v4
	v_cndmask_b32_e32 v4, 0, v5, vcc
	s_brev_b32 s0, 1
	v_and_or_b32 v3, v3, s0, v4
	v_cvt_f64_f32_e32 v[3:4], v3
.LBB135_200:
	s_mov_b64 s[0:1], 0
.LBB135_201:
	s_andn2_b64 vcc, exec, s[0:1]
	s_cbranch_vccnz .LBB135_203
; %bb.202:
	global_load_ubyte v3, v[0:1], off
	s_movk_i32 s0, 0x7f00
	s_brev_b32 s1, 16
	s_waitcnt vmcnt(0)
	v_lshlrev_b16_e32 v4, 8, v3
	v_lshlrev_b32_e32 v3, 25, v3
	v_lshrrev_b32_e32 v5, 4, v3
	v_and_or_b32 v6, v4, s0, 0.5
	v_or_b32_e32 v5, 0x70000000, v5
	v_add_f32_e32 v6, -0.5, v6
	v_mul_f32_e32 v5, 0x7800000, v5
	v_cmp_gt_u32_e32 vcc, s1, v3
	v_bfe_i32 v4, v4, 0, 16
	v_cndmask_b32_e32 v3, v5, v6, vcc
	s_brev_b32 s0, 1
	v_and_or_b32 v3, v4, s0, v3
	v_cvt_f64_f32_e32 v[3:4], v3
.LBB135_203:
	s_mov_b64 s[16:17], 0
	s_mov_b64 s[0:1], -1
.LBB135_204:
	s_andn2_b64 vcc, exec, s[16:17]
	s_cbranch_vccnz .LBB135_215
; %bb.205:
	s_cmp_gt_i32 s20, 14
	s_cbranch_scc0 .LBB135_208
; %bb.206:
	s_cmp_eq_u32 s20, 15
	s_cbranch_scc0 .LBB135_209
; %bb.207:
	global_load_ushort v3, v[0:1], off
	s_mov_b64 s[0:1], -1
	s_mov_b64 s[2:3], 0
	s_waitcnt vmcnt(0)
	v_lshlrev_b32_e32 v3, 16, v3
	v_cvt_f64_f32_e32 v[3:4], v3
	s_branch .LBB135_210
.LBB135_208:
	s_mov_b64 s[16:17], -1
                                        ; implicit-def: $vgpr3_vgpr4
	s_branch .LBB135_211
.LBB135_209:
	s_mov_b64 s[2:3], -1
                                        ; implicit-def: $vgpr3_vgpr4
.LBB135_210:
	s_mov_b64 s[16:17], 0
.LBB135_211:
	s_and_b64 vcc, exec, s[16:17]
	s_cbranch_vccz .LBB135_215
; %bb.212:
	s_cmp_eq_u32 s20, 11
	s_cbranch_scc0 .LBB135_214
; %bb.213:
	global_load_ubyte v4, v[0:1], off
	v_mov_b32_e32 v5, 0x3ff00000
	v_mov_b32_e32 v3, 0
	s_mov_b64 s[0:1], -1
	s_mov_b64 s[2:3], 0
	s_waitcnt vmcnt(0)
	v_cmp_ne_u16_e32 vcc, 0, v4
	v_cndmask_b32_e32 v4, 0, v5, vcc
	s_branch .LBB135_215
.LBB135_214:
	s_mov_b64 s[2:3], -1
                                        ; implicit-def: $vgpr3_vgpr4
.LBB135_215:
	s_branch .LBB135_24
.LBB135_216:
	s_cmp_lt_i32 s20, 5
	s_cbranch_scc1 .LBB135_221
; %bb.217:
	s_cmp_lt_i32 s20, 8
	s_cbranch_scc1 .LBB135_222
; %bb.218:
	;; [unrolled: 3-line block ×3, first 2 shown]
	s_cmp_gt_i32 s20, 9
	s_cbranch_scc0 .LBB135_224
; %bb.220:
	global_load_dwordx2 v[3:4], v[0:1], off
	s_mov_b64 s[0:1], 0
	s_branch .LBB135_225
.LBB135_221:
                                        ; implicit-def: $vgpr3_vgpr4
	s_branch .LBB135_243
.LBB135_222:
	s_mov_b64 s[0:1], -1
                                        ; implicit-def: $vgpr3_vgpr4
	s_branch .LBB135_231
.LBB135_223:
	s_mov_b64 s[0:1], -1
                                        ; implicit-def: $vgpr3_vgpr4
	s_branch .LBB135_228
.LBB135_224:
	s_mov_b64 s[0:1], -1
                                        ; implicit-def: $vgpr3_vgpr4
.LBB135_225:
	s_andn2_b64 vcc, exec, s[0:1]
	s_cbranch_vccnz .LBB135_227
; %bb.226:
	global_load_dword v3, v[0:1], off
	s_waitcnt vmcnt(0)
	v_cvt_f64_f32_e32 v[3:4], v3
.LBB135_227:
	s_mov_b64 s[0:1], 0
.LBB135_228:
	s_andn2_b64 vcc, exec, s[0:1]
	s_cbranch_vccnz .LBB135_230
; %bb.229:
	global_load_dword v3, v[0:1], off
	s_waitcnt vmcnt(0)
	v_cvt_f32_f16_e32 v3, v3
	v_cvt_f64_f32_e32 v[3:4], v3
.LBB135_230:
	s_mov_b64 s[0:1], 0
.LBB135_231:
	s_andn2_b64 vcc, exec, s[0:1]
	s_cbranch_vccnz .LBB135_242
; %bb.232:
	s_cmp_lt_i32 s20, 6
	s_cbranch_scc1 .LBB135_235
; %bb.233:
	s_cmp_gt_i32 s20, 6
	s_cbranch_scc0 .LBB135_236
; %bb.234:
	global_load_dwordx2 v[3:4], v[0:1], off
	s_mov_b64 s[0:1], 0
	s_branch .LBB135_237
.LBB135_235:
	s_mov_b64 s[0:1], -1
                                        ; implicit-def: $vgpr3_vgpr4
	s_branch .LBB135_240
.LBB135_236:
	s_mov_b64 s[0:1], -1
                                        ; implicit-def: $vgpr3_vgpr4
.LBB135_237:
	s_andn2_b64 vcc, exec, s[0:1]
	s_cbranch_vccnz .LBB135_239
; %bb.238:
	global_load_dword v3, v[0:1], off
	s_waitcnt vmcnt(0)
	v_cvt_f64_f32_e32 v[3:4], v3
.LBB135_239:
	s_mov_b64 s[0:1], 0
.LBB135_240:
	s_andn2_b64 vcc, exec, s[0:1]
	s_cbranch_vccnz .LBB135_242
; %bb.241:
	global_load_ushort v3, v[0:1], off
	s_waitcnt vmcnt(0)
	v_cvt_f32_f16_e32 v3, v3
	v_cvt_f64_f32_e32 v[3:4], v3
.LBB135_242:
	s_cbranch_execnz .LBB135_262
.LBB135_243:
	s_cmp_lt_i32 s20, 2
	s_cbranch_scc1 .LBB135_247
; %bb.244:
	s_cmp_lt_i32 s20, 3
	s_cbranch_scc1 .LBB135_248
; %bb.245:
	s_cmp_gt_i32 s20, 3
	s_cbranch_scc0 .LBB135_249
; %bb.246:
	global_load_dwordx2 v[3:4], v[0:1], off
	s_mov_b64 s[0:1], 0
	s_waitcnt vmcnt(0)
	v_cvt_f64_i32_e32 v[4:5], v4
	v_cvt_f64_u32_e32 v[6:7], v3
	v_ldexp_f64 v[4:5], v[4:5], 32
	v_add_f64 v[3:4], v[4:5], v[6:7]
	s_branch .LBB135_250
.LBB135_247:
	s_mov_b64 s[0:1], -1
                                        ; implicit-def: $vgpr3_vgpr4
	s_branch .LBB135_256
.LBB135_248:
	s_mov_b64 s[0:1], -1
                                        ; implicit-def: $vgpr3_vgpr4
	s_branch .LBB135_253
.LBB135_249:
	s_mov_b64 s[0:1], -1
                                        ; implicit-def: $vgpr3_vgpr4
.LBB135_250:
	s_andn2_b64 vcc, exec, s[0:1]
	s_cbranch_vccnz .LBB135_252
; %bb.251:
	global_load_dword v3, v[0:1], off
	s_waitcnt vmcnt(0)
	v_cvt_f64_i32_e32 v[3:4], v3
.LBB135_252:
	s_mov_b64 s[0:1], 0
.LBB135_253:
	s_andn2_b64 vcc, exec, s[0:1]
	s_cbranch_vccnz .LBB135_255
; %bb.254:
	global_load_sshort v3, v[0:1], off
	s_waitcnt vmcnt(0)
	v_cvt_f64_i32_e32 v[3:4], v3
.LBB135_255:
	s_mov_b64 s[0:1], 0
.LBB135_256:
	s_andn2_b64 vcc, exec, s[0:1]
	s_cbranch_vccnz .LBB135_262
; %bb.257:
	s_cmp_gt_i32 s20, 0
	s_cbranch_scc0 .LBB135_259
; %bb.258:
	global_load_sbyte v3, v[0:1], off
	s_mov_b64 s[0:1], 0
	s_waitcnt vmcnt(0)
	v_cvt_f64_i32_e32 v[3:4], v3
	s_branch .LBB135_260
.LBB135_259:
	s_mov_b64 s[0:1], -1
                                        ; implicit-def: $vgpr3_vgpr4
.LBB135_260:
	s_andn2_b64 vcc, exec, s[0:1]
	s_cbranch_vccnz .LBB135_262
; %bb.261:
	global_load_ubyte v0, v[0:1], off
	s_waitcnt vmcnt(0)
	v_cvt_f64_u32_e32 v[3:4], v0
.LBB135_262:
	s_branch .LBB135_25
.LBB135_263:
	s_mov_b64 s[0:1], 0
.LBB135_264:
	s_mov_b64 s[16:17], 0
                                        ; implicit-def: $vgpr10
.LBB135_265:
	s_and_b64 s[58:59], s[0:1], exec
	s_and_b64 s[60:61], s[2:3], exec
	s_orn2_b64 s[2:3], s[16:17], exec
.LBB135_266:
	s_or_b64 exec, exec, s[62:63]
	s_mov_b64 s[16:17], 0
	s_mov_b64 s[0:1], 0
                                        ; implicit-def: $vgpr0_vgpr1
                                        ; implicit-def: $vgpr2
                                        ; implicit-def: $vgpr6_vgpr7
	s_and_saveexec_b64 s[62:63], s[2:3]
	s_cbranch_execz .LBB135_273
; %bb.267:
	v_cmp_gt_i32_e32 vcc, s76, v10
	s_mov_b64 s[0:1], -1
	s_mov_b64 s[64:65], s[60:61]
	s_mov_b64 s[66:67], s[58:59]
	s_and_saveexec_b64 s[68:69], vcc
	s_cbranch_execz .LBB135_542
; %bb.268:
	s_andn2_b64 vcc, exec, s[44:45]
	s_cbranch_vccnz .LBB135_276
; %bb.269:
	s_andn2_b64 vcc, exec, s[56:57]
	s_cbranch_vccnz .LBB135_277
; %bb.270:
	s_add_i32 s71, s81, 1
	s_cmp_eq_u32 s78, 2
	s_cbranch_scc1 .LBB135_278
; %bb.271:
	s_and_b32 s70, s71, 28
	v_mov_b32_e32 v0, 0
	s_mov_b32 s72, 0
	s_mov_b64 s[64:65], s[34:35]
	s_mov_b64 s[66:67], s[54:55]
	v_mov_b32_e32 v2, 0
	v_mov_b32_e32 v1, v10
.LBB135_272:                            ; =>This Inner Loop Header: Depth=1
	s_load_dwordx8 s[24:31], s[64:65], 0x4
	s_load_dwordx4 s[0:3], s[64:65], 0x24
	s_load_dwordx8 s[16:23], s[66:67], 0x0
	s_add_u32 s64, s64, 48
	s_addc_u32 s65, s65, 0
	s_waitcnt vmcnt(0) lgkmcnt(0)
	v_mul_hi_u32 v3, s25, v1
	s_add_i32 s72, s72, 4
	s_add_u32 s66, s66, 32
	s_addc_u32 s67, s67, 0
	v_add_u32_e32 v3, v1, v3
	v_lshrrev_b32_e32 v3, s26, v3
	v_mul_lo_u32 v4, v3, s24
	v_mul_hi_u32 v5, s28, v3
	s_cmp_eq_u32 s70, s72
	v_sub_u32_e32 v1, v1, v4
	v_add_u32_e32 v4, v3, v5
	v_mul_lo_u32 v5, v1, s16
	v_mul_lo_u32 v6, v1, s17
	v_lshrrev_b32_e32 v1, s29, v4
	v_mul_lo_u32 v4, v1, s27
	v_mul_hi_u32 v7, s31, v1
	v_sub_u32_e32 v3, v3, v4
	v_add_u32_e32 v4, v1, v7
	v_lshrrev_b32_e32 v4, s0, v4
	v_mul_hi_u32 v8, s2, v4
	v_mul_lo_u32 v9, v4, s30
	v_mul_lo_u32 v7, v3, s18
	v_mul_lo_u32 v3, v3, s19
	v_sub_u32_e32 v9, v1, v9
	v_add_u32_e32 v1, v4, v8
	v_lshrrev_b32_e32 v1, s3, v1
	v_mul_lo_u32 v8, v1, s1
	v_mul_lo_u32 v11, v9, s20
	;; [unrolled: 1-line block ×3, first 2 shown]
	v_add3_u32 v2, v5, v2, v7
	v_sub_u32_e32 v4, v4, v8
	v_mul_lo_u32 v8, v4, s22
	v_mul_lo_u32 v4, v4, s23
	v_add3_u32 v0, v6, v0, v3
	v_add3_u32 v2, v11, v2, v8
	;; [unrolled: 1-line block ×3, first 2 shown]
	s_cbranch_scc0 .LBB135_272
	s_branch .LBB135_279
.LBB135_273:
	s_or_b64 exec, exec, s[62:63]
	s_mov_b64 s[2:3], 0
	s_and_saveexec_b64 s[10:11], s[60:61]
	s_cbranch_execnz .LBB135_918
.LBB135_274:
	s_or_b64 exec, exec, s[10:11]
	s_and_saveexec_b64 s[10:11], s[66:67]
	s_xor_b64 s[10:11], exec, s[10:11]
	s_cbranch_execz .LBB135_919
.LBB135_275:
	global_load_ubyte v3, v[0:1], off
	s_waitcnt vmcnt(1)
	v_mov_b32_e32 v4, 0x3ff00000
	v_mov_b32_e32 v6, 0
	s_or_b64 s[0:1], s[0:1], exec
	s_waitcnt vmcnt(0)
	v_cmp_ne_u16_e32 vcc, 0, v3
	v_cndmask_b32_e32 v7, 0, v4, vcc
	s_or_b64 exec, exec, s[10:11]
	s_and_saveexec_b64 s[10:11], s[16:17]
	s_cbranch_execz .LBB135_965
	s_branch .LBB135_920
.LBB135_276:
                                        ; implicit-def: $vgpr2
                                        ; implicit-def: $vgpr0
	s_andn2_b64 vcc, exec, s[0:1]
	s_cbranch_vccz .LBB135_283
	s_branch .LBB135_285
.LBB135_277:
	v_mov_b32_e32 v2, 0
	v_mov_b32_e32 v0, 0
	s_branch .LBB135_282
.LBB135_278:
	s_mov_b32 s70, 0
	v_mov_b32_e32 v2, 0
	v_mov_b32_e32 v0, 0
	;; [unrolled: 1-line block ×3, first 2 shown]
.LBB135_279:
	s_and_b32 s16, s71, 3
	s_cmp_eq_u32 s16, 0
	s_cbranch_scc1 .LBB135_282
; %bb.280:
	s_lshl_b32 s0, s70, 3
	s_add_u32 s0, s34, s0
	s_addc_u32 s1, s35, 0
	s_add_u32 s0, s0, 0xc4
	s_addc_u32 s1, s1, 0
	s_mul_i32 s2, s70, 12
	s_add_u32 s2, s34, s2
	s_addc_u32 s3, s35, 0
.LBB135_281:                            ; =>This Inner Loop Header: Depth=1
	s_load_dwordx2 s[18:19], s[2:3], 0x4
	s_load_dword s17, s[2:3], 0xc
	s_load_dwordx2 s[20:21], s[0:1], 0x0
	s_add_u32 s2, s2, 12
	s_addc_u32 s3, s3, 0
	s_waitcnt vmcnt(0) lgkmcnt(0)
	v_mul_hi_u32 v3, s19, v1
	s_add_u32 s0, s0, 8
	s_addc_u32 s1, s1, 0
	s_add_i32 s16, s16, -1
	v_add_u32_e32 v3, v1, v3
	v_lshrrev_b32_e32 v4, s17, v3
	v_mul_lo_u32 v3, v4, s18
	s_cmp_lg_u32 s16, 0
	v_sub_u32_e32 v1, v1, v3
	v_mad_u64_u32 v[2:3], s[18:19], v1, s20, v[2:3]
	v_mad_u64_u32 v[0:1], s[18:19], v1, s21, v[0:1]
	v_mov_b32_e32 v1, v4
	s_cbranch_scc1 .LBB135_281
.LBB135_282:
	s_cbranch_execnz .LBB135_285
.LBB135_283:
	v_mul_hi_u32 v0, s37, v10
	s_andn2_b64 vcc, exec, s[52:53]
	v_add_u32_e32 v0, v10, v0
	v_lshrrev_b32_e32 v1, s38, v0
	v_mul_lo_u32 v0, v1, s36
	v_sub_u32_e32 v0, v10, v0
	v_mul_lo_u32 v2, v0, s40
	v_mul_lo_u32 v0, v0, s41
	s_cbranch_vccnz .LBB135_285
; %bb.284:
	s_waitcnt vmcnt(0)
	v_mul_hi_u32 v3, s50, v1
	v_add_u32_e32 v3, v1, v3
	v_lshrrev_b32_e32 v3, s51, v3
	v_mul_lo_u32 v3, v3, s39
	v_sub_u32_e32 v1, v1, v3
	v_mad_u64_u32 v[2:3], s[0:1], v1, s42, v[2:3]
	v_mad_u64_u32 v[0:1], s[0:1], v1, s43, v[0:1]
.LBB135_285:
	v_mov_b32_e32 v1, s11
	s_and_b32 s20, 0xffff, s80
	v_add_co_u32_e32 v0, vcc, s10, v0
	s_cmp_lt_i32 s20, 11
	v_addc_co_u32_e32 v1, vcc, 0, v1, vcc
	s_cbranch_scc1 .LBB135_292
; %bb.286:
	s_cmp_gt_i32 s20, 25
	s_cbranch_scc0 .LBB135_301
; %bb.287:
	s_cmp_gt_i32 s20, 28
	s_cbranch_scc0 .LBB135_303
	;; [unrolled: 3-line block ×4, first 2 shown]
; %bb.290:
	s_cmp_eq_u32 s20, 46
	s_mov_b64 s[16:17], 0
	s_cbranch_scc0 .LBB135_313
; %bb.291:
	global_load_dword v3, v[0:1], off
	s_mov_b64 s[0:1], -1
	s_mov_b64 s[2:3], 0
	s_waitcnt vmcnt(0)
	v_lshlrev_b32_e32 v3, 16, v3
	v_cvt_f64_f32_e32 v[3:4], v3
	s_branch .LBB135_314
.LBB135_292:
	s_mov_b64 s[0:1], 0
                                        ; implicit-def: $vgpr3_vgpr4
	s_mov_b64 s[2:3], s[60:61]
	s_cbranch_execnz .LBB135_491
.LBB135_293:
	s_andn2_b64 vcc, exec, s[0:1]
	s_cbranch_vccnz .LBB135_539
.LBB135_294:
	s_waitcnt vmcnt(0)
	v_cmp_nge_f64_e32 vcc, s[12:13], v[3:4]
	v_mov_b32_e32 v0, s15
	v_mov_b32_e32 v1, s49
	;; [unrolled: 1-line block ×5, first 2 shown]
	s_and_b32 s22, s79, 0xff
	s_cmp_lt_i32 s22, 11
	v_cndmask_b32_e32 v1, v0, v1, vcc
	v_cndmask_b32_e32 v0, v3, v4, vcc
	v_add_co_u32_e32 v4, vcc, s8, v2
	v_addc_co_u32_e32 v5, vcc, 0, v5, vcc
	s_cbranch_scc1 .LBB135_302
; %bb.295:
	s_and_b32 s23, 0xffff, s22
	s_cmp_gt_i32 s23, 25
	s_cbranch_scc0 .LBB135_304
; %bb.296:
	s_cmp_gt_i32 s23, 28
	s_cbranch_scc0 .LBB135_306
; %bb.297:
	s_cmp_gt_i32 s23, 43
	s_cbranch_scc0 .LBB135_310
; %bb.298:
	s_cmp_gt_i32 s23, 45
	s_cbranch_scc0 .LBB135_317
; %bb.299:
	s_mov_b64 s[18:19], 0
	s_mov_b64 s[0:1], -1
	s_cmp_eq_u32 s23, 46
	s_mov_b64 s[16:17], 0
	s_cbranch_scc0 .LBB135_318
; %bb.300:
	v_cvt_f32_f64_e32 v2, v[0:1]
	s_movk_i32 s0, 0x7fff
	v_mov_b32_e32 v3, 0x7fc0
	s_mov_b64 s[16:17], -1
	v_bfe_u32 v6, v2, 16, 1
	v_cmp_o_f32_e32 vcc, v2, v2
	v_add3_u32 v2, v2, v6, s0
	v_cndmask_b32_sdwa v2, v3, v2, vcc dst_sel:DWORD dst_unused:UNUSED_PAD src0_sel:DWORD src1_sel:WORD_1
	global_store_dword v[4:5], v2, off
	s_mov_b64 s[0:1], 0
	s_branch .LBB135_318
.LBB135_301:
	s_mov_b64 s[16:17], -1
	s_mov_b64 s[0:1], 0
	s_mov_b64 s[2:3], s[60:61]
                                        ; implicit-def: $vgpr3_vgpr4
	s_branch .LBB135_457
.LBB135_302:
	s_mov_b64 s[18:19], -1
	s_mov_b64 s[16:17], 0
	s_mov_b64 s[0:1], s[58:59]
	s_branch .LBB135_387
.LBB135_303:
	s_mov_b64 s[16:17], -1
	s_mov_b64 s[0:1], 0
	s_mov_b64 s[2:3], s[60:61]
                                        ; implicit-def: $vgpr3_vgpr4
	s_branch .LBB135_436
.LBB135_304:
	s_mov_b64 s[18:19], -1
	s_mov_b64 s[16:17], 0
	s_mov_b64 s[0:1], s[58:59]
	s_branch .LBB135_345
.LBB135_305:
	s_mov_b64 s[16:17], -1
	s_mov_b64 s[0:1], 0
	s_mov_b64 s[2:3], s[60:61]
                                        ; implicit-def: $vgpr3_vgpr4
	s_branch .LBB135_431
.LBB135_306:
	s_mov_b64 s[18:19], -1
	s_mov_b64 s[16:17], 0
	s_mov_b64 s[0:1], s[58:59]
	s_branch .LBB135_328
.LBB135_307:
	s_andn2_saveexec_b64 s[20:21], s[20:21]
	s_cbranch_execz .LBB135_68
.LBB135_308:
	s_mov_b32 s24, 0x46000000
	v_add_f32_e64 v3, |v2|, s24
	v_and_b32_e32 v3, 0xff, v3
	v_cmp_ne_u32_e32 vcc, 0, v3
	s_andn2_b64 s[18:19], s[18:19], exec
	s_and_b64 s[24:25], vcc, exec
	s_or_b64 s[18:19], s[18:19], s[24:25]
	s_or_b64 exec, exec, s[20:21]
	v_mov_b32_e32 v6, 0
	s_and_saveexec_b64 s[20:21], s[18:19]
	s_cbranch_execnz .LBB135_69
	s_branch .LBB135_70
.LBB135_309:
	s_mov_b64 s[16:17], -1
	s_mov_b64 s[0:1], 0
	s_mov_b64 s[2:3], s[60:61]
                                        ; implicit-def: $vgpr3_vgpr4
	s_branch .LBB135_314
.LBB135_310:
	s_mov_b64 s[18:19], -1
	s_mov_b64 s[16:17], 0
	s_mov_b64 s[0:1], s[58:59]
	s_branch .LBB135_324
.LBB135_311:
	s_andn2_saveexec_b64 s[20:21], s[20:21]
	s_cbranch_execz .LBB135_81
.LBB135_312:
	s_mov_b32 s24, 0x42800000
	v_add_f32_e64 v3, |v2|, s24
	v_and_b32_e32 v3, 0xff, v3
	v_cmp_ne_u32_e32 vcc, 0, v3
	s_andn2_b64 s[18:19], s[18:19], exec
	s_and_b64 s[24:25], vcc, exec
	s_or_b64 s[18:19], s[18:19], s[24:25]
	s_or_b64 exec, exec, s[20:21]
	v_mov_b32_e32 v6, 0
	s_and_saveexec_b64 s[20:21], s[18:19]
	s_cbranch_execnz .LBB135_82
	s_branch .LBB135_83
.LBB135_313:
	s_mov_b64 s[2:3], -1
                                        ; implicit-def: $vgpr3_vgpr4
	s_mov_b64 s[0:1], 0
.LBB135_314:
	s_and_b64 vcc, exec, s[16:17]
	s_cbranch_vccz .LBB135_430
; %bb.315:
	s_cmp_eq_u32 s20, 44
	s_cbranch_scc0 .LBB135_429
; %bb.316:
	global_load_ubyte v5, v[0:1], off
	s_movk_i32 s2, 0xff
	v_bfrev_b32_e32 v6, 4
	v_mov_b32_e32 v7, 0x7ff80000
	v_bfrev_b32_e32 v8, 28
	s_mov_b64 s[0:1], -1
	s_waitcnt vmcnt(0)
	v_lshlrev_b32_e32 v3, 23, v5
	v_cvt_f64_f32_e32 v[3:4], v3
	v_cmp_ne_u32_e32 vcc, s2, v5
	s_mov_b64 s[2:3], 0
	v_cndmask_b32_e32 v3, v6, v3, vcc
	v_cndmask_b32_e32 v4, v7, v4, vcc
	v_cmp_ne_u32_e32 vcc, 0, v5
	v_cndmask_b32_e32 v4, v8, v4, vcc
	v_cndmask_b32_e32 v3, 0, v3, vcc
	s_branch .LBB135_430
.LBB135_317:
	s_mov_b64 s[18:19], -1
	s_mov_b64 s[16:17], 0
	s_mov_b64 s[0:1], s[58:59]
.LBB135_318:
	s_and_b64 vcc, exec, s[18:19]
	s_cbranch_vccz .LBB135_323
; %bb.319:
	s_cmp_eq_u32 s23, 44
	s_mov_b64 s[0:1], -1
	s_cbranch_scc0 .LBB135_323
; %bb.320:
	v_cvt_f32_f64_e32 v2, v[0:1]
	s_movk_i32 s0, 0xff
	v_mov_b32_e32 v6, 0xff
	v_bfe_u32 v3, v2, 23, 8
	v_cmp_ne_u32_e32 vcc, s0, v3
	s_and_saveexec_b64 s[16:17], vcc
; %bb.321:
	s_mov_b32 s0, 0x3fffff
	v_lshrrev_b32_e32 v6, 23, v2
	v_and_b32_e32 v7, 0x400000, v2
	v_and_or_b32 v2, v2, s0, v3
	v_cmp_ne_u32_e32 vcc, 0, v7
	v_cmp_ne_u32_e64 s[0:1], 0, v2
	s_and_b64 s[0:1], vcc, s[0:1]
	v_cndmask_b32_e64 v2, 0, 1, s[0:1]
	v_add_u32_e32 v6, v6, v2
; %bb.322:
	s_or_b64 exec, exec, s[16:17]
	s_mov_b64 s[16:17], -1
	s_mov_b64 s[0:1], 0
	global_store_byte v[4:5], v6, off
.LBB135_323:
	s_mov_b64 s[18:19], 0
.LBB135_324:
	s_and_b64 vcc, exec, s[18:19]
	s_cbranch_vccz .LBB135_327
; %bb.325:
	s_cmp_eq_u32 s23, 29
	s_mov_b64 s[0:1], -1
	s_cbranch_scc0 .LBB135_327
; %bb.326:
	v_trunc_f64_e32 v[2:3], v[0:1]
	s_movk_i32 s0, 0xffe0
	s_mov_b64 s[16:17], -1
	s_mov_b64 s[18:19], 0
	v_ldexp_f64 v[6:7], v[2:3], s0
	s_mov_b32 s0, 0
	s_mov_b32 s1, 0xc1f00000
	v_floor_f64_e32 v[6:7], v[6:7]
	v_fma_f64 v[2:3], v[6:7], s[0:1], v[2:3]
	v_cvt_u32_f64_e32 v7, v[6:7]
	s_mov_b64 s[0:1], 0
	v_cvt_u32_f64_e32 v6, v[2:3]
	global_store_dwordx2 v[4:5], v[6:7], off
	s_branch .LBB135_328
.LBB135_327:
	s_mov_b64 s[18:19], 0
.LBB135_328:
	s_and_b64 vcc, exec, s[18:19]
	s_cbranch_vccz .LBB135_344
; %bb.329:
	s_cmp_lt_i32 s23, 27
	s_mov_b64 s[16:17], -1
	s_cbranch_scc1 .LBB135_335
; %bb.330:
	v_cvt_u32_f64_e32 v2, v[0:1]
	s_cmp_gt_i32 s23, 27
	s_cbranch_scc0 .LBB135_332
; %bb.331:
	s_mov_b64 s[16:17], 0
	global_store_dword v[4:5], v2, off
.LBB135_332:
	s_andn2_b64 vcc, exec, s[16:17]
	s_cbranch_vccnz .LBB135_334
; %bb.333:
	global_store_short v[4:5], v2, off
.LBB135_334:
	s_mov_b64 s[16:17], 0
.LBB135_335:
	s_andn2_b64 vcc, exec, s[16:17]
	s_cbranch_vccnz .LBB135_343
; %bb.336:
	v_cvt_f32_f64_e32 v2, v[0:1]
	s_mov_b32 s16, 0x43800000
	v_mov_b32_e32 v6, 0x80
	v_and_b32_e32 v3, 0x7fffffff, v2
	v_cmp_gt_u32_e32 vcc, s16, v3
	s_and_saveexec_b64 s[16:17], vcc
	s_cbranch_execz .LBB135_342
; %bb.337:
	s_mov_b32 s18, 0x3bffffff
	v_cmp_lt_u32_e32 vcc, s18, v3
	s_mov_b64 s[18:19], 0
                                        ; implicit-def: $vgpr3
	s_and_saveexec_b64 s[20:21], vcc
	s_xor_b64 s[20:21], exec, s[20:21]
	s_cbranch_execz .LBB135_570
; %bb.338:
	v_bfe_u32 v3, v2, 20, 1
	s_mov_b32 s24, 0x487ffff
	v_add3_u32 v3, v2, v3, s24
	s_mov_b64 s[18:19], exec
	v_lshrrev_b32_e32 v3, 20, v3
	s_andn2_saveexec_b64 s[20:21], s[20:21]
	s_cbranch_execnz .LBB135_571
.LBB135_339:
	s_or_b64 exec, exec, s[20:21]
	v_mov_b32_e32 v6, 0
	s_and_saveexec_b64 s[20:21], s[18:19]
.LBB135_340:
	v_lshrrev_b32_e32 v2, 24, v2
	s_movk_i32 s18, 0x80
	v_and_or_b32 v6, v2, s18, v3
.LBB135_341:
	s_or_b64 exec, exec, s[20:21]
.LBB135_342:
	s_or_b64 exec, exec, s[16:17]
	global_store_byte v[4:5], v6, off
.LBB135_343:
	s_mov_b64 s[16:17], -1
.LBB135_344:
	s_mov_b64 s[18:19], 0
.LBB135_345:
	s_and_b64 vcc, exec, s[18:19]
	s_cbranch_vccz .LBB135_386
; %bb.346:
	s_cmp_gt_i32 s23, 22
	s_mov_b64 s[18:19], -1
	s_cbranch_scc0 .LBB135_378
; %bb.347:
	s_cmp_lt_i32 s23, 24
	s_mov_b64 s[16:17], -1
	s_cbranch_scc1 .LBB135_367
; %bb.348:
	s_cmp_gt_i32 s23, 24
	s_cbranch_scc0 .LBB135_356
; %bb.349:
	v_cvt_f32_f64_e32 v2, v[0:1]
	s_mov_b32 s16, 0x47800000
	v_mov_b32_e32 v6, 0x80
	v_and_b32_e32 v3, 0x7fffffff, v2
	v_cmp_gt_u32_e32 vcc, s16, v3
	s_and_saveexec_b64 s[16:17], vcc
	s_cbranch_execz .LBB135_355
; %bb.350:
	s_mov_b32 s18, 0x37ffffff
	v_cmp_lt_u32_e32 vcc, s18, v3
	s_mov_b64 s[18:19], 0
                                        ; implicit-def: $vgpr3
	s_and_saveexec_b64 s[20:21], vcc
	s_xor_b64 s[20:21], exec, s[20:21]
	s_cbranch_execz .LBB135_573
; %bb.351:
	v_bfe_u32 v3, v2, 21, 1
	s_mov_b32 s24, 0x88fffff
	v_add3_u32 v3, v2, v3, s24
	s_mov_b64 s[18:19], exec
	v_lshrrev_b32_e32 v3, 21, v3
	s_andn2_saveexec_b64 s[20:21], s[20:21]
	s_cbranch_execnz .LBB135_574
.LBB135_352:
	s_or_b64 exec, exec, s[20:21]
	v_mov_b32_e32 v6, 0
	s_and_saveexec_b64 s[20:21], s[18:19]
.LBB135_353:
	v_lshrrev_b32_e32 v2, 24, v2
	s_movk_i32 s18, 0x80
	v_and_or_b32 v6, v2, s18, v3
.LBB135_354:
	s_or_b64 exec, exec, s[20:21]
.LBB135_355:
	s_or_b64 exec, exec, s[16:17]
	s_mov_b64 s[16:17], 0
	global_store_byte v[4:5], v6, off
.LBB135_356:
	s_and_b64 vcc, exec, s[16:17]
	s_cbranch_vccz .LBB135_366
; %bb.357:
	v_cvt_f32_f64_e32 v2, v[0:1]
	s_mov_b32 s16, 0x43f00000
                                        ; implicit-def: $vgpr3
	v_and_b32_e32 v6, 0x7fffffff, v2
	v_cmp_gt_u32_e32 vcc, s16, v6
	s_and_saveexec_b64 s[16:17], vcc
	s_xor_b64 s[16:17], exec, s[16:17]
	s_cbranch_execz .LBB135_363
; %bb.358:
	s_mov_b32 s18, 0x3c7fffff
	v_cmp_lt_u32_e32 vcc, s18, v6
                                        ; implicit-def: $vgpr3
	s_and_saveexec_b64 s[18:19], vcc
	s_xor_b64 s[18:19], exec, s[18:19]
; %bb.359:
	v_bfe_u32 v3, v2, 20, 1
	s_mov_b32 s20, 0x407ffff
	v_add3_u32 v3, v2, v3, s20
	v_lshrrev_b32_e32 v6, 20, v3
	v_and_b32_e32 v3, 0xff00000, v3
	s_mov_b32 s20, 0x7f00000
	v_mov_b32_e32 v7, 0x7e
	v_cmp_ne_u32_e32 vcc, s20, v3
	v_cndmask_b32_e32 v3, v7, v6, vcc
; %bb.360:
	s_andn2_saveexec_b64 s[18:19], s[18:19]
; %bb.361:
	s_mov_b32 s20, 0x46800000
	v_add_f32_e64 v3, |v2|, s20
; %bb.362:
	s_or_b64 exec, exec, s[18:19]
                                        ; implicit-def: $vgpr6
.LBB135_363:
	s_andn2_saveexec_b64 s[16:17], s[16:17]
; %bb.364:
	s_mov_b32 s18, 0x7f800000
	v_mov_b32_e32 v3, 0x7e
	v_mov_b32_e32 v7, 0x7f
	v_cmp_lt_u32_e32 vcc, s18, v6
	v_cndmask_b32_e32 v3, v3, v7, vcc
; %bb.365:
	s_or_b64 exec, exec, s[16:17]
	v_lshrrev_b32_e32 v2, 24, v2
	s_movk_i32 s16, 0x80
	v_and_or_b32 v2, v2, s16, v3
	global_store_byte v[4:5], v2, off
.LBB135_366:
	s_mov_b64 s[16:17], 0
.LBB135_367:
	s_andn2_b64 vcc, exec, s[16:17]
	s_cbranch_vccnz .LBB135_377
; %bb.368:
	v_cvt_f32_f64_e32 v2, v[0:1]
	s_mov_b32 s16, 0x47800000
                                        ; implicit-def: $vgpr3
	v_and_b32_e32 v6, 0x7fffffff, v2
	v_cmp_gt_u32_e32 vcc, s16, v6
	s_and_saveexec_b64 s[16:17], vcc
	s_xor_b64 s[16:17], exec, s[16:17]
	s_cbranch_execz .LBB135_374
; %bb.369:
	s_mov_b32 s18, 0x387fffff
	v_cmp_lt_u32_e32 vcc, s18, v6
                                        ; implicit-def: $vgpr3
	s_and_saveexec_b64 s[18:19], vcc
	s_xor_b64 s[18:19], exec, s[18:19]
; %bb.370:
	v_bfe_u32 v3, v2, 21, 1
	s_mov_b32 s20, 0x80fffff
	v_add3_u32 v3, v2, v3, s20
	v_lshrrev_b32_e32 v3, 21, v3
; %bb.371:
	s_andn2_saveexec_b64 s[18:19], s[18:19]
; %bb.372:
	s_mov_b32 s20, 0x43000000
	v_add_f32_e64 v3, |v2|, s20
; %bb.373:
	s_or_b64 exec, exec, s[18:19]
                                        ; implicit-def: $vgpr6
.LBB135_374:
	s_andn2_saveexec_b64 s[16:17], s[16:17]
; %bb.375:
	s_mov_b32 s18, 0x7f800000
	v_mov_b32_e32 v3, 0x7c
	v_mov_b32_e32 v7, 0x7f
	v_cmp_lt_u32_e32 vcc, s18, v6
	v_cndmask_b32_e32 v3, v3, v7, vcc
; %bb.376:
	s_or_b64 exec, exec, s[16:17]
	v_lshrrev_b32_e32 v2, 24, v2
	s_movk_i32 s16, 0x80
	v_and_or_b32 v2, v2, s16, v3
	global_store_byte v[4:5], v2, off
.LBB135_377:
	s_mov_b64 s[18:19], 0
	s_mov_b64 s[16:17], -1
.LBB135_378:
	s_andn2_b64 vcc, exec, s[18:19]
	s_cbranch_vccnz .LBB135_386
; %bb.379:
	s_cmp_gt_i32 s23, 14
	s_mov_b64 s[18:19], -1
	s_cbranch_scc0 .LBB135_383
; %bb.380:
	s_cmp_eq_u32 s23, 15
	s_mov_b64 s[0:1], -1
	s_cbranch_scc0 .LBB135_382
; %bb.381:
	v_cvt_f32_f64_e32 v2, v[0:1]
	s_movk_i32 s0, 0x7fff
	v_mov_b32_e32 v3, 0x7fc0
	s_mov_b64 s[16:17], -1
	v_bfe_u32 v6, v2, 16, 1
	v_cmp_o_f32_e32 vcc, v2, v2
	v_add3_u32 v2, v2, v6, s0
	v_cndmask_b32_sdwa v2, v3, v2, vcc dst_sel:DWORD dst_unused:UNUSED_PAD src0_sel:DWORD src1_sel:WORD_1
	global_store_short v[4:5], v2, off
	s_mov_b64 s[0:1], 0
.LBB135_382:
	s_mov_b64 s[18:19], 0
.LBB135_383:
	s_and_b64 vcc, exec, s[18:19]
	s_cbranch_vccz .LBB135_386
; %bb.384:
	s_cmp_eq_u32 s23, 11
	s_mov_b64 s[0:1], -1
	s_cbranch_scc0 .LBB135_386
; %bb.385:
	v_cmp_neq_f64_e32 vcc, 0, v[0:1]
	s_mov_b64 s[0:1], 0
	s_mov_b64 s[16:17], -1
	v_cndmask_b32_e64 v2, 0, 1, vcc
	global_store_byte v[4:5], v2, off
.LBB135_386:
	s_mov_b64 s[18:19], 0
.LBB135_387:
	s_and_b64 vcc, exec, s[18:19]
	s_cbranch_vccz .LBB135_426
; %bb.388:
	s_and_b32 s18, 0xffff, s22
	s_cmp_lt_i32 s18, 5
	s_mov_b64 s[16:17], -1
	s_cbranch_scc1 .LBB135_409
; %bb.389:
	s_cmp_lt_i32 s18, 8
	s_cbranch_scc1 .LBB135_399
; %bb.390:
	s_cmp_lt_i32 s18, 9
	s_cbranch_scc1 .LBB135_396
; %bb.391:
	s_cmp_gt_i32 s18, 9
	s_cbranch_scc0 .LBB135_393
; %bb.392:
	v_mov_b32_e32 v2, 0
	v_mov_b32_e32 v3, v2
	s_mov_b64 s[16:17], 0
	global_store_dwordx4 v[4:5], v[0:3], off
.LBB135_393:
	s_andn2_b64 vcc, exec, s[16:17]
	s_cbranch_vccnz .LBB135_395
; %bb.394:
	v_cvt_f32_f64_e32 v2, v[0:1]
	v_mov_b32_e32 v3, 0
	global_store_dwordx2 v[4:5], v[2:3], off
.LBB135_395:
	s_mov_b64 s[16:17], 0
.LBB135_396:
	s_andn2_b64 vcc, exec, s[16:17]
	s_cbranch_vccnz .LBB135_398
; %bb.397:
	s_movk_i32 s16, 0x1ff
	v_and_or_b32 v2, v1, s16, v0
	v_cmp_ne_u32_e32 vcc, 0, v2
	v_cndmask_b32_e64 v2, 0, 1, vcc
	v_lshrrev_b32_e32 v3, 8, v1
	s_movk_i32 s16, 0xffe
	v_bfe_u32 v6, v1, 20, 11
	v_and_or_b32 v2, v3, s16, v2
	v_sub_u32_e32 v7, 0x3f1, v6
	v_or_b32_e32 v3, 0x1000, v2
	v_med3_i32 v7, v7, 0, 13
	v_lshrrev_b32_e32 v8, v7, v3
	v_lshlrev_b32_e32 v7, v7, v8
	v_cmp_ne_u32_e32 vcc, v7, v3
	v_cndmask_b32_e64 v3, 0, 1, vcc
	v_add_u32_e32 v6, 0xfffffc10, v6
	v_or_b32_e32 v3, v8, v3
	v_lshl_or_b32 v7, v6, 12, v2
	v_cmp_gt_i32_e32 vcc, 1, v6
	v_cndmask_b32_e32 v3, v7, v3, vcc
	v_and_b32_e32 v7, 7, v3
	v_cmp_lt_i32_e32 vcc, 5, v7
	v_cndmask_b32_e64 v8, 0, 1, vcc
	v_cmp_eq_u32_e32 vcc, 3, v7
	v_cndmask_b32_e64 v7, 0, 1, vcc
	v_or_b32_e32 v7, v7, v8
	v_lshrrev_b32_e32 v3, 2, v3
	v_add_u32_e32 v3, v3, v7
	v_mov_b32_e32 v7, 0x7c00
	v_cmp_gt_i32_e32 vcc, 31, v6
	v_cndmask_b32_e32 v3, v7, v3, vcc
	v_mov_b32_e32 v8, 0x7e00
	v_cmp_ne_u32_e32 vcc, 0, v2
	s_movk_i32 s16, 0x40f
	v_cndmask_b32_e32 v2, v7, v8, vcc
	v_cmp_eq_u32_e32 vcc, s16, v6
	v_cndmask_b32_e32 v2, v3, v2, vcc
	v_lshrrev_b32_e32 v3, 16, v1
	s_mov_b32 s16, 0x8000
	v_and_or_b32 v2, v3, s16, v2
	v_and_b32_e32 v2, 0xffff, v2
	global_store_dword v[4:5], v2, off
.LBB135_398:
	s_mov_b64 s[16:17], 0
.LBB135_399:
	s_andn2_b64 vcc, exec, s[16:17]
	s_cbranch_vccnz .LBB135_408
; %bb.400:
	s_cmp_lt_i32 s18, 6
	s_mov_b64 s[16:17], -1
	s_cbranch_scc1 .LBB135_406
; %bb.401:
	s_cmp_gt_i32 s18, 6
	s_cbranch_scc0 .LBB135_403
; %bb.402:
	s_mov_b64 s[16:17], 0
	global_store_dwordx2 v[4:5], v[0:1], off
.LBB135_403:
	s_andn2_b64 vcc, exec, s[16:17]
	s_cbranch_vccnz .LBB135_405
; %bb.404:
	v_cvt_f32_f64_e32 v2, v[0:1]
	global_store_dword v[4:5], v2, off
.LBB135_405:
	s_mov_b64 s[16:17], 0
.LBB135_406:
	s_andn2_b64 vcc, exec, s[16:17]
	s_cbranch_vccnz .LBB135_408
; %bb.407:
	s_movk_i32 s16, 0x1ff
	v_and_or_b32 v2, v1, s16, v0
	v_cmp_ne_u32_e32 vcc, 0, v2
	v_cndmask_b32_e64 v2, 0, 1, vcc
	v_lshrrev_b32_e32 v3, 8, v1
	s_movk_i32 s16, 0xffe
	v_bfe_u32 v6, v1, 20, 11
	v_and_or_b32 v2, v3, s16, v2
	v_sub_u32_e32 v7, 0x3f1, v6
	v_or_b32_e32 v3, 0x1000, v2
	v_med3_i32 v7, v7, 0, 13
	v_lshrrev_b32_e32 v8, v7, v3
	v_lshlrev_b32_e32 v7, v7, v8
	v_cmp_ne_u32_e32 vcc, v7, v3
	v_cndmask_b32_e64 v3, 0, 1, vcc
	v_add_u32_e32 v6, 0xfffffc10, v6
	v_or_b32_e32 v3, v8, v3
	v_lshl_or_b32 v7, v6, 12, v2
	v_cmp_gt_i32_e32 vcc, 1, v6
	v_cndmask_b32_e32 v3, v7, v3, vcc
	v_and_b32_e32 v7, 7, v3
	v_cmp_lt_i32_e32 vcc, 5, v7
	v_cndmask_b32_e64 v8, 0, 1, vcc
	v_cmp_eq_u32_e32 vcc, 3, v7
	v_cndmask_b32_e64 v7, 0, 1, vcc
	v_or_b32_e32 v7, v7, v8
	v_lshrrev_b32_e32 v3, 2, v3
	v_add_u32_e32 v3, v3, v7
	v_mov_b32_e32 v7, 0x7c00
	v_cmp_gt_i32_e32 vcc, 31, v6
	v_cndmask_b32_e32 v3, v7, v3, vcc
	v_mov_b32_e32 v8, 0x7e00
	v_cmp_ne_u32_e32 vcc, 0, v2
	s_movk_i32 s16, 0x40f
	v_cndmask_b32_e32 v2, v7, v8, vcc
	v_cmp_eq_u32_e32 vcc, s16, v6
	v_cndmask_b32_e32 v2, v3, v2, vcc
	v_lshrrev_b32_e32 v3, 16, v1
	s_mov_b32 s16, 0x8000
	v_and_or_b32 v2, v3, s16, v2
	global_store_short v[4:5], v2, off
.LBB135_408:
	s_mov_b64 s[16:17], 0
.LBB135_409:
	s_andn2_b64 vcc, exec, s[16:17]
	s_cbranch_vccnz .LBB135_425
; %bb.410:
	s_cmp_lt_i32 s18, 2
	s_mov_b64 s[16:17], -1
	s_cbranch_scc1 .LBB135_420
; %bb.411:
	s_cmp_lt_i32 s18, 3
	s_cbranch_scc1 .LBB135_417
; %bb.412:
	s_cmp_gt_i32 s18, 3
	s_cbranch_scc0 .LBB135_414
; %bb.413:
	v_trunc_f64_e32 v[2:3], v[0:1]
	s_movk_i32 s16, 0xffe0
	v_ldexp_f64 v[6:7], v[2:3], s16
	s_mov_b32 s16, 0
	s_mov_b32 s17, 0xc1f00000
	v_floor_f64_e32 v[6:7], v[6:7]
	v_fma_f64 v[2:3], v[6:7], s[16:17], v[2:3]
	v_cvt_i32_f64_e32 v7, v[6:7]
	s_mov_b64 s[16:17], 0
	v_cvt_u32_f64_e32 v6, v[2:3]
	global_store_dwordx2 v[4:5], v[6:7], off
.LBB135_414:
	s_andn2_b64 vcc, exec, s[16:17]
	s_cbranch_vccnz .LBB135_416
; %bb.415:
	v_cvt_i32_f64_e32 v2, v[0:1]
	global_store_dword v[4:5], v2, off
.LBB135_416:
	s_mov_b64 s[16:17], 0
.LBB135_417:
	s_andn2_b64 vcc, exec, s[16:17]
	s_cbranch_vccnz .LBB135_419
; %bb.418:
	v_cvt_i32_f64_e32 v2, v[0:1]
	global_store_short v[4:5], v2, off
.LBB135_419:
	s_mov_b64 s[16:17], 0
.LBB135_420:
	s_andn2_b64 vcc, exec, s[16:17]
	s_cbranch_vccnz .LBB135_425
; %bb.421:
	s_cmp_gt_i32 s18, 0
	s_mov_b64 s[16:17], -1
	s_cbranch_scc0 .LBB135_423
; %bb.422:
	v_cvt_i32_f64_e32 v2, v[0:1]
	s_mov_b64 s[16:17], 0
	global_store_byte v[4:5], v2, off
.LBB135_423:
	s_andn2_b64 vcc, exec, s[16:17]
	s_cbranch_vccnz .LBB135_425
; %bb.424:
	v_trunc_f64_e32 v[0:1], v[0:1]
	s_movk_i32 s16, 0xffe0
	v_ldexp_f64 v[2:3], v[0:1], s16
	s_mov_b32 s16, 0
	s_mov_b32 s17, 0xc1f00000
	v_floor_f64_e32 v[2:3], v[2:3]
	v_fma_f64 v[0:1], v[2:3], s[16:17], v[0:1]
	v_cvt_u32_f64_e32 v0, v[0:1]
	global_store_byte v[4:5], v0, off
.LBB135_425:
	s_mov_b64 s[16:17], -1
.LBB135_426:
	s_andn2_b64 vcc, exec, s[16:17]
	s_cbranch_vccnz .LBB135_428
; %bb.427:
	v_add_u32_e32 v10, 0x80, v10
	s_mov_b64 s[16:17], -1
	s_branch .LBB135_541
.LBB135_428:
	s_mov_b64 s[16:17], 0
	s_branch .LBB135_540
.LBB135_429:
	s_mov_b64 s[2:3], -1
                                        ; implicit-def: $vgpr3_vgpr4
.LBB135_430:
	s_mov_b64 s[16:17], 0
.LBB135_431:
	s_and_b64 vcc, exec, s[16:17]
	s_cbranch_vccz .LBB135_435
; %bb.432:
	s_cmp_eq_u32 s20, 29
	s_cbranch_scc0 .LBB135_434
; %bb.433:
	global_load_dwordx2 v[3:4], v[0:1], off
	s_mov_b64 s[0:1], -1
	s_mov_b64 s[2:3], 0
	s_mov_b64 s[16:17], 0
	s_waitcnt vmcnt(0)
	v_cvt_f64_u32_e32 v[4:5], v4
	v_cvt_f64_u32_e32 v[6:7], v3
	v_ldexp_f64 v[4:5], v[4:5], 32
	v_add_f64 v[3:4], v[4:5], v[6:7]
	s_branch .LBB135_436
.LBB135_434:
	s_mov_b64 s[2:3], -1
                                        ; implicit-def: $vgpr3_vgpr4
.LBB135_435:
	s_mov_b64 s[16:17], 0
.LBB135_436:
	s_and_b64 vcc, exec, s[16:17]
	s_cbranch_vccz .LBB135_456
; %bb.437:
	s_cmp_lt_i32 s20, 27
	s_cbranch_scc1 .LBB135_440
; %bb.438:
	s_cmp_gt_i32 s20, 27
	s_cbranch_scc0 .LBB135_441
; %bb.439:
	global_load_dword v3, v[0:1], off
	s_mov_b64 s[0:1], 0
	s_waitcnt vmcnt(0)
	v_cvt_f64_u32_e32 v[3:4], v3
	s_branch .LBB135_442
.LBB135_440:
	s_mov_b64 s[0:1], -1
                                        ; implicit-def: $vgpr3_vgpr4
	s_branch .LBB135_445
.LBB135_441:
	s_mov_b64 s[0:1], -1
                                        ; implicit-def: $vgpr3_vgpr4
.LBB135_442:
	s_andn2_b64 vcc, exec, s[0:1]
	s_cbranch_vccnz .LBB135_444
; %bb.443:
	global_load_ushort v3, v[0:1], off
	s_waitcnt vmcnt(0)
	v_cvt_f64_u32_e32 v[3:4], v3
.LBB135_444:
	s_mov_b64 s[0:1], 0
.LBB135_445:
	s_andn2_b64 vcc, exec, s[0:1]
	s_cbranch_vccnz .LBB135_455
; %bb.446:
	global_load_ubyte v5, v[0:1], off
	s_movk_i32 s0, 0x7f
	s_waitcnt vmcnt(0)
	v_cmp_lt_i16_e32 vcc, s0, v5
	s_mov_b64 s[0:1], 0
	s_and_saveexec_b64 s[16:17], vcc
	s_xor_b64 s[16:17], exec, s[16:17]
	s_cbranch_execz .LBB135_450
; %bb.447:
	s_movk_i32 s0, 0x80
	v_cmp_eq_u16_e32 vcc, s0, v5
	s_mov_b64 s[0:1], -1
	s_and_saveexec_b64 s[18:19], vcc
; %bb.448:
	s_xor_b64 s[0:1], exec, -1
; %bb.449:
	s_or_b64 exec, exec, s[18:19]
	s_and_b64 s[0:1], s[0:1], exec
.LBB135_450:
	s_or_saveexec_b64 s[16:17], s[16:17]
	v_bfrev_b32_e32 v3, 4
	v_mov_b32_e32 v4, 0x7ff80000
	s_xor_b64 exec, exec, s[16:17]
; %bb.451:
	v_cmp_ne_u16_e32 vcc, 0, v5
	v_mov_b32_e32 v3, 0
	s_andn2_b64 s[0:1], s[0:1], exec
	s_and_b64 s[18:19], vcc, exec
	v_mov_b32_e32 v4, 0
	s_or_b64 s[0:1], s[0:1], s[18:19]
; %bb.452:
	s_or_b64 exec, exec, s[16:17]
	s_and_saveexec_b64 s[16:17], s[0:1]
	s_cbranch_execz .LBB135_454
; %bb.453:
	v_and_b32_e32 v4, 0xffff, v5
	v_lshlrev_b32_e32 v3, 24, v5
	v_and_b32_e32 v5, 7, v4
	v_ffbh_u32_e32 v7, v5
	v_min_u32_e32 v7, 32, v7
	v_subrev_u32_e32 v8, 28, v7
	v_bfe_u32 v6, v4, 3, 4
	v_lshlrev_b32_e32 v4, v8, v4
	v_sub_u32_e32 v7, 29, v7
	v_and_b32_e32 v4, 7, v4
	v_cmp_eq_u32_e32 vcc, 0, v6
	v_cndmask_b32_e32 v6, v6, v7, vcc
	v_cndmask_b32_e32 v4, v5, v4, vcc
	v_mov_b32_e32 v5, 0x3b800000
	v_lshlrev_b32_e32 v4, 20, v4
	v_and_b32_e32 v3, 0x80000000, v3
	v_lshl_add_u32 v5, v6, 23, v5
	v_or3_b32 v3, v3, v5, v4
	v_cvt_f64_f32_e32 v[3:4], v3
.LBB135_454:
	s_or_b64 exec, exec, s[16:17]
.LBB135_455:
	s_mov_b64 s[0:1], -1
.LBB135_456:
	s_mov_b64 s[16:17], 0
.LBB135_457:
	s_and_b64 vcc, exec, s[16:17]
	s_cbranch_vccz .LBB135_490
; %bb.458:
	s_cmp_gt_i32 s20, 22
	s_cbranch_scc0 .LBB135_470
; %bb.459:
	s_cmp_lt_i32 s20, 24
	s_cbranch_scc1 .LBB135_471
; %bb.460:
	s_cmp_gt_i32 s20, 24
	s_cbranch_scc0 .LBB135_472
; %bb.461:
	global_load_ubyte v5, v[0:1], off
	s_movk_i32 s0, 0x7f
	s_waitcnt vmcnt(0)
	v_cmp_lt_i16_e32 vcc, s0, v5
	s_mov_b64 s[0:1], 0
	s_and_saveexec_b64 s[16:17], vcc
	s_xor_b64 s[16:17], exec, s[16:17]
	s_cbranch_execz .LBB135_465
; %bb.462:
	s_movk_i32 s0, 0x80
	v_cmp_eq_u16_e32 vcc, s0, v5
	s_mov_b64 s[0:1], -1
	s_and_saveexec_b64 s[18:19], vcc
; %bb.463:
	s_xor_b64 s[0:1], exec, -1
; %bb.464:
	s_or_b64 exec, exec, s[18:19]
	s_and_b64 s[0:1], s[0:1], exec
.LBB135_465:
	s_or_saveexec_b64 s[16:17], s[16:17]
	v_bfrev_b32_e32 v3, 4
	v_mov_b32_e32 v4, 0x7ff80000
	s_xor_b64 exec, exec, s[16:17]
; %bb.466:
	v_cmp_ne_u16_e32 vcc, 0, v5
	v_mov_b32_e32 v3, 0
	s_andn2_b64 s[0:1], s[0:1], exec
	s_and_b64 s[18:19], vcc, exec
	v_mov_b32_e32 v4, 0
	s_or_b64 s[0:1], s[0:1], s[18:19]
; %bb.467:
	s_or_b64 exec, exec, s[16:17]
	s_and_saveexec_b64 s[16:17], s[0:1]
	s_cbranch_execz .LBB135_469
; %bb.468:
	v_and_b32_e32 v4, 0xffff, v5
	v_lshlrev_b32_e32 v3, 24, v5
	v_and_b32_e32 v5, 3, v4
	v_ffbh_u32_e32 v7, v5
	v_min_u32_e32 v7, 32, v7
	v_subrev_u32_e32 v8, 29, v7
	v_bfe_u32 v6, v4, 2, 5
	v_lshlrev_b32_e32 v4, v8, v4
	v_sub_u32_e32 v7, 30, v7
	v_and_b32_e32 v4, 3, v4
	v_cmp_eq_u32_e32 vcc, 0, v6
	v_cndmask_b32_e32 v6, v6, v7, vcc
	v_cndmask_b32_e32 v4, v5, v4, vcc
	v_mov_b32_e32 v5, 0x37800000
	v_lshlrev_b32_e32 v4, 21, v4
	v_and_b32_e32 v3, 0x80000000, v3
	v_lshl_add_u32 v5, v6, 23, v5
	v_or3_b32 v3, v3, v5, v4
	v_cvt_f64_f32_e32 v[3:4], v3
.LBB135_469:
	s_or_b64 exec, exec, s[16:17]
	s_mov_b64 s[0:1], 0
	s_branch .LBB135_473
.LBB135_470:
	s_mov_b64 s[16:17], -1
                                        ; implicit-def: $vgpr3_vgpr4
	s_branch .LBB135_479
.LBB135_471:
	s_mov_b64 s[0:1], -1
                                        ; implicit-def: $vgpr3_vgpr4
	s_branch .LBB135_476
.LBB135_472:
	s_mov_b64 s[0:1], -1
                                        ; implicit-def: $vgpr3_vgpr4
.LBB135_473:
	s_and_b64 vcc, exec, s[0:1]
	s_cbranch_vccz .LBB135_475
; %bb.474:
	global_load_ubyte v3, v[0:1], off
	s_mov_b32 s0, 0x7f800000
	s_waitcnt vmcnt(0)
	v_lshlrev_b32_e32 v3, 24, v3
	v_and_b32_e32 v4, 0x7f000000, v3
	v_ffbh_u32_e32 v5, v4
	v_min_u32_e32 v5, 32, v5
	v_sub_u32_e64 v5, v5, 4 clamp
	v_lshlrev_b32_e32 v7, v5, v4
	v_lshlrev_b32_e32 v5, 23, v5
	v_lshrrev_b32_e32 v7, 4, v7
	v_add_u32_e32 v6, 0x1000000, v4
	v_sub_u32_e32 v5, v7, v5
	v_ashrrev_i32_e32 v6, 8, v6
	v_add_u32_e32 v5, 0x3c000000, v5
	v_and_or_b32 v5, v6, s0, v5
	v_cmp_ne_u32_e32 vcc, 0, v4
	v_cndmask_b32_e32 v4, 0, v5, vcc
	s_brev_b32 s0, 1
	v_and_or_b32 v3, v3, s0, v4
	v_cvt_f64_f32_e32 v[3:4], v3
.LBB135_475:
	s_mov_b64 s[0:1], 0
.LBB135_476:
	s_andn2_b64 vcc, exec, s[0:1]
	s_cbranch_vccnz .LBB135_478
; %bb.477:
	global_load_ubyte v3, v[0:1], off
	s_movk_i32 s0, 0x7f00
	s_brev_b32 s1, 16
	s_waitcnt vmcnt(0)
	v_lshlrev_b16_e32 v4, 8, v3
	v_lshlrev_b32_e32 v3, 25, v3
	v_lshrrev_b32_e32 v5, 4, v3
	v_and_or_b32 v6, v4, s0, 0.5
	v_or_b32_e32 v5, 0x70000000, v5
	v_add_f32_e32 v6, -0.5, v6
	v_mul_f32_e32 v5, 0x7800000, v5
	v_cmp_gt_u32_e32 vcc, s1, v3
	v_bfe_i32 v4, v4, 0, 16
	v_cndmask_b32_e32 v3, v5, v6, vcc
	s_brev_b32 s0, 1
	v_and_or_b32 v3, v4, s0, v3
	v_cvt_f64_f32_e32 v[3:4], v3
.LBB135_478:
	s_mov_b64 s[16:17], 0
	s_mov_b64 s[0:1], -1
.LBB135_479:
	s_andn2_b64 vcc, exec, s[16:17]
	s_cbranch_vccnz .LBB135_490
; %bb.480:
	s_cmp_gt_i32 s20, 14
	s_cbranch_scc0 .LBB135_483
; %bb.481:
	s_cmp_eq_u32 s20, 15
	s_cbranch_scc0 .LBB135_484
; %bb.482:
	global_load_ushort v3, v[0:1], off
	s_mov_b64 s[0:1], -1
	s_mov_b64 s[2:3], 0
	s_waitcnt vmcnt(0)
	v_lshlrev_b32_e32 v3, 16, v3
	v_cvt_f64_f32_e32 v[3:4], v3
	s_branch .LBB135_485
.LBB135_483:
	s_mov_b64 s[16:17], -1
                                        ; implicit-def: $vgpr3_vgpr4
	s_branch .LBB135_486
.LBB135_484:
	s_mov_b64 s[2:3], -1
                                        ; implicit-def: $vgpr3_vgpr4
.LBB135_485:
	s_mov_b64 s[16:17], 0
.LBB135_486:
	s_and_b64 vcc, exec, s[16:17]
	s_cbranch_vccz .LBB135_490
; %bb.487:
	s_cmp_eq_u32 s20, 11
	s_cbranch_scc0 .LBB135_489
; %bb.488:
	global_load_ubyte v4, v[0:1], off
	v_mov_b32_e32 v5, 0x3ff00000
	s_waitcnt vmcnt(1)
	v_mov_b32_e32 v3, 0
	s_mov_b64 s[0:1], -1
	s_mov_b64 s[2:3], 0
	s_waitcnt vmcnt(0)
	v_cmp_ne_u16_e32 vcc, 0, v4
	v_cndmask_b32_e32 v4, 0, v5, vcc
	s_branch .LBB135_490
.LBB135_489:
	s_mov_b64 s[2:3], -1
                                        ; implicit-def: $vgpr3_vgpr4
.LBB135_490:
	s_branch .LBB135_293
.LBB135_491:
	s_cmp_lt_i32 s20, 5
	s_cbranch_scc1 .LBB135_496
; %bb.492:
	s_cmp_lt_i32 s20, 8
	s_cbranch_scc1 .LBB135_497
; %bb.493:
	;; [unrolled: 3-line block ×3, first 2 shown]
	s_cmp_gt_i32 s20, 9
	s_cbranch_scc0 .LBB135_499
; %bb.495:
	global_load_dwordx2 v[3:4], v[0:1], off
	s_mov_b64 s[0:1], 0
	s_branch .LBB135_500
.LBB135_496:
	s_mov_b64 s[0:1], -1
                                        ; implicit-def: $vgpr3_vgpr4
	s_branch .LBB135_518
.LBB135_497:
	s_mov_b64 s[0:1], -1
                                        ; implicit-def: $vgpr3_vgpr4
	s_branch .LBB135_506
.LBB135_498:
	s_mov_b64 s[0:1], -1
                                        ; implicit-def: $vgpr3_vgpr4
	s_branch .LBB135_503
.LBB135_499:
	s_mov_b64 s[0:1], -1
                                        ; implicit-def: $vgpr3_vgpr4
.LBB135_500:
	s_andn2_b64 vcc, exec, s[0:1]
	s_cbranch_vccnz .LBB135_502
; %bb.501:
	global_load_dword v3, v[0:1], off
	s_waitcnt vmcnt(0)
	v_cvt_f64_f32_e32 v[3:4], v3
.LBB135_502:
	s_mov_b64 s[0:1], 0
.LBB135_503:
	s_andn2_b64 vcc, exec, s[0:1]
	s_cbranch_vccnz .LBB135_505
; %bb.504:
	global_load_dword v3, v[0:1], off
	s_waitcnt vmcnt(0)
	v_cvt_f32_f16_e32 v3, v3
	v_cvt_f64_f32_e32 v[3:4], v3
.LBB135_505:
	s_mov_b64 s[0:1], 0
.LBB135_506:
	s_andn2_b64 vcc, exec, s[0:1]
	s_cbranch_vccnz .LBB135_517
; %bb.507:
	s_cmp_lt_i32 s20, 6
	s_cbranch_scc1 .LBB135_510
; %bb.508:
	s_cmp_gt_i32 s20, 6
	s_cbranch_scc0 .LBB135_511
; %bb.509:
	global_load_dwordx2 v[3:4], v[0:1], off
	s_mov_b64 s[0:1], 0
	s_branch .LBB135_512
.LBB135_510:
	s_mov_b64 s[0:1], -1
                                        ; implicit-def: $vgpr3_vgpr4
	s_branch .LBB135_515
.LBB135_511:
	s_mov_b64 s[0:1], -1
                                        ; implicit-def: $vgpr3_vgpr4
.LBB135_512:
	s_andn2_b64 vcc, exec, s[0:1]
	s_cbranch_vccnz .LBB135_514
; %bb.513:
	global_load_dword v3, v[0:1], off
	s_waitcnt vmcnt(0)
	v_cvt_f64_f32_e32 v[3:4], v3
.LBB135_514:
	s_mov_b64 s[0:1], 0
.LBB135_515:
	s_andn2_b64 vcc, exec, s[0:1]
	s_cbranch_vccnz .LBB135_517
; %bb.516:
	global_load_ushort v3, v[0:1], off
	s_waitcnt vmcnt(0)
	v_cvt_f32_f16_e32 v3, v3
	v_cvt_f64_f32_e32 v[3:4], v3
.LBB135_517:
	s_mov_b64 s[0:1], 0
.LBB135_518:
	s_andn2_b64 vcc, exec, s[0:1]
	s_cbranch_vccnz .LBB135_538
; %bb.519:
	s_cmp_lt_i32 s20, 2
	s_cbranch_scc1 .LBB135_523
; %bb.520:
	s_cmp_lt_i32 s20, 3
	s_cbranch_scc1 .LBB135_524
; %bb.521:
	s_cmp_gt_i32 s20, 3
	s_cbranch_scc0 .LBB135_525
; %bb.522:
	global_load_dwordx2 v[3:4], v[0:1], off
	s_mov_b64 s[0:1], 0
	s_waitcnt vmcnt(0)
	v_cvt_f64_i32_e32 v[4:5], v4
	v_cvt_f64_u32_e32 v[6:7], v3
	v_ldexp_f64 v[4:5], v[4:5], 32
	v_add_f64 v[3:4], v[4:5], v[6:7]
	s_branch .LBB135_526
.LBB135_523:
	s_mov_b64 s[0:1], -1
                                        ; implicit-def: $vgpr3_vgpr4
	s_branch .LBB135_532
.LBB135_524:
	s_mov_b64 s[0:1], -1
                                        ; implicit-def: $vgpr3_vgpr4
	s_branch .LBB135_529
.LBB135_525:
	s_mov_b64 s[0:1], -1
                                        ; implicit-def: $vgpr3_vgpr4
.LBB135_526:
	s_andn2_b64 vcc, exec, s[0:1]
	s_cbranch_vccnz .LBB135_528
; %bb.527:
	global_load_dword v3, v[0:1], off
	s_waitcnt vmcnt(0)
	v_cvt_f64_i32_e32 v[3:4], v3
.LBB135_528:
	s_mov_b64 s[0:1], 0
.LBB135_529:
	s_andn2_b64 vcc, exec, s[0:1]
	s_cbranch_vccnz .LBB135_531
; %bb.530:
	global_load_sshort v3, v[0:1], off
	s_waitcnt vmcnt(0)
	v_cvt_f64_i32_e32 v[3:4], v3
.LBB135_531:
	s_mov_b64 s[0:1], 0
.LBB135_532:
	s_andn2_b64 vcc, exec, s[0:1]
	s_cbranch_vccnz .LBB135_538
; %bb.533:
	s_cmp_gt_i32 s20, 0
	s_cbranch_scc0 .LBB135_535
; %bb.534:
	global_load_sbyte v3, v[0:1], off
	s_mov_b64 s[0:1], 0
	s_waitcnt vmcnt(0)
	v_cvt_f64_i32_e32 v[3:4], v3
	s_branch .LBB135_536
.LBB135_535:
	s_mov_b64 s[0:1], -1
                                        ; implicit-def: $vgpr3_vgpr4
.LBB135_536:
	s_andn2_b64 vcc, exec, s[0:1]
	s_cbranch_vccnz .LBB135_538
; %bb.537:
	global_load_ubyte v0, v[0:1], off
	s_waitcnt vmcnt(0)
	v_cvt_f64_u32_e32 v[3:4], v0
.LBB135_538:
	s_branch .LBB135_294
.LBB135_539:
	s_mov_b64 s[16:17], 0
	s_mov_b64 s[0:1], s[58:59]
.LBB135_540:
                                        ; implicit-def: $vgpr10
.LBB135_541:
	s_andn2_b64 s[18:19], s[58:59], exec
	s_and_b64 s[0:1], s[0:1], exec
	s_or_b64 s[66:67], s[18:19], s[0:1]
	s_andn2_b64 s[0:1], s[60:61], exec
	s_and_b64 s[2:3], s[2:3], exec
	s_or_b64 s[64:65], s[0:1], s[2:3]
	s_orn2_b64 s[0:1], s[16:17], exec
.LBB135_542:
	s_or_b64 exec, exec, s[68:69]
	s_mov_b64 s[2:3], 0
	s_mov_b64 s[16:17], 0
	s_mov_b64 s[18:19], 0
                                        ; implicit-def: $vgpr0_vgpr1
                                        ; implicit-def: $vgpr2
                                        ; implicit-def: $vgpr6_vgpr7
	s_and_saveexec_b64 s[68:69], s[0:1]
	s_cbranch_execz .LBB135_917
; %bb.543:
	v_cmp_gt_i32_e32 vcc, s76, v10
	s_mov_b64 s[2:3], -1
	s_mov_b64 s[72:73], s[64:65]
	s_mov_b64 s[74:75], s[66:67]
	s_and_saveexec_b64 s[70:71], vcc
	s_cbranch_execz .LBB135_817
; %bb.544:
	s_andn2_b64 vcc, exec, s[44:45]
	s_cbranch_vccnz .LBB135_549
; %bb.545:
	s_andn2_b64 vcc, exec, s[56:57]
	s_cbranch_vccnz .LBB135_550
; %bb.546:
	s_add_i32 s82, s81, 1
	s_cmp_eq_u32 s78, 2
	s_cbranch_scc1 .LBB135_551
; %bb.547:
	s_and_b32 s77, s82, 28
	v_mov_b32_e32 v0, 0
	s_mov_b32 s83, 0
	s_mov_b64 s[72:73], s[34:35]
	s_mov_b64 s[74:75], s[54:55]
	v_mov_b32_e32 v2, 0
	v_mov_b32_e32 v1, v10
.LBB135_548:                            ; =>This Inner Loop Header: Depth=1
	s_load_dwordx8 s[24:31], s[72:73], 0x4
	s_load_dwordx4 s[0:3], s[72:73], 0x24
	s_load_dwordx8 s[16:23], s[74:75], 0x0
	s_add_u32 s72, s72, 48
	s_addc_u32 s73, s73, 0
	s_waitcnt vmcnt(0) lgkmcnt(0)
	v_mul_hi_u32 v3, s25, v1
	s_add_i32 s83, s83, 4
	s_add_u32 s74, s74, 32
	s_addc_u32 s75, s75, 0
	v_add_u32_e32 v3, v1, v3
	v_lshrrev_b32_e32 v3, s26, v3
	v_mul_lo_u32 v4, v3, s24
	v_mul_hi_u32 v5, s28, v3
	s_cmp_eq_u32 s77, s83
	v_sub_u32_e32 v1, v1, v4
	v_add_u32_e32 v4, v3, v5
	v_mul_lo_u32 v5, v1, s16
	v_mul_lo_u32 v6, v1, s17
	v_lshrrev_b32_e32 v1, s29, v4
	v_mul_lo_u32 v4, v1, s27
	v_mul_hi_u32 v7, s31, v1
	v_sub_u32_e32 v3, v3, v4
	v_add_u32_e32 v4, v1, v7
	v_lshrrev_b32_e32 v4, s0, v4
	v_mul_hi_u32 v8, s2, v4
	v_mul_lo_u32 v9, v4, s30
	v_mul_lo_u32 v7, v3, s18
	;; [unrolled: 1-line block ×3, first 2 shown]
	v_sub_u32_e32 v9, v1, v9
	v_add_u32_e32 v1, v4, v8
	v_lshrrev_b32_e32 v1, s3, v1
	v_mul_lo_u32 v8, v1, s1
	v_mul_lo_u32 v11, v9, s20
	v_mul_lo_u32 v9, v9, s21
	v_add3_u32 v2, v5, v2, v7
	v_sub_u32_e32 v4, v4, v8
	v_mul_lo_u32 v8, v4, s22
	v_mul_lo_u32 v4, v4, s23
	v_add3_u32 v0, v6, v0, v3
	v_add3_u32 v2, v11, v2, v8
	;; [unrolled: 1-line block ×3, first 2 shown]
	s_cbranch_scc0 .LBB135_548
	s_branch .LBB135_552
.LBB135_549:
	s_mov_b64 s[0:1], -1
                                        ; implicit-def: $vgpr2
                                        ; implicit-def: $vgpr0
	s_branch .LBB135_556
.LBB135_550:
	v_mov_b32_e32 v2, 0
	v_mov_b32_e32 v0, 0
	s_branch .LBB135_555
.LBB135_551:
	s_mov_b32 s77, 0
	v_mov_b32_e32 v2, 0
	v_mov_b32_e32 v0, 0
	;; [unrolled: 1-line block ×3, first 2 shown]
.LBB135_552:
	s_and_b32 s16, s82, 3
	s_cmp_eq_u32 s16, 0
	s_cbranch_scc1 .LBB135_555
; %bb.553:
	s_lshl_b32 s0, s77, 3
	s_add_u32 s0, s34, s0
	s_addc_u32 s1, s35, 0
	s_add_u32 s0, s0, 0xc4
	s_addc_u32 s1, s1, 0
	s_mul_i32 s2, s77, 12
	s_add_u32 s2, s34, s2
	s_addc_u32 s3, s35, 0
.LBB135_554:                            ; =>This Inner Loop Header: Depth=1
	s_load_dwordx2 s[18:19], s[2:3], 0x4
	s_load_dword s17, s[2:3], 0xc
	s_load_dwordx2 s[20:21], s[0:1], 0x0
	s_add_u32 s2, s2, 12
	s_addc_u32 s3, s3, 0
	s_waitcnt vmcnt(0) lgkmcnt(0)
	v_mul_hi_u32 v3, s19, v1
	s_add_u32 s0, s0, 8
	s_addc_u32 s1, s1, 0
	s_add_i32 s16, s16, -1
	v_add_u32_e32 v3, v1, v3
	v_lshrrev_b32_e32 v4, s17, v3
	v_mul_lo_u32 v3, v4, s18
	s_cmp_lg_u32 s16, 0
	v_sub_u32_e32 v1, v1, v3
	v_mad_u64_u32 v[2:3], s[18:19], v1, s20, v[2:3]
	v_mad_u64_u32 v[0:1], s[18:19], v1, s21, v[0:1]
	v_mov_b32_e32 v1, v4
	s_cbranch_scc1 .LBB135_554
.LBB135_555:
	s_mov_b64 s[0:1], 0
.LBB135_556:
	s_andn2_b64 vcc, exec, s[0:1]
	s_cbranch_vccnz .LBB135_559
; %bb.557:
	v_mul_hi_u32 v0, s37, v10
	s_andn2_b64 vcc, exec, s[52:53]
	v_add_u32_e32 v0, v10, v0
	v_lshrrev_b32_e32 v1, s38, v0
	v_mul_lo_u32 v0, v1, s36
	v_sub_u32_e32 v0, v10, v0
	v_mul_lo_u32 v2, v0, s40
	v_mul_lo_u32 v0, v0, s41
	s_cbranch_vccnz .LBB135_559
; %bb.558:
	s_waitcnt vmcnt(0)
	v_mul_hi_u32 v3, s50, v1
	v_add_u32_e32 v3, v1, v3
	v_lshrrev_b32_e32 v3, s51, v3
	v_mul_lo_u32 v3, v3, s39
	v_sub_u32_e32 v1, v1, v3
	v_mad_u64_u32 v[2:3], s[0:1], v1, s42, v[2:3]
	v_mad_u64_u32 v[0:1], s[0:1], v1, s43, v[0:1]
.LBB135_559:
	v_mov_b32_e32 v1, s11
	s_and_b32 s20, 0xffff, s80
	v_add_co_u32_e32 v0, vcc, s10, v0
	s_cmp_lt_i32 s20, 11
	v_addc_co_u32_e32 v1, vcc, 0, v1, vcc
	s_cbranch_scc1 .LBB135_566
; %bb.560:
	s_cmp_gt_i32 s20, 25
	s_cbranch_scc0 .LBB135_567
; %bb.561:
	s_cmp_gt_i32 s20, 28
	s_cbranch_scc0 .LBB135_568
; %bb.562:
	s_cmp_gt_i32 s20, 43
	s_cbranch_scc0 .LBB135_569
; %bb.563:
	s_cmp_gt_i32 s20, 45
	s_cbranch_scc0 .LBB135_572
; %bb.564:
	s_cmp_eq_u32 s20, 46
	s_mov_b64 s[16:17], 0
	s_cbranch_scc0 .LBB135_575
; %bb.565:
	global_load_dword v3, v[0:1], off
	s_mov_b64 s[0:1], -1
	s_mov_b64 s[2:3], 0
	s_waitcnt vmcnt(0)
	v_lshlrev_b32_e32 v3, 16, v3
	v_cvt_f64_f32_e32 v[3:4], v3
	s_branch .LBB135_576
.LBB135_566:
	s_mov_b64 s[16:17], -1
	s_mov_b64 s[0:1], 0
                                        ; implicit-def: $vgpr3_vgpr4
	s_mov_b64 s[2:3], s[64:65]
	s_branch .LBB135_641
.LBB135_567:
	s_mov_b64 s[16:17], -1
	s_mov_b64 s[0:1], 0
	s_mov_b64 s[2:3], s[64:65]
                                        ; implicit-def: $vgpr3_vgpr4
	s_branch .LBB135_607
.LBB135_568:
	s_mov_b64 s[16:17], -1
	s_mov_b64 s[0:1], 0
	s_mov_b64 s[2:3], s[64:65]
                                        ; implicit-def: $vgpr3_vgpr4
	s_branch .LBB135_586
.LBB135_569:
	s_mov_b64 s[16:17], -1
	s_mov_b64 s[0:1], 0
	s_mov_b64 s[2:3], s[64:65]
                                        ; implicit-def: $vgpr3_vgpr4
	s_branch .LBB135_581
.LBB135_570:
	s_andn2_saveexec_b64 s[20:21], s[20:21]
	s_cbranch_execz .LBB135_339
.LBB135_571:
	s_mov_b32 s24, 0x46000000
	v_add_f32_e64 v3, |v2|, s24
	v_and_b32_e32 v3, 0xff, v3
	v_cmp_ne_u32_e32 vcc, 0, v3
	s_andn2_b64 s[18:19], s[18:19], exec
	s_and_b64 s[24:25], vcc, exec
	s_or_b64 s[18:19], s[18:19], s[24:25]
	s_or_b64 exec, exec, s[20:21]
	v_mov_b32_e32 v6, 0
	s_and_saveexec_b64 s[20:21], s[18:19]
	s_cbranch_execnz .LBB135_340
	s_branch .LBB135_341
.LBB135_572:
	s_mov_b64 s[16:17], -1
	s_mov_b64 s[0:1], 0
	s_mov_b64 s[2:3], s[64:65]
                                        ; implicit-def: $vgpr3_vgpr4
	s_branch .LBB135_576
.LBB135_573:
	s_andn2_saveexec_b64 s[20:21], s[20:21]
	s_cbranch_execz .LBB135_352
.LBB135_574:
	s_mov_b32 s24, 0x42800000
	v_add_f32_e64 v3, |v2|, s24
	v_and_b32_e32 v3, 0xff, v3
	v_cmp_ne_u32_e32 vcc, 0, v3
	s_andn2_b64 s[18:19], s[18:19], exec
	s_and_b64 s[24:25], vcc, exec
	s_or_b64 s[18:19], s[18:19], s[24:25]
	s_or_b64 exec, exec, s[20:21]
	v_mov_b32_e32 v6, 0
	s_and_saveexec_b64 s[20:21], s[18:19]
	s_cbranch_execnz .LBB135_353
	s_branch .LBB135_354
.LBB135_575:
	s_mov_b64 s[2:3], -1
                                        ; implicit-def: $vgpr3_vgpr4
	s_mov_b64 s[0:1], 0
.LBB135_576:
	s_and_b64 vcc, exec, s[16:17]
	s_cbranch_vccz .LBB135_580
; %bb.577:
	s_cmp_eq_u32 s20, 44
	s_cbranch_scc0 .LBB135_579
; %bb.578:
	global_load_ubyte v5, v[0:1], off
	s_movk_i32 s2, 0xff
	v_bfrev_b32_e32 v6, 4
	v_mov_b32_e32 v7, 0x7ff80000
	v_bfrev_b32_e32 v8, 28
	s_mov_b64 s[0:1], -1
	s_waitcnt vmcnt(0)
	v_lshlrev_b32_e32 v3, 23, v5
	v_cvt_f64_f32_e32 v[3:4], v3
	v_cmp_ne_u32_e32 vcc, s2, v5
	s_mov_b64 s[2:3], 0
	v_cndmask_b32_e32 v3, v6, v3, vcc
	v_cndmask_b32_e32 v4, v7, v4, vcc
	v_cmp_ne_u32_e32 vcc, 0, v5
	v_cndmask_b32_e32 v4, v8, v4, vcc
	v_cndmask_b32_e32 v3, 0, v3, vcc
	s_branch .LBB135_580
.LBB135_579:
	s_mov_b64 s[2:3], -1
                                        ; implicit-def: $vgpr3_vgpr4
.LBB135_580:
	s_mov_b64 s[16:17], 0
.LBB135_581:
	s_and_b64 vcc, exec, s[16:17]
	s_cbranch_vccz .LBB135_585
; %bb.582:
	s_cmp_eq_u32 s20, 29
	s_cbranch_scc0 .LBB135_584
; %bb.583:
	global_load_dwordx2 v[3:4], v[0:1], off
	s_mov_b64 s[0:1], -1
	s_mov_b64 s[2:3], 0
	s_mov_b64 s[16:17], 0
	s_waitcnt vmcnt(0)
	v_cvt_f64_u32_e32 v[4:5], v4
	v_cvt_f64_u32_e32 v[6:7], v3
	v_ldexp_f64 v[4:5], v[4:5], 32
	v_add_f64 v[3:4], v[4:5], v[6:7]
	s_branch .LBB135_586
.LBB135_584:
	s_mov_b64 s[2:3], -1
                                        ; implicit-def: $vgpr3_vgpr4
.LBB135_585:
	s_mov_b64 s[16:17], 0
.LBB135_586:
	s_and_b64 vcc, exec, s[16:17]
	s_cbranch_vccz .LBB135_606
; %bb.587:
	s_cmp_lt_i32 s20, 27
	s_cbranch_scc1 .LBB135_590
; %bb.588:
	s_cmp_gt_i32 s20, 27
	s_cbranch_scc0 .LBB135_591
; %bb.589:
	global_load_dword v3, v[0:1], off
	s_mov_b64 s[0:1], 0
	s_waitcnt vmcnt(0)
	v_cvt_f64_u32_e32 v[3:4], v3
	s_branch .LBB135_592
.LBB135_590:
	s_mov_b64 s[0:1], -1
                                        ; implicit-def: $vgpr3_vgpr4
	s_branch .LBB135_595
.LBB135_591:
	s_mov_b64 s[0:1], -1
                                        ; implicit-def: $vgpr3_vgpr4
.LBB135_592:
	s_andn2_b64 vcc, exec, s[0:1]
	s_cbranch_vccnz .LBB135_594
; %bb.593:
	global_load_ushort v3, v[0:1], off
	s_waitcnt vmcnt(0)
	v_cvt_f64_u32_e32 v[3:4], v3
.LBB135_594:
	s_mov_b64 s[0:1], 0
.LBB135_595:
	s_andn2_b64 vcc, exec, s[0:1]
	s_cbranch_vccnz .LBB135_605
; %bb.596:
	global_load_ubyte v5, v[0:1], off
	s_movk_i32 s0, 0x7f
	s_waitcnt vmcnt(0)
	v_cmp_lt_i16_e32 vcc, s0, v5
	s_mov_b64 s[0:1], 0
	s_and_saveexec_b64 s[16:17], vcc
	s_xor_b64 s[16:17], exec, s[16:17]
	s_cbranch_execz .LBB135_600
; %bb.597:
	s_movk_i32 s0, 0x80
	v_cmp_eq_u16_e32 vcc, s0, v5
	s_mov_b64 s[0:1], -1
	s_and_saveexec_b64 s[18:19], vcc
; %bb.598:
	s_xor_b64 s[0:1], exec, -1
; %bb.599:
	s_or_b64 exec, exec, s[18:19]
	s_and_b64 s[0:1], s[0:1], exec
.LBB135_600:
	s_or_saveexec_b64 s[16:17], s[16:17]
	v_bfrev_b32_e32 v3, 4
	v_mov_b32_e32 v4, 0x7ff80000
	s_xor_b64 exec, exec, s[16:17]
; %bb.601:
	v_cmp_ne_u16_e32 vcc, 0, v5
	v_mov_b32_e32 v3, 0
	s_andn2_b64 s[0:1], s[0:1], exec
	s_and_b64 s[18:19], vcc, exec
	v_mov_b32_e32 v4, 0
	s_or_b64 s[0:1], s[0:1], s[18:19]
; %bb.602:
	s_or_b64 exec, exec, s[16:17]
	s_and_saveexec_b64 s[16:17], s[0:1]
	s_cbranch_execz .LBB135_604
; %bb.603:
	v_and_b32_e32 v4, 0xffff, v5
	v_lshlrev_b32_e32 v3, 24, v5
	v_and_b32_e32 v5, 7, v4
	v_ffbh_u32_e32 v7, v5
	v_min_u32_e32 v7, 32, v7
	v_subrev_u32_e32 v8, 28, v7
	v_bfe_u32 v6, v4, 3, 4
	v_lshlrev_b32_e32 v4, v8, v4
	v_sub_u32_e32 v7, 29, v7
	v_and_b32_e32 v4, 7, v4
	v_cmp_eq_u32_e32 vcc, 0, v6
	v_cndmask_b32_e32 v6, v6, v7, vcc
	v_cndmask_b32_e32 v4, v5, v4, vcc
	v_mov_b32_e32 v5, 0x3b800000
	v_lshlrev_b32_e32 v4, 20, v4
	v_and_b32_e32 v3, 0x80000000, v3
	v_lshl_add_u32 v5, v6, 23, v5
	v_or3_b32 v3, v3, v5, v4
	v_cvt_f64_f32_e32 v[3:4], v3
.LBB135_604:
	s_or_b64 exec, exec, s[16:17]
.LBB135_605:
	s_mov_b64 s[0:1], -1
.LBB135_606:
	s_mov_b64 s[16:17], 0
.LBB135_607:
	s_and_b64 vcc, exec, s[16:17]
	s_cbranch_vccz .LBB135_640
; %bb.608:
	s_cmp_gt_i32 s20, 22
	s_cbranch_scc0 .LBB135_620
; %bb.609:
	s_cmp_lt_i32 s20, 24
	s_cbranch_scc1 .LBB135_621
; %bb.610:
	s_cmp_gt_i32 s20, 24
	s_cbranch_scc0 .LBB135_622
; %bb.611:
	global_load_ubyte v5, v[0:1], off
	s_movk_i32 s0, 0x7f
	s_waitcnt vmcnt(0)
	v_cmp_lt_i16_e32 vcc, s0, v5
	s_mov_b64 s[0:1], 0
	s_and_saveexec_b64 s[16:17], vcc
	s_xor_b64 s[16:17], exec, s[16:17]
	s_cbranch_execz .LBB135_615
; %bb.612:
	s_movk_i32 s0, 0x80
	v_cmp_eq_u16_e32 vcc, s0, v5
	s_mov_b64 s[0:1], -1
	s_and_saveexec_b64 s[18:19], vcc
; %bb.613:
	s_xor_b64 s[0:1], exec, -1
; %bb.614:
	s_or_b64 exec, exec, s[18:19]
	s_and_b64 s[0:1], s[0:1], exec
.LBB135_615:
	s_or_saveexec_b64 s[16:17], s[16:17]
	v_bfrev_b32_e32 v3, 4
	v_mov_b32_e32 v4, 0x7ff80000
	s_xor_b64 exec, exec, s[16:17]
; %bb.616:
	v_cmp_ne_u16_e32 vcc, 0, v5
	v_mov_b32_e32 v3, 0
	s_andn2_b64 s[0:1], s[0:1], exec
	s_and_b64 s[18:19], vcc, exec
	v_mov_b32_e32 v4, 0
	s_or_b64 s[0:1], s[0:1], s[18:19]
; %bb.617:
	s_or_b64 exec, exec, s[16:17]
	s_and_saveexec_b64 s[16:17], s[0:1]
	s_cbranch_execz .LBB135_619
; %bb.618:
	v_and_b32_e32 v4, 0xffff, v5
	v_lshlrev_b32_e32 v3, 24, v5
	v_and_b32_e32 v5, 3, v4
	v_ffbh_u32_e32 v7, v5
	v_min_u32_e32 v7, 32, v7
	v_subrev_u32_e32 v8, 29, v7
	v_bfe_u32 v6, v4, 2, 5
	v_lshlrev_b32_e32 v4, v8, v4
	v_sub_u32_e32 v7, 30, v7
	v_and_b32_e32 v4, 3, v4
	v_cmp_eq_u32_e32 vcc, 0, v6
	v_cndmask_b32_e32 v6, v6, v7, vcc
	v_cndmask_b32_e32 v4, v5, v4, vcc
	v_mov_b32_e32 v5, 0x37800000
	v_lshlrev_b32_e32 v4, 21, v4
	v_and_b32_e32 v3, 0x80000000, v3
	v_lshl_add_u32 v5, v6, 23, v5
	v_or3_b32 v3, v3, v5, v4
	v_cvt_f64_f32_e32 v[3:4], v3
.LBB135_619:
	s_or_b64 exec, exec, s[16:17]
	s_mov_b64 s[0:1], 0
	s_branch .LBB135_623
.LBB135_620:
	s_mov_b64 s[16:17], -1
                                        ; implicit-def: $vgpr3_vgpr4
	s_branch .LBB135_629
.LBB135_621:
	s_mov_b64 s[0:1], -1
                                        ; implicit-def: $vgpr3_vgpr4
	s_branch .LBB135_626
.LBB135_622:
	s_mov_b64 s[0:1], -1
                                        ; implicit-def: $vgpr3_vgpr4
.LBB135_623:
	s_and_b64 vcc, exec, s[0:1]
	s_cbranch_vccz .LBB135_625
; %bb.624:
	global_load_ubyte v3, v[0:1], off
	s_mov_b32 s0, 0x7f800000
	s_waitcnt vmcnt(0)
	v_lshlrev_b32_e32 v3, 24, v3
	v_and_b32_e32 v4, 0x7f000000, v3
	v_ffbh_u32_e32 v5, v4
	v_min_u32_e32 v5, 32, v5
	v_sub_u32_e64 v5, v5, 4 clamp
	v_lshlrev_b32_e32 v7, v5, v4
	v_lshlrev_b32_e32 v5, 23, v5
	v_lshrrev_b32_e32 v7, 4, v7
	v_add_u32_e32 v6, 0x1000000, v4
	v_sub_u32_e32 v5, v7, v5
	v_ashrrev_i32_e32 v6, 8, v6
	v_add_u32_e32 v5, 0x3c000000, v5
	v_and_or_b32 v5, v6, s0, v5
	v_cmp_ne_u32_e32 vcc, 0, v4
	v_cndmask_b32_e32 v4, 0, v5, vcc
	s_brev_b32 s0, 1
	v_and_or_b32 v3, v3, s0, v4
	v_cvt_f64_f32_e32 v[3:4], v3
.LBB135_625:
	s_mov_b64 s[0:1], 0
.LBB135_626:
	s_andn2_b64 vcc, exec, s[0:1]
	s_cbranch_vccnz .LBB135_628
; %bb.627:
	global_load_ubyte v3, v[0:1], off
	s_movk_i32 s0, 0x7f00
	s_brev_b32 s1, 16
	s_waitcnt vmcnt(0)
	v_lshlrev_b16_e32 v4, 8, v3
	v_lshlrev_b32_e32 v3, 25, v3
	v_lshrrev_b32_e32 v5, 4, v3
	v_and_or_b32 v6, v4, s0, 0.5
	v_or_b32_e32 v5, 0x70000000, v5
	v_add_f32_e32 v6, -0.5, v6
	v_mul_f32_e32 v5, 0x7800000, v5
	v_cmp_gt_u32_e32 vcc, s1, v3
	v_bfe_i32 v4, v4, 0, 16
	v_cndmask_b32_e32 v3, v5, v6, vcc
	s_brev_b32 s0, 1
	v_and_or_b32 v3, v4, s0, v3
	v_cvt_f64_f32_e32 v[3:4], v3
.LBB135_628:
	s_mov_b64 s[16:17], 0
	s_mov_b64 s[0:1], -1
.LBB135_629:
	s_andn2_b64 vcc, exec, s[16:17]
	s_cbranch_vccnz .LBB135_640
; %bb.630:
	s_cmp_gt_i32 s20, 14
	s_cbranch_scc0 .LBB135_633
; %bb.631:
	s_cmp_eq_u32 s20, 15
	s_cbranch_scc0 .LBB135_634
; %bb.632:
	global_load_ushort v3, v[0:1], off
	s_mov_b64 s[0:1], -1
	s_mov_b64 s[2:3], 0
	s_waitcnt vmcnt(0)
	v_lshlrev_b32_e32 v3, 16, v3
	v_cvt_f64_f32_e32 v[3:4], v3
	s_branch .LBB135_635
.LBB135_633:
	s_mov_b64 s[16:17], -1
                                        ; implicit-def: $vgpr3_vgpr4
	s_branch .LBB135_636
.LBB135_634:
	s_mov_b64 s[2:3], -1
                                        ; implicit-def: $vgpr3_vgpr4
.LBB135_635:
	s_mov_b64 s[16:17], 0
.LBB135_636:
	s_and_b64 vcc, exec, s[16:17]
	s_cbranch_vccz .LBB135_640
; %bb.637:
	s_cmp_eq_u32 s20, 11
	s_cbranch_scc0 .LBB135_639
; %bb.638:
	global_load_ubyte v4, v[0:1], off
	v_mov_b32_e32 v5, 0x3ff00000
	s_waitcnt vmcnt(1)
	v_mov_b32_e32 v3, 0
	s_mov_b64 s[0:1], -1
	s_mov_b64 s[2:3], 0
	s_waitcnt vmcnt(0)
	v_cmp_ne_u16_e32 vcc, 0, v4
	v_cndmask_b32_e32 v4, 0, v5, vcc
	s_branch .LBB135_640
.LBB135_639:
	s_mov_b64 s[2:3], -1
                                        ; implicit-def: $vgpr3_vgpr4
.LBB135_640:
	s_mov_b64 s[16:17], 0
.LBB135_641:
	s_and_b64 vcc, exec, s[16:17]
	s_cbranch_vccz .LBB135_690
; %bb.642:
	s_cmp_lt_i32 s20, 5
	s_cbranch_scc1 .LBB135_647
; %bb.643:
	s_cmp_lt_i32 s20, 8
	s_cbranch_scc1 .LBB135_648
; %bb.644:
	s_cmp_lt_i32 s20, 9
	s_cbranch_scc1 .LBB135_649
; %bb.645:
	s_cmp_gt_i32 s20, 9
	s_cbranch_scc0 .LBB135_650
; %bb.646:
	global_load_dwordx2 v[3:4], v[0:1], off
	s_mov_b64 s[0:1], 0
	s_branch .LBB135_651
.LBB135_647:
	s_mov_b64 s[0:1], -1
                                        ; implicit-def: $vgpr3_vgpr4
	s_branch .LBB135_669
.LBB135_648:
	s_mov_b64 s[0:1], -1
                                        ; implicit-def: $vgpr3_vgpr4
	s_branch .LBB135_657
.LBB135_649:
	s_mov_b64 s[0:1], -1
                                        ; implicit-def: $vgpr3_vgpr4
	s_branch .LBB135_654
.LBB135_650:
	s_mov_b64 s[0:1], -1
                                        ; implicit-def: $vgpr3_vgpr4
.LBB135_651:
	s_andn2_b64 vcc, exec, s[0:1]
	s_cbranch_vccnz .LBB135_653
; %bb.652:
	global_load_dword v3, v[0:1], off
	s_waitcnt vmcnt(0)
	v_cvt_f64_f32_e32 v[3:4], v3
.LBB135_653:
	s_mov_b64 s[0:1], 0
.LBB135_654:
	s_andn2_b64 vcc, exec, s[0:1]
	s_cbranch_vccnz .LBB135_656
; %bb.655:
	global_load_dword v3, v[0:1], off
	s_waitcnt vmcnt(0)
	v_cvt_f32_f16_e32 v3, v3
	v_cvt_f64_f32_e32 v[3:4], v3
.LBB135_656:
	s_mov_b64 s[0:1], 0
.LBB135_657:
	s_andn2_b64 vcc, exec, s[0:1]
	s_cbranch_vccnz .LBB135_668
; %bb.658:
	s_cmp_lt_i32 s20, 6
	s_cbranch_scc1 .LBB135_661
; %bb.659:
	s_cmp_gt_i32 s20, 6
	s_cbranch_scc0 .LBB135_662
; %bb.660:
	global_load_dwordx2 v[3:4], v[0:1], off
	s_mov_b64 s[0:1], 0
	s_branch .LBB135_663
.LBB135_661:
	s_mov_b64 s[0:1], -1
                                        ; implicit-def: $vgpr3_vgpr4
	s_branch .LBB135_666
.LBB135_662:
	s_mov_b64 s[0:1], -1
                                        ; implicit-def: $vgpr3_vgpr4
.LBB135_663:
	s_andn2_b64 vcc, exec, s[0:1]
	s_cbranch_vccnz .LBB135_665
; %bb.664:
	global_load_dword v3, v[0:1], off
	s_waitcnt vmcnt(0)
	v_cvt_f64_f32_e32 v[3:4], v3
.LBB135_665:
	s_mov_b64 s[0:1], 0
.LBB135_666:
	s_andn2_b64 vcc, exec, s[0:1]
	s_cbranch_vccnz .LBB135_668
; %bb.667:
	global_load_ushort v3, v[0:1], off
	s_waitcnt vmcnt(0)
	v_cvt_f32_f16_e32 v3, v3
	v_cvt_f64_f32_e32 v[3:4], v3
.LBB135_668:
	s_mov_b64 s[0:1], 0
.LBB135_669:
	s_andn2_b64 vcc, exec, s[0:1]
	s_cbranch_vccnz .LBB135_689
; %bb.670:
	s_cmp_lt_i32 s20, 2
	s_cbranch_scc1 .LBB135_674
; %bb.671:
	s_cmp_lt_i32 s20, 3
	s_cbranch_scc1 .LBB135_675
; %bb.672:
	s_cmp_gt_i32 s20, 3
	s_cbranch_scc0 .LBB135_676
; %bb.673:
	global_load_dwordx2 v[3:4], v[0:1], off
	s_mov_b64 s[0:1], 0
	s_waitcnt vmcnt(0)
	v_cvt_f64_i32_e32 v[4:5], v4
	v_cvt_f64_u32_e32 v[6:7], v3
	v_ldexp_f64 v[4:5], v[4:5], 32
	v_add_f64 v[3:4], v[4:5], v[6:7]
	s_branch .LBB135_677
.LBB135_674:
	s_mov_b64 s[0:1], -1
                                        ; implicit-def: $vgpr3_vgpr4
	s_branch .LBB135_683
.LBB135_675:
	s_mov_b64 s[0:1], -1
                                        ; implicit-def: $vgpr3_vgpr4
	s_branch .LBB135_680
.LBB135_676:
	s_mov_b64 s[0:1], -1
                                        ; implicit-def: $vgpr3_vgpr4
.LBB135_677:
	s_andn2_b64 vcc, exec, s[0:1]
	s_cbranch_vccnz .LBB135_679
; %bb.678:
	global_load_dword v3, v[0:1], off
	s_waitcnt vmcnt(0)
	v_cvt_f64_i32_e32 v[3:4], v3
.LBB135_679:
	s_mov_b64 s[0:1], 0
.LBB135_680:
	s_andn2_b64 vcc, exec, s[0:1]
	s_cbranch_vccnz .LBB135_682
; %bb.681:
	global_load_sshort v3, v[0:1], off
	s_waitcnt vmcnt(0)
	v_cvt_f64_i32_e32 v[3:4], v3
.LBB135_682:
	s_mov_b64 s[0:1], 0
.LBB135_683:
	s_andn2_b64 vcc, exec, s[0:1]
	s_cbranch_vccnz .LBB135_689
; %bb.684:
	s_cmp_gt_i32 s20, 0
	s_cbranch_scc0 .LBB135_686
; %bb.685:
	global_load_sbyte v3, v[0:1], off
	s_mov_b64 s[0:1], 0
	s_waitcnt vmcnt(0)
	v_cvt_f64_i32_e32 v[3:4], v3
	s_branch .LBB135_687
.LBB135_686:
	s_mov_b64 s[0:1], -1
                                        ; implicit-def: $vgpr3_vgpr4
.LBB135_687:
	s_andn2_b64 vcc, exec, s[0:1]
	s_cbranch_vccnz .LBB135_689
; %bb.688:
	global_load_ubyte v0, v[0:1], off
	s_waitcnt vmcnt(0)
	v_cvt_f64_u32_e32 v[3:4], v0
.LBB135_689:
	s_mov_b64 s[0:1], -1
.LBB135_690:
	s_andn2_b64 vcc, exec, s[0:1]
	s_cbranch_vccnz .LBB135_698
; %bb.691:
	s_waitcnt vmcnt(0)
	v_cmp_nge_f64_e32 vcc, s[12:13], v[3:4]
	v_mov_b32_e32 v0, s15
	v_mov_b32_e32 v1, s49
	;; [unrolled: 1-line block ×5, first 2 shown]
	s_and_b32 s22, s79, 0xff
	s_cmp_lt_i32 s22, 11
	v_cndmask_b32_e32 v1, v0, v1, vcc
	v_cndmask_b32_e32 v0, v3, v4, vcc
	v_add_co_u32_e32 v4, vcc, s8, v2
	v_addc_co_u32_e32 v5, vcc, 0, v5, vcc
	s_cbranch_scc1 .LBB135_699
; %bb.692:
	s_and_b32 s23, 0xffff, s22
	s_cmp_gt_i32 s23, 25
	s_cbranch_scc0 .LBB135_700
; %bb.693:
	s_cmp_gt_i32 s23, 28
	s_cbranch_scc0 .LBB135_701
; %bb.694:
	;; [unrolled: 3-line block ×4, first 2 shown]
	s_mov_b64 s[18:19], 0
	s_mov_b64 s[0:1], -1
	s_cmp_eq_u32 s23, 46
	s_mov_b64 s[16:17], 0
	s_cbranch_scc0 .LBB135_704
; %bb.697:
	v_cvt_f32_f64_e32 v2, v[0:1]
	s_movk_i32 s0, 0x7fff
	v_mov_b32_e32 v3, 0x7fc0
	s_mov_b64 s[16:17], -1
	v_bfe_u32 v6, v2, 16, 1
	v_cmp_o_f32_e32 vcc, v2, v2
	v_add3_u32 v2, v2, v6, s0
	v_cndmask_b32_sdwa v2, v3, v2, vcc dst_sel:DWORD dst_unused:UNUSED_PAD src0_sel:DWORD src1_sel:WORD_1
	global_store_dword v[4:5], v2, off
	s_mov_b64 s[0:1], 0
	s_branch .LBB135_704
.LBB135_698:
	s_mov_b64 s[16:17], 0
	s_mov_b64 s[0:1], s[66:67]
	s_branch .LBB135_815
.LBB135_699:
	s_mov_b64 s[18:19], -1
	s_mov_b64 s[16:17], 0
	s_mov_b64 s[0:1], s[66:67]
	s_branch .LBB135_773
.LBB135_700:
	s_mov_b64 s[18:19], -1
	s_mov_b64 s[16:17], 0
	s_mov_b64 s[0:1], s[66:67]
	s_branch .LBB135_731
.LBB135_701:
	s_mov_b64 s[18:19], -1
	s_mov_b64 s[16:17], 0
	s_mov_b64 s[0:1], s[66:67]
	s_branch .LBB135_714
.LBB135_702:
	s_mov_b64 s[18:19], -1
	s_mov_b64 s[16:17], 0
	s_mov_b64 s[0:1], s[66:67]
	s_branch .LBB135_710
.LBB135_703:
	s_mov_b64 s[18:19], -1
	s_mov_b64 s[16:17], 0
	s_mov_b64 s[0:1], s[66:67]
.LBB135_704:
	s_and_b64 vcc, exec, s[18:19]
	s_cbranch_vccz .LBB135_709
; %bb.705:
	s_cmp_eq_u32 s23, 44
	s_mov_b64 s[0:1], -1
	s_cbranch_scc0 .LBB135_709
; %bb.706:
	v_cvt_f32_f64_e32 v2, v[0:1]
	s_movk_i32 s0, 0xff
	v_mov_b32_e32 v6, 0xff
	v_bfe_u32 v3, v2, 23, 8
	v_cmp_ne_u32_e32 vcc, s0, v3
	s_and_saveexec_b64 s[16:17], vcc
; %bb.707:
	s_mov_b32 s0, 0x3fffff
	v_lshrrev_b32_e32 v6, 23, v2
	v_and_b32_e32 v7, 0x400000, v2
	v_and_or_b32 v2, v2, s0, v3
	v_cmp_ne_u32_e32 vcc, 0, v7
	v_cmp_ne_u32_e64 s[0:1], 0, v2
	s_and_b64 s[0:1], vcc, s[0:1]
	v_cndmask_b32_e64 v2, 0, 1, s[0:1]
	v_add_u32_e32 v6, v6, v2
; %bb.708:
	s_or_b64 exec, exec, s[16:17]
	s_mov_b64 s[16:17], -1
	s_mov_b64 s[0:1], 0
	global_store_byte v[4:5], v6, off
.LBB135_709:
	s_mov_b64 s[18:19], 0
.LBB135_710:
	s_and_b64 vcc, exec, s[18:19]
	s_cbranch_vccz .LBB135_713
; %bb.711:
	s_cmp_eq_u32 s23, 29
	s_mov_b64 s[0:1], -1
	s_cbranch_scc0 .LBB135_713
; %bb.712:
	v_trunc_f64_e32 v[2:3], v[0:1]
	s_movk_i32 s0, 0xffe0
	s_mov_b64 s[16:17], -1
	s_mov_b64 s[18:19], 0
	v_ldexp_f64 v[6:7], v[2:3], s0
	s_mov_b32 s0, 0
	s_mov_b32 s1, 0xc1f00000
	v_floor_f64_e32 v[6:7], v[6:7]
	v_fma_f64 v[2:3], v[6:7], s[0:1], v[2:3]
	v_cvt_u32_f64_e32 v7, v[6:7]
	s_mov_b64 s[0:1], 0
	v_cvt_u32_f64_e32 v6, v[2:3]
	global_store_dwordx2 v[4:5], v[6:7], off
	s_branch .LBB135_714
.LBB135_713:
	s_mov_b64 s[18:19], 0
.LBB135_714:
	s_and_b64 vcc, exec, s[18:19]
	s_cbranch_vccz .LBB135_730
; %bb.715:
	s_cmp_lt_i32 s23, 27
	s_mov_b64 s[16:17], -1
	s_cbranch_scc1 .LBB135_721
; %bb.716:
	v_cvt_u32_f64_e32 v2, v[0:1]
	s_cmp_gt_i32 s23, 27
	s_cbranch_scc0 .LBB135_718
; %bb.717:
	s_mov_b64 s[16:17], 0
	global_store_dword v[4:5], v2, off
.LBB135_718:
	s_andn2_b64 vcc, exec, s[16:17]
	s_cbranch_vccnz .LBB135_720
; %bb.719:
	global_store_short v[4:5], v2, off
.LBB135_720:
	s_mov_b64 s[16:17], 0
.LBB135_721:
	s_andn2_b64 vcc, exec, s[16:17]
	s_cbranch_vccnz .LBB135_729
; %bb.722:
	v_cvt_f32_f64_e32 v2, v[0:1]
	s_mov_b32 s16, 0x43800000
	v_mov_b32_e32 v6, 0x80
	v_and_b32_e32 v3, 0x7fffffff, v2
	v_cmp_gt_u32_e32 vcc, s16, v3
	s_and_saveexec_b64 s[16:17], vcc
	s_cbranch_execz .LBB135_728
; %bb.723:
	s_mov_b32 s18, 0x3bffffff
	v_cmp_lt_u32_e32 vcc, s18, v3
	s_mov_b64 s[18:19], 0
                                        ; implicit-def: $vgpr3
	s_and_saveexec_b64 s[20:21], vcc
	s_xor_b64 s[20:21], exec, s[20:21]
	s_cbranch_execz .LBB135_845
; %bb.724:
	v_bfe_u32 v3, v2, 20, 1
	s_mov_b32 s24, 0x487ffff
	v_add3_u32 v3, v2, v3, s24
	s_mov_b64 s[18:19], exec
	v_lshrrev_b32_e32 v3, 20, v3
	s_andn2_saveexec_b64 s[20:21], s[20:21]
	s_cbranch_execnz .LBB135_846
.LBB135_725:
	s_or_b64 exec, exec, s[20:21]
	v_mov_b32_e32 v6, 0
	s_and_saveexec_b64 s[20:21], s[18:19]
.LBB135_726:
	v_lshrrev_b32_e32 v2, 24, v2
	s_movk_i32 s18, 0x80
	v_and_or_b32 v6, v2, s18, v3
.LBB135_727:
	s_or_b64 exec, exec, s[20:21]
.LBB135_728:
	s_or_b64 exec, exec, s[16:17]
	global_store_byte v[4:5], v6, off
.LBB135_729:
	s_mov_b64 s[16:17], -1
.LBB135_730:
	s_mov_b64 s[18:19], 0
.LBB135_731:
	s_and_b64 vcc, exec, s[18:19]
	s_cbranch_vccz .LBB135_772
; %bb.732:
	s_cmp_gt_i32 s23, 22
	s_mov_b64 s[18:19], -1
	s_cbranch_scc0 .LBB135_764
; %bb.733:
	s_cmp_lt_i32 s23, 24
	s_mov_b64 s[16:17], -1
	s_cbranch_scc1 .LBB135_753
; %bb.734:
	s_cmp_gt_i32 s23, 24
	s_cbranch_scc0 .LBB135_742
; %bb.735:
	v_cvt_f32_f64_e32 v2, v[0:1]
	s_mov_b32 s16, 0x47800000
	v_mov_b32_e32 v6, 0x80
	v_and_b32_e32 v3, 0x7fffffff, v2
	v_cmp_gt_u32_e32 vcc, s16, v3
	s_and_saveexec_b64 s[16:17], vcc
	s_cbranch_execz .LBB135_741
; %bb.736:
	s_mov_b32 s18, 0x37ffffff
	v_cmp_lt_u32_e32 vcc, s18, v3
	s_mov_b64 s[18:19], 0
                                        ; implicit-def: $vgpr3
	s_and_saveexec_b64 s[20:21], vcc
	s_xor_b64 s[20:21], exec, s[20:21]
	s_cbranch_execz .LBB135_848
; %bb.737:
	v_bfe_u32 v3, v2, 21, 1
	s_mov_b32 s24, 0x88fffff
	v_add3_u32 v3, v2, v3, s24
	s_mov_b64 s[18:19], exec
	v_lshrrev_b32_e32 v3, 21, v3
	s_andn2_saveexec_b64 s[20:21], s[20:21]
	s_cbranch_execnz .LBB135_849
.LBB135_738:
	s_or_b64 exec, exec, s[20:21]
	v_mov_b32_e32 v6, 0
	s_and_saveexec_b64 s[20:21], s[18:19]
.LBB135_739:
	v_lshrrev_b32_e32 v2, 24, v2
	s_movk_i32 s18, 0x80
	v_and_or_b32 v6, v2, s18, v3
.LBB135_740:
	s_or_b64 exec, exec, s[20:21]
.LBB135_741:
	s_or_b64 exec, exec, s[16:17]
	s_mov_b64 s[16:17], 0
	global_store_byte v[4:5], v6, off
.LBB135_742:
	s_and_b64 vcc, exec, s[16:17]
	s_cbranch_vccz .LBB135_752
; %bb.743:
	v_cvt_f32_f64_e32 v2, v[0:1]
	s_mov_b32 s16, 0x43f00000
                                        ; implicit-def: $vgpr3
	v_and_b32_e32 v6, 0x7fffffff, v2
	v_cmp_gt_u32_e32 vcc, s16, v6
	s_and_saveexec_b64 s[16:17], vcc
	s_xor_b64 s[16:17], exec, s[16:17]
	s_cbranch_execz .LBB135_749
; %bb.744:
	s_mov_b32 s18, 0x3c7fffff
	v_cmp_lt_u32_e32 vcc, s18, v6
                                        ; implicit-def: $vgpr3
	s_and_saveexec_b64 s[18:19], vcc
	s_xor_b64 s[18:19], exec, s[18:19]
; %bb.745:
	v_bfe_u32 v3, v2, 20, 1
	s_mov_b32 s20, 0x407ffff
	v_add3_u32 v3, v2, v3, s20
	v_lshrrev_b32_e32 v6, 20, v3
	v_and_b32_e32 v3, 0xff00000, v3
	s_mov_b32 s20, 0x7f00000
	v_mov_b32_e32 v7, 0x7e
	v_cmp_ne_u32_e32 vcc, s20, v3
	v_cndmask_b32_e32 v3, v7, v6, vcc
; %bb.746:
	s_andn2_saveexec_b64 s[18:19], s[18:19]
; %bb.747:
	s_mov_b32 s20, 0x46800000
	v_add_f32_e64 v3, |v2|, s20
; %bb.748:
	s_or_b64 exec, exec, s[18:19]
                                        ; implicit-def: $vgpr6
.LBB135_749:
	s_andn2_saveexec_b64 s[16:17], s[16:17]
; %bb.750:
	s_mov_b32 s18, 0x7f800000
	v_mov_b32_e32 v3, 0x7e
	v_mov_b32_e32 v7, 0x7f
	v_cmp_lt_u32_e32 vcc, s18, v6
	v_cndmask_b32_e32 v3, v3, v7, vcc
; %bb.751:
	s_or_b64 exec, exec, s[16:17]
	v_lshrrev_b32_e32 v2, 24, v2
	s_movk_i32 s16, 0x80
	v_and_or_b32 v2, v2, s16, v3
	global_store_byte v[4:5], v2, off
.LBB135_752:
	s_mov_b64 s[16:17], 0
.LBB135_753:
	s_andn2_b64 vcc, exec, s[16:17]
	s_cbranch_vccnz .LBB135_763
; %bb.754:
	v_cvt_f32_f64_e32 v2, v[0:1]
	s_mov_b32 s16, 0x47800000
                                        ; implicit-def: $vgpr3
	v_and_b32_e32 v6, 0x7fffffff, v2
	v_cmp_gt_u32_e32 vcc, s16, v6
	s_and_saveexec_b64 s[16:17], vcc
	s_xor_b64 s[16:17], exec, s[16:17]
	s_cbranch_execz .LBB135_760
; %bb.755:
	s_mov_b32 s18, 0x387fffff
	v_cmp_lt_u32_e32 vcc, s18, v6
                                        ; implicit-def: $vgpr3
	s_and_saveexec_b64 s[18:19], vcc
	s_xor_b64 s[18:19], exec, s[18:19]
; %bb.756:
	v_bfe_u32 v3, v2, 21, 1
	s_mov_b32 s20, 0x80fffff
	v_add3_u32 v3, v2, v3, s20
	v_lshrrev_b32_e32 v3, 21, v3
; %bb.757:
	s_andn2_saveexec_b64 s[18:19], s[18:19]
; %bb.758:
	s_mov_b32 s20, 0x43000000
	v_add_f32_e64 v3, |v2|, s20
; %bb.759:
	s_or_b64 exec, exec, s[18:19]
                                        ; implicit-def: $vgpr6
.LBB135_760:
	s_andn2_saveexec_b64 s[16:17], s[16:17]
; %bb.761:
	s_mov_b32 s18, 0x7f800000
	v_mov_b32_e32 v3, 0x7c
	v_mov_b32_e32 v7, 0x7f
	v_cmp_lt_u32_e32 vcc, s18, v6
	v_cndmask_b32_e32 v3, v3, v7, vcc
; %bb.762:
	s_or_b64 exec, exec, s[16:17]
	v_lshrrev_b32_e32 v2, 24, v2
	s_movk_i32 s16, 0x80
	v_and_or_b32 v2, v2, s16, v3
	global_store_byte v[4:5], v2, off
.LBB135_763:
	s_mov_b64 s[18:19], 0
	s_mov_b64 s[16:17], -1
.LBB135_764:
	s_andn2_b64 vcc, exec, s[18:19]
	s_cbranch_vccnz .LBB135_772
; %bb.765:
	s_cmp_gt_i32 s23, 14
	s_mov_b64 s[18:19], -1
	s_cbranch_scc0 .LBB135_769
; %bb.766:
	s_cmp_eq_u32 s23, 15
	s_mov_b64 s[0:1], -1
	s_cbranch_scc0 .LBB135_768
; %bb.767:
	v_cvt_f32_f64_e32 v2, v[0:1]
	s_movk_i32 s0, 0x7fff
	v_mov_b32_e32 v3, 0x7fc0
	s_mov_b64 s[16:17], -1
	v_bfe_u32 v6, v2, 16, 1
	v_cmp_o_f32_e32 vcc, v2, v2
	v_add3_u32 v2, v2, v6, s0
	v_cndmask_b32_sdwa v2, v3, v2, vcc dst_sel:DWORD dst_unused:UNUSED_PAD src0_sel:DWORD src1_sel:WORD_1
	global_store_short v[4:5], v2, off
	s_mov_b64 s[0:1], 0
.LBB135_768:
	s_mov_b64 s[18:19], 0
.LBB135_769:
	s_and_b64 vcc, exec, s[18:19]
	s_cbranch_vccz .LBB135_772
; %bb.770:
	s_cmp_eq_u32 s23, 11
	s_mov_b64 s[0:1], -1
	s_cbranch_scc0 .LBB135_772
; %bb.771:
	v_cmp_neq_f64_e32 vcc, 0, v[0:1]
	s_mov_b64 s[0:1], 0
	s_mov_b64 s[16:17], -1
	v_cndmask_b32_e64 v2, 0, 1, vcc
	global_store_byte v[4:5], v2, off
.LBB135_772:
	s_mov_b64 s[18:19], 0
.LBB135_773:
	s_and_b64 vcc, exec, s[18:19]
	s_cbranch_vccz .LBB135_812
; %bb.774:
	s_and_b32 s18, 0xffff, s22
	s_cmp_lt_i32 s18, 5
	s_mov_b64 s[16:17], -1
	s_cbranch_scc1 .LBB135_795
; %bb.775:
	s_cmp_lt_i32 s18, 8
	s_cbranch_scc1 .LBB135_785
; %bb.776:
	s_cmp_lt_i32 s18, 9
	s_cbranch_scc1 .LBB135_782
; %bb.777:
	s_cmp_gt_i32 s18, 9
	s_cbranch_scc0 .LBB135_779
; %bb.778:
	v_mov_b32_e32 v2, 0
	v_mov_b32_e32 v3, v2
	s_mov_b64 s[16:17], 0
	global_store_dwordx4 v[4:5], v[0:3], off
.LBB135_779:
	s_andn2_b64 vcc, exec, s[16:17]
	s_cbranch_vccnz .LBB135_781
; %bb.780:
	v_cvt_f32_f64_e32 v2, v[0:1]
	v_mov_b32_e32 v3, 0
	global_store_dwordx2 v[4:5], v[2:3], off
.LBB135_781:
	s_mov_b64 s[16:17], 0
.LBB135_782:
	s_andn2_b64 vcc, exec, s[16:17]
	s_cbranch_vccnz .LBB135_784
; %bb.783:
	s_movk_i32 s16, 0x1ff
	v_and_or_b32 v2, v1, s16, v0
	v_cmp_ne_u32_e32 vcc, 0, v2
	v_cndmask_b32_e64 v2, 0, 1, vcc
	v_lshrrev_b32_e32 v3, 8, v1
	s_movk_i32 s16, 0xffe
	v_bfe_u32 v6, v1, 20, 11
	v_and_or_b32 v2, v3, s16, v2
	v_sub_u32_e32 v7, 0x3f1, v6
	v_or_b32_e32 v3, 0x1000, v2
	v_med3_i32 v7, v7, 0, 13
	v_lshrrev_b32_e32 v8, v7, v3
	v_lshlrev_b32_e32 v7, v7, v8
	v_cmp_ne_u32_e32 vcc, v7, v3
	v_cndmask_b32_e64 v3, 0, 1, vcc
	v_add_u32_e32 v6, 0xfffffc10, v6
	v_or_b32_e32 v3, v8, v3
	v_lshl_or_b32 v7, v6, 12, v2
	v_cmp_gt_i32_e32 vcc, 1, v6
	v_cndmask_b32_e32 v3, v7, v3, vcc
	v_and_b32_e32 v7, 7, v3
	v_cmp_lt_i32_e32 vcc, 5, v7
	v_cndmask_b32_e64 v8, 0, 1, vcc
	v_cmp_eq_u32_e32 vcc, 3, v7
	v_cndmask_b32_e64 v7, 0, 1, vcc
	v_or_b32_e32 v7, v7, v8
	v_lshrrev_b32_e32 v3, 2, v3
	v_add_u32_e32 v3, v3, v7
	v_mov_b32_e32 v7, 0x7c00
	v_cmp_gt_i32_e32 vcc, 31, v6
	v_cndmask_b32_e32 v3, v7, v3, vcc
	v_mov_b32_e32 v8, 0x7e00
	v_cmp_ne_u32_e32 vcc, 0, v2
	s_movk_i32 s16, 0x40f
	v_cndmask_b32_e32 v2, v7, v8, vcc
	v_cmp_eq_u32_e32 vcc, s16, v6
	v_cndmask_b32_e32 v2, v3, v2, vcc
	v_lshrrev_b32_e32 v3, 16, v1
	s_mov_b32 s16, 0x8000
	v_and_or_b32 v2, v3, s16, v2
	v_and_b32_e32 v2, 0xffff, v2
	global_store_dword v[4:5], v2, off
.LBB135_784:
	s_mov_b64 s[16:17], 0
.LBB135_785:
	s_andn2_b64 vcc, exec, s[16:17]
	s_cbranch_vccnz .LBB135_794
; %bb.786:
	s_cmp_lt_i32 s18, 6
	s_mov_b64 s[16:17], -1
	s_cbranch_scc1 .LBB135_792
; %bb.787:
	s_cmp_gt_i32 s18, 6
	s_cbranch_scc0 .LBB135_789
; %bb.788:
	s_mov_b64 s[16:17], 0
	global_store_dwordx2 v[4:5], v[0:1], off
.LBB135_789:
	s_andn2_b64 vcc, exec, s[16:17]
	s_cbranch_vccnz .LBB135_791
; %bb.790:
	v_cvt_f32_f64_e32 v2, v[0:1]
	global_store_dword v[4:5], v2, off
.LBB135_791:
	s_mov_b64 s[16:17], 0
.LBB135_792:
	s_andn2_b64 vcc, exec, s[16:17]
	s_cbranch_vccnz .LBB135_794
; %bb.793:
	s_movk_i32 s16, 0x1ff
	v_and_or_b32 v2, v1, s16, v0
	v_cmp_ne_u32_e32 vcc, 0, v2
	v_cndmask_b32_e64 v2, 0, 1, vcc
	v_lshrrev_b32_e32 v3, 8, v1
	s_movk_i32 s16, 0xffe
	v_bfe_u32 v6, v1, 20, 11
	v_and_or_b32 v2, v3, s16, v2
	v_sub_u32_e32 v7, 0x3f1, v6
	v_or_b32_e32 v3, 0x1000, v2
	v_med3_i32 v7, v7, 0, 13
	v_lshrrev_b32_e32 v8, v7, v3
	v_lshlrev_b32_e32 v7, v7, v8
	v_cmp_ne_u32_e32 vcc, v7, v3
	v_cndmask_b32_e64 v3, 0, 1, vcc
	v_add_u32_e32 v6, 0xfffffc10, v6
	v_or_b32_e32 v3, v8, v3
	v_lshl_or_b32 v7, v6, 12, v2
	v_cmp_gt_i32_e32 vcc, 1, v6
	v_cndmask_b32_e32 v3, v7, v3, vcc
	v_and_b32_e32 v7, 7, v3
	v_cmp_lt_i32_e32 vcc, 5, v7
	v_cndmask_b32_e64 v8, 0, 1, vcc
	v_cmp_eq_u32_e32 vcc, 3, v7
	v_cndmask_b32_e64 v7, 0, 1, vcc
	v_or_b32_e32 v7, v7, v8
	v_lshrrev_b32_e32 v3, 2, v3
	v_add_u32_e32 v3, v3, v7
	v_mov_b32_e32 v7, 0x7c00
	v_cmp_gt_i32_e32 vcc, 31, v6
	v_cndmask_b32_e32 v3, v7, v3, vcc
	v_mov_b32_e32 v8, 0x7e00
	v_cmp_ne_u32_e32 vcc, 0, v2
	s_movk_i32 s16, 0x40f
	v_cndmask_b32_e32 v2, v7, v8, vcc
	v_cmp_eq_u32_e32 vcc, s16, v6
	v_cndmask_b32_e32 v2, v3, v2, vcc
	v_lshrrev_b32_e32 v3, 16, v1
	s_mov_b32 s16, 0x8000
	v_and_or_b32 v2, v3, s16, v2
	global_store_short v[4:5], v2, off
.LBB135_794:
	s_mov_b64 s[16:17], 0
.LBB135_795:
	s_andn2_b64 vcc, exec, s[16:17]
	s_cbranch_vccnz .LBB135_811
; %bb.796:
	s_cmp_lt_i32 s18, 2
	s_mov_b64 s[16:17], -1
	s_cbranch_scc1 .LBB135_806
; %bb.797:
	s_cmp_lt_i32 s18, 3
	s_cbranch_scc1 .LBB135_803
; %bb.798:
	s_cmp_gt_i32 s18, 3
	s_cbranch_scc0 .LBB135_800
; %bb.799:
	v_trunc_f64_e32 v[2:3], v[0:1]
	s_movk_i32 s16, 0xffe0
	v_ldexp_f64 v[6:7], v[2:3], s16
	s_mov_b32 s16, 0
	s_mov_b32 s17, 0xc1f00000
	v_floor_f64_e32 v[6:7], v[6:7]
	v_fma_f64 v[2:3], v[6:7], s[16:17], v[2:3]
	v_cvt_i32_f64_e32 v7, v[6:7]
	s_mov_b64 s[16:17], 0
	v_cvt_u32_f64_e32 v6, v[2:3]
	global_store_dwordx2 v[4:5], v[6:7], off
.LBB135_800:
	s_andn2_b64 vcc, exec, s[16:17]
	s_cbranch_vccnz .LBB135_802
; %bb.801:
	v_cvt_i32_f64_e32 v2, v[0:1]
	global_store_dword v[4:5], v2, off
.LBB135_802:
	s_mov_b64 s[16:17], 0
.LBB135_803:
	s_andn2_b64 vcc, exec, s[16:17]
	s_cbranch_vccnz .LBB135_805
; %bb.804:
	v_cvt_i32_f64_e32 v2, v[0:1]
	global_store_short v[4:5], v2, off
.LBB135_805:
	s_mov_b64 s[16:17], 0
.LBB135_806:
	s_andn2_b64 vcc, exec, s[16:17]
	s_cbranch_vccnz .LBB135_811
; %bb.807:
	s_cmp_gt_i32 s18, 0
	s_mov_b64 s[16:17], -1
	s_cbranch_scc0 .LBB135_809
; %bb.808:
	v_cvt_i32_f64_e32 v2, v[0:1]
	s_mov_b64 s[16:17], 0
	global_store_byte v[4:5], v2, off
.LBB135_809:
	s_andn2_b64 vcc, exec, s[16:17]
	s_cbranch_vccnz .LBB135_811
; %bb.810:
	v_trunc_f64_e32 v[0:1], v[0:1]
	s_movk_i32 s16, 0xffe0
	v_ldexp_f64 v[2:3], v[0:1], s16
	s_mov_b32 s16, 0
	s_mov_b32 s17, 0xc1f00000
	v_floor_f64_e32 v[2:3], v[2:3]
	v_fma_f64 v[0:1], v[2:3], s[16:17], v[0:1]
	v_cvt_u32_f64_e32 v0, v[0:1]
	global_store_byte v[4:5], v0, off
.LBB135_811:
	s_mov_b64 s[16:17], -1
.LBB135_812:
	s_andn2_b64 vcc, exec, s[16:17]
	s_cbranch_vccnz .LBB135_814
; %bb.813:
	v_add_u32_e32 v10, 0x80, v10
	s_mov_b64 s[16:17], -1
	s_branch .LBB135_816
.LBB135_814:
	s_mov_b64 s[16:17], 0
.LBB135_815:
                                        ; implicit-def: $vgpr10
.LBB135_816:
	s_andn2_b64 s[18:19], s[66:67], exec
	s_and_b64 s[0:1], s[0:1], exec
	s_or_b64 s[74:75], s[18:19], s[0:1]
	s_andn2_b64 s[0:1], s[64:65], exec
	s_and_b64 s[2:3], s[2:3], exec
	s_or_b64 s[72:73], s[0:1], s[2:3]
	s_orn2_b64 s[2:3], s[16:17], exec
.LBB135_817:
	s_or_b64 exec, exec, s[70:71]
	s_mov_b64 s[0:1], 0
	s_mov_b64 s[16:17], 0
	;; [unrolled: 1-line block ×3, first 2 shown]
                                        ; implicit-def: $vgpr0_vgpr1
                                        ; implicit-def: $vgpr2
                                        ; implicit-def: $vgpr6_vgpr7
	s_and_saveexec_b64 s[70:71], s[2:3]
	s_cbranch_execz .LBB135_916
; %bb.818:
	v_cmp_gt_i32_e32 vcc, s76, v10
	s_mov_b64 s[2:3], 0
	s_mov_b64 s[20:21], s[72:73]
                                        ; implicit-def: $vgpr0_vgpr1
                                        ; implicit-def: $vgpr2
                                        ; implicit-def: $vgpr6_vgpr7
	s_and_saveexec_b64 s[76:77], vcc
	s_cbranch_execz .LBB135_915
; %bb.819:
	s_andn2_b64 vcc, exec, s[44:45]
	s_cbranch_vccnz .LBB135_824
; %bb.820:
	s_andn2_b64 vcc, exec, s[56:57]
	s_cbranch_vccnz .LBB135_825
; %bb.821:
	s_add_i32 s82, s81, 1
	s_cmp_eq_u32 s78, 2
	s_cbranch_scc1 .LBB135_826
; %bb.822:
	s_and_b32 s81, s82, 28
	v_mov_b32_e32 v0, 0
	s_mov_b32 s83, 0
	s_mov_b64 s[56:57], s[34:35]
	v_mov_b32_e32 v2, 0
	v_mov_b32_e32 v1, v10
.LBB135_823:                            ; =>This Inner Loop Header: Depth=1
	s_load_dwordx8 s[24:31], s[56:57], 0x4
	s_load_dwordx4 s[0:3], s[56:57], 0x24
	s_load_dwordx8 s[16:23], s[54:55], 0x0
	s_add_u32 s56, s56, 48
	s_addc_u32 s57, s57, 0
	s_waitcnt vmcnt(0) lgkmcnt(0)
	v_mul_hi_u32 v3, s25, v1
	s_add_i32 s83, s83, 4
	s_add_u32 s54, s54, 32
	s_addc_u32 s55, s55, 0
	v_add_u32_e32 v3, v1, v3
	v_lshrrev_b32_e32 v3, s26, v3
	v_mul_lo_u32 v4, v3, s24
	v_mul_hi_u32 v5, s28, v3
	s_cmp_eq_u32 s81, s83
	v_sub_u32_e32 v1, v1, v4
	v_add_u32_e32 v4, v3, v5
	v_mul_lo_u32 v5, v1, s16
	v_mul_lo_u32 v6, v1, s17
	v_lshrrev_b32_e32 v1, s29, v4
	v_mul_lo_u32 v4, v1, s27
	v_mul_hi_u32 v7, s31, v1
	v_sub_u32_e32 v3, v3, v4
	v_add_u32_e32 v4, v1, v7
	v_lshrrev_b32_e32 v4, s0, v4
	v_mul_hi_u32 v8, s2, v4
	v_mul_lo_u32 v9, v4, s30
	v_mul_lo_u32 v7, v3, s18
	;; [unrolled: 1-line block ×3, first 2 shown]
	v_sub_u32_e32 v9, v1, v9
	v_add_u32_e32 v1, v4, v8
	v_lshrrev_b32_e32 v1, s3, v1
	v_mul_lo_u32 v8, v1, s1
	v_mul_lo_u32 v11, v9, s20
	;; [unrolled: 1-line block ×3, first 2 shown]
	v_add3_u32 v2, v5, v2, v7
	v_sub_u32_e32 v4, v4, v8
	v_mul_lo_u32 v8, v4, s22
	v_mul_lo_u32 v4, v4, s23
	v_add3_u32 v0, v6, v0, v3
	v_add3_u32 v2, v11, v2, v8
	;; [unrolled: 1-line block ×3, first 2 shown]
	s_cbranch_scc0 .LBB135_823
	s_branch .LBB135_827
.LBB135_824:
	s_mov_b64 s[0:1], -1
                                        ; implicit-def: $vgpr2
                                        ; implicit-def: $vgpr0
	s_branch .LBB135_831
.LBB135_825:
	v_mov_b32_e32 v2, 0
	v_mov_b32_e32 v0, 0
	s_branch .LBB135_830
.LBB135_826:
	s_mov_b32 s81, 0
	v_mov_b32_e32 v2, 0
	v_mov_b32_e32 v0, 0
	;; [unrolled: 1-line block ×3, first 2 shown]
.LBB135_827:
	s_and_b32 s16, s82, 3
	s_cmp_eq_u32 s16, 0
	s_cbranch_scc1 .LBB135_830
; %bb.828:
	s_lshl_b32 s0, s81, 3
	s_add_u32 s0, s34, s0
	s_addc_u32 s1, s35, 0
	s_add_u32 s0, s0, 0xc4
	s_addc_u32 s1, s1, 0
	s_mul_i32 s2, s81, 12
	s_add_u32 s2, s34, s2
	s_addc_u32 s3, s35, 0
.LBB135_829:                            ; =>This Inner Loop Header: Depth=1
	s_load_dwordx2 s[18:19], s[2:3], 0x4
	s_load_dword s17, s[2:3], 0xc
	s_load_dwordx2 s[20:21], s[0:1], 0x0
	s_add_u32 s2, s2, 12
	s_addc_u32 s3, s3, 0
	s_waitcnt vmcnt(0) lgkmcnt(0)
	v_mul_hi_u32 v3, s19, v1
	s_add_u32 s0, s0, 8
	s_addc_u32 s1, s1, 0
	s_add_i32 s16, s16, -1
	v_add_u32_e32 v3, v1, v3
	v_lshrrev_b32_e32 v4, s17, v3
	v_mul_lo_u32 v3, v4, s18
	s_cmp_lg_u32 s16, 0
	v_sub_u32_e32 v1, v1, v3
	v_mad_u64_u32 v[2:3], s[18:19], v1, s20, v[2:3]
	v_mad_u64_u32 v[0:1], s[18:19], v1, s21, v[0:1]
	v_mov_b32_e32 v1, v4
	s_cbranch_scc1 .LBB135_829
.LBB135_830:
	s_mov_b64 s[0:1], 0
.LBB135_831:
	s_andn2_b64 vcc, exec, s[0:1]
	s_cbranch_vccnz .LBB135_834
; %bb.832:
	v_mul_hi_u32 v0, s37, v10
	s_andn2_b64 vcc, exec, s[52:53]
	v_add_u32_e32 v0, v10, v0
	v_lshrrev_b32_e32 v1, s38, v0
	v_mul_lo_u32 v0, v1, s36
	v_sub_u32_e32 v0, v10, v0
	v_mul_lo_u32 v2, v0, s40
	v_mul_lo_u32 v0, v0, s41
	s_cbranch_vccnz .LBB135_834
; %bb.833:
	s_waitcnt vmcnt(0)
	v_mul_hi_u32 v3, s50, v1
	v_add_u32_e32 v3, v1, v3
	v_lshrrev_b32_e32 v3, s51, v3
	v_mul_lo_u32 v3, v3, s39
	v_sub_u32_e32 v1, v1, v3
	v_mad_u64_u32 v[2:3], s[0:1], v1, s42, v[2:3]
	v_mad_u64_u32 v[0:1], s[0:1], v1, s43, v[0:1]
.LBB135_834:
	v_mov_b32_e32 v1, s11
	s_and_b32 s20, 0xffff, s80
	v_add_co_u32_e32 v0, vcc, s10, v0
	s_cmp_lt_i32 s20, 11
	v_addc_co_u32_e32 v1, vcc, 0, v1, vcc
	s_cbranch_scc1 .LBB135_841
; %bb.835:
	s_cmp_gt_i32 s20, 25
	s_mov_b64 s[2:3], 0
	s_cbranch_scc0 .LBB135_842
; %bb.836:
	s_cmp_gt_i32 s20, 28
	s_cbranch_scc0 .LBB135_843
; %bb.837:
	s_cmp_gt_i32 s20, 43
	;; [unrolled: 3-line block ×3, first 2 shown]
	s_cbranch_scc0 .LBB135_847
; %bb.839:
	s_cmp_eq_u32 s20, 46
	s_mov_b64 s[16:17], 0
	s_cbranch_scc0 .LBB135_850
; %bb.840:
	global_load_dword v3, v[0:1], off
	s_mov_b64 s[0:1], 0
	s_mov_b64 s[10:11], -1
	s_waitcnt vmcnt(0)
	v_lshlrev_b32_e32 v3, 16, v3
	v_cvt_f64_f32_e32 v[6:7], v3
	s_branch .LBB135_851
.LBB135_841:
	s_mov_b64 s[16:17], -1
	s_mov_b64 s[10:11], 0
	s_mov_b64 s[2:3], 0
	;; [unrolled: 1-line block ×3, first 2 shown]
                                        ; implicit-def: $vgpr6_vgpr7
	s_branch .LBB135_914
.LBB135_842:
	s_mov_b64 s[16:17], -1
	s_mov_b64 s[10:11], 0
	s_mov_b64 s[0:1], s[72:73]
                                        ; implicit-def: $vgpr6_vgpr7
	s_branch .LBB135_882
.LBB135_843:
	s_mov_b64 s[16:17], -1
	s_mov_b64 s[10:11], 0
	s_mov_b64 s[0:1], s[72:73]
                                        ; implicit-def: $vgpr6_vgpr7
	s_branch .LBB135_861
.LBB135_844:
	s_mov_b64 s[16:17], -1
	s_mov_b64 s[10:11], 0
	s_mov_b64 s[0:1], s[72:73]
                                        ; implicit-def: $vgpr6_vgpr7
	s_branch .LBB135_856
.LBB135_845:
	s_andn2_saveexec_b64 s[20:21], s[20:21]
	s_cbranch_execz .LBB135_725
.LBB135_846:
	s_mov_b32 s24, 0x46000000
	v_add_f32_e64 v3, |v2|, s24
	v_and_b32_e32 v3, 0xff, v3
	v_cmp_ne_u32_e32 vcc, 0, v3
	s_andn2_b64 s[18:19], s[18:19], exec
	s_and_b64 s[24:25], vcc, exec
	s_or_b64 s[18:19], s[18:19], s[24:25]
	s_or_b64 exec, exec, s[20:21]
	v_mov_b32_e32 v6, 0
	s_and_saveexec_b64 s[20:21], s[18:19]
	s_cbranch_execnz .LBB135_726
	s_branch .LBB135_727
.LBB135_847:
	s_mov_b64 s[16:17], -1
	s_mov_b64 s[10:11], 0
	s_mov_b64 s[0:1], s[72:73]
                                        ; implicit-def: $vgpr6_vgpr7
	s_branch .LBB135_851
.LBB135_848:
	s_andn2_saveexec_b64 s[20:21], s[20:21]
	s_cbranch_execz .LBB135_738
.LBB135_849:
	s_mov_b32 s24, 0x42800000
	v_add_f32_e64 v3, |v2|, s24
	v_and_b32_e32 v3, 0xff, v3
	v_cmp_ne_u32_e32 vcc, 0, v3
	s_andn2_b64 s[18:19], s[18:19], exec
	s_and_b64 s[24:25], vcc, exec
	s_or_b64 s[18:19], s[18:19], s[24:25]
	s_or_b64 exec, exec, s[20:21]
	v_mov_b32_e32 v6, 0
	s_and_saveexec_b64 s[20:21], s[18:19]
	s_cbranch_execnz .LBB135_739
	s_branch .LBB135_740
.LBB135_850:
	s_mov_b64 s[0:1], -1
                                        ; implicit-def: $vgpr6_vgpr7
	s_mov_b64 s[10:11], 0
.LBB135_851:
	s_and_b64 vcc, exec, s[16:17]
	s_cbranch_vccz .LBB135_855
; %bb.852:
	s_cmp_eq_u32 s20, 44
	s_cbranch_scc0 .LBB135_854
; %bb.853:
	global_load_ubyte v5, v[0:1], off
	s_movk_i32 s10, 0xff
	v_bfrev_b32_e32 v6, 4
	v_mov_b32_e32 v7, 0x7ff80000
	v_bfrev_b32_e32 v8, 28
	s_mov_b64 s[0:1], 0
	s_waitcnt vmcnt(0)
	v_lshlrev_b32_e32 v3, 23, v5
	v_cvt_f64_f32_e32 v[3:4], v3
	v_cmp_ne_u32_e32 vcc, s10, v5
	s_mov_b64 s[10:11], -1
	v_cndmask_b32_e32 v3, v6, v3, vcc
	v_cndmask_b32_e32 v4, v7, v4, vcc
	v_cmp_ne_u32_e32 vcc, 0, v5
	v_cndmask_b32_e32 v7, v8, v4, vcc
	v_cndmask_b32_e32 v6, 0, v3, vcc
	s_branch .LBB135_855
.LBB135_854:
	s_mov_b64 s[0:1], -1
                                        ; implicit-def: $vgpr6_vgpr7
.LBB135_855:
	s_mov_b64 s[16:17], 0
.LBB135_856:
	s_and_b64 vcc, exec, s[16:17]
	s_cbranch_vccz .LBB135_860
; %bb.857:
	s_cmp_eq_u32 s20, 29
	s_cbranch_scc0 .LBB135_859
; %bb.858:
	global_load_dwordx2 v[3:4], v[0:1], off
	s_mov_b64 s[0:1], 0
	s_mov_b64 s[10:11], -1
	s_mov_b64 s[16:17], 0
	s_waitcnt vmcnt(0)
	v_cvt_f64_u32_e32 v[4:5], v4
	v_cvt_f64_u32_e32 v[6:7], v3
	v_ldexp_f64 v[4:5], v[4:5], 32
	v_add_f64 v[6:7], v[4:5], v[6:7]
	s_branch .LBB135_861
.LBB135_859:
	s_mov_b64 s[0:1], -1
                                        ; implicit-def: $vgpr6_vgpr7
.LBB135_860:
	s_mov_b64 s[16:17], 0
.LBB135_861:
	s_and_b64 vcc, exec, s[16:17]
	s_cbranch_vccz .LBB135_881
; %bb.862:
	s_cmp_lt_i32 s20, 27
	s_cbranch_scc1 .LBB135_865
; %bb.863:
	s_cmp_gt_i32 s20, 27
	s_cbranch_scc0 .LBB135_866
; %bb.864:
	global_load_dword v3, v[0:1], off
	s_mov_b64 s[10:11], 0
	s_waitcnt vmcnt(0)
	v_cvt_f64_u32_e32 v[6:7], v3
	s_branch .LBB135_867
.LBB135_865:
	s_mov_b64 s[10:11], -1
                                        ; implicit-def: $vgpr6_vgpr7
	s_branch .LBB135_870
.LBB135_866:
	s_mov_b64 s[10:11], -1
                                        ; implicit-def: $vgpr6_vgpr7
.LBB135_867:
	s_andn2_b64 vcc, exec, s[10:11]
	s_cbranch_vccnz .LBB135_869
; %bb.868:
	global_load_ushort v3, v[0:1], off
	s_waitcnt vmcnt(0)
	v_cvt_f64_u32_e32 v[6:7], v3
.LBB135_869:
	s_mov_b64 s[10:11], 0
.LBB135_870:
	s_andn2_b64 vcc, exec, s[10:11]
	s_cbranch_vccnz .LBB135_880
; %bb.871:
	global_load_ubyte v3, v[0:1], off
	s_movk_i32 s10, 0x7f
	s_waitcnt vmcnt(0)
	v_cmp_lt_i16_e32 vcc, s10, v3
	s_mov_b64 s[10:11], 0
	s_and_saveexec_b64 s[16:17], vcc
	s_xor_b64 s[16:17], exec, s[16:17]
	s_cbranch_execz .LBB135_875
; %bb.872:
	s_movk_i32 s10, 0x80
	v_cmp_eq_u16_e32 vcc, s10, v3
	s_mov_b64 s[10:11], -1
	s_and_saveexec_b64 s[18:19], vcc
; %bb.873:
	s_xor_b64 s[10:11], exec, -1
; %bb.874:
	s_or_b64 exec, exec, s[18:19]
	s_and_b64 s[10:11], s[10:11], exec
.LBB135_875:
	s_or_saveexec_b64 s[16:17], s[16:17]
	v_bfrev_b32_e32 v6, 4
	v_mov_b32_e32 v7, 0x7ff80000
	s_xor_b64 exec, exec, s[16:17]
; %bb.876:
	v_cmp_ne_u16_e32 vcc, 0, v3
	v_mov_b32_e32 v6, 0
	s_andn2_b64 s[10:11], s[10:11], exec
	s_and_b64 s[18:19], vcc, exec
	v_mov_b32_e32 v7, 0
	s_or_b64 s[10:11], s[10:11], s[18:19]
; %bb.877:
	s_or_b64 exec, exec, s[16:17]
	s_and_saveexec_b64 s[16:17], s[10:11]
	s_cbranch_execz .LBB135_879
; %bb.878:
	v_lshlrev_b32_e32 v4, 24, v3
	v_and_b32_e32 v3, 0xffff, v3
	v_and_b32_e32 v5, 7, v3
	v_ffbh_u32_e32 v7, v5
	v_min_u32_e32 v7, 32, v7
	v_subrev_u32_e32 v8, 28, v7
	v_bfe_u32 v6, v3, 3, 4
	v_lshlrev_b32_e32 v3, v8, v3
	v_sub_u32_e32 v7, 29, v7
	v_and_b32_e32 v3, 7, v3
	v_cmp_eq_u32_e32 vcc, 0, v6
	v_cndmask_b32_e32 v6, v6, v7, vcc
	v_cndmask_b32_e32 v3, v5, v3, vcc
	v_mov_b32_e32 v5, 0x3b800000
	v_lshlrev_b32_e32 v3, 20, v3
	v_and_b32_e32 v4, 0x80000000, v4
	v_lshl_add_u32 v5, v6, 23, v5
	v_or3_b32 v3, v4, v5, v3
	v_cvt_f64_f32_e32 v[6:7], v3
.LBB135_879:
	s_or_b64 exec, exec, s[16:17]
.LBB135_880:
	s_mov_b64 s[10:11], -1
.LBB135_881:
	s_mov_b64 s[16:17], 0
.LBB135_882:
	s_and_b64 vcc, exec, s[16:17]
	s_cbranch_vccz .LBB135_913
; %bb.883:
	s_cmp_gt_i32 s20, 22
	s_cbranch_scc0 .LBB135_895
; %bb.884:
	s_cmp_lt_i32 s20, 24
	s_cbranch_scc1 .LBB135_896
; %bb.885:
	s_cmp_gt_i32 s20, 24
	s_cbranch_scc0 .LBB135_897
; %bb.886:
	global_load_ubyte v3, v[0:1], off
	s_movk_i32 s2, 0x7f
	s_waitcnt vmcnt(0)
	v_cmp_lt_i16_e32 vcc, s2, v3
	s_mov_b64 s[2:3], 0
	s_and_saveexec_b64 s[10:11], vcc
	s_xor_b64 s[10:11], exec, s[10:11]
	s_cbranch_execz .LBB135_890
; %bb.887:
	s_movk_i32 s2, 0x80
	v_cmp_eq_u16_e32 vcc, s2, v3
	s_mov_b64 s[2:3], -1
	s_and_saveexec_b64 s[16:17], vcc
; %bb.888:
	s_xor_b64 s[2:3], exec, -1
; %bb.889:
	s_or_b64 exec, exec, s[16:17]
	s_and_b64 s[2:3], s[2:3], exec
.LBB135_890:
	s_or_saveexec_b64 s[10:11], s[10:11]
	v_bfrev_b32_e32 v6, 4
	v_mov_b32_e32 v7, 0x7ff80000
	s_xor_b64 exec, exec, s[10:11]
; %bb.891:
	v_cmp_ne_u16_e32 vcc, 0, v3
	v_mov_b32_e32 v6, 0
	s_andn2_b64 s[2:3], s[2:3], exec
	s_and_b64 s[16:17], vcc, exec
	v_mov_b32_e32 v7, 0
	s_or_b64 s[2:3], s[2:3], s[16:17]
; %bb.892:
	s_or_b64 exec, exec, s[10:11]
	s_and_saveexec_b64 s[10:11], s[2:3]
	s_cbranch_execz .LBB135_894
; %bb.893:
	v_lshlrev_b32_e32 v4, 24, v3
	v_and_b32_e32 v3, 0xffff, v3
	v_and_b32_e32 v5, 3, v3
	v_ffbh_u32_e32 v7, v5
	v_min_u32_e32 v7, 32, v7
	v_subrev_u32_e32 v8, 29, v7
	v_bfe_u32 v6, v3, 2, 5
	v_lshlrev_b32_e32 v3, v8, v3
	v_sub_u32_e32 v7, 30, v7
	v_and_b32_e32 v3, 3, v3
	v_cmp_eq_u32_e32 vcc, 0, v6
	v_cndmask_b32_e32 v6, v6, v7, vcc
	v_cndmask_b32_e32 v3, v5, v3, vcc
	v_mov_b32_e32 v5, 0x37800000
	v_lshlrev_b32_e32 v3, 21, v3
	v_and_b32_e32 v4, 0x80000000, v4
	v_lshl_add_u32 v5, v6, 23, v5
	v_or3_b32 v3, v4, v5, v3
	v_cvt_f64_f32_e32 v[6:7], v3
.LBB135_894:
	s_or_b64 exec, exec, s[10:11]
	s_mov_b64 s[2:3], 0
	s_branch .LBB135_898
.LBB135_895:
	s_mov_b64 s[2:3], -1
                                        ; implicit-def: $vgpr6_vgpr7
	s_branch .LBB135_904
.LBB135_896:
	s_mov_b64 s[2:3], -1
                                        ; implicit-def: $vgpr6_vgpr7
	s_branch .LBB135_901
.LBB135_897:
	s_mov_b64 s[2:3], -1
                                        ; implicit-def: $vgpr6_vgpr7
.LBB135_898:
	s_and_b64 vcc, exec, s[2:3]
	s_cbranch_vccz .LBB135_900
; %bb.899:
	global_load_ubyte v3, v[0:1], off
	s_mov_b32 s2, 0x7f800000
	s_waitcnt vmcnt(0)
	v_lshlrev_b32_e32 v3, 24, v3
	v_and_b32_e32 v4, 0x7f000000, v3
	v_ffbh_u32_e32 v5, v4
	v_min_u32_e32 v5, 32, v5
	v_sub_u32_e64 v5, v5, 4 clamp
	v_lshlrev_b32_e32 v7, v5, v4
	v_lshlrev_b32_e32 v5, 23, v5
	v_lshrrev_b32_e32 v7, 4, v7
	v_add_u32_e32 v6, 0x1000000, v4
	v_sub_u32_e32 v5, v7, v5
	v_ashrrev_i32_e32 v6, 8, v6
	v_add_u32_e32 v5, 0x3c000000, v5
	v_and_or_b32 v5, v6, s2, v5
	v_cmp_ne_u32_e32 vcc, 0, v4
	v_cndmask_b32_e32 v4, 0, v5, vcc
	s_brev_b32 s2, 1
	v_and_or_b32 v3, v3, s2, v4
	v_cvt_f64_f32_e32 v[6:7], v3
.LBB135_900:
	s_mov_b64 s[2:3], 0
.LBB135_901:
	s_andn2_b64 vcc, exec, s[2:3]
	s_cbranch_vccnz .LBB135_903
; %bb.902:
	global_load_ubyte v3, v[0:1], off
	s_movk_i32 s2, 0x7f00
	s_brev_b32 s3, 16
	s_waitcnt vmcnt(0)
	v_lshlrev_b16_e32 v4, 8, v3
	v_lshlrev_b32_e32 v3, 25, v3
	v_lshrrev_b32_e32 v5, 4, v3
	v_and_or_b32 v6, v4, s2, 0.5
	v_or_b32_e32 v5, 0x70000000, v5
	v_add_f32_e32 v6, -0.5, v6
	v_mul_f32_e32 v5, 0x7800000, v5
	v_cmp_gt_u32_e32 vcc, s3, v3
	v_bfe_i32 v4, v4, 0, 16
	v_cndmask_b32_e32 v3, v5, v6, vcc
	s_brev_b32 s2, 1
	v_and_or_b32 v3, v4, s2, v3
	v_cvt_f64_f32_e32 v[6:7], v3
.LBB135_903:
	s_mov_b64 s[2:3], 0
	s_mov_b64 s[10:11], -1
.LBB135_904:
	s_andn2_b64 vcc, exec, s[2:3]
	s_mov_b64 s[2:3], 0
	s_cbranch_vccnz .LBB135_913
; %bb.905:
	s_cmp_gt_i32 s20, 14
	s_cbranch_scc0 .LBB135_908
; %bb.906:
	s_cmp_eq_u32 s20, 15
	s_cbranch_scc0 .LBB135_909
; %bb.907:
	global_load_ushort v3, v[0:1], off
	s_mov_b64 s[0:1], 0
	s_mov_b64 s[10:11], -1
	s_waitcnt vmcnt(0)
	v_lshlrev_b32_e32 v3, 16, v3
	v_cvt_f64_f32_e32 v[6:7], v3
	s_branch .LBB135_910
.LBB135_908:
	s_mov_b64 s[16:17], -1
                                        ; implicit-def: $vgpr6_vgpr7
	s_branch .LBB135_911
.LBB135_909:
	s_mov_b64 s[0:1], -1
                                        ; implicit-def: $vgpr6_vgpr7
.LBB135_910:
	s_mov_b64 s[16:17], 0
.LBB135_911:
	s_and_b64 vcc, exec, s[16:17]
	s_cbranch_vccz .LBB135_913
; %bb.912:
	s_cmp_lg_u32 s20, 11
	s_cselect_b64 s[16:17], -1, 0
	s_andn2_b64 s[0:1], s[0:1], exec
	s_and_b64 s[16:17], s[16:17], exec
	s_mov_b64 s[2:3], -1
	s_or_b64 s[0:1], s[0:1], s[16:17]
.LBB135_913:
	s_mov_b64 s[16:17], 0
.LBB135_914:
	s_and_b64 s[18:19], s[10:11], exec
	s_andn2_b64 s[10:11], s[72:73], exec
	s_and_b64 s[0:1], s[0:1], exec
	s_and_b64 s[16:17], s[16:17], exec
	;; [unrolled: 1-line block ×3, first 2 shown]
	s_or_b64 s[20:21], s[10:11], s[0:1]
.LBB135_915:
	s_or_b64 exec, exec, s[76:77]
	s_and_b64 s[0:1], s[2:3], exec
	s_andn2_b64 s[2:3], s[72:73], exec
	s_and_b64 s[10:11], s[20:21], exec
	s_and_b64 s[18:19], s[18:19], exec
	;; [unrolled: 1-line block ×3, first 2 shown]
	s_or_b64 s[72:73], s[2:3], s[10:11]
.LBB135_916:
	s_or_b64 exec, exec, s[70:71]
	s_andn2_b64 s[2:3], s[66:67], exec
	s_and_b64 s[10:11], s[74:75], exec
	s_or_b64 s[66:67], s[2:3], s[10:11]
	s_and_b64 s[2:3], s[0:1], exec
	s_andn2_b64 s[0:1], s[64:65], exec
	s_and_b64 s[10:11], s[72:73], exec
	s_and_b64 s[18:19], s[18:19], exec
	;; [unrolled: 1-line block ×3, first 2 shown]
	s_or_b64 s[64:65], s[0:1], s[10:11]
.LBB135_917:
	s_or_b64 exec, exec, s[68:69]
	s_andn2_b64 s[0:1], s[58:59], exec
	s_and_b64 s[10:11], s[66:67], exec
	s_or_b64 s[58:59], s[0:1], s[10:11]
	s_and_b64 s[66:67], s[2:3], exec
	s_andn2_b64 s[2:3], s[60:61], exec
	s_and_b64 s[10:11], s[64:65], exec
	s_and_b64 s[0:1], s[18:19], exec
	;; [unrolled: 1-line block ×3, first 2 shown]
	s_or_b64 s[60:61], s[2:3], s[10:11]
	s_or_b64 exec, exec, s[62:63]
	s_mov_b64 s[2:3], 0
	s_and_saveexec_b64 s[10:11], s[60:61]
	s_cbranch_execz .LBB135_274
.LBB135_918:
	s_mov_b64 s[2:3], exec
	s_andn2_b64 s[66:67], s[66:67], exec
	s_trap 2
	s_or_b64 exec, exec, s[10:11]
	s_and_saveexec_b64 s[10:11], s[66:67]
	s_xor_b64 s[10:11], exec, s[10:11]
	s_cbranch_execnz .LBB135_275
.LBB135_919:
	s_or_b64 exec, exec, s[10:11]
	s_and_saveexec_b64 s[10:11], s[16:17]
	s_cbranch_execz .LBB135_965
.LBB135_920:
	s_sext_i32_i16 s16, s80
	s_cmp_lt_i32 s16, 5
	s_cbranch_scc1 .LBB135_925
; %bb.921:
	s_cmp_lt_i32 s16, 8
	s_cbranch_scc1 .LBB135_926
; %bb.922:
	;; [unrolled: 3-line block ×3, first 2 shown]
	s_cmp_gt_i32 s16, 9
	s_cbranch_scc0 .LBB135_928
; %bb.924:
	global_load_dwordx2 v[6:7], v[0:1], off
	s_mov_b64 s[16:17], 0
	s_branch .LBB135_929
.LBB135_925:
                                        ; implicit-def: $vgpr6_vgpr7
	s_branch .LBB135_946
.LBB135_926:
                                        ; implicit-def: $vgpr6_vgpr7
	s_branch .LBB135_935
.LBB135_927:
	s_mov_b64 s[16:17], -1
                                        ; implicit-def: $vgpr6_vgpr7
	s_branch .LBB135_932
.LBB135_928:
	s_mov_b64 s[16:17], -1
                                        ; implicit-def: $vgpr6_vgpr7
.LBB135_929:
	s_andn2_b64 vcc, exec, s[16:17]
	s_cbranch_vccnz .LBB135_931
; %bb.930:
	global_load_dword v3, v[0:1], off
	s_waitcnt vmcnt(0)
	v_cvt_f64_f32_e32 v[6:7], v3
.LBB135_931:
	s_mov_b64 s[16:17], 0
.LBB135_932:
	s_andn2_b64 vcc, exec, s[16:17]
	s_cbranch_vccnz .LBB135_934
; %bb.933:
	global_load_dword v3, v[0:1], off
	s_waitcnt vmcnt(0)
	v_cvt_f32_f16_e32 v3, v3
	v_cvt_f64_f32_e32 v[6:7], v3
.LBB135_934:
	s_cbranch_execnz .LBB135_945
.LBB135_935:
	s_sext_i32_i16 s16, s80
	s_cmp_lt_i32 s16, 6
	s_cbranch_scc1 .LBB135_938
; %bb.936:
	s_cmp_gt_i32 s16, 6
	s_cbranch_scc0 .LBB135_939
; %bb.937:
	global_load_dwordx2 v[6:7], v[0:1], off
	s_mov_b64 s[16:17], 0
	s_branch .LBB135_940
.LBB135_938:
	s_mov_b64 s[16:17], -1
                                        ; implicit-def: $vgpr6_vgpr7
	s_branch .LBB135_943
.LBB135_939:
	s_mov_b64 s[16:17], -1
                                        ; implicit-def: $vgpr6_vgpr7
.LBB135_940:
	s_andn2_b64 vcc, exec, s[16:17]
	s_cbranch_vccnz .LBB135_942
; %bb.941:
	global_load_dword v3, v[0:1], off
	s_waitcnt vmcnt(0)
	v_cvt_f64_f32_e32 v[6:7], v3
.LBB135_942:
	s_mov_b64 s[16:17], 0
.LBB135_943:
	s_andn2_b64 vcc, exec, s[16:17]
	s_cbranch_vccnz .LBB135_945
; %bb.944:
	global_load_ushort v3, v[0:1], off
	s_waitcnt vmcnt(0)
	v_cvt_f32_f16_e32 v3, v3
	v_cvt_f64_f32_e32 v[6:7], v3
.LBB135_945:
	s_cbranch_execnz .LBB135_964
.LBB135_946:
	s_sext_i32_i16 s16, s80
	s_cmp_lt_i32 s16, 2
	s_cbranch_scc1 .LBB135_950
; %bb.947:
	s_cmp_lt_i32 s16, 3
	s_cbranch_scc1 .LBB135_951
; %bb.948:
	s_cmp_gt_i32 s16, 3
	s_cbranch_scc0 .LBB135_952
; %bb.949:
	global_load_dwordx2 v[3:4], v[0:1], off
	s_mov_b64 s[16:17], 0
	s_waitcnt vmcnt(0)
	v_cvt_f64_i32_e32 v[4:5], v4
	v_cvt_f64_u32_e32 v[6:7], v3
	v_ldexp_f64 v[4:5], v[4:5], 32
	v_add_f64 v[6:7], v[4:5], v[6:7]
	s_branch .LBB135_953
.LBB135_950:
                                        ; implicit-def: $vgpr6_vgpr7
	s_branch .LBB135_959
.LBB135_951:
	s_mov_b64 s[16:17], -1
                                        ; implicit-def: $vgpr6_vgpr7
	s_branch .LBB135_956
.LBB135_952:
	s_mov_b64 s[16:17], -1
                                        ; implicit-def: $vgpr6_vgpr7
.LBB135_953:
	s_andn2_b64 vcc, exec, s[16:17]
	s_cbranch_vccnz .LBB135_955
; %bb.954:
	global_load_dword v3, v[0:1], off
	s_waitcnt vmcnt(0)
	v_cvt_f64_i32_e32 v[6:7], v3
.LBB135_955:
	s_mov_b64 s[16:17], 0
.LBB135_956:
	s_andn2_b64 vcc, exec, s[16:17]
	s_cbranch_vccnz .LBB135_958
; %bb.957:
	global_load_sshort v3, v[0:1], off
	s_waitcnt vmcnt(0)
	v_cvt_f64_i32_e32 v[6:7], v3
.LBB135_958:
	s_cbranch_execnz .LBB135_964
.LBB135_959:
	s_sext_i32_i16 s16, s80
	s_cmp_gt_i32 s16, 0
	s_cbranch_scc0 .LBB135_961
; %bb.960:
	global_load_sbyte v3, v[0:1], off
	s_mov_b64 s[16:17], 0
	s_waitcnt vmcnt(0)
	v_cvt_f64_i32_e32 v[6:7], v3
	s_branch .LBB135_962
.LBB135_961:
	s_mov_b64 s[16:17], -1
                                        ; implicit-def: $vgpr6_vgpr7
.LBB135_962:
	s_andn2_b64 vcc, exec, s[16:17]
	s_cbranch_vccnz .LBB135_964
; %bb.963:
	global_load_ubyte v0, v[0:1], off
	s_waitcnt vmcnt(0)
	v_cvt_f64_u32_e32 v[6:7], v0
.LBB135_964:
	s_or_b64 s[0:1], s[0:1], exec
.LBB135_965:
	s_or_b64 exec, exec, s[10:11]
	s_mov_b64 s[18:19], 0
	s_mov_b64 s[16:17], 0
                                        ; implicit-def: $sgpr20
                                        ; implicit-def: $vgpr4_vgpr5
                                        ; implicit-def: $vgpr0_vgpr1
	s_and_saveexec_b64 s[10:11], s[0:1]
	s_cbranch_execz .LBB135_973
; %bb.966:
	s_waitcnt vmcnt(0)
	v_cmp_nge_f64_e32 vcc, s[12:13], v[6:7]
	v_mov_b32_e32 v0, s15
	v_mov_b32_e32 v1, s49
	;; [unrolled: 1-line block ×5, first 2 shown]
	s_and_b32 s20, s79, 0xff
	s_cmp_lt_i32 s20, 11
	v_cndmask_b32_e32 v1, v0, v1, vcc
	v_cndmask_b32_e32 v0, v3, v4, vcc
	v_add_co_u32_e32 v4, vcc, s8, v2
	v_addc_co_u32_e32 v5, vcc, 0, v5, vcc
	s_cbranch_scc1 .LBB135_976
; %bb.967:
	s_and_b32 s18, 0xffff, s20
	s_mov_b64 s[12:13], -1
	s_cmp_gt_i32 s18, 25
	s_mov_b64 s[0:1], s[58:59]
	s_cbranch_scc0 .LBB135_1004
; %bb.968:
	s_mov_b64 s[8:9], -1
	s_cmp_gt_i32 s18, 28
	s_mov_b64 s[0:1], s[58:59]
	s_cbranch_scc0 .LBB135_988
; %bb.969:
	s_cmp_gt_i32 s18, 43
	s_mov_b64 s[0:1], s[58:59]
	s_cbranch_scc0 .LBB135_984
; %bb.970:
	;; [unrolled: 4-line block ×3, first 2 shown]
	s_cmp_eq_u32 s18, 46
	s_mov_b64 s[0:1], -1
	s_cbranch_scc0 .LBB135_977
; %bb.972:
	v_cvt_f32_f64_e32 v2, v[0:1]
	s_movk_i32 s0, 0x7fff
	v_mov_b32_e32 v3, 0x7fc0
	s_mov_b64 s[8:9], 0
	v_bfe_u32 v6, v2, 16, 1
	v_cmp_o_f32_e32 vcc, v2, v2
	v_add3_u32 v2, v2, v6, s0
	v_cndmask_b32_sdwa v2, v3, v2, vcc dst_sel:DWORD dst_unused:UNUSED_PAD src0_sel:DWORD src1_sel:WORD_1
	global_store_dword v[4:5], v2, off
	s_mov_b64 s[0:1], 0
	s_branch .LBB135_978
.LBB135_973:
	s_or_b64 exec, exec, s[10:11]
	s_and_saveexec_b64 s[0:1], s[58:59]
	s_cbranch_execnz .LBB135_1046
.LBB135_974:
	s_or_b64 exec, exec, s[0:1]
	s_and_saveexec_b64 s[0:1], s[18:19]
	s_xor_b64 s[0:1], exec, s[0:1]
	s_cbranch_execz .LBB135_1047
.LBB135_975:
	v_cmp_neq_f64_e32 vcc, 0, v[0:1]
	v_cndmask_b32_e64 v2, 0, 1, vcc
	s_waitcnt vmcnt(0)
	global_store_byte v[4:5], v2, off
	s_or_b64 exec, exec, s[0:1]
	s_and_saveexec_b64 s[0:1], s[16:17]
	s_xor_b64 s[0:1], exec, s[0:1]
	s_cbranch_execz .LBB135_1085
	s_branch .LBB135_1048
.LBB135_976:
	s_mov_b64 s[12:13], 0
	s_mov_b64 s[8:9], -1
	s_mov_b64 s[0:1], s[58:59]
	s_branch .LBB135_1045
.LBB135_977:
	s_mov_b64 s[8:9], 0
.LBB135_978:
	s_and_b64 vcc, exec, s[8:9]
	s_cbranch_vccz .LBB135_983
; %bb.979:
	s_cmp_eq_u32 s18, 44
	s_mov_b64 s[0:1], -1
	s_cbranch_scc0 .LBB135_983
; %bb.980:
	v_cvt_f32_f64_e32 v2, v[0:1]
	s_movk_i32 s0, 0xff
	v_mov_b32_e32 v6, 0xff
	v_bfe_u32 v3, v2, 23, 8
	v_cmp_ne_u32_e32 vcc, s0, v3
	s_and_saveexec_b64 s[8:9], vcc
; %bb.981:
	s_mov_b32 s0, 0x3fffff
	v_lshrrev_b32_e32 v6, 23, v2
	v_and_b32_e32 v7, 0x400000, v2
	v_and_or_b32 v2, v2, s0, v3
	v_cmp_ne_u32_e32 vcc, 0, v7
	v_cmp_ne_u32_e64 s[0:1], 0, v2
	s_and_b64 s[0:1], vcc, s[0:1]
	v_cndmask_b32_e64 v2, 0, 1, s[0:1]
	v_add_u32_e32 v6, v6, v2
; %bb.982:
	s_or_b64 exec, exec, s[8:9]
	s_mov_b64 s[0:1], 0
	global_store_byte v[4:5], v6, off
.LBB135_983:
	s_mov_b64 s[8:9], 0
.LBB135_984:
	s_and_b64 vcc, exec, s[8:9]
	s_cbranch_vccz .LBB135_987
; %bb.985:
	s_cmp_eq_u32 s18, 29
	s_mov_b64 s[0:1], -1
	s_cbranch_scc0 .LBB135_987
; %bb.986:
	v_trunc_f64_e32 v[2:3], v[0:1]
	s_movk_i32 s0, 0xffe0
	s_mov_b64 s[8:9], 0
	v_ldexp_f64 v[6:7], v[2:3], s0
	s_mov_b32 s0, 0
	s_mov_b32 s1, 0xc1f00000
	v_floor_f64_e32 v[6:7], v[6:7]
	v_fma_f64 v[2:3], v[6:7], s[0:1], v[2:3]
	v_cvt_u32_f64_e32 v7, v[6:7]
	s_mov_b64 s[0:1], 0
	v_cvt_u32_f64_e32 v6, v[2:3]
	global_store_dwordx2 v[4:5], v[6:7], off
	s_branch .LBB135_988
.LBB135_987:
	s_mov_b64 s[8:9], 0
.LBB135_988:
	s_and_b64 vcc, exec, s[8:9]
	s_cbranch_vccz .LBB135_1003
; %bb.989:
	s_cmp_lt_i32 s18, 27
	s_mov_b64 s[8:9], -1
	s_cbranch_scc1 .LBB135_995
; %bb.990:
	s_cmp_gt_i32 s18, 27
	s_cbranch_scc0 .LBB135_992
; %bb.991:
	v_cvt_u32_f64_e32 v2, v[0:1]
	s_mov_b64 s[8:9], 0
	global_store_dword v[4:5], v2, off
.LBB135_992:
	s_andn2_b64 vcc, exec, s[8:9]
	s_cbranch_vccnz .LBB135_994
; %bb.993:
	v_cvt_u32_f64_e32 v2, v[0:1]
	global_store_short v[4:5], v2, off
.LBB135_994:
	s_mov_b64 s[8:9], 0
.LBB135_995:
	s_andn2_b64 vcc, exec, s[8:9]
	s_cbranch_vccnz .LBB135_1003
; %bb.996:
	v_cvt_f32_f64_e32 v2, v[0:1]
	s_mov_b32 s8, 0x43800000
	v_mov_b32_e32 v6, 0x80
	v_and_b32_e32 v3, 0x7fffffff, v2
	v_cmp_gt_u32_e32 vcc, s8, v3
	s_and_saveexec_b64 s[8:9], vcc
	s_cbranch_execz .LBB135_1002
; %bb.997:
	s_mov_b32 s12, 0x3bffffff
	v_cmp_lt_u32_e32 vcc, s12, v3
	s_mov_b64 s[12:13], 0
                                        ; implicit-def: $vgpr3
	s_and_saveexec_b64 s[14:15], vcc
	s_xor_b64 s[14:15], exec, s[14:15]
	s_cbranch_execz .LBB135_1156
; %bb.998:
	v_bfe_u32 v3, v2, 20, 1
	s_mov_b32 s16, 0x487ffff
	v_add3_u32 v3, v2, v3, s16
	s_mov_b64 s[12:13], exec
	v_lshrrev_b32_e32 v3, 20, v3
	s_andn2_saveexec_b64 s[14:15], s[14:15]
	s_cbranch_execnz .LBB135_1157
.LBB135_999:
	s_or_b64 exec, exec, s[14:15]
	v_mov_b32_e32 v6, 0
	s_and_saveexec_b64 s[14:15], s[12:13]
.LBB135_1000:
	v_lshrrev_b32_e32 v2, 24, v2
	s_movk_i32 s12, 0x80
	v_and_or_b32 v6, v2, s12, v3
.LBB135_1001:
	s_or_b64 exec, exec, s[14:15]
.LBB135_1002:
	s_or_b64 exec, exec, s[8:9]
	global_store_byte v[4:5], v6, off
.LBB135_1003:
	s_mov_b64 s[12:13], 0
.LBB135_1004:
	s_mov_b64 s[8:9], 0
	s_and_b64 vcc, exec, s[12:13]
	s_cbranch_vccz .LBB135_1044
; %bb.1005:
	s_cmp_gt_i32 s18, 22
	s_mov_b64 s[12:13], -1
	s_cbranch_scc0 .LBB135_1037
; %bb.1006:
	s_cmp_lt_i32 s18, 24
	s_cbranch_scc1 .LBB135_1026
; %bb.1007:
	s_cmp_gt_i32 s18, 24
	s_cbranch_scc0 .LBB135_1015
; %bb.1008:
	v_cvt_f32_f64_e32 v2, v[0:1]
	s_mov_b32 s12, 0x47800000
	v_mov_b32_e32 v6, 0x80
	v_and_b32_e32 v3, 0x7fffffff, v2
	v_cmp_gt_u32_e32 vcc, s12, v3
	s_and_saveexec_b64 s[12:13], vcc
	s_cbranch_execz .LBB135_1014
; %bb.1009:
	s_mov_b32 s14, 0x37ffffff
	v_cmp_lt_u32_e32 vcc, s14, v3
	s_mov_b64 s[14:15], 0
                                        ; implicit-def: $vgpr3
	s_and_saveexec_b64 s[16:17], vcc
	s_xor_b64 s[16:17], exec, s[16:17]
	s_cbranch_execz .LBB135_1281
; %bb.1010:
	v_bfe_u32 v3, v2, 21, 1
	s_mov_b32 s19, 0x88fffff
	v_add3_u32 v3, v2, v3, s19
	s_mov_b64 s[14:15], exec
	v_lshrrev_b32_e32 v3, 21, v3
	s_andn2_saveexec_b64 s[16:17], s[16:17]
	s_cbranch_execnz .LBB135_1282
.LBB135_1011:
	s_or_b64 exec, exec, s[16:17]
	v_mov_b32_e32 v6, 0
	s_and_saveexec_b64 s[16:17], s[14:15]
.LBB135_1012:
	v_lshrrev_b32_e32 v2, 24, v2
	s_movk_i32 s14, 0x80
	v_and_or_b32 v6, v2, s14, v3
.LBB135_1013:
	s_or_b64 exec, exec, s[16:17]
.LBB135_1014:
	s_or_b64 exec, exec, s[12:13]
	s_mov_b64 s[12:13], 0
	global_store_byte v[4:5], v6, off
.LBB135_1015:
	s_and_b64 vcc, exec, s[12:13]
	s_cbranch_vccz .LBB135_1025
; %bb.1016:
	v_cvt_f32_f64_e32 v2, v[0:1]
	s_mov_b32 s12, 0x43f00000
                                        ; implicit-def: $vgpr3
	v_and_b32_e32 v6, 0x7fffffff, v2
	v_cmp_gt_u32_e32 vcc, s12, v6
	s_and_saveexec_b64 s[12:13], vcc
	s_xor_b64 s[12:13], exec, s[12:13]
	s_cbranch_execz .LBB135_1022
; %bb.1017:
	s_mov_b32 s14, 0x3c7fffff
	v_cmp_lt_u32_e32 vcc, s14, v6
                                        ; implicit-def: $vgpr3
	s_and_saveexec_b64 s[14:15], vcc
	s_xor_b64 s[14:15], exec, s[14:15]
; %bb.1018:
	v_bfe_u32 v3, v2, 20, 1
	s_mov_b32 s16, 0x407ffff
	v_add3_u32 v3, v2, v3, s16
	v_lshrrev_b32_e32 v6, 20, v3
	v_and_b32_e32 v3, 0xff00000, v3
	s_mov_b32 s16, 0x7f00000
	v_mov_b32_e32 v7, 0x7e
	v_cmp_ne_u32_e32 vcc, s16, v3
	v_cndmask_b32_e32 v3, v7, v6, vcc
; %bb.1019:
	s_andn2_saveexec_b64 s[14:15], s[14:15]
; %bb.1020:
	s_mov_b32 s16, 0x46800000
	v_add_f32_e64 v3, |v2|, s16
; %bb.1021:
	s_or_b64 exec, exec, s[14:15]
                                        ; implicit-def: $vgpr6
.LBB135_1022:
	s_andn2_saveexec_b64 s[12:13], s[12:13]
; %bb.1023:
	s_mov_b32 s14, 0x7f800000
	v_mov_b32_e32 v3, 0x7e
	v_mov_b32_e32 v7, 0x7f
	v_cmp_lt_u32_e32 vcc, s14, v6
	v_cndmask_b32_e32 v3, v3, v7, vcc
; %bb.1024:
	s_or_b64 exec, exec, s[12:13]
	v_lshrrev_b32_e32 v2, 24, v2
	s_movk_i32 s12, 0x80
	v_and_or_b32 v2, v2, s12, v3
	global_store_byte v[4:5], v2, off
.LBB135_1025:
	s_mov_b64 s[12:13], 0
.LBB135_1026:
	s_andn2_b64 vcc, exec, s[12:13]
	s_cbranch_vccnz .LBB135_1036
; %bb.1027:
	v_cvt_f32_f64_e32 v2, v[0:1]
	s_mov_b32 s12, 0x47800000
                                        ; implicit-def: $vgpr3
	v_and_b32_e32 v6, 0x7fffffff, v2
	v_cmp_gt_u32_e32 vcc, s12, v6
	s_and_saveexec_b64 s[12:13], vcc
	s_xor_b64 s[12:13], exec, s[12:13]
	s_cbranch_execz .LBB135_1033
; %bb.1028:
	s_mov_b32 s14, 0x387fffff
	v_cmp_lt_u32_e32 vcc, s14, v6
                                        ; implicit-def: $vgpr3
	s_and_saveexec_b64 s[14:15], vcc
	s_xor_b64 s[14:15], exec, s[14:15]
; %bb.1029:
	v_bfe_u32 v3, v2, 21, 1
	s_mov_b32 s16, 0x80fffff
	v_add3_u32 v3, v2, v3, s16
	v_lshrrev_b32_e32 v3, 21, v3
; %bb.1030:
	s_andn2_saveexec_b64 s[14:15], s[14:15]
; %bb.1031:
	s_mov_b32 s16, 0x43000000
	v_add_f32_e64 v3, |v2|, s16
; %bb.1032:
	s_or_b64 exec, exec, s[14:15]
                                        ; implicit-def: $vgpr6
.LBB135_1033:
	s_andn2_saveexec_b64 s[12:13], s[12:13]
; %bb.1034:
	s_mov_b32 s14, 0x7f800000
	v_mov_b32_e32 v3, 0x7c
	v_mov_b32_e32 v7, 0x7f
	v_cmp_lt_u32_e32 vcc, s14, v6
	v_cndmask_b32_e32 v3, v3, v7, vcc
; %bb.1035:
	s_or_b64 exec, exec, s[12:13]
	v_lshrrev_b32_e32 v2, 24, v2
	s_movk_i32 s12, 0x80
	v_and_or_b32 v2, v2, s12, v3
	global_store_byte v[4:5], v2, off
.LBB135_1036:
	s_mov_b64 s[12:13], 0
.LBB135_1037:
	s_andn2_b64 vcc, exec, s[12:13]
	s_mov_b64 s[12:13], 0
	s_cbranch_vccnz .LBB135_1045
; %bb.1038:
	s_cmp_gt_i32 s18, 14
	s_mov_b64 s[14:15], -1
	s_cbranch_scc0 .LBB135_1042
; %bb.1039:
	s_cmp_eq_u32 s18, 15
	s_mov_b64 s[0:1], -1
	s_cbranch_scc0 .LBB135_1041
; %bb.1040:
	v_cvt_f32_f64_e32 v2, v[0:1]
	s_movk_i32 s0, 0x7fff
	v_mov_b32_e32 v3, 0x7fc0
	v_bfe_u32 v6, v2, 16, 1
	v_cmp_o_f32_e32 vcc, v2, v2
	v_add3_u32 v2, v2, v6, s0
	v_cndmask_b32_sdwa v2, v3, v2, vcc dst_sel:DWORD dst_unused:UNUSED_PAD src0_sel:DWORD src1_sel:WORD_1
	global_store_short v[4:5], v2, off
	s_mov_b64 s[0:1], 0
.LBB135_1041:
	s_mov_b64 s[14:15], 0
.LBB135_1042:
	s_and_b64 vcc, exec, s[14:15]
	s_cbranch_vccz .LBB135_1045
; %bb.1043:
	s_cmp_lg_u32 s18, 11
	s_cselect_b64 s[14:15], -1, 0
	s_andn2_b64 s[0:1], s[0:1], exec
	s_and_b64 s[14:15], s[14:15], exec
	s_mov_b64 s[12:13], -1
	s_or_b64 s[0:1], s[0:1], s[14:15]
	s_branch .LBB135_1045
.LBB135_1044:
	s_mov_b64 s[12:13], 0
.LBB135_1045:
	s_and_b64 s[16:17], s[8:9], exec
	s_andn2_b64 s[8:9], s[58:59], exec
	s_and_b64 s[0:1], s[0:1], exec
	s_and_b64 s[18:19], s[12:13], exec
	s_or_b64 s[58:59], s[8:9], s[0:1]
	s_or_b64 exec, exec, s[10:11]
	s_and_saveexec_b64 s[0:1], s[58:59]
	s_cbranch_execz .LBB135_974
.LBB135_1046:
	s_or_b64 s[2:3], s[2:3], exec
	s_andn2_b64 s[18:19], s[18:19], exec
	s_trap 2
	s_or_b64 exec, exec, s[0:1]
	s_and_saveexec_b64 s[0:1], s[18:19]
	s_xor_b64 s[0:1], exec, s[0:1]
	s_cbranch_execnz .LBB135_975
.LBB135_1047:
	s_or_b64 exec, exec, s[0:1]
	s_and_saveexec_b64 s[0:1], s[16:17]
	s_xor_b64 s[0:1], exec, s[0:1]
	s_cbranch_execz .LBB135_1085
.LBB135_1048:
	s_sext_i32_i16 s10, s20
	s_cmp_lt_i32 s10, 5
	s_mov_b64 s[8:9], -1
	s_cbranch_scc1 .LBB135_1069
; %bb.1049:
	s_cmp_lt_i32 s10, 8
	s_cbranch_scc1 .LBB135_1059
; %bb.1050:
	s_cmp_lt_i32 s10, 9
	s_cbranch_scc1 .LBB135_1056
; %bb.1051:
	s_cmp_gt_i32 s10, 9
	s_cbranch_scc0 .LBB135_1053
; %bb.1052:
	v_mov_b32_e32 v2, 0
	s_waitcnt vmcnt(0)
	v_mov_b32_e32 v3, v2
	s_mov_b64 s[8:9], 0
	global_store_dwordx4 v[4:5], v[0:3], off
.LBB135_1053:
	s_andn2_b64 vcc, exec, s[8:9]
	s_cbranch_vccnz .LBB135_1055
; %bb.1054:
	v_cvt_f32_f64_e32 v2, v[0:1]
	s_waitcnt vmcnt(0)
	v_mov_b32_e32 v3, 0
	global_store_dwordx2 v[4:5], v[2:3], off
.LBB135_1055:
	s_mov_b64 s[8:9], 0
.LBB135_1056:
	s_andn2_b64 vcc, exec, s[8:9]
	s_cbranch_vccnz .LBB135_1058
; %bb.1057:
	s_movk_i32 s8, 0x1ff
	v_and_or_b32 v2, v1, s8, v0
	v_cmp_ne_u32_e32 vcc, 0, v2
	v_cndmask_b32_e64 v2, 0, 1, vcc
	s_waitcnt vmcnt(0)
	v_lshrrev_b32_e32 v3, 8, v1
	s_movk_i32 s8, 0xffe
	v_bfe_u32 v6, v1, 20, 11
	v_and_or_b32 v2, v3, s8, v2
	v_sub_u32_e32 v7, 0x3f1, v6
	v_or_b32_e32 v3, 0x1000, v2
	v_med3_i32 v7, v7, 0, 13
	v_lshrrev_b32_e32 v8, v7, v3
	v_lshlrev_b32_e32 v7, v7, v8
	v_cmp_ne_u32_e32 vcc, v7, v3
	v_cndmask_b32_e64 v3, 0, 1, vcc
	v_add_u32_e32 v6, 0xfffffc10, v6
	v_or_b32_e32 v3, v8, v3
	v_lshl_or_b32 v7, v6, 12, v2
	v_cmp_gt_i32_e32 vcc, 1, v6
	v_cndmask_b32_e32 v3, v7, v3, vcc
	v_and_b32_e32 v7, 7, v3
	v_cmp_lt_i32_e32 vcc, 5, v7
	v_cndmask_b32_e64 v8, 0, 1, vcc
	v_cmp_eq_u32_e32 vcc, 3, v7
	v_cndmask_b32_e64 v7, 0, 1, vcc
	v_or_b32_e32 v7, v7, v8
	v_lshrrev_b32_e32 v3, 2, v3
	v_add_u32_e32 v3, v3, v7
	v_mov_b32_e32 v7, 0x7c00
	v_cmp_gt_i32_e32 vcc, 31, v6
	v_cndmask_b32_e32 v3, v7, v3, vcc
	v_mov_b32_e32 v8, 0x7e00
	v_cmp_ne_u32_e32 vcc, 0, v2
	s_movk_i32 s8, 0x40f
	v_cndmask_b32_e32 v2, v7, v8, vcc
	v_cmp_eq_u32_e32 vcc, s8, v6
	v_cndmask_b32_e32 v2, v3, v2, vcc
	v_lshrrev_b32_e32 v3, 16, v1
	s_mov_b32 s8, 0x8000
	v_and_or_b32 v2, v3, s8, v2
	v_and_b32_e32 v2, 0xffff, v2
	global_store_dword v[4:5], v2, off
.LBB135_1058:
	s_mov_b64 s[8:9], 0
.LBB135_1059:
	s_andn2_b64 vcc, exec, s[8:9]
	s_cbranch_vccnz .LBB135_1068
; %bb.1060:
	s_sext_i32_i16 s10, s20
	s_cmp_lt_i32 s10, 6
	s_mov_b64 s[8:9], -1
	s_cbranch_scc1 .LBB135_1066
; %bb.1061:
	s_cmp_gt_i32 s10, 6
	s_cbranch_scc0 .LBB135_1063
; %bb.1062:
	s_mov_b64 s[8:9], 0
	s_waitcnt vmcnt(0)
	global_store_dwordx2 v[4:5], v[0:1], off
.LBB135_1063:
	s_andn2_b64 vcc, exec, s[8:9]
	s_cbranch_vccnz .LBB135_1065
; %bb.1064:
	v_cvt_f32_f64_e32 v2, v[0:1]
	s_waitcnt vmcnt(0)
	global_store_dword v[4:5], v2, off
.LBB135_1065:
	s_mov_b64 s[8:9], 0
.LBB135_1066:
	s_andn2_b64 vcc, exec, s[8:9]
	s_cbranch_vccnz .LBB135_1068
; %bb.1067:
	s_movk_i32 s8, 0x1ff
	v_and_or_b32 v2, v1, s8, v0
	v_cmp_ne_u32_e32 vcc, 0, v2
	v_cndmask_b32_e64 v2, 0, 1, vcc
	s_waitcnt vmcnt(0)
	v_lshrrev_b32_e32 v3, 8, v1
	s_movk_i32 s8, 0xffe
	v_bfe_u32 v6, v1, 20, 11
	v_and_or_b32 v2, v3, s8, v2
	v_sub_u32_e32 v7, 0x3f1, v6
	v_or_b32_e32 v3, 0x1000, v2
	v_med3_i32 v7, v7, 0, 13
	v_lshrrev_b32_e32 v8, v7, v3
	v_lshlrev_b32_e32 v7, v7, v8
	v_cmp_ne_u32_e32 vcc, v7, v3
	v_cndmask_b32_e64 v3, 0, 1, vcc
	v_add_u32_e32 v6, 0xfffffc10, v6
	v_or_b32_e32 v3, v8, v3
	v_lshl_or_b32 v7, v6, 12, v2
	v_cmp_gt_i32_e32 vcc, 1, v6
	v_cndmask_b32_e32 v3, v7, v3, vcc
	v_and_b32_e32 v7, 7, v3
	v_cmp_lt_i32_e32 vcc, 5, v7
	v_cndmask_b32_e64 v8, 0, 1, vcc
	v_cmp_eq_u32_e32 vcc, 3, v7
	v_cndmask_b32_e64 v7, 0, 1, vcc
	v_or_b32_e32 v7, v7, v8
	v_lshrrev_b32_e32 v3, 2, v3
	v_add_u32_e32 v3, v3, v7
	v_mov_b32_e32 v7, 0x7c00
	v_cmp_gt_i32_e32 vcc, 31, v6
	v_cndmask_b32_e32 v3, v7, v3, vcc
	v_mov_b32_e32 v8, 0x7e00
	v_cmp_ne_u32_e32 vcc, 0, v2
	s_movk_i32 s8, 0x40f
	v_cndmask_b32_e32 v2, v7, v8, vcc
	v_cmp_eq_u32_e32 vcc, s8, v6
	v_cndmask_b32_e32 v2, v3, v2, vcc
	v_lshrrev_b32_e32 v3, 16, v1
	s_mov_b32 s8, 0x8000
	v_and_or_b32 v2, v3, s8, v2
	global_store_short v[4:5], v2, off
.LBB135_1068:
	s_mov_b64 s[8:9], 0
.LBB135_1069:
	s_andn2_b64 vcc, exec, s[8:9]
	s_cbranch_vccnz .LBB135_1085
; %bb.1070:
	s_sext_i32_i16 s10, s20
	s_cmp_lt_i32 s10, 2
	s_mov_b64 s[8:9], -1
	s_cbranch_scc1 .LBB135_1080
; %bb.1071:
	s_cmp_lt_i32 s10, 3
	s_cbranch_scc1 .LBB135_1077
; %bb.1072:
	s_cmp_gt_i32 s10, 3
	s_cbranch_scc0 .LBB135_1074
; %bb.1073:
	s_waitcnt vmcnt(0)
	v_trunc_f64_e32 v[2:3], v[0:1]
	s_movk_i32 s8, 0xffe0
	v_ldexp_f64 v[6:7], v[2:3], s8
	s_mov_b32 s8, 0
	s_mov_b32 s9, 0xc1f00000
	v_floor_f64_e32 v[6:7], v[6:7]
	v_fma_f64 v[2:3], v[6:7], s[8:9], v[2:3]
	v_cvt_i32_f64_e32 v7, v[6:7]
	s_mov_b64 s[8:9], 0
	v_cvt_u32_f64_e32 v6, v[2:3]
	global_store_dwordx2 v[4:5], v[6:7], off
.LBB135_1074:
	s_andn2_b64 vcc, exec, s[8:9]
	s_cbranch_vccnz .LBB135_1076
; %bb.1075:
	v_cvt_i32_f64_e32 v2, v[0:1]
	s_waitcnt vmcnt(0)
	global_store_dword v[4:5], v2, off
.LBB135_1076:
	s_mov_b64 s[8:9], 0
.LBB135_1077:
	s_andn2_b64 vcc, exec, s[8:9]
	s_cbranch_vccnz .LBB135_1079
; %bb.1078:
	v_cvt_i32_f64_e32 v2, v[0:1]
	s_waitcnt vmcnt(0)
	global_store_short v[4:5], v2, off
.LBB135_1079:
	s_mov_b64 s[8:9], 0
.LBB135_1080:
	s_andn2_b64 vcc, exec, s[8:9]
	s_cbranch_vccnz .LBB135_1085
; %bb.1081:
	s_sext_i32_i16 s8, s20
	s_cmp_gt_i32 s8, 0
	s_mov_b64 s[8:9], -1
	s_cbranch_scc0 .LBB135_1083
; %bb.1082:
	v_cvt_i32_f64_e32 v2, v[0:1]
	s_mov_b64 s[8:9], 0
	s_waitcnt vmcnt(0)
	global_store_byte v[4:5], v2, off
.LBB135_1083:
	s_andn2_b64 vcc, exec, s[8:9]
	s_cbranch_vccnz .LBB135_1085
; %bb.1084:
	v_trunc_f64_e32 v[0:1], v[0:1]
	s_movk_i32 s8, 0xffe0
	s_waitcnt vmcnt(0)
	v_ldexp_f64 v[2:3], v[0:1], s8
	s_mov_b32 s8, 0
	s_mov_b32 s9, 0xc1f00000
	v_floor_f64_e32 v[2:3], v[2:3]
	v_fma_f64 v[0:1], v[2:3], s[8:9], v[0:1]
	v_cvt_u32_f64_e32 v0, v[0:1]
	global_store_byte v[4:5], v0, off
.LBB135_1085:
	s_or_b64 exec, exec, s[0:1]
	s_and_b64 s[28:29], s[2:3], exec
                                        ; implicit-def: $vgpr13
                                        ; implicit-def: $vgpr10
.LBB135_1086:
	s_or_saveexec_b64 s[30:31], s[46:47]
	s_mov_b64 s[0:1], 0
                                        ; implicit-def: $vgpr4_vgpr5
                                        ; implicit-def: $sgpr20
                                        ; implicit-def: $vgpr0_vgpr1
	s_xor_b64 exec, exec, s[30:31]
	s_cbranch_execz .LBB135_2090
; %bb.1087:
	v_cndmask_b32_e64 v0, 0, 1, s[44:45]
	v_cmp_ne_u32_e64 s[0:1], 1, v0
	s_andn2_b64 vcc, exec, s[44:45]
	s_cbranch_vccnz .LBB135_1093
; %bb.1088:
	s_cmp_lg_u32 s33, 0
	s_mov_b32 s36, 0
	s_cbranch_scc0 .LBB135_1094
; %bb.1089:
	s_min_u32 s37, s78, 15
	s_add_i32 s37, s37, 1
	s_cmp_eq_u32 s78, 2
	s_cbranch_scc1 .LBB135_1095
; %bb.1090:
	s_and_b32 s36, s37, 28
	s_add_u32 s2, s34, 0xc4
	s_addc_u32 s3, s35, 0
	v_mov_b32_e32 v0, 0
	s_mov_b32 s38, 0
	s_mov_b64 s[6:7], s[34:35]
	v_mov_b32_e32 v2, 0
	v_mov_b32_e32 v1, v10
.LBB135_1091:                           ; =>This Inner Loop Header: Depth=1
	s_load_dwordx8 s[16:23], s[6:7], 0x4
	s_load_dwordx4 s[24:27], s[6:7], 0x24
	s_load_dwordx8 s[8:15], s[2:3], 0x0
	s_add_u32 s6, s6, 48
	s_addc_u32 s7, s7, 0
	s_waitcnt vmcnt(0) lgkmcnt(0)
	v_mul_hi_u32 v3, s17, v1
	s_add_i32 s38, s38, 4
	s_add_u32 s2, s2, 32
	s_addc_u32 s3, s3, 0
	v_add_u32_e32 v3, v1, v3
	v_lshrrev_b32_e32 v3, s18, v3
	v_mul_lo_u32 v4, v3, s16
	v_mul_hi_u32 v5, s20, v3
	s_cmp_lg_u32 s36, s38
	v_sub_u32_e32 v1, v1, v4
	v_add_u32_e32 v4, v3, v5
	v_mul_lo_u32 v5, v1, s8
	v_mul_lo_u32 v6, v1, s9
	v_lshrrev_b32_e32 v1, s21, v4
	v_mul_lo_u32 v4, v1, s19
	v_mul_hi_u32 v7, s23, v1
	v_sub_u32_e32 v3, v3, v4
	v_add_u32_e32 v4, v1, v7
	v_lshrrev_b32_e32 v4, s24, v4
	v_mul_hi_u32 v8, s26, v4
	v_mul_lo_u32 v9, v4, s22
	v_mul_lo_u32 v7, v3, s10
	;; [unrolled: 1-line block ×3, first 2 shown]
	v_sub_u32_e32 v9, v1, v9
	v_add_u32_e32 v1, v4, v8
	v_lshrrev_b32_e32 v1, s27, v1
	v_mul_lo_u32 v8, v1, s25
	v_mul_lo_u32 v11, v9, s12
	;; [unrolled: 1-line block ×3, first 2 shown]
	v_add3_u32 v2, v5, v2, v7
	v_sub_u32_e32 v4, v4, v8
	v_mul_lo_u32 v8, v4, s14
	v_mul_lo_u32 v4, v4, s15
	v_add3_u32 v0, v6, v0, v3
	v_add3_u32 v2, v11, v2, v8
	v_add3_u32 v0, v9, v0, v4
	s_cbranch_scc1 .LBB135_1091
; %bb.1092:
	s_and_b32 s8, s37, 3
	s_cmp_eq_u32 s8, 0
	s_cbranch_scc0 .LBB135_1096
	s_branch .LBB135_1098
.LBB135_1093:
                                        ; implicit-def: $vgpr2
                                        ; implicit-def: $vgpr0
	s_branch .LBB135_1099
.LBB135_1094:
	v_mov_b32_e32 v2, 0
	v_mov_b32_e32 v0, 0
	s_branch .LBB135_1098
.LBB135_1095:
	v_mov_b32_e32 v2, 0
	v_mov_b32_e32 v0, 0
	;; [unrolled: 1-line block ×3, first 2 shown]
	s_and_b32 s8, s37, 3
	s_cmp_eq_u32 s8, 0
	s_cbranch_scc1 .LBB135_1098
.LBB135_1096:
	s_lshl_b32 s2, s36, 3
	s_add_u32 s2, s34, s2
	s_addc_u32 s3, s35, 0
	s_add_u32 s2, s2, 0xc4
	s_addc_u32 s3, s3, 0
	s_mul_i32 s6, s36, 12
	s_add_u32 s6, s34, s6
	s_addc_u32 s7, s35, 0
.LBB135_1097:                           ; =>This Inner Loop Header: Depth=1
	s_load_dwordx2 s[10:11], s[6:7], 0x4
	s_load_dword s9, s[6:7], 0xc
	s_load_dwordx2 s[12:13], s[2:3], 0x0
	s_add_u32 s6, s6, 12
	s_addc_u32 s7, s7, 0
	s_waitcnt vmcnt(0) lgkmcnt(0)
	v_mul_hi_u32 v3, s11, v1
	s_add_u32 s2, s2, 8
	s_addc_u32 s3, s3, 0
	s_add_i32 s8, s8, -1
	v_add_u32_e32 v3, v1, v3
	v_lshrrev_b32_e32 v4, s9, v3
	v_mul_lo_u32 v3, v4, s10
	s_cmp_lg_u32 s8, 0
	v_sub_u32_e32 v1, v1, v3
	v_mad_u64_u32 v[2:3], s[10:11], v1, s12, v[2:3]
	v_mad_u64_u32 v[0:1], s[10:11], v1, s13, v[0:1]
	v_mov_b32_e32 v1, v4
	s_cbranch_scc1 .LBB135_1097
.LBB135_1098:
	s_cbranch_execnz .LBB135_1101
.LBB135_1099:
	s_load_dwordx4 s[8:11], s[34:35], 0x4
	s_load_dwordx2 s[2:3], s[34:35], 0xc4
	s_cmp_lt_u32 s33, 2
	s_waitcnt lgkmcnt(0)
	v_mul_hi_u32 v0, s9, v10
	v_add_u32_e32 v0, v10, v0
	v_lshrrev_b32_e32 v1, s10, v0
	v_mul_lo_u32 v0, v1, s8
	v_sub_u32_e32 v0, v10, v0
	v_mul_lo_u32 v2, v0, s2
	v_mul_lo_u32 v0, v0, s3
	s_cbranch_scc1 .LBB135_1101
; %bb.1100:
	s_load_dwordx4 s[8:11], s[34:35], 0x10
	s_load_dwordx2 s[2:3], s[34:35], 0xcc
	s_waitcnt vmcnt(0) lgkmcnt(0)
	v_mul_hi_u32 v3, s9, v1
	v_add_u32_e32 v3, v1, v3
	v_lshrrev_b32_e32 v3, s10, v3
	v_mul_lo_u32 v3, v3, s8
	v_sub_u32_e32 v1, v1, v3
	v_mad_u64_u32 v[2:3], s[6:7], v1, s2, v[2:3]
	v_mad_u64_u32 v[0:1], s[2:3], v1, s3, v[0:1]
.LBB135_1101:
	s_and_b64 vcc, exec, s[0:1]
	v_add_u32_e32 v1, 0x80, v10
	s_cbranch_vccnz .LBB135_1107
; %bb.1102:
	s_cmp_lg_u32 s33, 0
	s_mov_b32 s36, 0
	s_cbranch_scc0 .LBB135_1108
; %bb.1103:
	s_min_u32 s37, s78, 15
	s_add_i32 s37, s37, 1
	s_cmp_eq_u32 s78, 2
	s_cbranch_scc1 .LBB135_1109
; %bb.1104:
	s_and_b32 s36, s37, 28
	s_add_u32 s2, s34, 0xc4
	s_addc_u32 s3, s35, 0
	v_mov_b32_e32 v11, 0
	s_mov_b32 s38, 0
	s_mov_b64 s[6:7], s[34:35]
	v_mov_b32_e32 v8, 0
	s_waitcnt vmcnt(0)
	v_mov_b32_e32 v3, v1
.LBB135_1105:                           ; =>This Inner Loop Header: Depth=1
	s_load_dwordx8 s[16:23], s[6:7], 0x4
	s_load_dwordx4 s[24:27], s[6:7], 0x24
	s_load_dwordx8 s[8:15], s[2:3], 0x0
	s_add_u32 s6, s6, 48
	s_addc_u32 s7, s7, 0
	s_waitcnt lgkmcnt(0)
	v_mul_hi_u32 v4, s17, v3
	s_add_i32 s38, s38, 4
	s_add_u32 s2, s2, 32
	s_addc_u32 s3, s3, 0
	v_add_u32_e32 v4, v3, v4
	v_lshrrev_b32_e32 v4, s18, v4
	v_mul_lo_u32 v5, v4, s16
	v_mul_hi_u32 v6, s20, v4
	s_cmp_lg_u32 s36, s38
	v_sub_u32_e32 v3, v3, v5
	v_add_u32_e32 v5, v4, v6
	v_mul_lo_u32 v6, v3, s8
	v_mul_lo_u32 v7, v3, s9
	v_lshrrev_b32_e32 v3, s21, v5
	v_mul_lo_u32 v5, v3, s19
	v_mul_hi_u32 v9, s23, v3
	v_sub_u32_e32 v4, v4, v5
	v_add_u32_e32 v5, v3, v9
	v_lshrrev_b32_e32 v5, s24, v5
	v_mul_hi_u32 v12, s26, v5
	v_mul_lo_u32 v14, v5, s22
	v_mul_lo_u32 v9, v4, s10
	;; [unrolled: 1-line block ×3, first 2 shown]
	v_sub_u32_e32 v14, v3, v14
	v_add_u32_e32 v3, v5, v12
	v_lshrrev_b32_e32 v3, s27, v3
	v_mul_lo_u32 v12, v3, s25
	v_mul_lo_u32 v15, v14, s12
	;; [unrolled: 1-line block ×3, first 2 shown]
	v_add3_u32 v6, v6, v8, v9
	v_sub_u32_e32 v5, v5, v12
	v_mul_lo_u32 v12, v5, s14
	v_mul_lo_u32 v5, v5, s15
	v_add3_u32 v4, v7, v11, v4
	v_add3_u32 v8, v15, v6, v12
	;; [unrolled: 1-line block ×3, first 2 shown]
	s_cbranch_scc1 .LBB135_1105
; %bb.1106:
	s_and_b32 s8, s37, 3
	s_cmp_eq_u32 s8, 0
	s_cbranch_scc0 .LBB135_1110
	s_branch .LBB135_1112
.LBB135_1107:
                                        ; implicit-def: $vgpr8
                                        ; implicit-def: $vgpr11
	s_branch .LBB135_1113
.LBB135_1108:
	v_mov_b32_e32 v8, 0
	v_mov_b32_e32 v11, 0
	s_branch .LBB135_1112
.LBB135_1109:
	v_mov_b32_e32 v8, 0
	v_mov_b32_e32 v11, 0
	s_waitcnt vmcnt(0)
	v_mov_b32_e32 v3, v1
	s_and_b32 s8, s37, 3
	s_cmp_eq_u32 s8, 0
	s_cbranch_scc1 .LBB135_1112
.LBB135_1110:
	s_lshl_b32 s2, s36, 3
	s_add_u32 s2, s34, s2
	s_addc_u32 s3, s35, 0
	s_add_u32 s2, s2, 0xc4
	s_addc_u32 s3, s3, 0
	s_mul_i32 s6, s36, 12
	s_add_u32 s6, s34, s6
	s_addc_u32 s7, s35, 0
.LBB135_1111:                           ; =>This Inner Loop Header: Depth=1
	s_load_dwordx2 s[10:11], s[6:7], 0x4
	s_load_dword s9, s[6:7], 0xc
	s_load_dwordx2 s[12:13], s[2:3], 0x0
	s_add_u32 s6, s6, 12
	s_addc_u32 s7, s7, 0
	s_waitcnt lgkmcnt(0)
	v_mul_hi_u32 v4, s11, v3
	s_add_u32 s2, s2, 8
	s_addc_u32 s3, s3, 0
	s_add_i32 s8, s8, -1
	v_add_u32_e32 v4, v3, v4
	v_lshrrev_b32_e32 v4, s9, v4
	v_mul_lo_u32 v5, v4, s10
	s_cmp_lg_u32 s8, 0
	v_sub_u32_e32 v3, v3, v5
	v_mad_u64_u32 v[8:9], s[10:11], v3, s12, v[8:9]
	v_mad_u64_u32 v[11:12], s[10:11], v3, s13, v[11:12]
	v_mov_b32_e32 v3, v4
	s_cbranch_scc1 .LBB135_1111
.LBB135_1112:
	s_cbranch_execnz .LBB135_1115
.LBB135_1113:
	s_load_dwordx4 s[8:11], s[34:35], 0x4
	s_load_dwordx2 s[2:3], s[34:35], 0xc4
	s_cmp_lt_u32 s33, 2
	s_waitcnt vmcnt(0) lgkmcnt(0)
	v_mul_hi_u32 v3, s9, v1
	v_add_u32_e32 v3, v1, v3
	v_lshrrev_b32_e32 v3, s10, v3
	v_mul_lo_u32 v4, v3, s8
	v_sub_u32_e32 v1, v1, v4
	v_mul_lo_u32 v8, v1, s2
	v_mul_lo_u32 v11, v1, s3
	s_cbranch_scc1 .LBB135_1115
; %bb.1114:
	s_load_dwordx4 s[8:11], s[34:35], 0x10
	s_load_dwordx2 s[2:3], s[34:35], 0xcc
	s_waitcnt lgkmcnt(0)
	v_mul_hi_u32 v1, s9, v3
	v_add_u32_e32 v1, v3, v1
	v_lshrrev_b32_e32 v1, s10, v1
	v_mul_lo_u32 v1, v1, s8
	v_sub_u32_e32 v1, v3, v1
	v_mad_u64_u32 v[8:9], s[6:7], v1, s2, v[8:9]
	v_mad_u64_u32 v[11:12], s[2:3], v1, s3, v[11:12]
.LBB135_1115:
	s_and_b64 vcc, exec, s[0:1]
	v_add_u32_e32 v1, 0x100, v10
	s_cbranch_vccnz .LBB135_1121
; %bb.1116:
	s_cmp_lg_u32 s33, 0
	s_mov_b32 s36, 0
	s_cbranch_scc0 .LBB135_1122
; %bb.1117:
	s_min_u32 s37, s78, 15
	s_add_i32 s37, s37, 1
	s_cmp_eq_u32 s78, 2
	s_cbranch_scc1 .LBB135_1123
; %bb.1118:
	s_and_b32 s36, s37, 28
	s_add_u32 s2, s34, 0xc4
	s_addc_u32 s3, s35, 0
	s_waitcnt vmcnt(0)
	v_mov_b32_e32 v3, 0
	s_mov_b32 s38, 0
	s_mov_b64 s[6:7], s[34:35]
	v_mov_b32_e32 v6, 0
	v_mov_b32_e32 v4, v1
.LBB135_1119:                           ; =>This Inner Loop Header: Depth=1
	s_load_dwordx8 s[16:23], s[6:7], 0x4
	s_load_dwordx4 s[24:27], s[6:7], 0x24
	s_load_dwordx8 s[8:15], s[2:3], 0x0
	s_add_u32 s6, s6, 48
	s_addc_u32 s7, s7, 0
	s_waitcnt lgkmcnt(0)
	v_mul_hi_u32 v5, s17, v4
	s_add_i32 s38, s38, 4
	s_add_u32 s2, s2, 32
	s_addc_u32 s3, s3, 0
	v_add_u32_e32 v5, v4, v5
	v_lshrrev_b32_e32 v5, s18, v5
	v_mul_lo_u32 v7, v5, s16
	v_mul_hi_u32 v9, s20, v5
	s_cmp_lg_u32 s36, s38
	v_sub_u32_e32 v4, v4, v7
	v_add_u32_e32 v7, v5, v9
	v_mul_lo_u32 v9, v4, s8
	v_mul_lo_u32 v10, v4, s9
	v_lshrrev_b32_e32 v4, s21, v7
	v_mul_lo_u32 v7, v4, s19
	v_mul_hi_u32 v12, s23, v4
	v_sub_u32_e32 v5, v5, v7
	v_add_u32_e32 v7, v4, v12
	v_lshrrev_b32_e32 v7, s24, v7
	v_mul_hi_u32 v14, s26, v7
	v_mul_lo_u32 v15, v7, s22
	v_mul_lo_u32 v12, v5, s10
	;; [unrolled: 1-line block ×3, first 2 shown]
	v_sub_u32_e32 v15, v4, v15
	v_add_u32_e32 v4, v7, v14
	v_lshrrev_b32_e32 v4, s27, v4
	v_mul_lo_u32 v14, v4, s25
	v_mul_lo_u32 v16, v15, s12
	;; [unrolled: 1-line block ×3, first 2 shown]
	v_add3_u32 v6, v9, v6, v12
	v_sub_u32_e32 v7, v7, v14
	v_mul_lo_u32 v14, v7, s14
	v_mul_lo_u32 v7, v7, s15
	v_add3_u32 v3, v10, v3, v5
	v_add3_u32 v6, v16, v6, v14
	;; [unrolled: 1-line block ×3, first 2 shown]
	s_cbranch_scc1 .LBB135_1119
; %bb.1120:
	s_and_b32 s8, s37, 3
	s_cmp_eq_u32 s8, 0
	s_cbranch_scc0 .LBB135_1124
	s_branch .LBB135_1126
.LBB135_1121:
                                        ; implicit-def: $vgpr6
                                        ; implicit-def: $vgpr3
	s_branch .LBB135_1127
.LBB135_1122:
	s_waitcnt vmcnt(0)
	v_mov_b32_e32 v6, 0
	v_mov_b32_e32 v3, 0
	s_branch .LBB135_1126
.LBB135_1123:
	s_waitcnt vmcnt(0)
	v_mov_b32_e32 v6, 0
	v_mov_b32_e32 v3, 0
	v_mov_b32_e32 v4, v1
	s_and_b32 s8, s37, 3
	s_cmp_eq_u32 s8, 0
	s_cbranch_scc1 .LBB135_1126
.LBB135_1124:
	s_lshl_b32 s2, s36, 3
	s_add_u32 s2, s34, s2
	s_addc_u32 s3, s35, 0
	s_add_u32 s2, s2, 0xc4
	s_addc_u32 s3, s3, 0
	s_mul_i32 s6, s36, 12
	s_add_u32 s6, s34, s6
	s_addc_u32 s7, s35, 0
.LBB135_1125:                           ; =>This Inner Loop Header: Depth=1
	s_load_dwordx2 s[10:11], s[6:7], 0x4
	s_load_dword s9, s[6:7], 0xc
	s_load_dwordx2 s[12:13], s[2:3], 0x0
	s_add_u32 s6, s6, 12
	s_addc_u32 s7, s7, 0
	s_waitcnt lgkmcnt(0)
	v_mul_hi_u32 v5, s11, v4
	s_add_u32 s2, s2, 8
	s_addc_u32 s3, s3, 0
	s_add_i32 s8, s8, -1
	v_add_u32_e32 v5, v4, v5
	v_lshrrev_b32_e32 v5, s9, v5
	v_mul_lo_u32 v7, v5, s10
	s_cmp_lg_u32 s8, 0
	v_sub_u32_e32 v4, v4, v7
	v_mad_u64_u32 v[6:7], s[10:11], v4, s12, v[6:7]
	v_mad_u64_u32 v[3:4], s[10:11], v4, s13, v[3:4]
	v_mov_b32_e32 v4, v5
	s_cbranch_scc1 .LBB135_1125
.LBB135_1126:
	s_cbranch_execnz .LBB135_1129
.LBB135_1127:
	s_load_dwordx4 s[8:11], s[34:35], 0x4
	s_load_dwordx2 s[2:3], s[34:35], 0xc4
	s_cmp_lt_u32 s33, 2
	s_waitcnt vmcnt(0) lgkmcnt(0)
	v_mul_hi_u32 v3, s9, v1
	v_add_u32_e32 v3, v1, v3
	v_lshrrev_b32_e32 v4, s10, v3
	v_mul_lo_u32 v3, v4, s8
	v_sub_u32_e32 v1, v1, v3
	v_mul_lo_u32 v6, v1, s2
	v_mul_lo_u32 v3, v1, s3
	s_cbranch_scc1 .LBB135_1129
; %bb.1128:
	s_load_dwordx4 s[8:11], s[34:35], 0x10
	s_load_dwordx2 s[2:3], s[34:35], 0xcc
	s_waitcnt lgkmcnt(0)
	v_mul_hi_u32 v1, s9, v4
	v_add_u32_e32 v1, v4, v1
	v_lshrrev_b32_e32 v1, s10, v1
	v_mul_lo_u32 v1, v1, s8
	v_sub_u32_e32 v1, v4, v1
	v_mad_u64_u32 v[6:7], s[6:7], v1, s2, v[6:7]
	v_mad_u64_u32 v[3:4], s[2:3], v1, s3, v[3:4]
.LBB135_1129:
	s_and_b64 vcc, exec, s[0:1]
	s_cbranch_vccnz .LBB135_1135
; %bb.1130:
	s_cmp_lg_u32 s33, 0
	s_mov_b32 s26, 0
	s_cbranch_scc0 .LBB135_1136
; %bb.1131:
	s_min_u32 s27, s78, 15
	s_add_i32 s27, s27, 1
	s_cmp_eq_u32 s78, 2
	s_cbranch_scc1 .LBB135_1137
; %bb.1132:
	s_and_b32 s26, s27, 28
	s_add_u32 s6, s34, 0xc4
	s_addc_u32 s7, s35, 0
	v_mov_b32_e32 v9, 0
	s_mov_b32 s36, 0
	s_mov_b64 s[24:25], s[34:35]
	s_waitcnt vmcnt(0)
	v_mov_b32_e32 v4, 0
	v_mov_b32_e32 v1, v13
.LBB135_1133:                           ; =>This Inner Loop Header: Depth=1
	s_load_dwordx8 s[16:23], s[24:25], 0x4
	s_load_dwordx4 s[0:3], s[24:25], 0x24
	s_load_dwordx8 s[8:15], s[6:7], 0x0
	s_add_u32 s24, s24, 48
	s_addc_u32 s25, s25, 0
	s_waitcnt lgkmcnt(0)
	v_mul_hi_u32 v5, s17, v1
	s_add_i32 s36, s36, 4
	s_add_u32 s6, s6, 32
	s_addc_u32 s7, s7, 0
	v_add_u32_e32 v5, v1, v5
	v_lshrrev_b32_e32 v5, s18, v5
	v_mul_lo_u32 v7, v5, s16
	v_mul_hi_u32 v10, s20, v5
	s_cmp_lg_u32 s26, s36
	v_sub_u32_e32 v1, v1, v7
	v_add_u32_e32 v7, v5, v10
	v_mul_lo_u32 v10, v1, s8
	v_mul_lo_u32 v12, v1, s9
	v_lshrrev_b32_e32 v1, s21, v7
	v_mul_lo_u32 v7, v1, s19
	v_mul_hi_u32 v14, s23, v1
	v_sub_u32_e32 v5, v5, v7
	v_add_u32_e32 v7, v1, v14
	v_lshrrev_b32_e32 v7, s0, v7
	v_mul_hi_u32 v15, s2, v7
	v_mul_lo_u32 v16, v7, s22
	v_mul_lo_u32 v14, v5, s10
	;; [unrolled: 1-line block ×3, first 2 shown]
	v_sub_u32_e32 v16, v1, v16
	v_add_u32_e32 v1, v7, v15
	v_lshrrev_b32_e32 v1, s3, v1
	v_mul_lo_u32 v15, v1, s1
	v_mul_lo_u32 v17, v16, s12
	;; [unrolled: 1-line block ×3, first 2 shown]
	v_add3_u32 v4, v10, v4, v14
	v_sub_u32_e32 v7, v7, v15
	v_mul_lo_u32 v15, v7, s14
	v_mul_lo_u32 v7, v7, s15
	v_add3_u32 v5, v12, v9, v5
	v_add3_u32 v4, v17, v4, v15
	;; [unrolled: 1-line block ×3, first 2 shown]
	s_cbranch_scc1 .LBB135_1133
; %bb.1134:
	s_and_b32 s6, s27, 3
	s_cmp_eq_u32 s6, 0
	s_cbranch_scc0 .LBB135_1138
	s_branch .LBB135_1140
.LBB135_1135:
                                        ; implicit-def: $vgpr4
                                        ; implicit-def: $vgpr9
	s_branch .LBB135_1141
.LBB135_1136:
	s_waitcnt vmcnt(0)
	v_mov_b32_e32 v4, 0
	v_mov_b32_e32 v9, 0
	s_branch .LBB135_1140
.LBB135_1137:
	s_waitcnt vmcnt(0)
	v_mov_b32_e32 v4, 0
	v_mov_b32_e32 v9, 0
	;; [unrolled: 1-line block ×3, first 2 shown]
	s_and_b32 s6, s27, 3
	s_cmp_eq_u32 s6, 0
	s_cbranch_scc1 .LBB135_1140
.LBB135_1138:
	s_lshl_b32 s0, s26, 3
	s_add_u32 s0, s34, s0
	s_addc_u32 s1, s35, 0
	s_add_u32 s0, s0, 0xc4
	s_addc_u32 s1, s1, 0
	s_mul_i32 s2, s26, 12
	s_add_u32 s2, s34, s2
	s_addc_u32 s3, s35, 0
.LBB135_1139:                           ; =>This Inner Loop Header: Depth=1
	s_load_dwordx2 s[8:9], s[2:3], 0x4
	s_load_dword s7, s[2:3], 0xc
	s_load_dwordx2 s[10:11], s[0:1], 0x0
	s_add_u32 s2, s2, 12
	s_addc_u32 s3, s3, 0
	s_waitcnt lgkmcnt(0)
	v_mul_hi_u32 v5, s9, v1
	s_add_u32 s0, s0, 8
	s_addc_u32 s1, s1, 0
	s_add_i32 s6, s6, -1
	v_add_u32_e32 v5, v1, v5
	v_lshrrev_b32_e32 v7, s7, v5
	v_mul_lo_u32 v5, v7, s8
	s_cmp_lg_u32 s6, 0
	v_sub_u32_e32 v1, v1, v5
	v_mad_u64_u32 v[4:5], s[8:9], v1, s10, v[4:5]
	v_mad_u64_u32 v[9:10], s[8:9], v1, s11, v[9:10]
	v_mov_b32_e32 v1, v7
	s_cbranch_scc1 .LBB135_1139
.LBB135_1140:
	s_cbranch_execnz .LBB135_1143
.LBB135_1141:
	s_load_dwordx4 s[0:3], s[34:35], 0x4
	s_load_dwordx2 s[6:7], s[34:35], 0xc4
	s_cmp_lt_u32 s33, 2
	s_waitcnt lgkmcnt(0)
	v_mul_hi_u32 v1, s1, v13
	v_add_u32_e32 v1, v13, v1
	v_lshrrev_b32_e32 v1, s2, v1
	s_waitcnt vmcnt(0)
	v_mul_lo_u32 v4, v1, s0
	v_sub_u32_e32 v5, v13, v4
	v_mul_lo_u32 v4, v5, s6
	v_mul_lo_u32 v9, v5, s7
	s_cbranch_scc1 .LBB135_1143
; %bb.1142:
	s_load_dwordx4 s[0:3], s[34:35], 0x10
	s_load_dwordx2 s[6:7], s[34:35], 0xcc
	s_waitcnt lgkmcnt(0)
	v_mul_hi_u32 v5, s1, v1
	v_add_u32_e32 v5, v1, v5
	v_lshrrev_b32_e32 v5, s2, v5
	v_mul_lo_u32 v5, v5, s0
	v_sub_u32_e32 v1, v1, v5
	v_mad_u64_u32 v[4:5], s[0:1], v1, s6, v[4:5]
	v_mad_u64_u32 v[9:10], s[0:1], v1, s7, v[9:10]
.LBB135_1143:
	s_load_dwordx4 s[8:11], s[34:35], 0x148
	s_load_dword s14, s[4:5], 0x178
	s_waitcnt lgkmcnt(0)
	v_mov_b32_e32 v1, s11
	s_bfe_u32 s15, s14, 0x80008
	v_add_co_u32_e32 v12, vcc, s10, v0
	s_cmp_lt_i32 s15, 11
	v_addc_co_u32_e32 v13, vcc, 0, v1, vcc
	s_cbranch_scc1 .LBB135_1150
; %bb.1144:
	s_and_b32 s16, 0xffff, s15
	s_cmp_gt_i32 s16, 25
	s_mov_b64 s[4:5], 0
	s_cbranch_scc0 .LBB135_1152
; %bb.1145:
	s_cmp_gt_i32 s16, 28
	s_cbranch_scc0 .LBB135_1153
; %bb.1146:
	s_cmp_gt_i32 s16, 43
	;; [unrolled: 3-line block ×3, first 2 shown]
	s_cbranch_scc0 .LBB135_1155
; %bb.1148:
	s_cmp_eq_u32 s16, 46
	s_mov_b64 s[2:3], 0
	s_cbranch_scc0 .LBB135_1158
; %bb.1149:
	global_load_dword v0, v[12:13], off
	s_mov_b64 s[0:1], 0
	s_mov_b64 s[6:7], -1
	s_waitcnt vmcnt(0)
	v_lshlrev_b32_e32 v0, 16, v0
	v_cvt_f64_f32_e32 v[0:1], v0
	s_branch .LBB135_1159
.LBB135_1150:
	s_mov_b64 s[6:7], 0
                                        ; implicit-def: $vgpr0_vgpr1
	s_mov_b64 s[2:3], s[28:29]
	s_cbranch_execnz .LBB135_1222
.LBB135_1151:
	s_andn2_b64 vcc, exec, s[6:7]
	s_cbranch_vccz .LBB135_1267
	s_branch .LBB135_2088
.LBB135_1152:
	s_mov_b64 s[6:7], 0
	s_mov_b64 s[0:1], 0
                                        ; implicit-def: $vgpr0_vgpr1
	s_cbranch_execnz .LBB135_1189
	s_branch .LBB135_1218
.LBB135_1153:
	s_mov_b64 s[2:3], -1
	s_mov_b64 s[6:7], 0
	s_mov_b64 s[0:1], 0
                                        ; implicit-def: $vgpr0_vgpr1
	s_branch .LBB135_1168
.LBB135_1154:
	s_mov_b64 s[6:7], 0
	s_mov_b64 s[0:1], 0
                                        ; implicit-def: $vgpr0_vgpr1
	s_cbranch_execnz .LBB135_1164
	s_branch .LBB135_1167
.LBB135_1155:
	s_mov_b64 s[2:3], -1
	s_mov_b64 s[6:7], 0
	s_mov_b64 s[0:1], 0
                                        ; implicit-def: $vgpr0_vgpr1
	s_branch .LBB135_1159
.LBB135_1156:
	s_andn2_saveexec_b64 s[14:15], s[14:15]
	s_cbranch_execz .LBB135_999
.LBB135_1157:
	s_mov_b32 s16, 0x46000000
	v_add_f32_e64 v3, |v2|, s16
	v_and_b32_e32 v3, 0xff, v3
	v_cmp_ne_u32_e32 vcc, 0, v3
	s_andn2_b64 s[12:13], s[12:13], exec
	s_and_b64 s[16:17], vcc, exec
	s_or_b64 s[12:13], s[12:13], s[16:17]
	s_or_b64 exec, exec, s[14:15]
	v_mov_b32_e32 v6, 0
	s_and_saveexec_b64 s[14:15], s[12:13]
	s_cbranch_execnz .LBB135_1000
	s_branch .LBB135_1001
.LBB135_1158:
	s_mov_b64 s[0:1], -1
                                        ; implicit-def: $vgpr0_vgpr1
	s_mov_b64 s[6:7], 0
.LBB135_1159:
	s_and_b64 vcc, exec, s[2:3]
	s_cbranch_vccz .LBB135_1162
; %bb.1160:
	s_cmp_eq_u32 s16, 44
	s_cbranch_scc0 .LBB135_1163
; %bb.1161:
	global_load_ubyte v5, v[12:13], off
	s_movk_i32 s2, 0xff
	s_waitcnt vmcnt(1)
	v_bfrev_b32_e32 v7, 4
	v_mov_b32_e32 v10, 0x7ff80000
	v_bfrev_b32_e32 v14, 28
	s_mov_b64 s[0:1], 0
	s_mov_b64 s[6:7], -1
	s_waitcnt vmcnt(0)
	v_lshlrev_b32_e32 v0, 23, v5
	v_cvt_f64_f32_e32 v[0:1], v0
	v_cmp_ne_u32_e32 vcc, s2, v5
	v_cndmask_b32_e32 v0, v7, v0, vcc
	v_cndmask_b32_e32 v1, v10, v1, vcc
	v_cmp_ne_u32_e32 vcc, 0, v5
	v_cndmask_b32_e32 v1, v14, v1, vcc
	v_cndmask_b32_e32 v0, 0, v0, vcc
.LBB135_1162:
	s_branch .LBB135_1167
.LBB135_1163:
	s_mov_b64 s[0:1], -1
                                        ; implicit-def: $vgpr0_vgpr1
	s_branch .LBB135_1167
.LBB135_1164:
	s_cmp_eq_u32 s16, 29
	s_cbranch_scc0 .LBB135_1166
; %bb.1165:
	global_load_dwordx2 v[0:1], v[12:13], off
	s_mov_b64 s[0:1], 0
	s_mov_b64 s[6:7], -1
	s_mov_b64 s[2:3], 0
	s_waitcnt vmcnt(0)
	v_cvt_f64_u32_e32 v[14:15], v1
	v_cvt_f64_u32_e32 v[0:1], v0
	v_ldexp_f64 v[14:15], v[14:15], 32
	v_add_f64 v[0:1], v[14:15], v[0:1]
	s_branch .LBB135_1168
.LBB135_1166:
	s_mov_b64 s[0:1], -1
                                        ; implicit-def: $vgpr0_vgpr1
.LBB135_1167:
	s_mov_b64 s[2:3], 0
.LBB135_1168:
	s_and_b64 vcc, exec, s[2:3]
	s_cbranch_vccz .LBB135_1188
; %bb.1169:
	s_cmp_lt_i32 s16, 27
	s_cbranch_scc1 .LBB135_1172
; %bb.1170:
	s_cmp_gt_i32 s16, 27
	s_cbranch_scc0 .LBB135_1173
; %bb.1171:
	global_load_dword v0, v[12:13], off
	s_mov_b64 s[2:3], 0
	s_waitcnt vmcnt(0)
	v_cvt_f64_u32_e32 v[0:1], v0
	s_branch .LBB135_1174
.LBB135_1172:
	s_mov_b64 s[2:3], -1
                                        ; implicit-def: $vgpr0_vgpr1
	s_branch .LBB135_1177
.LBB135_1173:
	s_mov_b64 s[2:3], -1
                                        ; implicit-def: $vgpr0_vgpr1
.LBB135_1174:
	s_andn2_b64 vcc, exec, s[2:3]
	s_cbranch_vccnz .LBB135_1176
; %bb.1175:
	global_load_ushort v0, v[12:13], off
	s_waitcnt vmcnt(0)
	v_cvt_f64_u32_e32 v[0:1], v0
.LBB135_1176:
	s_mov_b64 s[2:3], 0
.LBB135_1177:
	s_andn2_b64 vcc, exec, s[2:3]
	s_cbranch_vccnz .LBB135_1187
; %bb.1178:
	global_load_ubyte v5, v[12:13], off
	s_movk_i32 s2, 0x7f
	s_waitcnt vmcnt(0)
	v_cmp_lt_i16_e32 vcc, s2, v5
	s_mov_b64 s[2:3], 0
	s_and_saveexec_b64 s[6:7], vcc
	s_xor_b64 s[6:7], exec, s[6:7]
	s_cbranch_execz .LBB135_1182
; %bb.1179:
	s_movk_i32 s2, 0x80
	v_cmp_eq_u16_e32 vcc, s2, v5
	s_mov_b64 s[2:3], -1
	s_and_saveexec_b64 s[12:13], vcc
; %bb.1180:
	s_xor_b64 s[2:3], exec, -1
; %bb.1181:
	s_or_b64 exec, exec, s[12:13]
	s_and_b64 s[2:3], s[2:3], exec
.LBB135_1182:
	s_or_saveexec_b64 s[6:7], s[6:7]
	v_bfrev_b32_e32 v0, 4
	v_mov_b32_e32 v1, 0x7ff80000
	s_xor_b64 exec, exec, s[6:7]
; %bb.1183:
	v_cmp_ne_u16_e32 vcc, 0, v5
	v_mov_b32_e32 v0, 0
	s_andn2_b64 s[2:3], s[2:3], exec
	s_and_b64 s[12:13], vcc, exec
	v_mov_b32_e32 v1, 0
	s_or_b64 s[2:3], s[2:3], s[12:13]
; %bb.1184:
	s_or_b64 exec, exec, s[6:7]
	s_and_saveexec_b64 s[6:7], s[2:3]
	s_cbranch_execz .LBB135_1186
; %bb.1185:
	v_and_b32_e32 v1, 0xffff, v5
	v_lshlrev_b32_e32 v0, 24, v5
	v_and_b32_e32 v5, 7, v1
	v_ffbh_u32_e32 v10, v5
	v_min_u32_e32 v10, 32, v10
	v_subrev_u32_e32 v14, 28, v10
	v_bfe_u32 v7, v1, 3, 4
	v_lshlrev_b32_e32 v1, v14, v1
	v_sub_u32_e32 v10, 29, v10
	v_and_b32_e32 v1, 7, v1
	v_cmp_eq_u32_e32 vcc, 0, v7
	v_cndmask_b32_e32 v7, v7, v10, vcc
	v_cndmask_b32_e32 v1, v5, v1, vcc
	v_mov_b32_e32 v5, 0x3b800000
	v_lshlrev_b32_e32 v1, 20, v1
	v_and_b32_e32 v0, 0x80000000, v0
	v_lshl_add_u32 v5, v7, 23, v5
	v_or3_b32 v0, v0, v5, v1
	v_cvt_f64_f32_e32 v[0:1], v0
.LBB135_1186:
	s_or_b64 exec, exec, s[6:7]
.LBB135_1187:
	s_mov_b64 s[6:7], -1
.LBB135_1188:
	s_branch .LBB135_1218
.LBB135_1189:
	s_cmp_gt_i32 s16, 22
	s_cbranch_scc0 .LBB135_1201
; %bb.1190:
	s_cmp_lt_i32 s16, 24
	s_cbranch_scc1 .LBB135_1202
; %bb.1191:
	s_cmp_gt_i32 s16, 24
	s_cbranch_scc0 .LBB135_1203
; %bb.1192:
	global_load_ubyte v5, v[12:13], off
	s_movk_i32 s2, 0x7f
	s_waitcnt vmcnt(0)
	v_cmp_lt_i16_e32 vcc, s2, v5
	s_mov_b64 s[2:3], 0
	s_and_saveexec_b64 s[4:5], vcc
	s_xor_b64 s[4:5], exec, s[4:5]
	s_cbranch_execz .LBB135_1196
; %bb.1193:
	s_movk_i32 s2, 0x80
	v_cmp_eq_u16_e32 vcc, s2, v5
	s_mov_b64 s[2:3], -1
	s_and_saveexec_b64 s[6:7], vcc
; %bb.1194:
	s_xor_b64 s[2:3], exec, -1
; %bb.1195:
	s_or_b64 exec, exec, s[6:7]
	s_and_b64 s[2:3], s[2:3], exec
.LBB135_1196:
	s_or_saveexec_b64 s[4:5], s[4:5]
	v_bfrev_b32_e32 v0, 4
	v_mov_b32_e32 v1, 0x7ff80000
	s_xor_b64 exec, exec, s[4:5]
; %bb.1197:
	v_cmp_ne_u16_e32 vcc, 0, v5
	v_mov_b32_e32 v0, 0
	s_andn2_b64 s[2:3], s[2:3], exec
	s_and_b64 s[6:7], vcc, exec
	v_mov_b32_e32 v1, 0
	s_or_b64 s[2:3], s[2:3], s[6:7]
; %bb.1198:
	s_or_b64 exec, exec, s[4:5]
	s_and_saveexec_b64 s[4:5], s[2:3]
	s_cbranch_execz .LBB135_1200
; %bb.1199:
	v_and_b32_e32 v1, 0xffff, v5
	v_lshlrev_b32_e32 v0, 24, v5
	v_and_b32_e32 v5, 3, v1
	v_ffbh_u32_e32 v10, v5
	v_min_u32_e32 v10, 32, v10
	v_subrev_u32_e32 v14, 29, v10
	v_bfe_u32 v7, v1, 2, 5
	v_lshlrev_b32_e32 v1, v14, v1
	v_sub_u32_e32 v10, 30, v10
	v_and_b32_e32 v1, 3, v1
	v_cmp_eq_u32_e32 vcc, 0, v7
	v_cndmask_b32_e32 v7, v7, v10, vcc
	v_cndmask_b32_e32 v1, v5, v1, vcc
	v_mov_b32_e32 v5, 0x37800000
	v_lshlrev_b32_e32 v1, 21, v1
	v_and_b32_e32 v0, 0x80000000, v0
	v_lshl_add_u32 v5, v7, 23, v5
	v_or3_b32 v0, v0, v5, v1
	v_cvt_f64_f32_e32 v[0:1], v0
.LBB135_1200:
	s_or_b64 exec, exec, s[4:5]
	s_mov_b64 s[2:3], 0
	s_branch .LBB135_1204
.LBB135_1201:
                                        ; implicit-def: $vgpr0_vgpr1
	s_mov_b64 s[4:5], 0
	s_branch .LBB135_1210
.LBB135_1202:
	s_mov_b64 s[2:3], -1
                                        ; implicit-def: $vgpr0_vgpr1
	s_branch .LBB135_1207
.LBB135_1203:
	s_mov_b64 s[2:3], -1
                                        ; implicit-def: $vgpr0_vgpr1
.LBB135_1204:
	s_and_b64 vcc, exec, s[2:3]
	s_cbranch_vccz .LBB135_1206
; %bb.1205:
	global_load_ubyte v0, v[12:13], off
	s_mov_b32 s2, 0x7f800000
	s_waitcnt vmcnt(0)
	v_lshlrev_b32_e32 v0, 24, v0
	v_and_b32_e32 v1, 0x7f000000, v0
	v_ffbh_u32_e32 v5, v1
	v_min_u32_e32 v5, 32, v5
	v_sub_u32_e64 v5, v5, 4 clamp
	v_lshlrev_b32_e32 v10, v5, v1
	v_lshlrev_b32_e32 v5, 23, v5
	v_lshrrev_b32_e32 v10, 4, v10
	v_add_u32_e32 v7, 0x1000000, v1
	v_sub_u32_e32 v5, v10, v5
	v_ashrrev_i32_e32 v7, 8, v7
	v_add_u32_e32 v5, 0x3c000000, v5
	v_and_or_b32 v5, v7, s2, v5
	v_cmp_ne_u32_e32 vcc, 0, v1
	v_cndmask_b32_e32 v1, 0, v5, vcc
	s_brev_b32 s2, 1
	v_and_or_b32 v0, v0, s2, v1
	v_cvt_f64_f32_e32 v[0:1], v0
.LBB135_1206:
	s_mov_b64 s[2:3], 0
.LBB135_1207:
	s_andn2_b64 vcc, exec, s[2:3]
	s_cbranch_vccnz .LBB135_1209
; %bb.1208:
	global_load_ubyte v0, v[12:13], off
	s_movk_i32 s2, 0x7f00
	s_brev_b32 s3, 16
	s_waitcnt vmcnt(0)
	v_lshlrev_b16_e32 v1, 8, v0
	v_lshlrev_b32_e32 v0, 25, v0
	v_lshrrev_b32_e32 v5, 4, v0
	v_and_or_b32 v7, v1, s2, 0.5
	v_or_b32_e32 v5, 0x70000000, v5
	v_add_f32_e32 v7, -0.5, v7
	v_mul_f32_e32 v5, 0x7800000, v5
	v_cmp_gt_u32_e32 vcc, s3, v0
	v_bfe_i32 v1, v1, 0, 16
	v_cndmask_b32_e32 v0, v5, v7, vcc
	s_brev_b32 s2, 1
	v_and_or_b32 v0, v1, s2, v0
	v_cvt_f64_f32_e32 v[0:1], v0
.LBB135_1209:
	s_mov_b64 s[6:7], -1
	s_mov_b64 s[4:5], 0
	s_cbranch_execnz .LBB135_1218
.LBB135_1210:
	s_cmp_gt_i32 s16, 14
	s_cbranch_scc0 .LBB135_1213
; %bb.1211:
	s_cmp_eq_u32 s16, 15
	s_cbranch_scc0 .LBB135_1214
; %bb.1212:
	global_load_ushort v0, v[12:13], off
	s_mov_b64 s[0:1], 0
	s_mov_b64 s[6:7], -1
	s_waitcnt vmcnt(0)
	v_lshlrev_b32_e32 v0, 16, v0
	v_cvt_f64_f32_e32 v[0:1], v0
	s_branch .LBB135_1215
.LBB135_1213:
	s_mov_b64 s[2:3], -1
                                        ; implicit-def: $vgpr0_vgpr1
	s_branch .LBB135_1216
.LBB135_1214:
	s_mov_b64 s[0:1], -1
                                        ; implicit-def: $vgpr0_vgpr1
.LBB135_1215:
	s_mov_b64 s[2:3], 0
.LBB135_1216:
	s_and_b64 vcc, exec, s[2:3]
	s_cbranch_vccz .LBB135_1218
; %bb.1217:
	s_cmp_lg_u32 s16, 11
	s_mov_b64 s[4:5], -1
	s_cselect_b64 s[0:1], -1, 0
.LBB135_1218:
	s_and_b64 vcc, exec, s[0:1]
	s_mov_b64 s[2:3], s[28:29]
	s_cbranch_vccnz .LBB135_1279
; %bb.1219:
	s_andn2_b64 vcc, exec, s[4:5]
	s_cbranch_vccnz .LBB135_1221
.LBB135_1220:
	global_load_ubyte v1, v[12:13], off
	v_mov_b32_e32 v5, 0x3ff00000
	v_mov_b32_e32 v0, 0
	s_mov_b64 s[6:7], -1
	s_waitcnt vmcnt(0)
	v_cmp_ne_u16_e32 vcc, 0, v1
	v_cndmask_b32_e32 v1, 0, v5, vcc
.LBB135_1221:
	s_branch .LBB135_1151
.LBB135_1222:
	s_and_b32 s4, 0xffff, s15
	s_cmp_lt_i32 s4, 5
	s_cbranch_scc1 .LBB135_1227
; %bb.1223:
	s_cmp_lt_i32 s4, 8
	s_cbranch_scc1 .LBB135_1228
; %bb.1224:
	;; [unrolled: 3-line block ×3, first 2 shown]
	s_cmp_gt_i32 s4, 9
	s_cbranch_scc0 .LBB135_1230
; %bb.1226:
	global_load_dwordx2 v[0:1], v[12:13], off
	s_mov_b64 s[0:1], 0
	s_branch .LBB135_1231
.LBB135_1227:
                                        ; implicit-def: $vgpr0_vgpr1
	s_branch .LBB135_1248
.LBB135_1228:
                                        ; implicit-def: $vgpr0_vgpr1
	s_branch .LBB135_1237
.LBB135_1229:
	s_mov_b64 s[0:1], -1
                                        ; implicit-def: $vgpr0_vgpr1
	s_branch .LBB135_1234
.LBB135_1230:
	s_mov_b64 s[0:1], -1
                                        ; implicit-def: $vgpr0_vgpr1
.LBB135_1231:
	s_andn2_b64 vcc, exec, s[0:1]
	s_cbranch_vccnz .LBB135_1233
; %bb.1232:
	global_load_dword v0, v[12:13], off
	s_waitcnt vmcnt(0)
	v_cvt_f64_f32_e32 v[0:1], v0
.LBB135_1233:
	s_mov_b64 s[0:1], 0
.LBB135_1234:
	s_andn2_b64 vcc, exec, s[0:1]
	s_cbranch_vccnz .LBB135_1236
; %bb.1235:
	global_load_dword v0, v[12:13], off
	s_waitcnt vmcnt(0)
	v_cvt_f32_f16_e32 v0, v0
	v_cvt_f64_f32_e32 v[0:1], v0
.LBB135_1236:
	s_cbranch_execnz .LBB135_1247
.LBB135_1237:
	s_cmp_lt_i32 s4, 6
	s_cbranch_scc1 .LBB135_1240
; %bb.1238:
	s_cmp_gt_i32 s4, 6
	s_cbranch_scc0 .LBB135_1241
; %bb.1239:
	global_load_dwordx2 v[0:1], v[12:13], off
	s_mov_b64 s[0:1], 0
	s_branch .LBB135_1242
.LBB135_1240:
	s_mov_b64 s[0:1], -1
                                        ; implicit-def: $vgpr0_vgpr1
	s_branch .LBB135_1245
.LBB135_1241:
	s_mov_b64 s[0:1], -1
                                        ; implicit-def: $vgpr0_vgpr1
.LBB135_1242:
	s_andn2_b64 vcc, exec, s[0:1]
	s_cbranch_vccnz .LBB135_1244
; %bb.1243:
	global_load_dword v0, v[12:13], off
	s_waitcnt vmcnt(0)
	v_cvt_f64_f32_e32 v[0:1], v0
.LBB135_1244:
	s_mov_b64 s[0:1], 0
.LBB135_1245:
	s_andn2_b64 vcc, exec, s[0:1]
	s_cbranch_vccnz .LBB135_1247
; %bb.1246:
	global_load_ushort v0, v[12:13], off
	s_waitcnt vmcnt(0)
	v_cvt_f32_f16_e32 v0, v0
	v_cvt_f64_f32_e32 v[0:1], v0
.LBB135_1247:
	s_cbranch_execnz .LBB135_1266
.LBB135_1248:
	s_cmp_lt_i32 s4, 2
	s_cbranch_scc1 .LBB135_1252
; %bb.1249:
	s_cmp_lt_i32 s4, 3
	s_cbranch_scc1 .LBB135_1253
; %bb.1250:
	s_cmp_gt_i32 s4, 3
	s_cbranch_scc0 .LBB135_1254
; %bb.1251:
	global_load_dwordx2 v[0:1], v[12:13], off
	s_mov_b64 s[0:1], 0
	s_waitcnt vmcnt(0)
	v_cvt_f64_i32_e32 v[14:15], v1
	v_cvt_f64_u32_e32 v[0:1], v0
	v_ldexp_f64 v[14:15], v[14:15], 32
	v_add_f64 v[0:1], v[14:15], v[0:1]
	s_branch .LBB135_1255
.LBB135_1252:
                                        ; implicit-def: $vgpr0_vgpr1
	s_branch .LBB135_1261
.LBB135_1253:
	s_mov_b64 s[0:1], -1
                                        ; implicit-def: $vgpr0_vgpr1
	s_branch .LBB135_1258
.LBB135_1254:
	s_mov_b64 s[0:1], -1
                                        ; implicit-def: $vgpr0_vgpr1
.LBB135_1255:
	s_andn2_b64 vcc, exec, s[0:1]
	s_cbranch_vccnz .LBB135_1257
; %bb.1256:
	global_load_dword v0, v[12:13], off
	s_waitcnt vmcnt(0)
	v_cvt_f64_i32_e32 v[0:1], v0
.LBB135_1257:
	s_mov_b64 s[0:1], 0
.LBB135_1258:
	s_andn2_b64 vcc, exec, s[0:1]
	s_cbranch_vccnz .LBB135_1260
; %bb.1259:
	global_load_sshort v0, v[12:13], off
	s_waitcnt vmcnt(0)
	v_cvt_f64_i32_e32 v[0:1], v0
.LBB135_1260:
	s_cbranch_execnz .LBB135_1266
.LBB135_1261:
	s_cmp_gt_i32 s4, 0
	s_cbranch_scc0 .LBB135_1263
; %bb.1262:
	global_load_sbyte v0, v[12:13], off
	s_mov_b64 s[0:1], 0
	s_waitcnt vmcnt(0)
	v_cvt_f64_i32_e32 v[0:1], v0
	s_branch .LBB135_1264
.LBB135_1263:
	s_mov_b64 s[0:1], -1
                                        ; implicit-def: $vgpr0_vgpr1
.LBB135_1264:
	s_andn2_b64 vcc, exec, s[0:1]
	s_cbranch_vccnz .LBB135_1266
; %bb.1265:
	global_load_ubyte v0, v[12:13], off
	s_waitcnt vmcnt(0)
	v_cvt_f64_u32_e32 v[0:1], v0
.LBB135_1266:
.LBB135_1267:
	s_lshr_b32 s0, s14, 8
	v_mov_b32_e32 v5, s11
	s_and_b32 s16, s0, 0xff
	v_add_co_u32_e32 v10, vcc, s10, v11
	s_cmp_lt_i32 s16, 11
	v_addc_co_u32_e32 v11, vcc, 0, v5, vcc
	s_cbranch_scc1 .LBB135_1274
; %bb.1268:
	s_and_b32 s17, 0xffff, s16
	s_cmp_gt_i32 s17, 25
	s_mov_b64 s[4:5], 0
	s_cbranch_scc0 .LBB135_1276
; %bb.1269:
	s_cmp_gt_i32 s17, 28
	s_cbranch_scc0 .LBB135_1277
; %bb.1270:
	s_cmp_gt_i32 s17, 43
	;; [unrolled: 3-line block ×3, first 2 shown]
	s_cbranch_scc0 .LBB135_1280
; %bb.1272:
	s_cmp_eq_u32 s17, 46
	s_mov_b64 s[12:13], 0
	s_cbranch_scc0 .LBB135_1283
; %bb.1273:
	global_load_dword v5, v[10:11], off
	s_mov_b64 s[0:1], 0
	s_mov_b64 s[6:7], -1
	s_waitcnt vmcnt(0)
	v_lshlrev_b32_e32 v5, 16, v5
	v_cvt_f64_f32_e32 v[13:14], v5
	s_branch .LBB135_1284
.LBB135_1274:
	s_mov_b64 s[6:7], 0
                                        ; implicit-def: $vgpr13_vgpr14
	s_cbranch_execnz .LBB135_1349
.LBB135_1275:
	s_andn2_b64 vcc, exec, s[6:7]
	s_cbranch_vccnz .LBB135_2088
	s_branch .LBB135_1396
.LBB135_1276:
	s_mov_b64 s[6:7], 0
	s_mov_b64 s[0:1], 0
                                        ; implicit-def: $vgpr13_vgpr14
	s_cbranch_execnz .LBB135_1315
	s_branch .LBB135_1345
.LBB135_1277:
	s_mov_b64 s[12:13], -1
	s_mov_b64 s[6:7], 0
	s_mov_b64 s[0:1], 0
                                        ; implicit-def: $vgpr13_vgpr14
	s_branch .LBB135_1294
.LBB135_1278:
	s_mov_b64 s[12:13], -1
	s_mov_b64 s[6:7], 0
	s_mov_b64 s[0:1], 0
                                        ; implicit-def: $vgpr13_vgpr14
	s_branch .LBB135_1289
.LBB135_1279:
	s_or_b64 s[2:3], s[28:29], exec
	s_trap 2
	s_cbranch_execz .LBB135_1220
	s_branch .LBB135_1221
.LBB135_1280:
	s_mov_b64 s[12:13], -1
	s_mov_b64 s[6:7], 0
	s_mov_b64 s[0:1], 0
                                        ; implicit-def: $vgpr13_vgpr14
	s_branch .LBB135_1284
.LBB135_1281:
	s_andn2_saveexec_b64 s[16:17], s[16:17]
	s_cbranch_execz .LBB135_1011
.LBB135_1282:
	s_mov_b32 s19, 0x42800000
	v_add_f32_e64 v3, |v2|, s19
	v_and_b32_e32 v3, 0xff, v3
	v_cmp_ne_u32_e32 vcc, 0, v3
	s_andn2_b64 s[14:15], s[14:15], exec
	s_and_b64 s[22:23], vcc, exec
	s_or_b64 s[14:15], s[14:15], s[22:23]
	s_or_b64 exec, exec, s[16:17]
	v_mov_b32_e32 v6, 0
	s_and_saveexec_b64 s[16:17], s[14:15]
	s_cbranch_execnz .LBB135_1012
	s_branch .LBB135_1013
.LBB135_1283:
	s_mov_b64 s[0:1], -1
                                        ; implicit-def: $vgpr13_vgpr14
	s_mov_b64 s[6:7], 0
.LBB135_1284:
	s_and_b64 vcc, exec, s[12:13]
	s_cbranch_vccz .LBB135_1288
; %bb.1285:
	s_cmp_eq_u32 s17, 44
	s_cbranch_scc0 .LBB135_1287
; %bb.1286:
	global_load_ubyte v5, v[10:11], off
	s_movk_i32 s6, 0xff
	s_waitcnt vmcnt(1)
	v_bfrev_b32_e32 v7, 4
	v_mov_b32_e32 v14, 0x7ff80000
	v_bfrev_b32_e32 v15, 28
	s_mov_b64 s[0:1], 0
	s_waitcnt vmcnt(0)
	v_lshlrev_b32_e32 v12, 23, v5
	v_cvt_f64_f32_e32 v[12:13], v12
	v_cmp_ne_u32_e32 vcc, s6, v5
	s_mov_b64 s[6:7], -1
	v_cndmask_b32_e32 v7, v7, v12, vcc
	v_cndmask_b32_e32 v12, v14, v13, vcc
	v_cmp_ne_u32_e32 vcc, 0, v5
	v_cndmask_b32_e32 v14, v15, v12, vcc
	v_cndmask_b32_e32 v13, 0, v7, vcc
	s_branch .LBB135_1288
.LBB135_1287:
	s_mov_b64 s[0:1], -1
                                        ; implicit-def: $vgpr13_vgpr14
.LBB135_1288:
	s_mov_b64 s[12:13], 0
.LBB135_1289:
	s_and_b64 vcc, exec, s[12:13]
	s_cbranch_vccz .LBB135_1293
; %bb.1290:
	s_cmp_eq_u32 s17, 29
	s_cbranch_scc0 .LBB135_1292
; %bb.1291:
	global_load_dwordx2 v[12:13], v[10:11], off
	s_mov_b64 s[0:1], 0
	s_mov_b64 s[6:7], -1
	s_mov_b64 s[12:13], 0
	s_waitcnt vmcnt(0)
	v_cvt_f64_u32_e32 v[13:14], v13
	v_cvt_f64_u32_e32 v[15:16], v12
	v_ldexp_f64 v[13:14], v[13:14], 32
	v_add_f64 v[13:14], v[13:14], v[15:16]
	s_branch .LBB135_1294
.LBB135_1292:
	s_mov_b64 s[0:1], -1
                                        ; implicit-def: $vgpr13_vgpr14
.LBB135_1293:
	s_mov_b64 s[12:13], 0
.LBB135_1294:
	s_and_b64 vcc, exec, s[12:13]
	s_cbranch_vccz .LBB135_1314
; %bb.1295:
	s_cmp_lt_i32 s17, 27
	s_cbranch_scc1 .LBB135_1298
; %bb.1296:
	s_cmp_gt_i32 s17, 27
	s_cbranch_scc0 .LBB135_1299
; %bb.1297:
	global_load_dword v5, v[10:11], off
	s_mov_b64 s[6:7], 0
	s_waitcnt vmcnt(0)
	v_cvt_f64_u32_e32 v[13:14], v5
	s_branch .LBB135_1300
.LBB135_1298:
	s_mov_b64 s[6:7], -1
                                        ; implicit-def: $vgpr13_vgpr14
	s_branch .LBB135_1303
.LBB135_1299:
	s_mov_b64 s[6:7], -1
                                        ; implicit-def: $vgpr13_vgpr14
.LBB135_1300:
	s_andn2_b64 vcc, exec, s[6:7]
	s_cbranch_vccnz .LBB135_1302
; %bb.1301:
	global_load_ushort v5, v[10:11], off
	s_waitcnt vmcnt(0)
	v_cvt_f64_u32_e32 v[13:14], v5
.LBB135_1302:
	s_mov_b64 s[6:7], 0
.LBB135_1303:
	s_andn2_b64 vcc, exec, s[6:7]
	s_cbranch_vccnz .LBB135_1313
; %bb.1304:
	global_load_ubyte v5, v[10:11], off
	s_movk_i32 s6, 0x7f
	s_waitcnt vmcnt(0)
	v_cmp_lt_i16_e32 vcc, s6, v5
	s_mov_b64 s[6:7], 0
	s_and_saveexec_b64 s[12:13], vcc
	s_xor_b64 s[12:13], exec, s[12:13]
	s_cbranch_execz .LBB135_1308
; %bb.1305:
	s_movk_i32 s6, 0x80
	v_cmp_eq_u16_e32 vcc, s6, v5
	s_mov_b64 s[6:7], -1
	s_and_saveexec_b64 s[14:15], vcc
; %bb.1306:
	s_xor_b64 s[6:7], exec, -1
; %bb.1307:
	s_or_b64 exec, exec, s[14:15]
	s_and_b64 s[6:7], s[6:7], exec
.LBB135_1308:
	s_or_saveexec_b64 s[12:13], s[12:13]
	v_bfrev_b32_e32 v13, 4
	v_mov_b32_e32 v14, 0x7ff80000
	s_xor_b64 exec, exec, s[12:13]
; %bb.1309:
	v_cmp_ne_u16_e32 vcc, 0, v5
	v_mov_b32_e32 v13, 0
	s_andn2_b64 s[6:7], s[6:7], exec
	s_and_b64 s[14:15], vcc, exec
	v_mov_b32_e32 v14, 0
	s_or_b64 s[6:7], s[6:7], s[14:15]
; %bb.1310:
	s_or_b64 exec, exec, s[12:13]
	s_and_saveexec_b64 s[12:13], s[6:7]
	s_cbranch_execz .LBB135_1312
; %bb.1311:
	v_lshlrev_b32_e32 v7, 24, v5
	v_and_b32_e32 v5, 0xffff, v5
	v_and_b32_e32 v12, 7, v5
	v_ffbh_u32_e32 v14, v12
	v_min_u32_e32 v14, 32, v14
	v_subrev_u32_e32 v15, 28, v14
	v_bfe_u32 v13, v5, 3, 4
	v_lshlrev_b32_e32 v5, v15, v5
	v_sub_u32_e32 v14, 29, v14
	v_and_b32_e32 v5, 7, v5
	v_cmp_eq_u32_e32 vcc, 0, v13
	v_cndmask_b32_e32 v13, v13, v14, vcc
	v_cndmask_b32_e32 v5, v12, v5, vcc
	v_mov_b32_e32 v12, 0x3b800000
	v_lshlrev_b32_e32 v5, 20, v5
	v_and_b32_e32 v7, 0x80000000, v7
	v_lshl_add_u32 v12, v13, 23, v12
	v_or3_b32 v5, v7, v12, v5
	v_cvt_f64_f32_e32 v[13:14], v5
.LBB135_1312:
	s_or_b64 exec, exec, s[12:13]
.LBB135_1313:
	s_mov_b64 s[6:7], -1
.LBB135_1314:
	s_branch .LBB135_1345
.LBB135_1315:
	s_cmp_gt_i32 s17, 22
	s_cbranch_scc0 .LBB135_1327
; %bb.1316:
	s_cmp_lt_i32 s17, 24
	s_cbranch_scc1 .LBB135_1328
; %bb.1317:
	s_cmp_gt_i32 s17, 24
	s_cbranch_scc0 .LBB135_1329
; %bb.1318:
	global_load_ubyte v5, v[10:11], off
	s_movk_i32 s4, 0x7f
	s_waitcnt vmcnt(0)
	v_cmp_lt_i16_e32 vcc, s4, v5
	s_mov_b64 s[4:5], 0
	s_and_saveexec_b64 s[6:7], vcc
	s_xor_b64 s[6:7], exec, s[6:7]
	s_cbranch_execz .LBB135_1322
; %bb.1319:
	s_movk_i32 s4, 0x80
	v_cmp_eq_u16_e32 vcc, s4, v5
	s_mov_b64 s[4:5], -1
	s_and_saveexec_b64 s[12:13], vcc
; %bb.1320:
	s_xor_b64 s[4:5], exec, -1
; %bb.1321:
	s_or_b64 exec, exec, s[12:13]
	s_and_b64 s[4:5], s[4:5], exec
.LBB135_1322:
	s_or_saveexec_b64 s[6:7], s[6:7]
	v_bfrev_b32_e32 v13, 4
	v_mov_b32_e32 v14, 0x7ff80000
	s_xor_b64 exec, exec, s[6:7]
; %bb.1323:
	v_cmp_ne_u16_e32 vcc, 0, v5
	v_mov_b32_e32 v13, 0
	s_andn2_b64 s[4:5], s[4:5], exec
	s_and_b64 s[12:13], vcc, exec
	v_mov_b32_e32 v14, 0
	s_or_b64 s[4:5], s[4:5], s[12:13]
; %bb.1324:
	s_or_b64 exec, exec, s[6:7]
	s_and_saveexec_b64 s[6:7], s[4:5]
	s_cbranch_execz .LBB135_1326
; %bb.1325:
	v_lshlrev_b32_e32 v7, 24, v5
	v_and_b32_e32 v5, 0xffff, v5
	v_and_b32_e32 v12, 3, v5
	v_ffbh_u32_e32 v14, v12
	v_min_u32_e32 v14, 32, v14
	v_subrev_u32_e32 v15, 29, v14
	v_bfe_u32 v13, v5, 2, 5
	v_lshlrev_b32_e32 v5, v15, v5
	v_sub_u32_e32 v14, 30, v14
	v_and_b32_e32 v5, 3, v5
	v_cmp_eq_u32_e32 vcc, 0, v13
	v_cndmask_b32_e32 v13, v13, v14, vcc
	v_cndmask_b32_e32 v5, v12, v5, vcc
	v_mov_b32_e32 v12, 0x37800000
	v_lshlrev_b32_e32 v5, 21, v5
	v_and_b32_e32 v7, 0x80000000, v7
	v_lshl_add_u32 v12, v13, 23, v12
	v_or3_b32 v5, v7, v12, v5
	v_cvt_f64_f32_e32 v[13:14], v5
.LBB135_1326:
	s_or_b64 exec, exec, s[6:7]
	s_mov_b64 s[4:5], 0
	s_branch .LBB135_1330
.LBB135_1327:
	s_mov_b64 s[4:5], -1
                                        ; implicit-def: $vgpr13_vgpr14
	s_branch .LBB135_1336
.LBB135_1328:
	s_mov_b64 s[4:5], -1
                                        ; implicit-def: $vgpr13_vgpr14
	s_branch .LBB135_1333
.LBB135_1329:
	s_mov_b64 s[4:5], -1
                                        ; implicit-def: $vgpr13_vgpr14
.LBB135_1330:
	s_and_b64 vcc, exec, s[4:5]
	s_cbranch_vccz .LBB135_1332
; %bb.1331:
	global_load_ubyte v5, v[10:11], off
	s_mov_b32 s4, 0x7f800000
	s_waitcnt vmcnt(0)
	v_lshlrev_b32_e32 v5, 24, v5
	v_and_b32_e32 v7, 0x7f000000, v5
	v_ffbh_u32_e32 v12, v7
	v_min_u32_e32 v12, 32, v12
	v_sub_u32_e64 v12, v12, 4 clamp
	v_lshlrev_b32_e32 v14, v12, v7
	v_lshlrev_b32_e32 v12, 23, v12
	v_lshrrev_b32_e32 v14, 4, v14
	v_add_u32_e32 v13, 0x1000000, v7
	v_sub_u32_e32 v12, v14, v12
	v_ashrrev_i32_e32 v13, 8, v13
	v_add_u32_e32 v12, 0x3c000000, v12
	v_and_or_b32 v12, v13, s4, v12
	v_cmp_ne_u32_e32 vcc, 0, v7
	v_cndmask_b32_e32 v7, 0, v12, vcc
	s_brev_b32 s4, 1
	v_and_or_b32 v5, v5, s4, v7
	v_cvt_f64_f32_e32 v[13:14], v5
.LBB135_1332:
	s_mov_b64 s[4:5], 0
.LBB135_1333:
	s_andn2_b64 vcc, exec, s[4:5]
	s_cbranch_vccnz .LBB135_1335
; %bb.1334:
	global_load_ubyte v5, v[10:11], off
	s_movk_i32 s4, 0x7f00
	s_brev_b32 s5, 16
	s_waitcnt vmcnt(0)
	v_lshlrev_b16_e32 v7, 8, v5
	v_lshlrev_b32_e32 v5, 25, v5
	v_lshrrev_b32_e32 v12, 4, v5
	v_and_or_b32 v13, v7, s4, 0.5
	v_or_b32_e32 v12, 0x70000000, v12
	v_add_f32_e32 v13, -0.5, v13
	v_mul_f32_e32 v12, 0x7800000, v12
	v_cmp_gt_u32_e32 vcc, s5, v5
	v_bfe_i32 v7, v7, 0, 16
	v_cndmask_b32_e32 v5, v12, v13, vcc
	s_brev_b32 s4, 1
	v_and_or_b32 v5, v7, s4, v5
	v_cvt_f64_f32_e32 v[13:14], v5
.LBB135_1335:
	s_mov_b64 s[4:5], 0
	s_mov_b64 s[6:7], -1
.LBB135_1336:
	s_andn2_b64 vcc, exec, s[4:5]
	s_mov_b64 s[4:5], 0
	s_cbranch_vccnz .LBB135_1345
; %bb.1337:
	s_cmp_gt_i32 s17, 14
	s_cbranch_scc0 .LBB135_1340
; %bb.1338:
	s_cmp_eq_u32 s17, 15
	s_cbranch_scc0 .LBB135_1341
; %bb.1339:
	global_load_ushort v5, v[10:11], off
	s_mov_b64 s[0:1], 0
	s_mov_b64 s[6:7], -1
	s_waitcnt vmcnt(0)
	v_lshlrev_b32_e32 v5, 16, v5
	v_cvt_f64_f32_e32 v[13:14], v5
	s_branch .LBB135_1342
.LBB135_1340:
	s_mov_b64 s[12:13], -1
                                        ; implicit-def: $vgpr13_vgpr14
	s_branch .LBB135_1343
.LBB135_1341:
	s_mov_b64 s[0:1], -1
                                        ; implicit-def: $vgpr13_vgpr14
.LBB135_1342:
	s_mov_b64 s[12:13], 0
.LBB135_1343:
	s_and_b64 vcc, exec, s[12:13]
	s_cbranch_vccz .LBB135_1345
; %bb.1344:
	s_cmp_lg_u32 s17, 11
	s_mov_b64 s[4:5], -1
	s_cselect_b64 s[0:1], -1, 0
.LBB135_1345:
	s_and_b64 vcc, exec, s[0:1]
	s_cbranch_vccnz .LBB135_1408
; %bb.1346:
	s_andn2_b64 vcc, exec, s[4:5]
	s_cbranch_vccnz .LBB135_1348
.LBB135_1347:
	global_load_ubyte v5, v[10:11], off
	s_waitcnt vmcnt(1)
	v_mov_b32_e32 v7, 0x3ff00000
	v_mov_b32_e32 v13, 0
	s_mov_b64 s[6:7], -1
	s_waitcnt vmcnt(0)
	v_cmp_ne_u16_e32 vcc, 0, v5
	v_cndmask_b32_e32 v14, 0, v7, vcc
.LBB135_1348:
	s_branch .LBB135_1275
.LBB135_1349:
	s_and_b32 s4, 0xffff, s16
	s_cmp_lt_i32 s4, 5
	s_cbranch_scc1 .LBB135_1354
; %bb.1350:
	s_cmp_lt_i32 s4, 8
	s_cbranch_scc1 .LBB135_1355
; %bb.1351:
	s_cmp_lt_i32 s4, 9
	s_cbranch_scc1 .LBB135_1356
; %bb.1352:
	s_cmp_gt_i32 s4, 9
	s_cbranch_scc0 .LBB135_1357
; %bb.1353:
	global_load_dwordx2 v[13:14], v[10:11], off
	s_mov_b64 s[0:1], 0
	s_branch .LBB135_1358
.LBB135_1354:
                                        ; implicit-def: $vgpr13_vgpr14
	s_branch .LBB135_1376
.LBB135_1355:
	s_mov_b64 s[0:1], -1
                                        ; implicit-def: $vgpr13_vgpr14
	s_branch .LBB135_1364
.LBB135_1356:
	s_mov_b64 s[0:1], -1
                                        ; implicit-def: $vgpr13_vgpr14
	s_branch .LBB135_1361
.LBB135_1357:
	s_mov_b64 s[0:1], -1
                                        ; implicit-def: $vgpr13_vgpr14
.LBB135_1358:
	s_andn2_b64 vcc, exec, s[0:1]
	s_cbranch_vccnz .LBB135_1360
; %bb.1359:
	global_load_dword v5, v[10:11], off
	s_waitcnt vmcnt(0)
	v_cvt_f64_f32_e32 v[13:14], v5
.LBB135_1360:
	s_mov_b64 s[0:1], 0
.LBB135_1361:
	s_andn2_b64 vcc, exec, s[0:1]
	s_cbranch_vccnz .LBB135_1363
; %bb.1362:
	global_load_dword v5, v[10:11], off
	s_waitcnt vmcnt(0)
	v_cvt_f32_f16_e32 v5, v5
	v_cvt_f64_f32_e32 v[13:14], v5
.LBB135_1363:
	s_mov_b64 s[0:1], 0
.LBB135_1364:
	s_andn2_b64 vcc, exec, s[0:1]
	s_cbranch_vccnz .LBB135_1375
; %bb.1365:
	s_cmp_lt_i32 s4, 6
	s_cbranch_scc1 .LBB135_1368
; %bb.1366:
	s_cmp_gt_i32 s4, 6
	s_cbranch_scc0 .LBB135_1369
; %bb.1367:
	global_load_dwordx2 v[13:14], v[10:11], off
	s_mov_b64 s[0:1], 0
	s_branch .LBB135_1370
.LBB135_1368:
	s_mov_b64 s[0:1], -1
                                        ; implicit-def: $vgpr13_vgpr14
	s_branch .LBB135_1373
.LBB135_1369:
	s_mov_b64 s[0:1], -1
                                        ; implicit-def: $vgpr13_vgpr14
.LBB135_1370:
	s_andn2_b64 vcc, exec, s[0:1]
	s_cbranch_vccnz .LBB135_1372
; %bb.1371:
	global_load_dword v5, v[10:11], off
	s_waitcnt vmcnt(0)
	v_cvt_f64_f32_e32 v[13:14], v5
.LBB135_1372:
	s_mov_b64 s[0:1], 0
.LBB135_1373:
	s_andn2_b64 vcc, exec, s[0:1]
	s_cbranch_vccnz .LBB135_1375
; %bb.1374:
	global_load_ushort v5, v[10:11], off
	s_waitcnt vmcnt(0)
	v_cvt_f32_f16_e32 v5, v5
	v_cvt_f64_f32_e32 v[13:14], v5
.LBB135_1375:
	s_cbranch_execnz .LBB135_1395
.LBB135_1376:
	s_cmp_lt_i32 s4, 2
	s_cbranch_scc1 .LBB135_1380
; %bb.1377:
	s_cmp_lt_i32 s4, 3
	s_cbranch_scc1 .LBB135_1381
; %bb.1378:
	s_cmp_gt_i32 s4, 3
	s_cbranch_scc0 .LBB135_1382
; %bb.1379:
	global_load_dwordx2 v[12:13], v[10:11], off
	s_mov_b64 s[0:1], 0
	s_waitcnt vmcnt(0)
	v_cvt_f64_i32_e32 v[13:14], v13
	v_cvt_f64_u32_e32 v[15:16], v12
	v_ldexp_f64 v[13:14], v[13:14], 32
	v_add_f64 v[13:14], v[13:14], v[15:16]
	s_branch .LBB135_1383
.LBB135_1380:
	s_mov_b64 s[0:1], -1
                                        ; implicit-def: $vgpr13_vgpr14
	s_branch .LBB135_1389
.LBB135_1381:
	s_mov_b64 s[0:1], -1
                                        ; implicit-def: $vgpr13_vgpr14
	s_branch .LBB135_1386
.LBB135_1382:
	s_mov_b64 s[0:1], -1
                                        ; implicit-def: $vgpr13_vgpr14
.LBB135_1383:
	s_andn2_b64 vcc, exec, s[0:1]
	s_cbranch_vccnz .LBB135_1385
; %bb.1384:
	global_load_dword v5, v[10:11], off
	s_waitcnt vmcnt(0)
	v_cvt_f64_i32_e32 v[13:14], v5
.LBB135_1385:
	s_mov_b64 s[0:1], 0
.LBB135_1386:
	s_andn2_b64 vcc, exec, s[0:1]
	s_cbranch_vccnz .LBB135_1388
; %bb.1387:
	global_load_sshort v5, v[10:11], off
	s_waitcnt vmcnt(0)
	v_cvt_f64_i32_e32 v[13:14], v5
.LBB135_1388:
	s_mov_b64 s[0:1], 0
.LBB135_1389:
	s_andn2_b64 vcc, exec, s[0:1]
	s_cbranch_vccnz .LBB135_1395
; %bb.1390:
	s_cmp_gt_i32 s4, 0
	s_cbranch_scc0 .LBB135_1392
; %bb.1391:
	global_load_sbyte v5, v[10:11], off
	s_mov_b64 s[0:1], 0
	s_waitcnt vmcnt(0)
	v_cvt_f64_i32_e32 v[13:14], v5
	s_branch .LBB135_1393
.LBB135_1392:
	s_mov_b64 s[0:1], -1
                                        ; implicit-def: $vgpr13_vgpr14
.LBB135_1393:
	s_andn2_b64 vcc, exec, s[0:1]
	s_cbranch_vccnz .LBB135_1395
; %bb.1394:
	global_load_ubyte v5, v[10:11], off
	s_waitcnt vmcnt(0)
	v_cvt_f64_u32_e32 v[13:14], v5
.LBB135_1395:
.LBB135_1396:
	v_mov_b32_e32 v5, s11
	s_waitcnt vmcnt(0)
	v_add_co_u32_e32 v15, vcc, s10, v3
	s_cmp_lt_i32 s16, 11
	v_addc_co_u32_e32 v16, vcc, 0, v5, vcc
	s_cbranch_scc1 .LBB135_1403
; %bb.1397:
	s_and_b32 s17, 0xffff, s16
	s_cmp_gt_i32 s17, 25
	s_mov_b64 s[4:5], 0
	s_cbranch_scc0 .LBB135_1405
; %bb.1398:
	s_cmp_gt_i32 s17, 28
	s_cbranch_scc0 .LBB135_1406
; %bb.1399:
	s_cmp_gt_i32 s17, 43
	;; [unrolled: 3-line block ×3, first 2 shown]
	s_cbranch_scc0 .LBB135_1409
; %bb.1401:
	s_cmp_eq_u32 s17, 46
	s_mov_b64 s[12:13], 0
	s_cbranch_scc0 .LBB135_1410
; %bb.1402:
	global_load_dword v3, v[15:16], off
	s_mov_b64 s[0:1], 0
	s_mov_b64 s[6:7], -1
	s_waitcnt vmcnt(0)
	v_lshlrev_b32_e32 v3, 16, v3
	v_cvt_f64_f32_e32 v[11:12], v3
	s_branch .LBB135_1411
.LBB135_1403:
	s_mov_b64 s[6:7], 0
                                        ; implicit-def: $vgpr11_vgpr12
	s_cbranch_execnz .LBB135_1477
.LBB135_1404:
	s_andn2_b64 vcc, exec, s[6:7]
	s_cbranch_vccnz .LBB135_2088
	s_branch .LBB135_1525
.LBB135_1405:
	s_mov_b64 s[12:13], -1
	s_mov_b64 s[6:7], 0
	s_mov_b64 s[0:1], 0
                                        ; implicit-def: $vgpr11_vgpr12
	s_branch .LBB135_1442
.LBB135_1406:
	s_mov_b64 s[12:13], -1
	s_mov_b64 s[6:7], 0
	s_mov_b64 s[0:1], 0
                                        ; implicit-def: $vgpr11_vgpr12
	s_branch .LBB135_1421
.LBB135_1407:
	s_mov_b64 s[12:13], -1
	s_mov_b64 s[6:7], 0
	s_mov_b64 s[0:1], 0
                                        ; implicit-def: $vgpr11_vgpr12
	s_branch .LBB135_1416
.LBB135_1408:
	s_trap 2
	s_or_b64 s[2:3], s[2:3], exec
	s_cbranch_execz .LBB135_1347
	s_branch .LBB135_1348
.LBB135_1409:
	s_mov_b64 s[12:13], -1
	s_mov_b64 s[6:7], 0
	s_mov_b64 s[0:1], 0
                                        ; implicit-def: $vgpr11_vgpr12
	s_branch .LBB135_1411
.LBB135_1410:
	s_mov_b64 s[0:1], -1
                                        ; implicit-def: $vgpr11_vgpr12
	s_mov_b64 s[6:7], 0
.LBB135_1411:
	s_and_b64 vcc, exec, s[12:13]
	s_cbranch_vccz .LBB135_1415
; %bb.1412:
	s_cmp_eq_u32 s17, 44
	s_cbranch_scc0 .LBB135_1414
; %bb.1413:
	global_load_ubyte v3, v[15:16], off
	s_movk_i32 s6, 0xff
	v_bfrev_b32_e32 v5, 4
	v_mov_b32_e32 v7, 0x7ff80000
	v_bfrev_b32_e32 v12, 28
	s_mov_b64 s[0:1], 0
	s_waitcnt vmcnt(0)
	v_lshlrev_b32_e32 v10, 23, v3
	v_cvt_f64_f32_e32 v[10:11], v10
	v_cmp_ne_u32_e32 vcc, s6, v3
	s_mov_b64 s[6:7], -1
	v_cndmask_b32_e32 v5, v5, v10, vcc
	v_cndmask_b32_e32 v7, v7, v11, vcc
	v_cmp_ne_u32_e32 vcc, 0, v3
	v_cndmask_b32_e32 v12, v12, v7, vcc
	v_cndmask_b32_e32 v11, 0, v5, vcc
	s_branch .LBB135_1415
.LBB135_1414:
	s_mov_b64 s[0:1], -1
                                        ; implicit-def: $vgpr11_vgpr12
.LBB135_1415:
	s_mov_b64 s[12:13], 0
.LBB135_1416:
	s_and_b64 vcc, exec, s[12:13]
	s_cbranch_vccz .LBB135_1420
; %bb.1417:
	s_cmp_eq_u32 s17, 29
	s_cbranch_scc0 .LBB135_1419
; %bb.1418:
	global_load_dwordx2 v[10:11], v[15:16], off
	s_mov_b64 s[0:1], 0
	s_mov_b64 s[6:7], -1
	s_mov_b64 s[12:13], 0
	s_waitcnt vmcnt(0)
	v_cvt_f64_u32_e32 v[11:12], v11
	v_cvt_f64_u32_e32 v[17:18], v10
	v_ldexp_f64 v[11:12], v[11:12], 32
	v_add_f64 v[11:12], v[11:12], v[17:18]
	s_branch .LBB135_1421
.LBB135_1419:
	s_mov_b64 s[0:1], -1
                                        ; implicit-def: $vgpr11_vgpr12
.LBB135_1420:
	s_mov_b64 s[12:13], 0
.LBB135_1421:
	s_and_b64 vcc, exec, s[12:13]
	s_cbranch_vccz .LBB135_1441
; %bb.1422:
	s_cmp_lt_i32 s17, 27
	s_cbranch_scc1 .LBB135_1425
; %bb.1423:
	s_cmp_gt_i32 s17, 27
	s_cbranch_scc0 .LBB135_1426
; %bb.1424:
	global_load_dword v3, v[15:16], off
	s_mov_b64 s[6:7], 0
	s_waitcnt vmcnt(0)
	v_cvt_f64_u32_e32 v[11:12], v3
	s_branch .LBB135_1427
.LBB135_1425:
	s_mov_b64 s[6:7], -1
                                        ; implicit-def: $vgpr11_vgpr12
	s_branch .LBB135_1430
.LBB135_1426:
	s_mov_b64 s[6:7], -1
                                        ; implicit-def: $vgpr11_vgpr12
.LBB135_1427:
	s_andn2_b64 vcc, exec, s[6:7]
	s_cbranch_vccnz .LBB135_1429
; %bb.1428:
	global_load_ushort v3, v[15:16], off
	s_waitcnt vmcnt(0)
	v_cvt_f64_u32_e32 v[11:12], v3
.LBB135_1429:
	s_mov_b64 s[6:7], 0
.LBB135_1430:
	s_andn2_b64 vcc, exec, s[6:7]
	s_cbranch_vccnz .LBB135_1440
; %bb.1431:
	global_load_ubyte v3, v[15:16], off
	s_movk_i32 s6, 0x7f
	s_waitcnt vmcnt(0)
	v_cmp_lt_i16_e32 vcc, s6, v3
	s_mov_b64 s[6:7], 0
	s_and_saveexec_b64 s[12:13], vcc
	s_xor_b64 s[12:13], exec, s[12:13]
	s_cbranch_execz .LBB135_1435
; %bb.1432:
	s_movk_i32 s6, 0x80
	v_cmp_eq_u16_e32 vcc, s6, v3
	s_mov_b64 s[6:7], -1
	s_and_saveexec_b64 s[14:15], vcc
; %bb.1433:
	s_xor_b64 s[6:7], exec, -1
; %bb.1434:
	s_or_b64 exec, exec, s[14:15]
	s_and_b64 s[6:7], s[6:7], exec
.LBB135_1435:
	s_or_saveexec_b64 s[12:13], s[12:13]
	v_bfrev_b32_e32 v11, 4
	v_mov_b32_e32 v12, 0x7ff80000
	s_xor_b64 exec, exec, s[12:13]
; %bb.1436:
	v_cmp_ne_u16_e32 vcc, 0, v3
	v_mov_b32_e32 v11, 0
	s_andn2_b64 s[6:7], s[6:7], exec
	s_and_b64 s[14:15], vcc, exec
	v_mov_b32_e32 v12, 0
	s_or_b64 s[6:7], s[6:7], s[14:15]
; %bb.1437:
	s_or_b64 exec, exec, s[12:13]
	s_and_saveexec_b64 s[12:13], s[6:7]
	s_cbranch_execz .LBB135_1439
; %bb.1438:
	v_lshlrev_b32_e32 v5, 24, v3
	v_and_b32_e32 v3, 0xffff, v3
	v_and_b32_e32 v7, 7, v3
	v_ffbh_u32_e32 v11, v7
	v_min_u32_e32 v11, 32, v11
	v_subrev_u32_e32 v12, 28, v11
	v_bfe_u32 v10, v3, 3, 4
	v_lshlrev_b32_e32 v3, v12, v3
	v_sub_u32_e32 v11, 29, v11
	v_and_b32_e32 v3, 7, v3
	v_cmp_eq_u32_e32 vcc, 0, v10
	v_cndmask_b32_e32 v10, v10, v11, vcc
	v_cndmask_b32_e32 v3, v7, v3, vcc
	v_mov_b32_e32 v7, 0x3b800000
	v_lshlrev_b32_e32 v3, 20, v3
	v_and_b32_e32 v5, 0x80000000, v5
	v_lshl_add_u32 v7, v10, 23, v7
	v_or3_b32 v3, v5, v7, v3
	v_cvt_f64_f32_e32 v[11:12], v3
.LBB135_1439:
	s_or_b64 exec, exec, s[12:13]
.LBB135_1440:
	s_mov_b64 s[6:7], -1
.LBB135_1441:
	s_mov_b64 s[12:13], 0
.LBB135_1442:
	s_and_b64 vcc, exec, s[12:13]
	s_cbranch_vccz .LBB135_1473
; %bb.1443:
	s_cmp_gt_i32 s17, 22
	s_cbranch_scc0 .LBB135_1455
; %bb.1444:
	s_cmp_lt_i32 s17, 24
	s_cbranch_scc1 .LBB135_1456
; %bb.1445:
	s_cmp_gt_i32 s17, 24
	s_cbranch_scc0 .LBB135_1457
; %bb.1446:
	global_load_ubyte v3, v[15:16], off
	s_movk_i32 s4, 0x7f
	s_waitcnt vmcnt(0)
	v_cmp_lt_i16_e32 vcc, s4, v3
	s_mov_b64 s[4:5], 0
	s_and_saveexec_b64 s[6:7], vcc
	s_xor_b64 s[6:7], exec, s[6:7]
	s_cbranch_execz .LBB135_1450
; %bb.1447:
	s_movk_i32 s4, 0x80
	v_cmp_eq_u16_e32 vcc, s4, v3
	s_mov_b64 s[4:5], -1
	s_and_saveexec_b64 s[12:13], vcc
; %bb.1448:
	s_xor_b64 s[4:5], exec, -1
; %bb.1449:
	s_or_b64 exec, exec, s[12:13]
	s_and_b64 s[4:5], s[4:5], exec
.LBB135_1450:
	s_or_saveexec_b64 s[6:7], s[6:7]
	v_bfrev_b32_e32 v11, 4
	v_mov_b32_e32 v12, 0x7ff80000
	s_xor_b64 exec, exec, s[6:7]
; %bb.1451:
	v_cmp_ne_u16_e32 vcc, 0, v3
	v_mov_b32_e32 v11, 0
	s_andn2_b64 s[4:5], s[4:5], exec
	s_and_b64 s[12:13], vcc, exec
	v_mov_b32_e32 v12, 0
	s_or_b64 s[4:5], s[4:5], s[12:13]
; %bb.1452:
	s_or_b64 exec, exec, s[6:7]
	s_and_saveexec_b64 s[6:7], s[4:5]
	s_cbranch_execz .LBB135_1454
; %bb.1453:
	v_lshlrev_b32_e32 v5, 24, v3
	v_and_b32_e32 v3, 0xffff, v3
	v_and_b32_e32 v7, 3, v3
	v_ffbh_u32_e32 v11, v7
	v_min_u32_e32 v11, 32, v11
	v_subrev_u32_e32 v12, 29, v11
	v_bfe_u32 v10, v3, 2, 5
	v_lshlrev_b32_e32 v3, v12, v3
	v_sub_u32_e32 v11, 30, v11
	v_and_b32_e32 v3, 3, v3
	v_cmp_eq_u32_e32 vcc, 0, v10
	v_cndmask_b32_e32 v10, v10, v11, vcc
	v_cndmask_b32_e32 v3, v7, v3, vcc
	v_mov_b32_e32 v7, 0x37800000
	v_lshlrev_b32_e32 v3, 21, v3
	v_and_b32_e32 v5, 0x80000000, v5
	v_lshl_add_u32 v7, v10, 23, v7
	v_or3_b32 v3, v5, v7, v3
	v_cvt_f64_f32_e32 v[11:12], v3
.LBB135_1454:
	s_or_b64 exec, exec, s[6:7]
	s_mov_b64 s[4:5], 0
	s_branch .LBB135_1458
.LBB135_1455:
	s_mov_b64 s[4:5], -1
                                        ; implicit-def: $vgpr11_vgpr12
	s_branch .LBB135_1464
.LBB135_1456:
	s_mov_b64 s[4:5], -1
                                        ; implicit-def: $vgpr11_vgpr12
	s_branch .LBB135_1461
.LBB135_1457:
	s_mov_b64 s[4:5], -1
                                        ; implicit-def: $vgpr11_vgpr12
.LBB135_1458:
	s_and_b64 vcc, exec, s[4:5]
	s_cbranch_vccz .LBB135_1460
; %bb.1459:
	global_load_ubyte v3, v[15:16], off
	s_mov_b32 s4, 0x7f800000
	s_waitcnt vmcnt(0)
	v_lshlrev_b32_e32 v3, 24, v3
	v_and_b32_e32 v5, 0x7f000000, v3
	v_ffbh_u32_e32 v7, v5
	v_min_u32_e32 v7, 32, v7
	v_sub_u32_e64 v7, v7, 4 clamp
	v_lshlrev_b32_e32 v11, v7, v5
	v_lshlrev_b32_e32 v7, 23, v7
	v_lshrrev_b32_e32 v11, 4, v11
	v_add_u32_e32 v10, 0x1000000, v5
	v_sub_u32_e32 v7, v11, v7
	v_ashrrev_i32_e32 v10, 8, v10
	v_add_u32_e32 v7, 0x3c000000, v7
	v_and_or_b32 v7, v10, s4, v7
	v_cmp_ne_u32_e32 vcc, 0, v5
	v_cndmask_b32_e32 v5, 0, v7, vcc
	s_brev_b32 s4, 1
	v_and_or_b32 v3, v3, s4, v5
	v_cvt_f64_f32_e32 v[11:12], v3
.LBB135_1460:
	s_mov_b64 s[4:5], 0
.LBB135_1461:
	s_andn2_b64 vcc, exec, s[4:5]
	s_cbranch_vccnz .LBB135_1463
; %bb.1462:
	global_load_ubyte v3, v[15:16], off
	s_movk_i32 s4, 0x7f00
	s_brev_b32 s5, 16
	s_waitcnt vmcnt(0)
	v_lshlrev_b16_e32 v5, 8, v3
	v_lshlrev_b32_e32 v3, 25, v3
	v_lshrrev_b32_e32 v7, 4, v3
	v_and_or_b32 v10, v5, s4, 0.5
	v_or_b32_e32 v7, 0x70000000, v7
	v_add_f32_e32 v10, -0.5, v10
	v_mul_f32_e32 v7, 0x7800000, v7
	v_cmp_gt_u32_e32 vcc, s5, v3
	v_bfe_i32 v5, v5, 0, 16
	v_cndmask_b32_e32 v3, v7, v10, vcc
	s_brev_b32 s4, 1
	v_and_or_b32 v3, v5, s4, v3
	v_cvt_f64_f32_e32 v[11:12], v3
.LBB135_1463:
	s_mov_b64 s[4:5], 0
	s_mov_b64 s[6:7], -1
.LBB135_1464:
	s_andn2_b64 vcc, exec, s[4:5]
	s_mov_b64 s[4:5], 0
	s_cbranch_vccnz .LBB135_1473
; %bb.1465:
	s_cmp_gt_i32 s17, 14
	s_cbranch_scc0 .LBB135_1468
; %bb.1466:
	s_cmp_eq_u32 s17, 15
	s_cbranch_scc0 .LBB135_1469
; %bb.1467:
	global_load_ushort v3, v[15:16], off
	s_mov_b64 s[0:1], 0
	s_mov_b64 s[6:7], -1
	s_waitcnt vmcnt(0)
	v_lshlrev_b32_e32 v3, 16, v3
	v_cvt_f64_f32_e32 v[11:12], v3
	s_branch .LBB135_1470
.LBB135_1468:
	s_mov_b64 s[12:13], -1
                                        ; implicit-def: $vgpr11_vgpr12
	s_branch .LBB135_1471
.LBB135_1469:
	s_mov_b64 s[0:1], -1
                                        ; implicit-def: $vgpr11_vgpr12
.LBB135_1470:
	s_mov_b64 s[12:13], 0
.LBB135_1471:
	s_and_b64 vcc, exec, s[12:13]
	s_cbranch_vccz .LBB135_1473
; %bb.1472:
	s_cmp_lg_u32 s17, 11
	s_mov_b64 s[4:5], -1
	s_cselect_b64 s[0:1], -1, 0
.LBB135_1473:
	s_and_b64 vcc, exec, s[0:1]
	s_cbranch_vccnz .LBB135_1536
; %bb.1474:
	s_andn2_b64 vcc, exec, s[4:5]
	s_cbranch_vccnz .LBB135_1476
.LBB135_1475:
	global_load_ubyte v3, v[15:16], off
	v_mov_b32_e32 v5, 0x3ff00000
	v_mov_b32_e32 v11, 0
	s_mov_b64 s[6:7], -1
	s_waitcnt vmcnt(0)
	v_cmp_ne_u16_e32 vcc, 0, v3
	v_cndmask_b32_e32 v12, 0, v5, vcc
.LBB135_1476:
	s_branch .LBB135_1404
.LBB135_1477:
	s_and_b32 s4, 0xffff, s16
	s_cmp_lt_i32 s4, 5
	s_cbranch_scc1 .LBB135_1482
; %bb.1478:
	s_cmp_lt_i32 s4, 8
	s_cbranch_scc1 .LBB135_1483
; %bb.1479:
	;; [unrolled: 3-line block ×3, first 2 shown]
	s_cmp_gt_i32 s4, 9
	s_cbranch_scc0 .LBB135_1485
; %bb.1481:
	global_load_dwordx2 v[11:12], v[15:16], off
	s_mov_b64 s[0:1], 0
	s_branch .LBB135_1486
.LBB135_1482:
	s_mov_b64 s[0:1], -1
                                        ; implicit-def: $vgpr11_vgpr12
	s_branch .LBB135_1504
.LBB135_1483:
	s_mov_b64 s[0:1], -1
                                        ; implicit-def: $vgpr11_vgpr12
	s_branch .LBB135_1492
.LBB135_1484:
	s_mov_b64 s[0:1], -1
                                        ; implicit-def: $vgpr11_vgpr12
	s_branch .LBB135_1489
.LBB135_1485:
	s_mov_b64 s[0:1], -1
                                        ; implicit-def: $vgpr11_vgpr12
.LBB135_1486:
	s_andn2_b64 vcc, exec, s[0:1]
	s_cbranch_vccnz .LBB135_1488
; %bb.1487:
	global_load_dword v3, v[15:16], off
	s_waitcnt vmcnt(0)
	v_cvt_f64_f32_e32 v[11:12], v3
.LBB135_1488:
	s_mov_b64 s[0:1], 0
.LBB135_1489:
	s_andn2_b64 vcc, exec, s[0:1]
	s_cbranch_vccnz .LBB135_1491
; %bb.1490:
	global_load_dword v3, v[15:16], off
	s_waitcnt vmcnt(0)
	v_cvt_f32_f16_e32 v3, v3
	v_cvt_f64_f32_e32 v[11:12], v3
.LBB135_1491:
	s_mov_b64 s[0:1], 0
.LBB135_1492:
	s_andn2_b64 vcc, exec, s[0:1]
	s_cbranch_vccnz .LBB135_1503
; %bb.1493:
	s_cmp_lt_i32 s4, 6
	s_cbranch_scc1 .LBB135_1496
; %bb.1494:
	s_cmp_gt_i32 s4, 6
	s_cbranch_scc0 .LBB135_1497
; %bb.1495:
	global_load_dwordx2 v[11:12], v[15:16], off
	s_mov_b64 s[0:1], 0
	s_branch .LBB135_1498
.LBB135_1496:
	s_mov_b64 s[0:1], -1
                                        ; implicit-def: $vgpr11_vgpr12
	s_branch .LBB135_1501
.LBB135_1497:
	s_mov_b64 s[0:1], -1
                                        ; implicit-def: $vgpr11_vgpr12
.LBB135_1498:
	s_andn2_b64 vcc, exec, s[0:1]
	s_cbranch_vccnz .LBB135_1500
; %bb.1499:
	global_load_dword v3, v[15:16], off
	s_waitcnt vmcnt(0)
	v_cvt_f64_f32_e32 v[11:12], v3
.LBB135_1500:
	s_mov_b64 s[0:1], 0
.LBB135_1501:
	s_andn2_b64 vcc, exec, s[0:1]
	s_cbranch_vccnz .LBB135_1503
; %bb.1502:
	global_load_ushort v3, v[15:16], off
	s_waitcnt vmcnt(0)
	v_cvt_f32_f16_e32 v3, v3
	v_cvt_f64_f32_e32 v[11:12], v3
.LBB135_1503:
	s_mov_b64 s[0:1], 0
.LBB135_1504:
	s_andn2_b64 vcc, exec, s[0:1]
	s_cbranch_vccnz .LBB135_1524
; %bb.1505:
	s_cmp_lt_i32 s4, 2
	s_cbranch_scc1 .LBB135_1509
; %bb.1506:
	s_cmp_lt_i32 s4, 3
	s_cbranch_scc1 .LBB135_1510
; %bb.1507:
	s_cmp_gt_i32 s4, 3
	s_cbranch_scc0 .LBB135_1511
; %bb.1508:
	global_load_dwordx2 v[10:11], v[15:16], off
	s_mov_b64 s[0:1], 0
	s_waitcnt vmcnt(0)
	v_cvt_f64_i32_e32 v[11:12], v11
	v_cvt_f64_u32_e32 v[17:18], v10
	v_ldexp_f64 v[11:12], v[11:12], 32
	v_add_f64 v[11:12], v[11:12], v[17:18]
	s_branch .LBB135_1512
.LBB135_1509:
	s_mov_b64 s[0:1], -1
                                        ; implicit-def: $vgpr11_vgpr12
	s_branch .LBB135_1518
.LBB135_1510:
	s_mov_b64 s[0:1], -1
                                        ; implicit-def: $vgpr11_vgpr12
	s_branch .LBB135_1515
.LBB135_1511:
	s_mov_b64 s[0:1], -1
                                        ; implicit-def: $vgpr11_vgpr12
.LBB135_1512:
	s_andn2_b64 vcc, exec, s[0:1]
	s_cbranch_vccnz .LBB135_1514
; %bb.1513:
	global_load_dword v3, v[15:16], off
	s_waitcnt vmcnt(0)
	v_cvt_f64_i32_e32 v[11:12], v3
.LBB135_1514:
	s_mov_b64 s[0:1], 0
.LBB135_1515:
	s_andn2_b64 vcc, exec, s[0:1]
	s_cbranch_vccnz .LBB135_1517
; %bb.1516:
	global_load_sshort v3, v[15:16], off
	s_waitcnt vmcnt(0)
	v_cvt_f64_i32_e32 v[11:12], v3
.LBB135_1517:
	s_mov_b64 s[0:1], 0
.LBB135_1518:
	s_andn2_b64 vcc, exec, s[0:1]
	s_cbranch_vccnz .LBB135_1524
; %bb.1519:
	s_cmp_gt_i32 s4, 0
	s_cbranch_scc0 .LBB135_1521
; %bb.1520:
	global_load_sbyte v3, v[15:16], off
	s_mov_b64 s[0:1], 0
	s_waitcnt vmcnt(0)
	v_cvt_f64_i32_e32 v[11:12], v3
	s_branch .LBB135_1522
.LBB135_1521:
	s_mov_b64 s[0:1], -1
                                        ; implicit-def: $vgpr11_vgpr12
.LBB135_1522:
	s_andn2_b64 vcc, exec, s[0:1]
	s_cbranch_vccnz .LBB135_1524
; %bb.1523:
	global_load_ubyte v3, v[15:16], off
	s_waitcnt vmcnt(0)
	v_cvt_f64_u32_e32 v[11:12], v3
.LBB135_1524:
.LBB135_1525:
	v_mov_b32_e32 v3, s11
	v_add_co_u32_e32 v15, vcc, s10, v9
	s_cmp_lt_i32 s16, 11
	v_addc_co_u32_e32 v16, vcc, 0, v3, vcc
	s_cbranch_scc1 .LBB135_1532
; %bb.1526:
	s_and_b32 s14, 0xffff, s16
	s_cmp_gt_i32 s14, 25
	s_mov_b64 s[4:5], 0
	s_cbranch_scc0 .LBB135_1533
; %bb.1527:
	s_cmp_gt_i32 s14, 28
	s_cbranch_scc0 .LBB135_1534
; %bb.1528:
	s_cmp_gt_i32 s14, 43
	;; [unrolled: 3-line block ×3, first 2 shown]
	s_cbranch_scc0 .LBB135_1537
; %bb.1530:
	s_cmp_eq_u32 s14, 46
	s_mov_b64 s[10:11], 0
	s_cbranch_scc0 .LBB135_1538
; %bb.1531:
	global_load_dword v3, v[15:16], off
	s_mov_b64 s[0:1], 0
	s_mov_b64 s[6:7], -1
	s_waitcnt vmcnt(0)
	v_lshlrev_b32_e32 v3, 16, v3
	v_cvt_f64_f32_e32 v[9:10], v3
	s_branch .LBB135_1539
.LBB135_1532:
	s_mov_b64 s[0:1], -1
	s_mov_b64 s[6:7], 0
                                        ; implicit-def: $vgpr9_vgpr10
	s_branch .LBB135_1605
.LBB135_1533:
	s_mov_b64 s[10:11], -1
	s_mov_b64 s[6:7], 0
	s_mov_b64 s[0:1], 0
                                        ; implicit-def: $vgpr9_vgpr10
	s_branch .LBB135_1570
.LBB135_1534:
	s_mov_b64 s[10:11], -1
	s_mov_b64 s[6:7], 0
	s_mov_b64 s[0:1], 0
                                        ; implicit-def: $vgpr9_vgpr10
	s_branch .LBB135_1549
.LBB135_1535:
	s_mov_b64 s[10:11], -1
	s_mov_b64 s[6:7], 0
	s_mov_b64 s[0:1], 0
                                        ; implicit-def: $vgpr9_vgpr10
	s_branch .LBB135_1544
.LBB135_1536:
	s_trap 2
	s_or_b64 s[2:3], s[2:3], exec
	s_cbranch_execz .LBB135_1475
	s_branch .LBB135_1476
.LBB135_1537:
	s_mov_b64 s[10:11], -1
	s_mov_b64 s[6:7], 0
	s_mov_b64 s[0:1], 0
                                        ; implicit-def: $vgpr9_vgpr10
	s_branch .LBB135_1539
.LBB135_1538:
	s_mov_b64 s[0:1], -1
                                        ; implicit-def: $vgpr9_vgpr10
	s_mov_b64 s[6:7], 0
.LBB135_1539:
	s_and_b64 vcc, exec, s[10:11]
	s_cbranch_vccz .LBB135_1543
; %bb.1540:
	s_cmp_eq_u32 s14, 44
	s_cbranch_scc0 .LBB135_1542
; %bb.1541:
	global_load_ubyte v3, v[15:16], off
	s_movk_i32 s6, 0xff
	v_bfrev_b32_e32 v5, 4
	v_mov_b32_e32 v7, 0x7ff80000
	v_bfrev_b32_e32 v17, 28
	s_mov_b64 s[0:1], 0
	s_waitcnt vmcnt(0)
	v_lshlrev_b32_e32 v9, 23, v3
	v_cvt_f64_f32_e32 v[9:10], v9
	v_cmp_ne_u32_e32 vcc, s6, v3
	s_mov_b64 s[6:7], -1
	v_cndmask_b32_e32 v5, v5, v9, vcc
	v_cndmask_b32_e32 v7, v7, v10, vcc
	v_cmp_ne_u32_e32 vcc, 0, v3
	v_cndmask_b32_e32 v10, v17, v7, vcc
	v_cndmask_b32_e32 v9, 0, v5, vcc
	s_branch .LBB135_1543
.LBB135_1542:
	s_mov_b64 s[0:1], -1
                                        ; implicit-def: $vgpr9_vgpr10
.LBB135_1543:
	s_mov_b64 s[10:11], 0
.LBB135_1544:
	s_and_b64 vcc, exec, s[10:11]
	s_cbranch_vccz .LBB135_1548
; %bb.1545:
	s_cmp_eq_u32 s14, 29
	s_cbranch_scc0 .LBB135_1547
; %bb.1546:
	global_load_dwordx2 v[9:10], v[15:16], off
	s_mov_b64 s[0:1], 0
	s_mov_b64 s[6:7], -1
	s_mov_b64 s[10:11], 0
	s_waitcnt vmcnt(0)
	v_cvt_f64_u32_e32 v[17:18], v10
	v_cvt_f64_u32_e32 v[9:10], v9
	v_ldexp_f64 v[17:18], v[17:18], 32
	v_add_f64 v[9:10], v[17:18], v[9:10]
	s_branch .LBB135_1549
.LBB135_1547:
	s_mov_b64 s[0:1], -1
                                        ; implicit-def: $vgpr9_vgpr10
.LBB135_1548:
	s_mov_b64 s[10:11], 0
.LBB135_1549:
	s_and_b64 vcc, exec, s[10:11]
	s_cbranch_vccz .LBB135_1569
; %bb.1550:
	s_cmp_lt_i32 s14, 27
	s_cbranch_scc1 .LBB135_1553
; %bb.1551:
	s_cmp_gt_i32 s14, 27
	s_cbranch_scc0 .LBB135_1554
; %bb.1552:
	global_load_dword v3, v[15:16], off
	s_mov_b64 s[6:7], 0
	s_waitcnt vmcnt(0)
	v_cvt_f64_u32_e32 v[9:10], v3
	s_branch .LBB135_1555
.LBB135_1553:
	s_mov_b64 s[6:7], -1
                                        ; implicit-def: $vgpr9_vgpr10
	s_branch .LBB135_1558
.LBB135_1554:
	s_mov_b64 s[6:7], -1
                                        ; implicit-def: $vgpr9_vgpr10
.LBB135_1555:
	s_andn2_b64 vcc, exec, s[6:7]
	s_cbranch_vccnz .LBB135_1557
; %bb.1556:
	global_load_ushort v3, v[15:16], off
	s_waitcnt vmcnt(0)
	v_cvt_f64_u32_e32 v[9:10], v3
.LBB135_1557:
	s_mov_b64 s[6:7], 0
.LBB135_1558:
	s_andn2_b64 vcc, exec, s[6:7]
	s_cbranch_vccnz .LBB135_1568
; %bb.1559:
	global_load_ubyte v3, v[15:16], off
	s_movk_i32 s6, 0x7f
	s_waitcnt vmcnt(0)
	v_cmp_lt_i16_e32 vcc, s6, v3
	s_mov_b64 s[6:7], 0
	s_and_saveexec_b64 s[10:11], vcc
	s_xor_b64 s[10:11], exec, s[10:11]
	s_cbranch_execz .LBB135_1563
; %bb.1560:
	s_movk_i32 s6, 0x80
	v_cmp_eq_u16_e32 vcc, s6, v3
	s_mov_b64 s[6:7], -1
	s_and_saveexec_b64 s[12:13], vcc
; %bb.1561:
	s_xor_b64 s[6:7], exec, -1
; %bb.1562:
	s_or_b64 exec, exec, s[12:13]
	s_and_b64 s[6:7], s[6:7], exec
.LBB135_1563:
	s_or_saveexec_b64 s[10:11], s[10:11]
	v_bfrev_b32_e32 v9, 4
	v_mov_b32_e32 v10, 0x7ff80000
	s_xor_b64 exec, exec, s[10:11]
; %bb.1564:
	v_cmp_ne_u16_e32 vcc, 0, v3
	v_mov_b32_e32 v9, 0
	s_andn2_b64 s[6:7], s[6:7], exec
	s_and_b64 s[12:13], vcc, exec
	v_mov_b32_e32 v10, 0
	s_or_b64 s[6:7], s[6:7], s[12:13]
; %bb.1565:
	s_or_b64 exec, exec, s[10:11]
	s_and_saveexec_b64 s[10:11], s[6:7]
	s_cbranch_execz .LBB135_1567
; %bb.1566:
	v_lshlrev_b32_e32 v5, 24, v3
	v_and_b32_e32 v3, 0xffff, v3
	v_and_b32_e32 v7, 7, v3
	v_ffbh_u32_e32 v10, v7
	v_min_u32_e32 v10, 32, v10
	v_subrev_u32_e32 v17, 28, v10
	v_bfe_u32 v9, v3, 3, 4
	v_lshlrev_b32_e32 v3, v17, v3
	v_sub_u32_e32 v10, 29, v10
	v_and_b32_e32 v3, 7, v3
	v_cmp_eq_u32_e32 vcc, 0, v9
	v_cndmask_b32_e32 v9, v9, v10, vcc
	v_cndmask_b32_e32 v3, v7, v3, vcc
	v_mov_b32_e32 v7, 0x3b800000
	v_lshlrev_b32_e32 v3, 20, v3
	v_and_b32_e32 v5, 0x80000000, v5
	v_lshl_add_u32 v7, v9, 23, v7
	v_or3_b32 v3, v5, v7, v3
	v_cvt_f64_f32_e32 v[9:10], v3
.LBB135_1567:
	s_or_b64 exec, exec, s[10:11]
.LBB135_1568:
	s_mov_b64 s[6:7], -1
.LBB135_1569:
	s_mov_b64 s[10:11], 0
.LBB135_1570:
	s_and_b64 vcc, exec, s[10:11]
	s_cbranch_vccz .LBB135_1601
; %bb.1571:
	s_cmp_gt_i32 s14, 22
	s_cbranch_scc0 .LBB135_1583
; %bb.1572:
	s_cmp_lt_i32 s14, 24
	s_cbranch_scc1 .LBB135_1584
; %bb.1573:
	s_cmp_gt_i32 s14, 24
	s_cbranch_scc0 .LBB135_1585
; %bb.1574:
	global_load_ubyte v3, v[15:16], off
	s_movk_i32 s4, 0x7f
	s_waitcnt vmcnt(0)
	v_cmp_lt_i16_e32 vcc, s4, v3
	s_mov_b64 s[4:5], 0
	s_and_saveexec_b64 s[6:7], vcc
	s_xor_b64 s[6:7], exec, s[6:7]
	s_cbranch_execz .LBB135_1578
; %bb.1575:
	s_movk_i32 s4, 0x80
	v_cmp_eq_u16_e32 vcc, s4, v3
	s_mov_b64 s[4:5], -1
	s_and_saveexec_b64 s[10:11], vcc
; %bb.1576:
	s_xor_b64 s[4:5], exec, -1
; %bb.1577:
	s_or_b64 exec, exec, s[10:11]
	s_and_b64 s[4:5], s[4:5], exec
.LBB135_1578:
	s_or_saveexec_b64 s[6:7], s[6:7]
	v_bfrev_b32_e32 v9, 4
	v_mov_b32_e32 v10, 0x7ff80000
	s_xor_b64 exec, exec, s[6:7]
; %bb.1579:
	v_cmp_ne_u16_e32 vcc, 0, v3
	v_mov_b32_e32 v9, 0
	s_andn2_b64 s[4:5], s[4:5], exec
	s_and_b64 s[10:11], vcc, exec
	v_mov_b32_e32 v10, 0
	s_or_b64 s[4:5], s[4:5], s[10:11]
; %bb.1580:
	s_or_b64 exec, exec, s[6:7]
	s_and_saveexec_b64 s[6:7], s[4:5]
	s_cbranch_execz .LBB135_1582
; %bb.1581:
	v_lshlrev_b32_e32 v5, 24, v3
	v_and_b32_e32 v3, 0xffff, v3
	v_and_b32_e32 v7, 3, v3
	v_ffbh_u32_e32 v10, v7
	v_min_u32_e32 v10, 32, v10
	v_subrev_u32_e32 v17, 29, v10
	v_bfe_u32 v9, v3, 2, 5
	v_lshlrev_b32_e32 v3, v17, v3
	v_sub_u32_e32 v10, 30, v10
	v_and_b32_e32 v3, 3, v3
	v_cmp_eq_u32_e32 vcc, 0, v9
	v_cndmask_b32_e32 v9, v9, v10, vcc
	v_cndmask_b32_e32 v3, v7, v3, vcc
	v_mov_b32_e32 v7, 0x37800000
	v_lshlrev_b32_e32 v3, 21, v3
	v_and_b32_e32 v5, 0x80000000, v5
	v_lshl_add_u32 v7, v9, 23, v7
	v_or3_b32 v3, v5, v7, v3
	v_cvt_f64_f32_e32 v[9:10], v3
.LBB135_1582:
	s_or_b64 exec, exec, s[6:7]
	s_mov_b64 s[4:5], 0
	s_branch .LBB135_1586
.LBB135_1583:
	s_mov_b64 s[4:5], -1
                                        ; implicit-def: $vgpr9_vgpr10
	s_branch .LBB135_1592
.LBB135_1584:
	s_mov_b64 s[4:5], -1
                                        ; implicit-def: $vgpr9_vgpr10
	s_branch .LBB135_1589
.LBB135_1585:
	s_mov_b64 s[4:5], -1
                                        ; implicit-def: $vgpr9_vgpr10
.LBB135_1586:
	s_and_b64 vcc, exec, s[4:5]
	s_cbranch_vccz .LBB135_1588
; %bb.1587:
	global_load_ubyte v3, v[15:16], off
	s_mov_b32 s4, 0x7f800000
	s_waitcnt vmcnt(0)
	v_lshlrev_b32_e32 v3, 24, v3
	v_and_b32_e32 v5, 0x7f000000, v3
	v_ffbh_u32_e32 v7, v5
	v_min_u32_e32 v7, 32, v7
	v_sub_u32_e64 v7, v7, 4 clamp
	v_lshlrev_b32_e32 v10, v7, v5
	v_lshlrev_b32_e32 v7, 23, v7
	v_lshrrev_b32_e32 v10, 4, v10
	v_add_u32_e32 v9, 0x1000000, v5
	v_sub_u32_e32 v7, v10, v7
	v_ashrrev_i32_e32 v9, 8, v9
	v_add_u32_e32 v7, 0x3c000000, v7
	v_and_or_b32 v7, v9, s4, v7
	v_cmp_ne_u32_e32 vcc, 0, v5
	v_cndmask_b32_e32 v5, 0, v7, vcc
	s_brev_b32 s4, 1
	v_and_or_b32 v3, v3, s4, v5
	v_cvt_f64_f32_e32 v[9:10], v3
.LBB135_1588:
	s_mov_b64 s[4:5], 0
.LBB135_1589:
	s_andn2_b64 vcc, exec, s[4:5]
	s_cbranch_vccnz .LBB135_1591
; %bb.1590:
	global_load_ubyte v3, v[15:16], off
	s_movk_i32 s4, 0x7f00
	s_brev_b32 s5, 16
	s_waitcnt vmcnt(0)
	v_lshlrev_b16_e32 v5, 8, v3
	v_lshlrev_b32_e32 v3, 25, v3
	v_lshrrev_b32_e32 v7, 4, v3
	v_and_or_b32 v9, v5, s4, 0.5
	v_or_b32_e32 v7, 0x70000000, v7
	v_add_f32_e32 v9, -0.5, v9
	v_mul_f32_e32 v7, 0x7800000, v7
	v_cmp_gt_u32_e32 vcc, s5, v3
	v_bfe_i32 v5, v5, 0, 16
	v_cndmask_b32_e32 v3, v7, v9, vcc
	s_brev_b32 s4, 1
	v_and_or_b32 v3, v5, s4, v3
	v_cvt_f64_f32_e32 v[9:10], v3
.LBB135_1591:
	s_mov_b64 s[4:5], 0
	s_mov_b64 s[6:7], -1
.LBB135_1592:
	s_andn2_b64 vcc, exec, s[4:5]
	s_mov_b64 s[4:5], 0
	s_cbranch_vccnz .LBB135_1601
; %bb.1593:
	s_cmp_gt_i32 s14, 14
	s_cbranch_scc0 .LBB135_1596
; %bb.1594:
	s_cmp_eq_u32 s14, 15
	s_cbranch_scc0 .LBB135_1597
; %bb.1595:
	global_load_ushort v3, v[15:16], off
	s_mov_b64 s[0:1], 0
	s_mov_b64 s[6:7], -1
	s_waitcnt vmcnt(0)
	v_lshlrev_b32_e32 v3, 16, v3
	v_cvt_f64_f32_e32 v[9:10], v3
	s_branch .LBB135_1598
.LBB135_1596:
	s_mov_b64 s[10:11], -1
                                        ; implicit-def: $vgpr9_vgpr10
	s_branch .LBB135_1599
.LBB135_1597:
	s_mov_b64 s[0:1], -1
                                        ; implicit-def: $vgpr9_vgpr10
.LBB135_1598:
	s_mov_b64 s[10:11], 0
.LBB135_1599:
	s_and_b64 vcc, exec, s[10:11]
	s_cbranch_vccz .LBB135_1601
; %bb.1600:
	s_cmp_lg_u32 s14, 11
	s_mov_b64 s[4:5], -1
	s_cselect_b64 s[0:1], -1, 0
.LBB135_1601:
	s_and_b64 vcc, exec, s[0:1]
	s_cbranch_vccnz .LBB135_2134
; %bb.1602:
	s_andn2_b64 vcc, exec, s[4:5]
	s_cbranch_vccnz .LBB135_1604
.LBB135_1603:
	global_load_ubyte v3, v[15:16], off
	v_mov_b32_e32 v5, 0x3ff00000
	v_mov_b32_e32 v9, 0
	s_mov_b64 s[6:7], -1
	s_waitcnt vmcnt(0)
	v_cmp_ne_u16_e32 vcc, 0, v3
	v_cndmask_b32_e32 v10, 0, v5, vcc
.LBB135_1604:
	s_mov_b64 s[0:1], 0
.LBB135_1605:
	s_and_b64 vcc, exec, s[0:1]
	s_cbranch_vccz .LBB135_1654
; %bb.1606:
	s_and_b32 s4, 0xffff, s16
	s_cmp_lt_i32 s4, 5
	s_cbranch_scc1 .LBB135_1611
; %bb.1607:
	s_cmp_lt_i32 s4, 8
	s_cbranch_scc1 .LBB135_1612
; %bb.1608:
	;; [unrolled: 3-line block ×3, first 2 shown]
	s_cmp_gt_i32 s4, 9
	s_cbranch_scc0 .LBB135_1614
; %bb.1610:
	global_load_dwordx2 v[9:10], v[15:16], off
	s_mov_b64 s[0:1], 0
	s_branch .LBB135_1615
.LBB135_1611:
	s_mov_b64 s[0:1], -1
                                        ; implicit-def: $vgpr9_vgpr10
	s_branch .LBB135_1633
.LBB135_1612:
	s_mov_b64 s[0:1], -1
                                        ; implicit-def: $vgpr9_vgpr10
	s_branch .LBB135_1621
.LBB135_1613:
	s_mov_b64 s[0:1], -1
                                        ; implicit-def: $vgpr9_vgpr10
	s_branch .LBB135_1618
.LBB135_1614:
	s_mov_b64 s[0:1], -1
                                        ; implicit-def: $vgpr9_vgpr10
.LBB135_1615:
	s_andn2_b64 vcc, exec, s[0:1]
	s_cbranch_vccnz .LBB135_1617
; %bb.1616:
	global_load_dword v3, v[15:16], off
	s_waitcnt vmcnt(0)
	v_cvt_f64_f32_e32 v[9:10], v3
.LBB135_1617:
	s_mov_b64 s[0:1], 0
.LBB135_1618:
	s_andn2_b64 vcc, exec, s[0:1]
	s_cbranch_vccnz .LBB135_1620
; %bb.1619:
	global_load_dword v3, v[15:16], off
	s_waitcnt vmcnt(0)
	v_cvt_f32_f16_e32 v3, v3
	v_cvt_f64_f32_e32 v[9:10], v3
.LBB135_1620:
	s_mov_b64 s[0:1], 0
.LBB135_1621:
	s_andn2_b64 vcc, exec, s[0:1]
	s_cbranch_vccnz .LBB135_1632
; %bb.1622:
	s_cmp_lt_i32 s4, 6
	s_cbranch_scc1 .LBB135_1625
; %bb.1623:
	s_cmp_gt_i32 s4, 6
	s_cbranch_scc0 .LBB135_1626
; %bb.1624:
	global_load_dwordx2 v[9:10], v[15:16], off
	s_mov_b64 s[0:1], 0
	s_branch .LBB135_1627
.LBB135_1625:
	s_mov_b64 s[0:1], -1
                                        ; implicit-def: $vgpr9_vgpr10
	s_branch .LBB135_1630
.LBB135_1626:
	s_mov_b64 s[0:1], -1
                                        ; implicit-def: $vgpr9_vgpr10
.LBB135_1627:
	s_andn2_b64 vcc, exec, s[0:1]
	s_cbranch_vccnz .LBB135_1629
; %bb.1628:
	global_load_dword v3, v[15:16], off
	s_waitcnt vmcnt(0)
	v_cvt_f64_f32_e32 v[9:10], v3
.LBB135_1629:
	s_mov_b64 s[0:1], 0
.LBB135_1630:
	s_andn2_b64 vcc, exec, s[0:1]
	s_cbranch_vccnz .LBB135_1632
; %bb.1631:
	global_load_ushort v3, v[15:16], off
	s_waitcnt vmcnt(0)
	v_cvt_f32_f16_e32 v3, v3
	v_cvt_f64_f32_e32 v[9:10], v3
.LBB135_1632:
	s_mov_b64 s[0:1], 0
.LBB135_1633:
	s_andn2_b64 vcc, exec, s[0:1]
	s_cbranch_vccnz .LBB135_1653
; %bb.1634:
	s_cmp_lt_i32 s4, 2
	s_cbranch_scc1 .LBB135_1638
; %bb.1635:
	s_cmp_lt_i32 s4, 3
	s_cbranch_scc1 .LBB135_1639
; %bb.1636:
	s_cmp_gt_i32 s4, 3
	s_cbranch_scc0 .LBB135_1640
; %bb.1637:
	global_load_dwordx2 v[9:10], v[15:16], off
	s_mov_b64 s[0:1], 0
	s_waitcnt vmcnt(0)
	v_cvt_f64_i32_e32 v[17:18], v10
	v_cvt_f64_u32_e32 v[9:10], v9
	v_ldexp_f64 v[17:18], v[17:18], 32
	v_add_f64 v[9:10], v[17:18], v[9:10]
	s_branch .LBB135_1641
.LBB135_1638:
	s_mov_b64 s[0:1], -1
                                        ; implicit-def: $vgpr9_vgpr10
	s_branch .LBB135_1647
.LBB135_1639:
	s_mov_b64 s[0:1], -1
                                        ; implicit-def: $vgpr9_vgpr10
	s_branch .LBB135_1644
.LBB135_1640:
	s_mov_b64 s[0:1], -1
                                        ; implicit-def: $vgpr9_vgpr10
.LBB135_1641:
	s_andn2_b64 vcc, exec, s[0:1]
	s_cbranch_vccnz .LBB135_1643
; %bb.1642:
	global_load_dword v3, v[15:16], off
	s_waitcnt vmcnt(0)
	v_cvt_f64_i32_e32 v[9:10], v3
.LBB135_1643:
	s_mov_b64 s[0:1], 0
.LBB135_1644:
	s_andn2_b64 vcc, exec, s[0:1]
	s_cbranch_vccnz .LBB135_1646
; %bb.1645:
	global_load_sshort v3, v[15:16], off
	s_waitcnt vmcnt(0)
	v_cvt_f64_i32_e32 v[9:10], v3
.LBB135_1646:
	s_mov_b64 s[0:1], 0
.LBB135_1647:
	s_andn2_b64 vcc, exec, s[0:1]
	s_cbranch_vccnz .LBB135_1653
; %bb.1648:
	s_cmp_gt_i32 s4, 0
	s_cbranch_scc0 .LBB135_1650
; %bb.1649:
	global_load_sbyte v3, v[15:16], off
	s_mov_b64 s[0:1], 0
	s_waitcnt vmcnt(0)
	v_cvt_f64_i32_e32 v[9:10], v3
	s_branch .LBB135_1651
.LBB135_1650:
	s_mov_b64 s[0:1], -1
                                        ; implicit-def: $vgpr9_vgpr10
.LBB135_1651:
	s_andn2_b64 vcc, exec, s[0:1]
	s_cbranch_vccnz .LBB135_1653
; %bb.1652:
	global_load_ubyte v3, v[15:16], off
	s_waitcnt vmcnt(0)
	v_cvt_f64_u32_e32 v[9:10], v3
.LBB135_1653:
	s_mov_b64 s[6:7], -1
.LBB135_1654:
	s_andn2_b64 vcc, exec, s[6:7]
	s_cbranch_vccnz .LBB135_2088
; %bb.1655:
	s_load_dwordx4 s[4:7], s[34:35], 0x158
	s_load_dwordx2 s[10:11], s[34:35], 0x168
	s_load_dword s0, s[34:35], 0x170
	v_mov_b32_e32 v7, s9
	s_waitcnt lgkmcnt(0)
	v_cmp_nge_f64_e32 vcc, s[4:5], v[0:1]
	v_mov_b32_e32 v3, s7
	v_mov_b32_e32 v5, s11
	v_mov_b32_e32 v0, s6
	v_mov_b32_e32 v15, s10
	s_and_b32 s20, s0, 0xff
	s_cmp_lt_i32 s20, 11
	v_cndmask_b32_e32 v1, v3, v5, vcc
	v_cndmask_b32_e32 v0, v0, v15, vcc
	v_add_co_u32_e32 v15, vcc, s8, v2
	v_addc_co_u32_e32 v16, vcc, 0, v7, vcc
	s_cbranch_scc1 .LBB135_1733
; %bb.1656:
	s_and_b32 s21, 0xffff, s20
	s_mov_b64 s[16:17], -1
	s_mov_b64 s[12:13], 0
	s_cmp_gt_i32 s21, 25
	s_mov_b64 s[14:15], 0
	s_mov_b64 s[0:1], 0
	s_cbranch_scc0 .LBB135_1689
; %bb.1657:
	s_cmp_gt_i32 s21, 28
	s_cbranch_scc0 .LBB135_1672
; %bb.1658:
	s_cmp_gt_i32 s21, 43
	;; [unrolled: 3-line block ×3, first 2 shown]
	s_cbranch_scc0 .LBB135_1662
; %bb.1660:
	s_mov_b64 s[0:1], -1
	s_mov_b64 s[16:17], 0
	s_cmp_eq_u32 s21, 46
	s_cbranch_scc0 .LBB135_1662
; %bb.1661:
	v_cvt_f32_f64_e32 v2, v[0:1]
	s_movk_i32 s0, 0x7fff
	v_mov_b32_e32 v3, 0x7fc0
	s_mov_b64 s[14:15], -1
	v_bfe_u32 v5, v2, 16, 1
	v_cmp_o_f32_e32 vcc, v2, v2
	v_add3_u32 v2, v2, v5, s0
	v_cndmask_b32_sdwa v2, v3, v2, vcc dst_sel:DWORD dst_unused:UNUSED_PAD src0_sel:DWORD src1_sel:WORD_1
	global_store_dword v[15:16], v2, off
	s_mov_b64 s[0:1], 0
.LBB135_1662:
	s_and_b64 vcc, exec, s[16:17]
	s_cbranch_vccz .LBB135_1667
; %bb.1663:
	s_cmp_eq_u32 s21, 44
	s_mov_b64 s[0:1], -1
	s_cbranch_scc0 .LBB135_1667
; %bb.1664:
	v_cvt_f32_f64_e32 v2, v[0:1]
	s_movk_i32 s0, 0xff
	v_mov_b32_e32 v5, 0xff
	v_bfe_u32 v3, v2, 23, 8
	v_cmp_ne_u32_e32 vcc, s0, v3
	s_and_saveexec_b64 s[14:15], vcc
; %bb.1665:
	s_mov_b32 s0, 0x3fffff
	v_lshrrev_b32_e32 v5, 23, v2
	v_and_b32_e32 v7, 0x400000, v2
	v_and_or_b32 v2, v2, s0, v3
	v_cmp_ne_u32_e32 vcc, 0, v7
	v_cmp_ne_u32_e64 s[0:1], 0, v2
	s_and_b64 s[0:1], vcc, s[0:1]
	v_cndmask_b32_e64 v2, 0, 1, s[0:1]
	v_add_u32_e32 v5, v5, v2
; %bb.1666:
	s_or_b64 exec, exec, s[14:15]
	s_mov_b64 s[0:1], 0
	s_mov_b64 s[14:15], -1
	global_store_byte v[15:16], v5, off
.LBB135_1667:
	s_mov_b64 s[16:17], 0
.LBB135_1668:
	s_and_b64 vcc, exec, s[16:17]
	s_cbranch_vccz .LBB135_1671
; %bb.1669:
	s_cmp_eq_u32 s21, 29
	s_mov_b64 s[0:1], -1
	s_cbranch_scc0 .LBB135_1671
; %bb.1670:
	v_trunc_f64_e32 v[2:3], v[0:1]
	s_movk_i32 s0, 0xffe0
	s_mov_b64 s[14:15], -1
	v_ldexp_f64 v[17:18], v[2:3], s0
	s_mov_b32 s0, 0
	s_mov_b32 s1, 0xc1f00000
	v_floor_f64_e32 v[17:18], v[17:18]
	v_fma_f64 v[2:3], v[17:18], s[0:1], v[2:3]
	v_cvt_u32_f64_e32 v18, v[17:18]
	s_mov_b64 s[0:1], 0
	v_cvt_u32_f64_e32 v17, v[2:3]
	global_store_dwordx2 v[15:16], v[17:18], off
.LBB135_1671:
	s_mov_b64 s[16:17], 0
.LBB135_1672:
	s_and_b64 vcc, exec, s[16:17]
	s_cbranch_vccz .LBB135_1688
; %bb.1673:
	s_cmp_lt_i32 s21, 27
	s_mov_b64 s[14:15], -1
	s_cbranch_scc1 .LBB135_1679
; %bb.1674:
	v_cvt_u32_f64_e32 v2, v[0:1]
	s_cmp_gt_i32 s21, 27
	s_cbranch_scc0 .LBB135_1676
; %bb.1675:
	s_mov_b64 s[14:15], 0
	global_store_dword v[15:16], v2, off
.LBB135_1676:
	s_andn2_b64 vcc, exec, s[14:15]
	s_cbranch_vccnz .LBB135_1678
; %bb.1677:
	global_store_short v[15:16], v2, off
.LBB135_1678:
	s_mov_b64 s[14:15], 0
.LBB135_1679:
	s_andn2_b64 vcc, exec, s[14:15]
	s_cbranch_vccnz .LBB135_1687
; %bb.1680:
	v_cvt_f32_f64_e32 v2, v[0:1]
	s_mov_b32 s14, 0x43800000
	v_mov_b32_e32 v5, 0x80
	v_and_b32_e32 v3, 0x7fffffff, v2
	v_cmp_gt_u32_e32 vcc, s14, v3
	s_and_saveexec_b64 s[14:15], vcc
	s_cbranch_execz .LBB135_1686
; %bb.1681:
	s_mov_b32 s16, 0x3bffffff
	v_cmp_lt_u32_e32 vcc, s16, v3
	s_mov_b64 s[16:17], 0
                                        ; implicit-def: $vgpr3
	s_and_saveexec_b64 s[18:19], vcc
	s_xor_b64 s[18:19], exec, s[18:19]
	s_cbranch_execz .LBB135_2135
; %bb.1682:
	v_bfe_u32 v3, v2, 20, 1
	s_mov_b32 s22, 0x487ffff
	v_add3_u32 v3, v2, v3, s22
	s_mov_b64 s[16:17], exec
	v_lshrrev_b32_e32 v3, 20, v3
	s_andn2_saveexec_b64 s[18:19], s[18:19]
	s_cbranch_execnz .LBB135_2136
.LBB135_1683:
	s_or_b64 exec, exec, s[18:19]
	v_mov_b32_e32 v5, 0
	s_and_saveexec_b64 s[18:19], s[16:17]
.LBB135_1684:
	v_lshrrev_b32_e32 v2, 24, v2
	s_movk_i32 s16, 0x80
	v_and_or_b32 v5, v2, s16, v3
.LBB135_1685:
	s_or_b64 exec, exec, s[18:19]
.LBB135_1686:
	s_or_b64 exec, exec, s[14:15]
	global_store_byte v[15:16], v5, off
.LBB135_1687:
	s_mov_b64 s[14:15], -1
.LBB135_1688:
	s_mov_b64 s[16:17], 0
.LBB135_1689:
	s_and_b64 vcc, exec, s[16:17]
	s_cbranch_vccz .LBB135_1729
; %bb.1690:
	s_cmp_gt_i32 s21, 22
	s_mov_b64 s[12:13], -1
	s_cbranch_scc0 .LBB135_1722
; %bb.1691:
	s_cmp_lt_i32 s21, 24
	s_cbranch_scc1 .LBB135_1711
; %bb.1692:
	s_cmp_gt_i32 s21, 24
	s_cbranch_scc0 .LBB135_1700
; %bb.1693:
	v_cvt_f32_f64_e32 v2, v[0:1]
	s_mov_b32 s12, 0x47800000
	v_mov_b32_e32 v5, 0x80
	v_and_b32_e32 v3, 0x7fffffff, v2
	v_cmp_gt_u32_e32 vcc, s12, v3
	s_and_saveexec_b64 s[12:13], vcc
	s_cbranch_execz .LBB135_1699
; %bb.1694:
	s_mov_b32 s14, 0x37ffffff
	v_cmp_lt_u32_e32 vcc, s14, v3
	s_mov_b64 s[14:15], 0
                                        ; implicit-def: $vgpr3
	s_and_saveexec_b64 s[16:17], vcc
	s_xor_b64 s[16:17], exec, s[16:17]
	s_cbranch_execz .LBB135_2138
; %bb.1695:
	v_bfe_u32 v3, v2, 21, 1
	s_mov_b32 s18, 0x88fffff
	v_add3_u32 v3, v2, v3, s18
	s_mov_b64 s[14:15], exec
	v_lshrrev_b32_e32 v3, 21, v3
	s_andn2_saveexec_b64 s[16:17], s[16:17]
	s_cbranch_execnz .LBB135_2139
.LBB135_1696:
	s_or_b64 exec, exec, s[16:17]
	v_mov_b32_e32 v5, 0
	s_and_saveexec_b64 s[16:17], s[14:15]
.LBB135_1697:
	v_lshrrev_b32_e32 v2, 24, v2
	s_movk_i32 s14, 0x80
	v_and_or_b32 v5, v2, s14, v3
.LBB135_1698:
	s_or_b64 exec, exec, s[16:17]
.LBB135_1699:
	s_or_b64 exec, exec, s[12:13]
	s_mov_b64 s[12:13], 0
	global_store_byte v[15:16], v5, off
.LBB135_1700:
	s_and_b64 vcc, exec, s[12:13]
	s_cbranch_vccz .LBB135_1710
; %bb.1701:
	v_cvt_f32_f64_e32 v2, v[0:1]
	s_mov_b32 s12, 0x43f00000
                                        ; implicit-def: $vgpr3
	v_and_b32_e32 v5, 0x7fffffff, v2
	v_cmp_gt_u32_e32 vcc, s12, v5
	s_and_saveexec_b64 s[12:13], vcc
	s_xor_b64 s[12:13], exec, s[12:13]
	s_cbranch_execz .LBB135_1707
; %bb.1702:
	s_mov_b32 s14, 0x3c7fffff
	v_cmp_lt_u32_e32 vcc, s14, v5
                                        ; implicit-def: $vgpr3
	s_and_saveexec_b64 s[14:15], vcc
	s_xor_b64 s[14:15], exec, s[14:15]
; %bb.1703:
	v_bfe_u32 v3, v2, 20, 1
	s_mov_b32 s16, 0x407ffff
	v_add3_u32 v3, v2, v3, s16
	v_lshrrev_b32_e32 v5, 20, v3
	v_and_b32_e32 v3, 0xff00000, v3
	s_mov_b32 s16, 0x7f00000
	v_mov_b32_e32 v7, 0x7e
	v_cmp_ne_u32_e32 vcc, s16, v3
	v_cndmask_b32_e32 v3, v7, v5, vcc
; %bb.1704:
	s_andn2_saveexec_b64 s[14:15], s[14:15]
; %bb.1705:
	s_mov_b32 s16, 0x46800000
	v_add_f32_e64 v3, |v2|, s16
; %bb.1706:
	s_or_b64 exec, exec, s[14:15]
                                        ; implicit-def: $vgpr5
.LBB135_1707:
	s_andn2_saveexec_b64 s[12:13], s[12:13]
; %bb.1708:
	s_mov_b32 s14, 0x7f800000
	v_mov_b32_e32 v3, 0x7e
	v_mov_b32_e32 v7, 0x7f
	v_cmp_lt_u32_e32 vcc, s14, v5
	v_cndmask_b32_e32 v3, v3, v7, vcc
; %bb.1709:
	s_or_b64 exec, exec, s[12:13]
	v_lshrrev_b32_e32 v2, 24, v2
	s_movk_i32 s12, 0x80
	v_and_or_b32 v2, v2, s12, v3
	global_store_byte v[15:16], v2, off
.LBB135_1710:
	s_mov_b64 s[12:13], 0
.LBB135_1711:
	s_andn2_b64 vcc, exec, s[12:13]
	s_cbranch_vccnz .LBB135_1721
; %bb.1712:
	v_cvt_f32_f64_e32 v2, v[0:1]
	s_mov_b32 s12, 0x47800000
                                        ; implicit-def: $vgpr3
	v_and_b32_e32 v5, 0x7fffffff, v2
	v_cmp_gt_u32_e32 vcc, s12, v5
	s_and_saveexec_b64 s[12:13], vcc
	s_xor_b64 s[12:13], exec, s[12:13]
	s_cbranch_execz .LBB135_1718
; %bb.1713:
	s_mov_b32 s14, 0x387fffff
	v_cmp_lt_u32_e32 vcc, s14, v5
                                        ; implicit-def: $vgpr3
	s_and_saveexec_b64 s[14:15], vcc
	s_xor_b64 s[14:15], exec, s[14:15]
; %bb.1714:
	v_bfe_u32 v3, v2, 21, 1
	s_mov_b32 s16, 0x80fffff
	v_add3_u32 v3, v2, v3, s16
	v_lshrrev_b32_e32 v3, 21, v3
; %bb.1715:
	s_andn2_saveexec_b64 s[14:15], s[14:15]
; %bb.1716:
	s_mov_b32 s16, 0x43000000
	v_add_f32_e64 v3, |v2|, s16
; %bb.1717:
	s_or_b64 exec, exec, s[14:15]
                                        ; implicit-def: $vgpr5
.LBB135_1718:
	s_andn2_saveexec_b64 s[12:13], s[12:13]
; %bb.1719:
	s_mov_b32 s14, 0x7f800000
	v_mov_b32_e32 v3, 0x7c
	v_mov_b32_e32 v7, 0x7f
	v_cmp_lt_u32_e32 vcc, s14, v5
	v_cndmask_b32_e32 v3, v3, v7, vcc
; %bb.1720:
	s_or_b64 exec, exec, s[12:13]
	v_lshrrev_b32_e32 v2, 24, v2
	s_movk_i32 s12, 0x80
	v_and_or_b32 v2, v2, s12, v3
	global_store_byte v[15:16], v2, off
.LBB135_1721:
	s_mov_b64 s[12:13], 0
	s_mov_b64 s[14:15], -1
.LBB135_1722:
	s_andn2_b64 vcc, exec, s[12:13]
	s_mov_b64 s[12:13], 0
	s_cbranch_vccnz .LBB135_1729
; %bb.1723:
	s_cmp_gt_i32 s21, 14
	s_mov_b64 s[16:17], -1
	s_cbranch_scc0 .LBB135_1727
; %bb.1724:
	s_cmp_eq_u32 s21, 15
	s_mov_b64 s[0:1], -1
	s_cbranch_scc0 .LBB135_1726
; %bb.1725:
	v_cvt_f32_f64_e32 v2, v[0:1]
	s_movk_i32 s0, 0x7fff
	v_mov_b32_e32 v3, 0x7fc0
	s_mov_b64 s[14:15], -1
	v_bfe_u32 v5, v2, 16, 1
	v_cmp_o_f32_e32 vcc, v2, v2
	v_add3_u32 v2, v2, v5, s0
	v_cndmask_b32_sdwa v2, v3, v2, vcc dst_sel:DWORD dst_unused:UNUSED_PAD src0_sel:DWORD src1_sel:WORD_1
	global_store_short v[15:16], v2, off
	s_mov_b64 s[0:1], 0
.LBB135_1726:
	s_mov_b64 s[16:17], 0
.LBB135_1727:
	s_and_b64 vcc, exec, s[16:17]
	s_cbranch_vccz .LBB135_1729
; %bb.1728:
	s_cmp_lg_u32 s21, 11
	s_mov_b64 s[12:13], -1
	s_cselect_b64 s[0:1], -1, 0
.LBB135_1729:
	s_and_b64 vcc, exec, s[0:1]
	s_cbranch_vccnz .LBB135_2137
; %bb.1730:
	s_andn2_b64 vcc, exec, s[12:13]
	s_cbranch_vccnz .LBB135_1732
.LBB135_1731:
	v_cmp_neq_f64_e32 vcc, 0, v[0:1]
	s_mov_b64 s[14:15], -1
	v_cndmask_b32_e64 v2, 0, 1, vcc
	global_store_byte v[15:16], v2, off
.LBB135_1732:
	s_mov_b64 s[0:1], 0
	s_branch .LBB135_1734
.LBB135_1733:
	s_mov_b64 s[0:1], -1
	s_mov_b64 s[14:15], 0
.LBB135_1734:
	s_and_b64 vcc, exec, s[0:1]
	s_cbranch_vccz .LBB135_1773
; %bb.1735:
	s_and_b32 s12, 0xffff, s20
	s_cmp_lt_i32 s12, 5
	s_mov_b64 s[0:1], -1
	s_cbranch_scc1 .LBB135_1756
; %bb.1736:
	s_cmp_lt_i32 s12, 8
	s_cbranch_scc1 .LBB135_1746
; %bb.1737:
	s_cmp_lt_i32 s12, 9
	s_cbranch_scc1 .LBB135_1743
; %bb.1738:
	s_cmp_gt_i32 s12, 9
	s_cbranch_scc0 .LBB135_1740
; %bb.1739:
	v_mov_b32_e32 v2, 0
	v_mov_b32_e32 v3, v2
	global_store_dwordx4 v[15:16], v[0:3], off
	s_mov_b64 s[0:1], 0
.LBB135_1740:
	s_andn2_b64 vcc, exec, s[0:1]
	s_cbranch_vccnz .LBB135_1742
; %bb.1741:
	v_cvt_f32_f64_e32 v2, v[0:1]
	v_mov_b32_e32 v3, 0
	global_store_dwordx2 v[15:16], v[2:3], off
.LBB135_1742:
	s_mov_b64 s[0:1], 0
.LBB135_1743:
	s_andn2_b64 vcc, exec, s[0:1]
	s_cbranch_vccnz .LBB135_1745
; %bb.1744:
	s_movk_i32 s0, 0x1ff
	v_and_or_b32 v2, v1, s0, v0
	v_cmp_ne_u32_e32 vcc, 0, v2
	v_cndmask_b32_e64 v2, 0, 1, vcc
	v_lshrrev_b32_e32 v3, 8, v1
	s_movk_i32 s0, 0xffe
	v_bfe_u32 v5, v1, 20, 11
	v_and_or_b32 v2, v3, s0, v2
	v_sub_u32_e32 v7, 0x3f1, v5
	v_or_b32_e32 v3, 0x1000, v2
	v_med3_i32 v7, v7, 0, 13
	v_lshrrev_b32_e32 v17, v7, v3
	v_lshlrev_b32_e32 v7, v7, v17
	v_cmp_ne_u32_e32 vcc, v7, v3
	v_cndmask_b32_e64 v3, 0, 1, vcc
	v_add_u32_e32 v5, 0xfffffc10, v5
	v_or_b32_e32 v3, v17, v3
	v_lshl_or_b32 v7, v5, 12, v2
	v_cmp_gt_i32_e32 vcc, 1, v5
	v_cndmask_b32_e32 v3, v7, v3, vcc
	v_and_b32_e32 v7, 7, v3
	v_cmp_lt_i32_e32 vcc, 5, v7
	v_cndmask_b32_e64 v17, 0, 1, vcc
	v_cmp_eq_u32_e32 vcc, 3, v7
	v_cndmask_b32_e64 v7, 0, 1, vcc
	v_or_b32_e32 v7, v7, v17
	v_lshrrev_b32_e32 v3, 2, v3
	v_add_u32_e32 v3, v3, v7
	v_mov_b32_e32 v7, 0x7c00
	v_cmp_gt_i32_e32 vcc, 31, v5
	v_cndmask_b32_e32 v3, v7, v3, vcc
	v_mov_b32_e32 v17, 0x7e00
	v_cmp_ne_u32_e32 vcc, 0, v2
	s_movk_i32 s0, 0x40f
	v_cndmask_b32_e32 v2, v7, v17, vcc
	v_cmp_eq_u32_e32 vcc, s0, v5
	v_cndmask_b32_e32 v2, v3, v2, vcc
	v_lshrrev_b32_e32 v3, 16, v1
	s_mov_b32 s0, 0x8000
	v_and_or_b32 v2, v3, s0, v2
	v_and_b32_e32 v2, 0xffff, v2
	global_store_dword v[15:16], v2, off
.LBB135_1745:
	s_mov_b64 s[0:1], 0
.LBB135_1746:
	s_andn2_b64 vcc, exec, s[0:1]
	s_cbranch_vccnz .LBB135_1755
; %bb.1747:
	s_cmp_lt_i32 s12, 6
	s_mov_b64 s[0:1], -1
	s_cbranch_scc1 .LBB135_1753
; %bb.1748:
	s_cmp_gt_i32 s12, 6
	s_cbranch_scc0 .LBB135_1750
; %bb.1749:
	global_store_dwordx2 v[15:16], v[0:1], off
	s_mov_b64 s[0:1], 0
.LBB135_1750:
	s_andn2_b64 vcc, exec, s[0:1]
	s_cbranch_vccnz .LBB135_1752
; %bb.1751:
	v_cvt_f32_f64_e32 v2, v[0:1]
	global_store_dword v[15:16], v2, off
.LBB135_1752:
	s_mov_b64 s[0:1], 0
.LBB135_1753:
	s_andn2_b64 vcc, exec, s[0:1]
	s_cbranch_vccnz .LBB135_1755
; %bb.1754:
	s_movk_i32 s0, 0x1ff
	v_and_or_b32 v2, v1, s0, v0
	v_cmp_ne_u32_e32 vcc, 0, v2
	v_cndmask_b32_e64 v2, 0, 1, vcc
	v_lshrrev_b32_e32 v3, 8, v1
	s_movk_i32 s0, 0xffe
	v_bfe_u32 v5, v1, 20, 11
	v_and_or_b32 v2, v3, s0, v2
	v_sub_u32_e32 v7, 0x3f1, v5
	v_or_b32_e32 v3, 0x1000, v2
	v_med3_i32 v7, v7, 0, 13
	v_lshrrev_b32_e32 v17, v7, v3
	v_lshlrev_b32_e32 v7, v7, v17
	v_cmp_ne_u32_e32 vcc, v7, v3
	v_cndmask_b32_e64 v3, 0, 1, vcc
	v_add_u32_e32 v5, 0xfffffc10, v5
	v_or_b32_e32 v3, v17, v3
	v_lshl_or_b32 v7, v5, 12, v2
	v_cmp_gt_i32_e32 vcc, 1, v5
	v_cndmask_b32_e32 v3, v7, v3, vcc
	v_and_b32_e32 v7, 7, v3
	v_cmp_lt_i32_e32 vcc, 5, v7
	v_cndmask_b32_e64 v17, 0, 1, vcc
	v_cmp_eq_u32_e32 vcc, 3, v7
	v_cndmask_b32_e64 v7, 0, 1, vcc
	v_or_b32_e32 v7, v7, v17
	v_lshrrev_b32_e32 v3, 2, v3
	v_add_u32_e32 v3, v3, v7
	v_mov_b32_e32 v7, 0x7c00
	v_cmp_gt_i32_e32 vcc, 31, v5
	v_cndmask_b32_e32 v3, v7, v3, vcc
	v_mov_b32_e32 v17, 0x7e00
	v_cmp_ne_u32_e32 vcc, 0, v2
	s_movk_i32 s0, 0x40f
	v_cndmask_b32_e32 v2, v7, v17, vcc
	v_cmp_eq_u32_e32 vcc, s0, v5
	v_cndmask_b32_e32 v2, v3, v2, vcc
	v_lshrrev_b32_e32 v3, 16, v1
	s_mov_b32 s0, 0x8000
	v_and_or_b32 v2, v3, s0, v2
	global_store_short v[15:16], v2, off
.LBB135_1755:
	s_mov_b64 s[0:1], 0
.LBB135_1756:
	s_andn2_b64 vcc, exec, s[0:1]
	s_cbranch_vccnz .LBB135_1772
; %bb.1757:
	s_cmp_lt_i32 s12, 2
	s_mov_b64 s[0:1], -1
	s_cbranch_scc1 .LBB135_1767
; %bb.1758:
	s_cmp_lt_i32 s12, 3
	s_cbranch_scc1 .LBB135_1764
; %bb.1759:
	s_cmp_gt_i32 s12, 3
	s_cbranch_scc0 .LBB135_1761
; %bb.1760:
	v_trunc_f64_e32 v[2:3], v[0:1]
	s_movk_i32 s0, 0xffe0
	v_ldexp_f64 v[17:18], v[2:3], s0
	s_mov_b32 s0, 0
	s_mov_b32 s1, 0xc1f00000
	v_floor_f64_e32 v[17:18], v[17:18]
	v_fma_f64 v[2:3], v[17:18], s[0:1], v[2:3]
	v_cvt_i32_f64_e32 v18, v[17:18]
	s_mov_b64 s[0:1], 0
	v_cvt_u32_f64_e32 v17, v[2:3]
	global_store_dwordx2 v[15:16], v[17:18], off
.LBB135_1761:
	s_andn2_b64 vcc, exec, s[0:1]
	s_cbranch_vccnz .LBB135_1763
; %bb.1762:
	v_cvt_i32_f64_e32 v2, v[0:1]
	global_store_dword v[15:16], v2, off
.LBB135_1763:
	s_mov_b64 s[0:1], 0
.LBB135_1764:
	s_andn2_b64 vcc, exec, s[0:1]
	s_cbranch_vccnz .LBB135_1766
; %bb.1765:
	v_cvt_i32_f64_e32 v2, v[0:1]
	global_store_short v[15:16], v2, off
.LBB135_1766:
	s_mov_b64 s[0:1], 0
.LBB135_1767:
	s_andn2_b64 vcc, exec, s[0:1]
	s_cbranch_vccnz .LBB135_1772
; %bb.1768:
	s_cmp_gt_i32 s12, 0
	s_mov_b64 s[0:1], -1
	s_cbranch_scc0 .LBB135_1770
; %bb.1769:
	v_cvt_i32_f64_e32 v2, v[0:1]
	s_mov_b64 s[0:1], 0
	global_store_byte v[15:16], v2, off
.LBB135_1770:
	s_andn2_b64 vcc, exec, s[0:1]
	s_cbranch_vccnz .LBB135_1772
; %bb.1771:
	v_trunc_f64_e32 v[0:1], v[0:1]
	s_movk_i32 s0, 0xffe0
	v_ldexp_f64 v[2:3], v[0:1], s0
	s_mov_b32 s0, 0
	s_mov_b32 s1, 0xc1f00000
	v_floor_f64_e32 v[2:3], v[2:3]
	v_fma_f64 v[0:1], v[2:3], s[0:1], v[0:1]
	v_cvt_u32_f64_e32 v0, v[0:1]
	global_store_byte v[15:16], v0, off
.LBB135_1772:
	s_mov_b64 s[14:15], -1
.LBB135_1773:
	s_andn2_b64 vcc, exec, s[14:15]
	s_cbranch_vccnz .LBB135_2088
; %bb.1774:
	v_cmp_nge_f64_e32 vcc, s[4:5], v[13:14]
	v_mov_b32_e32 v0, s7
	v_mov_b32_e32 v1, s11
	;; [unrolled: 1-line block ×5, first 2 shown]
	s_and_b32 s21, 0xffff, s20
	s_cmp_lt_i32 s21, 11
	v_cndmask_b32_e32 v1, v0, v1, vcc
	v_cndmask_b32_e32 v0, v2, v3, vcc
	v_add_co_u32_e32 v7, vcc, s8, v8
	v_addc_co_u32_e32 v8, vcc, 0, v5, vcc
	s_cbranch_scc1 .LBB135_1852
; %bb.1775:
	s_mov_b64 s[16:17], -1
	s_mov_b64 s[12:13], 0
	s_cmp_gt_i32 s21, 25
	s_mov_b64 s[14:15], 0
	s_mov_b64 s[0:1], 0
	s_cbranch_scc0 .LBB135_1808
; %bb.1776:
	s_cmp_gt_i32 s21, 28
	s_cbranch_scc0 .LBB135_1791
; %bb.1777:
	s_cmp_gt_i32 s21, 43
	;; [unrolled: 3-line block ×3, first 2 shown]
	s_cbranch_scc0 .LBB135_1781
; %bb.1779:
	s_mov_b64 s[0:1], -1
	s_mov_b64 s[16:17], 0
	s_cmp_eq_u32 s21, 46
	s_cbranch_scc0 .LBB135_1781
; %bb.1780:
	v_cvt_f32_f64_e32 v2, v[0:1]
	s_movk_i32 s0, 0x7fff
	v_mov_b32_e32 v3, 0x7fc0
	s_mov_b64 s[14:15], -1
	v_bfe_u32 v5, v2, 16, 1
	v_cmp_o_f32_e32 vcc, v2, v2
	v_add3_u32 v2, v2, v5, s0
	v_cndmask_b32_sdwa v2, v3, v2, vcc dst_sel:DWORD dst_unused:UNUSED_PAD src0_sel:DWORD src1_sel:WORD_1
	global_store_dword v[7:8], v2, off
	s_mov_b64 s[0:1], 0
.LBB135_1781:
	s_and_b64 vcc, exec, s[16:17]
	s_cbranch_vccz .LBB135_1786
; %bb.1782:
	s_cmp_eq_u32 s21, 44
	s_mov_b64 s[0:1], -1
	s_cbranch_scc0 .LBB135_1786
; %bb.1783:
	v_cvt_f32_f64_e32 v2, v[0:1]
	s_movk_i32 s0, 0xff
	v_mov_b32_e32 v5, 0xff
	v_bfe_u32 v3, v2, 23, 8
	v_cmp_ne_u32_e32 vcc, s0, v3
	s_and_saveexec_b64 s[14:15], vcc
; %bb.1784:
	s_mov_b32 s0, 0x3fffff
	v_lshrrev_b32_e32 v5, 23, v2
	v_and_b32_e32 v13, 0x400000, v2
	v_and_or_b32 v2, v2, s0, v3
	v_cmp_ne_u32_e32 vcc, 0, v13
	v_cmp_ne_u32_e64 s[0:1], 0, v2
	s_and_b64 s[0:1], vcc, s[0:1]
	v_cndmask_b32_e64 v2, 0, 1, s[0:1]
	v_add_u32_e32 v5, v5, v2
; %bb.1785:
	s_or_b64 exec, exec, s[14:15]
	s_mov_b64 s[0:1], 0
	s_mov_b64 s[14:15], -1
	global_store_byte v[7:8], v5, off
.LBB135_1786:
	s_mov_b64 s[16:17], 0
.LBB135_1787:
	s_and_b64 vcc, exec, s[16:17]
	s_cbranch_vccz .LBB135_1790
; %bb.1788:
	s_cmp_eq_u32 s21, 29
	s_mov_b64 s[0:1], -1
	s_cbranch_scc0 .LBB135_1790
; %bb.1789:
	v_trunc_f64_e32 v[2:3], v[0:1]
	s_movk_i32 s0, 0xffe0
	s_mov_b64 s[14:15], -1
	v_ldexp_f64 v[13:14], v[2:3], s0
	s_mov_b32 s0, 0
	s_mov_b32 s1, 0xc1f00000
	v_floor_f64_e32 v[13:14], v[13:14]
	v_fma_f64 v[2:3], v[13:14], s[0:1], v[2:3]
	v_cvt_u32_f64_e32 v14, v[13:14]
	s_mov_b64 s[0:1], 0
	v_cvt_u32_f64_e32 v13, v[2:3]
	global_store_dwordx2 v[7:8], v[13:14], off
.LBB135_1790:
	s_mov_b64 s[16:17], 0
.LBB135_1791:
	s_and_b64 vcc, exec, s[16:17]
	s_cbranch_vccz .LBB135_1807
; %bb.1792:
	s_cmp_lt_i32 s21, 27
	s_mov_b64 s[14:15], -1
	s_cbranch_scc1 .LBB135_1798
; %bb.1793:
	s_cmp_gt_i32 s21, 27
	s_cbranch_scc0 .LBB135_1795
; %bb.1794:
	v_cvt_u32_f64_e32 v2, v[0:1]
	s_mov_b64 s[14:15], 0
	global_store_dword v[7:8], v2, off
.LBB135_1795:
	s_andn2_b64 vcc, exec, s[14:15]
	s_cbranch_vccnz .LBB135_1797
; %bb.1796:
	v_cvt_u32_f64_e32 v2, v[0:1]
	global_store_short v[7:8], v2, off
.LBB135_1797:
	s_mov_b64 s[14:15], 0
.LBB135_1798:
	s_andn2_b64 vcc, exec, s[14:15]
	s_cbranch_vccnz .LBB135_1806
; %bb.1799:
	v_cvt_f32_f64_e32 v2, v[0:1]
	s_mov_b32 s14, 0x43800000
	v_mov_b32_e32 v5, 0x80
	v_and_b32_e32 v3, 0x7fffffff, v2
	v_cmp_gt_u32_e32 vcc, s14, v3
	s_and_saveexec_b64 s[14:15], vcc
	s_cbranch_execz .LBB135_1805
; %bb.1800:
	s_mov_b32 s16, 0x3bffffff
	v_cmp_lt_u32_e32 vcc, s16, v3
	s_mov_b64 s[16:17], 0
                                        ; implicit-def: $vgpr3
	s_and_saveexec_b64 s[18:19], vcc
	s_xor_b64 s[18:19], exec, s[18:19]
	s_cbranch_execz .LBB135_2140
; %bb.1801:
	v_bfe_u32 v3, v2, 20, 1
	s_mov_b32 s22, 0x487ffff
	v_add3_u32 v3, v2, v3, s22
	s_mov_b64 s[16:17], exec
	v_lshrrev_b32_e32 v3, 20, v3
	s_andn2_saveexec_b64 s[18:19], s[18:19]
	s_cbranch_execnz .LBB135_2141
.LBB135_1802:
	s_or_b64 exec, exec, s[18:19]
	v_mov_b32_e32 v5, 0
	s_and_saveexec_b64 s[18:19], s[16:17]
.LBB135_1803:
	v_lshrrev_b32_e32 v2, 24, v2
	s_movk_i32 s16, 0x80
	v_and_or_b32 v5, v2, s16, v3
.LBB135_1804:
	s_or_b64 exec, exec, s[18:19]
.LBB135_1805:
	s_or_b64 exec, exec, s[14:15]
	global_store_byte v[7:8], v5, off
.LBB135_1806:
	s_mov_b64 s[14:15], -1
.LBB135_1807:
	s_mov_b64 s[16:17], 0
.LBB135_1808:
	s_and_b64 vcc, exec, s[16:17]
	s_cbranch_vccz .LBB135_1848
; %bb.1809:
	s_cmp_gt_i32 s21, 22
	s_mov_b64 s[12:13], -1
	s_cbranch_scc0 .LBB135_1841
; %bb.1810:
	s_cmp_lt_i32 s21, 24
	s_cbranch_scc1 .LBB135_1830
; %bb.1811:
	s_cmp_gt_i32 s21, 24
	s_cbranch_scc0 .LBB135_1819
; %bb.1812:
	v_cvt_f32_f64_e32 v2, v[0:1]
	s_mov_b32 s12, 0x47800000
	v_mov_b32_e32 v5, 0x80
	v_and_b32_e32 v3, 0x7fffffff, v2
	v_cmp_gt_u32_e32 vcc, s12, v3
	s_and_saveexec_b64 s[12:13], vcc
	s_cbranch_execz .LBB135_1818
; %bb.1813:
	s_mov_b32 s14, 0x37ffffff
	v_cmp_lt_u32_e32 vcc, s14, v3
	s_mov_b64 s[14:15], 0
                                        ; implicit-def: $vgpr3
	s_and_saveexec_b64 s[16:17], vcc
	s_xor_b64 s[16:17], exec, s[16:17]
	s_cbranch_execz .LBB135_2143
; %bb.1814:
	v_bfe_u32 v3, v2, 21, 1
	s_mov_b32 s18, 0x88fffff
	v_add3_u32 v3, v2, v3, s18
	s_mov_b64 s[14:15], exec
	v_lshrrev_b32_e32 v3, 21, v3
	s_andn2_saveexec_b64 s[16:17], s[16:17]
	s_cbranch_execnz .LBB135_2144
.LBB135_1815:
	s_or_b64 exec, exec, s[16:17]
	v_mov_b32_e32 v5, 0
	s_and_saveexec_b64 s[16:17], s[14:15]
.LBB135_1816:
	v_lshrrev_b32_e32 v2, 24, v2
	s_movk_i32 s14, 0x80
	v_and_or_b32 v5, v2, s14, v3
.LBB135_1817:
	s_or_b64 exec, exec, s[16:17]
.LBB135_1818:
	s_or_b64 exec, exec, s[12:13]
	s_mov_b64 s[12:13], 0
	global_store_byte v[7:8], v5, off
.LBB135_1819:
	s_and_b64 vcc, exec, s[12:13]
	s_cbranch_vccz .LBB135_1829
; %bb.1820:
	v_cvt_f32_f64_e32 v2, v[0:1]
	s_mov_b32 s12, 0x43f00000
                                        ; implicit-def: $vgpr3
	v_and_b32_e32 v5, 0x7fffffff, v2
	v_cmp_gt_u32_e32 vcc, s12, v5
	s_and_saveexec_b64 s[12:13], vcc
	s_xor_b64 s[12:13], exec, s[12:13]
	s_cbranch_execz .LBB135_1826
; %bb.1821:
	s_mov_b32 s14, 0x3c7fffff
	v_cmp_lt_u32_e32 vcc, s14, v5
                                        ; implicit-def: $vgpr3
	s_and_saveexec_b64 s[14:15], vcc
	s_xor_b64 s[14:15], exec, s[14:15]
; %bb.1822:
	v_bfe_u32 v3, v2, 20, 1
	s_mov_b32 s16, 0x407ffff
	v_add3_u32 v3, v2, v3, s16
	v_lshrrev_b32_e32 v5, 20, v3
	v_and_b32_e32 v3, 0xff00000, v3
	s_mov_b32 s16, 0x7f00000
	v_mov_b32_e32 v13, 0x7e
	v_cmp_ne_u32_e32 vcc, s16, v3
	v_cndmask_b32_e32 v3, v13, v5, vcc
; %bb.1823:
	s_andn2_saveexec_b64 s[14:15], s[14:15]
; %bb.1824:
	s_mov_b32 s16, 0x46800000
	v_add_f32_e64 v3, |v2|, s16
; %bb.1825:
	s_or_b64 exec, exec, s[14:15]
                                        ; implicit-def: $vgpr5
.LBB135_1826:
	s_andn2_saveexec_b64 s[12:13], s[12:13]
; %bb.1827:
	s_mov_b32 s14, 0x7f800000
	v_mov_b32_e32 v3, 0x7e
	v_mov_b32_e32 v13, 0x7f
	v_cmp_lt_u32_e32 vcc, s14, v5
	v_cndmask_b32_e32 v3, v3, v13, vcc
; %bb.1828:
	s_or_b64 exec, exec, s[12:13]
	v_lshrrev_b32_e32 v2, 24, v2
	s_movk_i32 s12, 0x80
	v_and_or_b32 v2, v2, s12, v3
	global_store_byte v[7:8], v2, off
.LBB135_1829:
	s_mov_b64 s[12:13], 0
.LBB135_1830:
	s_andn2_b64 vcc, exec, s[12:13]
	s_cbranch_vccnz .LBB135_1840
; %bb.1831:
	v_cvt_f32_f64_e32 v2, v[0:1]
	s_mov_b32 s12, 0x47800000
                                        ; implicit-def: $vgpr3
	v_and_b32_e32 v5, 0x7fffffff, v2
	v_cmp_gt_u32_e32 vcc, s12, v5
	s_and_saveexec_b64 s[12:13], vcc
	s_xor_b64 s[12:13], exec, s[12:13]
	s_cbranch_execz .LBB135_1837
; %bb.1832:
	s_mov_b32 s14, 0x387fffff
	v_cmp_lt_u32_e32 vcc, s14, v5
                                        ; implicit-def: $vgpr3
	s_and_saveexec_b64 s[14:15], vcc
	s_xor_b64 s[14:15], exec, s[14:15]
; %bb.1833:
	v_bfe_u32 v3, v2, 21, 1
	s_mov_b32 s16, 0x80fffff
	v_add3_u32 v3, v2, v3, s16
	v_lshrrev_b32_e32 v3, 21, v3
; %bb.1834:
	s_andn2_saveexec_b64 s[14:15], s[14:15]
; %bb.1835:
	s_mov_b32 s16, 0x43000000
	v_add_f32_e64 v3, |v2|, s16
; %bb.1836:
	s_or_b64 exec, exec, s[14:15]
                                        ; implicit-def: $vgpr5
.LBB135_1837:
	s_andn2_saveexec_b64 s[12:13], s[12:13]
; %bb.1838:
	s_mov_b32 s14, 0x7f800000
	v_mov_b32_e32 v3, 0x7c
	v_mov_b32_e32 v13, 0x7f
	v_cmp_lt_u32_e32 vcc, s14, v5
	v_cndmask_b32_e32 v3, v3, v13, vcc
; %bb.1839:
	s_or_b64 exec, exec, s[12:13]
	v_lshrrev_b32_e32 v2, 24, v2
	s_movk_i32 s12, 0x80
	v_and_or_b32 v2, v2, s12, v3
	global_store_byte v[7:8], v2, off
.LBB135_1840:
	s_mov_b64 s[12:13], 0
	s_mov_b64 s[14:15], -1
.LBB135_1841:
	s_andn2_b64 vcc, exec, s[12:13]
	s_mov_b64 s[12:13], 0
	s_cbranch_vccnz .LBB135_1848
; %bb.1842:
	s_cmp_gt_i32 s21, 14
	s_mov_b64 s[16:17], -1
	s_cbranch_scc0 .LBB135_1846
; %bb.1843:
	s_cmp_eq_u32 s21, 15
	s_mov_b64 s[0:1], -1
	s_cbranch_scc0 .LBB135_1845
; %bb.1844:
	v_cvt_f32_f64_e32 v2, v[0:1]
	s_movk_i32 s0, 0x7fff
	v_mov_b32_e32 v3, 0x7fc0
	s_mov_b64 s[14:15], -1
	v_bfe_u32 v5, v2, 16, 1
	v_cmp_o_f32_e32 vcc, v2, v2
	v_add3_u32 v2, v2, v5, s0
	v_cndmask_b32_sdwa v2, v3, v2, vcc dst_sel:DWORD dst_unused:UNUSED_PAD src0_sel:DWORD src1_sel:WORD_1
	global_store_short v[7:8], v2, off
	s_mov_b64 s[0:1], 0
.LBB135_1845:
	s_mov_b64 s[16:17], 0
.LBB135_1846:
	s_and_b64 vcc, exec, s[16:17]
	s_cbranch_vccz .LBB135_1848
; %bb.1847:
	s_cmp_lg_u32 s21, 11
	s_mov_b64 s[12:13], -1
	s_cselect_b64 s[0:1], -1, 0
.LBB135_1848:
	s_and_b64 vcc, exec, s[0:1]
	s_cbranch_vccnz .LBB135_2142
; %bb.1849:
	s_andn2_b64 vcc, exec, s[12:13]
	s_cbranch_vccnz .LBB135_1851
.LBB135_1850:
	v_cmp_neq_f64_e32 vcc, 0, v[0:1]
	s_mov_b64 s[14:15], -1
	v_cndmask_b32_e64 v2, 0, 1, vcc
	global_store_byte v[7:8], v2, off
.LBB135_1851:
	s_mov_b64 s[0:1], 0
	s_branch .LBB135_1853
.LBB135_1852:
	s_mov_b64 s[0:1], -1
	s_mov_b64 s[14:15], 0
.LBB135_1853:
	s_and_b64 vcc, exec, s[0:1]
	s_cbranch_vccz .LBB135_1892
; %bb.1854:
	s_cmp_lt_i32 s21, 5
	s_mov_b64 s[0:1], -1
	s_cbranch_scc1 .LBB135_1875
; %bb.1855:
	s_cmp_lt_i32 s21, 8
	s_cbranch_scc1 .LBB135_1865
; %bb.1856:
	s_cmp_lt_i32 s21, 9
	s_cbranch_scc1 .LBB135_1862
; %bb.1857:
	s_cmp_gt_i32 s21, 9
	s_cbranch_scc0 .LBB135_1859
; %bb.1858:
	v_mov_b32_e32 v2, 0
	v_mov_b32_e32 v3, v2
	global_store_dwordx4 v[7:8], v[0:3], off
	s_mov_b64 s[0:1], 0
.LBB135_1859:
	s_andn2_b64 vcc, exec, s[0:1]
	s_cbranch_vccnz .LBB135_1861
; %bb.1860:
	v_cvt_f32_f64_e32 v2, v[0:1]
	v_mov_b32_e32 v3, 0
	global_store_dwordx2 v[7:8], v[2:3], off
.LBB135_1861:
	s_mov_b64 s[0:1], 0
.LBB135_1862:
	s_andn2_b64 vcc, exec, s[0:1]
	s_cbranch_vccnz .LBB135_1864
; %bb.1863:
	s_movk_i32 s0, 0x1ff
	v_and_or_b32 v2, v1, s0, v0
	v_cmp_ne_u32_e32 vcc, 0, v2
	v_cndmask_b32_e64 v2, 0, 1, vcc
	v_lshrrev_b32_e32 v3, 8, v1
	s_movk_i32 s0, 0xffe
	v_bfe_u32 v5, v1, 20, 11
	v_and_or_b32 v2, v3, s0, v2
	v_sub_u32_e32 v13, 0x3f1, v5
	v_or_b32_e32 v3, 0x1000, v2
	v_med3_i32 v13, v13, 0, 13
	v_lshrrev_b32_e32 v14, v13, v3
	v_lshlrev_b32_e32 v13, v13, v14
	v_cmp_ne_u32_e32 vcc, v13, v3
	v_cndmask_b32_e64 v3, 0, 1, vcc
	v_add_u32_e32 v5, 0xfffffc10, v5
	v_or_b32_e32 v3, v14, v3
	v_lshl_or_b32 v13, v5, 12, v2
	v_cmp_gt_i32_e32 vcc, 1, v5
	v_cndmask_b32_e32 v3, v13, v3, vcc
	v_and_b32_e32 v13, 7, v3
	v_cmp_lt_i32_e32 vcc, 5, v13
	v_cndmask_b32_e64 v14, 0, 1, vcc
	v_cmp_eq_u32_e32 vcc, 3, v13
	v_cndmask_b32_e64 v13, 0, 1, vcc
	v_or_b32_e32 v13, v13, v14
	v_lshrrev_b32_e32 v3, 2, v3
	v_add_u32_e32 v3, v3, v13
	v_mov_b32_e32 v13, 0x7c00
	v_cmp_gt_i32_e32 vcc, 31, v5
	v_cndmask_b32_e32 v3, v13, v3, vcc
	v_mov_b32_e32 v14, 0x7e00
	v_cmp_ne_u32_e32 vcc, 0, v2
	s_movk_i32 s0, 0x40f
	v_cndmask_b32_e32 v2, v13, v14, vcc
	v_cmp_eq_u32_e32 vcc, s0, v5
	v_cndmask_b32_e32 v2, v3, v2, vcc
	v_lshrrev_b32_e32 v3, 16, v1
	s_mov_b32 s0, 0x8000
	v_and_or_b32 v2, v3, s0, v2
	v_and_b32_e32 v2, 0xffff, v2
	global_store_dword v[7:8], v2, off
.LBB135_1864:
	s_mov_b64 s[0:1], 0
.LBB135_1865:
	s_andn2_b64 vcc, exec, s[0:1]
	s_cbranch_vccnz .LBB135_1874
; %bb.1866:
	s_cmp_lt_i32 s21, 6
	s_mov_b64 s[0:1], -1
	s_cbranch_scc1 .LBB135_1872
; %bb.1867:
	s_cmp_gt_i32 s21, 6
	s_cbranch_scc0 .LBB135_1869
; %bb.1868:
	global_store_dwordx2 v[7:8], v[0:1], off
	s_mov_b64 s[0:1], 0
.LBB135_1869:
	s_andn2_b64 vcc, exec, s[0:1]
	s_cbranch_vccnz .LBB135_1871
; %bb.1870:
	v_cvt_f32_f64_e32 v2, v[0:1]
	global_store_dword v[7:8], v2, off
.LBB135_1871:
	s_mov_b64 s[0:1], 0
.LBB135_1872:
	s_andn2_b64 vcc, exec, s[0:1]
	s_cbranch_vccnz .LBB135_1874
; %bb.1873:
	s_movk_i32 s0, 0x1ff
	v_and_or_b32 v2, v1, s0, v0
	v_cmp_ne_u32_e32 vcc, 0, v2
	v_cndmask_b32_e64 v2, 0, 1, vcc
	v_lshrrev_b32_e32 v3, 8, v1
	s_movk_i32 s0, 0xffe
	v_bfe_u32 v5, v1, 20, 11
	v_and_or_b32 v2, v3, s0, v2
	v_sub_u32_e32 v13, 0x3f1, v5
	v_or_b32_e32 v3, 0x1000, v2
	v_med3_i32 v13, v13, 0, 13
	v_lshrrev_b32_e32 v14, v13, v3
	v_lshlrev_b32_e32 v13, v13, v14
	v_cmp_ne_u32_e32 vcc, v13, v3
	v_cndmask_b32_e64 v3, 0, 1, vcc
	v_add_u32_e32 v5, 0xfffffc10, v5
	v_or_b32_e32 v3, v14, v3
	v_lshl_or_b32 v13, v5, 12, v2
	v_cmp_gt_i32_e32 vcc, 1, v5
	v_cndmask_b32_e32 v3, v13, v3, vcc
	v_and_b32_e32 v13, 7, v3
	v_cmp_lt_i32_e32 vcc, 5, v13
	v_cndmask_b32_e64 v14, 0, 1, vcc
	v_cmp_eq_u32_e32 vcc, 3, v13
	v_cndmask_b32_e64 v13, 0, 1, vcc
	v_or_b32_e32 v13, v13, v14
	v_lshrrev_b32_e32 v3, 2, v3
	v_add_u32_e32 v3, v3, v13
	v_mov_b32_e32 v13, 0x7c00
	v_cmp_gt_i32_e32 vcc, 31, v5
	v_cndmask_b32_e32 v3, v13, v3, vcc
	v_mov_b32_e32 v14, 0x7e00
	v_cmp_ne_u32_e32 vcc, 0, v2
	s_movk_i32 s0, 0x40f
	v_cndmask_b32_e32 v2, v13, v14, vcc
	v_cmp_eq_u32_e32 vcc, s0, v5
	v_cndmask_b32_e32 v2, v3, v2, vcc
	v_lshrrev_b32_e32 v3, 16, v1
	s_mov_b32 s0, 0x8000
	v_and_or_b32 v2, v3, s0, v2
	global_store_short v[7:8], v2, off
.LBB135_1874:
	s_mov_b64 s[0:1], 0
.LBB135_1875:
	s_andn2_b64 vcc, exec, s[0:1]
	s_cbranch_vccnz .LBB135_1891
; %bb.1876:
	s_cmp_lt_i32 s21, 2
	s_mov_b64 s[0:1], -1
	s_cbranch_scc1 .LBB135_1886
; %bb.1877:
	s_cmp_lt_i32 s21, 3
	s_cbranch_scc1 .LBB135_1883
; %bb.1878:
	s_cmp_gt_i32 s21, 3
	s_cbranch_scc0 .LBB135_1880
; %bb.1879:
	v_trunc_f64_e32 v[2:3], v[0:1]
	s_movk_i32 s0, 0xffe0
	v_ldexp_f64 v[13:14], v[2:3], s0
	s_mov_b32 s0, 0
	s_mov_b32 s1, 0xc1f00000
	v_floor_f64_e32 v[13:14], v[13:14]
	v_fma_f64 v[2:3], v[13:14], s[0:1], v[2:3]
	v_cvt_i32_f64_e32 v14, v[13:14]
	s_mov_b64 s[0:1], 0
	v_cvt_u32_f64_e32 v13, v[2:3]
	global_store_dwordx2 v[7:8], v[13:14], off
.LBB135_1880:
	s_andn2_b64 vcc, exec, s[0:1]
	s_cbranch_vccnz .LBB135_1882
; %bb.1881:
	v_cvt_i32_f64_e32 v2, v[0:1]
	global_store_dword v[7:8], v2, off
.LBB135_1882:
	s_mov_b64 s[0:1], 0
.LBB135_1883:
	s_andn2_b64 vcc, exec, s[0:1]
	s_cbranch_vccnz .LBB135_1885
; %bb.1884:
	v_cvt_i32_f64_e32 v2, v[0:1]
	global_store_short v[7:8], v2, off
.LBB135_1885:
	s_mov_b64 s[0:1], 0
.LBB135_1886:
	s_andn2_b64 vcc, exec, s[0:1]
	s_cbranch_vccnz .LBB135_1891
; %bb.1887:
	s_cmp_gt_i32 s21, 0
	s_mov_b64 s[0:1], -1
	s_cbranch_scc0 .LBB135_1889
; %bb.1888:
	v_cvt_i32_f64_e32 v2, v[0:1]
	s_mov_b64 s[0:1], 0
	global_store_byte v[7:8], v2, off
.LBB135_1889:
	s_andn2_b64 vcc, exec, s[0:1]
	s_cbranch_vccnz .LBB135_1891
; %bb.1890:
	v_trunc_f64_e32 v[0:1], v[0:1]
	s_movk_i32 s0, 0xffe0
	v_ldexp_f64 v[2:3], v[0:1], s0
	s_mov_b32 s0, 0
	s_mov_b32 s1, 0xc1f00000
	v_floor_f64_e32 v[2:3], v[2:3]
	v_fma_f64 v[0:1], v[2:3], s[0:1], v[0:1]
	v_cvt_u32_f64_e32 v0, v[0:1]
	global_store_byte v[7:8], v0, off
.LBB135_1891:
	s_mov_b64 s[14:15], -1
.LBB135_1892:
	s_andn2_b64 vcc, exec, s[14:15]
	s_cbranch_vccnz .LBB135_2088
; %bb.1893:
	s_waitcnt vmcnt(0)
	v_cmp_nge_f64_e32 vcc, s[4:5], v[11:12]
	v_mov_b32_e32 v0, s7
	v_mov_b32_e32 v1, s11
	;; [unrolled: 1-line block ×5, first 2 shown]
	s_cmp_lt_i32 s21, 11
	v_cndmask_b32_e32 v1, v0, v1, vcc
	v_cndmask_b32_e32 v0, v2, v3, vcc
	v_add_co_u32_e32 v5, vcc, s8, v6
	v_addc_co_u32_e32 v6, vcc, 0, v7, vcc
	s_cbranch_scc1 .LBB135_1971
; %bb.1894:
	s_mov_b64 s[16:17], -1
	s_mov_b64 s[12:13], 0
	s_cmp_gt_i32 s21, 25
	s_mov_b64 s[14:15], 0
	s_mov_b64 s[0:1], 0
	s_cbranch_scc0 .LBB135_1927
; %bb.1895:
	s_cmp_gt_i32 s21, 28
	s_cbranch_scc0 .LBB135_1910
; %bb.1896:
	s_cmp_gt_i32 s21, 43
	;; [unrolled: 3-line block ×3, first 2 shown]
	s_cbranch_scc0 .LBB135_1900
; %bb.1898:
	s_mov_b64 s[0:1], -1
	s_mov_b64 s[16:17], 0
	s_cmp_eq_u32 s21, 46
	s_cbranch_scc0 .LBB135_1900
; %bb.1899:
	v_cvt_f32_f64_e32 v2, v[0:1]
	s_movk_i32 s0, 0x7fff
	v_mov_b32_e32 v3, 0x7fc0
	s_mov_b64 s[14:15], -1
	v_bfe_u32 v7, v2, 16, 1
	v_cmp_o_f32_e32 vcc, v2, v2
	v_add3_u32 v2, v2, v7, s0
	v_cndmask_b32_sdwa v2, v3, v2, vcc dst_sel:DWORD dst_unused:UNUSED_PAD src0_sel:DWORD src1_sel:WORD_1
	global_store_dword v[5:6], v2, off
	s_mov_b64 s[0:1], 0
.LBB135_1900:
	s_and_b64 vcc, exec, s[16:17]
	s_cbranch_vccz .LBB135_1905
; %bb.1901:
	s_cmp_eq_u32 s21, 44
	s_mov_b64 s[0:1], -1
	s_cbranch_scc0 .LBB135_1905
; %bb.1902:
	v_cvt_f32_f64_e32 v2, v[0:1]
	s_movk_i32 s0, 0xff
	v_mov_b32_e32 v7, 0xff
	v_bfe_u32 v3, v2, 23, 8
	v_cmp_ne_u32_e32 vcc, s0, v3
	s_and_saveexec_b64 s[14:15], vcc
; %bb.1903:
	s_mov_b32 s0, 0x3fffff
	v_lshrrev_b32_e32 v7, 23, v2
	v_and_b32_e32 v8, 0x400000, v2
	v_and_or_b32 v2, v2, s0, v3
	v_cmp_ne_u32_e32 vcc, 0, v8
	v_cmp_ne_u32_e64 s[0:1], 0, v2
	s_and_b64 s[0:1], vcc, s[0:1]
	v_cndmask_b32_e64 v2, 0, 1, s[0:1]
	v_add_u32_e32 v7, v7, v2
; %bb.1904:
	s_or_b64 exec, exec, s[14:15]
	s_mov_b64 s[0:1], 0
	s_mov_b64 s[14:15], -1
	global_store_byte v[5:6], v7, off
.LBB135_1905:
	s_mov_b64 s[16:17], 0
.LBB135_1906:
	s_and_b64 vcc, exec, s[16:17]
	s_cbranch_vccz .LBB135_1909
; %bb.1907:
	s_cmp_eq_u32 s21, 29
	s_mov_b64 s[0:1], -1
	s_cbranch_scc0 .LBB135_1909
; %bb.1908:
	v_trunc_f64_e32 v[2:3], v[0:1]
	s_movk_i32 s0, 0xffe0
	s_mov_b64 s[14:15], -1
	v_ldexp_f64 v[7:8], v[2:3], s0
	s_mov_b32 s0, 0
	s_mov_b32 s1, 0xc1f00000
	v_floor_f64_e32 v[7:8], v[7:8]
	v_fma_f64 v[2:3], v[7:8], s[0:1], v[2:3]
	v_cvt_u32_f64_e32 v8, v[7:8]
	s_mov_b64 s[0:1], 0
	v_cvt_u32_f64_e32 v7, v[2:3]
	global_store_dwordx2 v[5:6], v[7:8], off
.LBB135_1909:
	s_mov_b64 s[16:17], 0
.LBB135_1910:
	s_and_b64 vcc, exec, s[16:17]
	s_cbranch_vccz .LBB135_1926
; %bb.1911:
	s_cmp_lt_i32 s21, 27
	s_mov_b64 s[14:15], -1
	s_cbranch_scc1 .LBB135_1917
; %bb.1912:
	v_cvt_u32_f64_e32 v2, v[0:1]
	s_cmp_gt_i32 s21, 27
	s_cbranch_scc0 .LBB135_1914
; %bb.1913:
	s_mov_b64 s[14:15], 0
	global_store_dword v[5:6], v2, off
.LBB135_1914:
	s_andn2_b64 vcc, exec, s[14:15]
	s_cbranch_vccnz .LBB135_1916
; %bb.1915:
	global_store_short v[5:6], v2, off
.LBB135_1916:
	s_mov_b64 s[14:15], 0
.LBB135_1917:
	s_andn2_b64 vcc, exec, s[14:15]
	s_cbranch_vccnz .LBB135_1925
; %bb.1918:
	v_cvt_f32_f64_e32 v2, v[0:1]
	s_mov_b32 s14, 0x43800000
	v_mov_b32_e32 v7, 0x80
	v_and_b32_e32 v3, 0x7fffffff, v2
	v_cmp_gt_u32_e32 vcc, s14, v3
	s_and_saveexec_b64 s[14:15], vcc
	s_cbranch_execz .LBB135_1924
; %bb.1919:
	s_mov_b32 s16, 0x3bffffff
	v_cmp_lt_u32_e32 vcc, s16, v3
	s_mov_b64 s[16:17], 0
                                        ; implicit-def: $vgpr3
	s_and_saveexec_b64 s[18:19], vcc
	s_xor_b64 s[18:19], exec, s[18:19]
	s_cbranch_execz .LBB135_2145
; %bb.1920:
	v_bfe_u32 v3, v2, 20, 1
	s_mov_b32 s22, 0x487ffff
	v_add3_u32 v3, v2, v3, s22
	s_mov_b64 s[16:17], exec
	v_lshrrev_b32_e32 v3, 20, v3
	s_andn2_saveexec_b64 s[18:19], s[18:19]
	s_cbranch_execnz .LBB135_2146
.LBB135_1921:
	s_or_b64 exec, exec, s[18:19]
	v_mov_b32_e32 v7, 0
	s_and_saveexec_b64 s[18:19], s[16:17]
.LBB135_1922:
	v_lshrrev_b32_e32 v2, 24, v2
	s_movk_i32 s16, 0x80
	v_and_or_b32 v7, v2, s16, v3
.LBB135_1923:
	s_or_b64 exec, exec, s[18:19]
.LBB135_1924:
	s_or_b64 exec, exec, s[14:15]
	global_store_byte v[5:6], v7, off
.LBB135_1925:
	s_mov_b64 s[14:15], -1
.LBB135_1926:
	s_mov_b64 s[16:17], 0
.LBB135_1927:
	s_and_b64 vcc, exec, s[16:17]
	s_cbranch_vccz .LBB135_1967
; %bb.1928:
	s_cmp_gt_i32 s21, 22
	s_mov_b64 s[12:13], -1
	s_cbranch_scc0 .LBB135_1960
; %bb.1929:
	s_cmp_lt_i32 s21, 24
	s_cbranch_scc1 .LBB135_1949
; %bb.1930:
	s_cmp_gt_i32 s21, 24
	s_cbranch_scc0 .LBB135_1938
; %bb.1931:
	v_cvt_f32_f64_e32 v2, v[0:1]
	s_mov_b32 s12, 0x47800000
	v_mov_b32_e32 v7, 0x80
	v_and_b32_e32 v3, 0x7fffffff, v2
	v_cmp_gt_u32_e32 vcc, s12, v3
	s_and_saveexec_b64 s[12:13], vcc
	s_cbranch_execz .LBB135_1937
; %bb.1932:
	s_mov_b32 s14, 0x37ffffff
	v_cmp_lt_u32_e32 vcc, s14, v3
	s_mov_b64 s[14:15], 0
                                        ; implicit-def: $vgpr3
	s_and_saveexec_b64 s[16:17], vcc
	s_xor_b64 s[16:17], exec, s[16:17]
	s_cbranch_execz .LBB135_2148
; %bb.1933:
	v_bfe_u32 v3, v2, 21, 1
	s_mov_b32 s18, 0x88fffff
	v_add3_u32 v3, v2, v3, s18
	s_mov_b64 s[14:15], exec
	v_lshrrev_b32_e32 v3, 21, v3
	s_andn2_saveexec_b64 s[16:17], s[16:17]
	s_cbranch_execnz .LBB135_2149
.LBB135_1934:
	s_or_b64 exec, exec, s[16:17]
	v_mov_b32_e32 v7, 0
	s_and_saveexec_b64 s[16:17], s[14:15]
.LBB135_1935:
	v_lshrrev_b32_e32 v2, 24, v2
	s_movk_i32 s14, 0x80
	v_and_or_b32 v7, v2, s14, v3
.LBB135_1936:
	s_or_b64 exec, exec, s[16:17]
.LBB135_1937:
	s_or_b64 exec, exec, s[12:13]
	s_mov_b64 s[12:13], 0
	global_store_byte v[5:6], v7, off
.LBB135_1938:
	s_and_b64 vcc, exec, s[12:13]
	s_cbranch_vccz .LBB135_1948
; %bb.1939:
	v_cvt_f32_f64_e32 v2, v[0:1]
	s_mov_b32 s12, 0x43f00000
                                        ; implicit-def: $vgpr3
	v_and_b32_e32 v7, 0x7fffffff, v2
	v_cmp_gt_u32_e32 vcc, s12, v7
	s_and_saveexec_b64 s[12:13], vcc
	s_xor_b64 s[12:13], exec, s[12:13]
	s_cbranch_execz .LBB135_1945
; %bb.1940:
	s_mov_b32 s14, 0x3c7fffff
	v_cmp_lt_u32_e32 vcc, s14, v7
                                        ; implicit-def: $vgpr3
	s_and_saveexec_b64 s[14:15], vcc
	s_xor_b64 s[14:15], exec, s[14:15]
; %bb.1941:
	v_bfe_u32 v3, v2, 20, 1
	s_mov_b32 s16, 0x407ffff
	v_add3_u32 v3, v2, v3, s16
	v_lshrrev_b32_e32 v7, 20, v3
	v_and_b32_e32 v3, 0xff00000, v3
	s_mov_b32 s16, 0x7f00000
	v_mov_b32_e32 v8, 0x7e
	v_cmp_ne_u32_e32 vcc, s16, v3
	v_cndmask_b32_e32 v3, v8, v7, vcc
; %bb.1942:
	s_andn2_saveexec_b64 s[14:15], s[14:15]
; %bb.1943:
	s_mov_b32 s16, 0x46800000
	v_add_f32_e64 v3, |v2|, s16
; %bb.1944:
	s_or_b64 exec, exec, s[14:15]
                                        ; implicit-def: $vgpr7
.LBB135_1945:
	s_andn2_saveexec_b64 s[12:13], s[12:13]
; %bb.1946:
	s_mov_b32 s14, 0x7f800000
	v_mov_b32_e32 v3, 0x7e
	v_mov_b32_e32 v8, 0x7f
	v_cmp_lt_u32_e32 vcc, s14, v7
	v_cndmask_b32_e32 v3, v3, v8, vcc
; %bb.1947:
	s_or_b64 exec, exec, s[12:13]
	v_lshrrev_b32_e32 v2, 24, v2
	s_movk_i32 s12, 0x80
	v_and_or_b32 v2, v2, s12, v3
	global_store_byte v[5:6], v2, off
.LBB135_1948:
	s_mov_b64 s[12:13], 0
.LBB135_1949:
	s_andn2_b64 vcc, exec, s[12:13]
	s_cbranch_vccnz .LBB135_1959
; %bb.1950:
	v_cvt_f32_f64_e32 v2, v[0:1]
	s_mov_b32 s12, 0x47800000
                                        ; implicit-def: $vgpr3
	v_and_b32_e32 v7, 0x7fffffff, v2
	v_cmp_gt_u32_e32 vcc, s12, v7
	s_and_saveexec_b64 s[12:13], vcc
	s_xor_b64 s[12:13], exec, s[12:13]
	s_cbranch_execz .LBB135_1956
; %bb.1951:
	s_mov_b32 s14, 0x387fffff
	v_cmp_lt_u32_e32 vcc, s14, v7
                                        ; implicit-def: $vgpr3
	s_and_saveexec_b64 s[14:15], vcc
	s_xor_b64 s[14:15], exec, s[14:15]
; %bb.1952:
	v_bfe_u32 v3, v2, 21, 1
	s_mov_b32 s16, 0x80fffff
	v_add3_u32 v3, v2, v3, s16
	v_lshrrev_b32_e32 v3, 21, v3
; %bb.1953:
	s_andn2_saveexec_b64 s[14:15], s[14:15]
; %bb.1954:
	s_mov_b32 s16, 0x43000000
	v_add_f32_e64 v3, |v2|, s16
; %bb.1955:
	s_or_b64 exec, exec, s[14:15]
                                        ; implicit-def: $vgpr7
.LBB135_1956:
	s_andn2_saveexec_b64 s[12:13], s[12:13]
; %bb.1957:
	s_mov_b32 s14, 0x7f800000
	v_mov_b32_e32 v3, 0x7c
	v_mov_b32_e32 v8, 0x7f
	v_cmp_lt_u32_e32 vcc, s14, v7
	v_cndmask_b32_e32 v3, v3, v8, vcc
; %bb.1958:
	s_or_b64 exec, exec, s[12:13]
	v_lshrrev_b32_e32 v2, 24, v2
	s_movk_i32 s12, 0x80
	v_and_or_b32 v2, v2, s12, v3
	global_store_byte v[5:6], v2, off
.LBB135_1959:
	s_mov_b64 s[12:13], 0
	s_mov_b64 s[14:15], -1
.LBB135_1960:
	s_andn2_b64 vcc, exec, s[12:13]
	s_mov_b64 s[12:13], 0
	s_cbranch_vccnz .LBB135_1967
; %bb.1961:
	s_cmp_gt_i32 s21, 14
	s_mov_b64 s[16:17], -1
	s_cbranch_scc0 .LBB135_1965
; %bb.1962:
	s_cmp_eq_u32 s21, 15
	s_mov_b64 s[0:1], -1
	s_cbranch_scc0 .LBB135_1964
; %bb.1963:
	v_cvt_f32_f64_e32 v2, v[0:1]
	s_movk_i32 s0, 0x7fff
	v_mov_b32_e32 v3, 0x7fc0
	s_mov_b64 s[14:15], -1
	v_bfe_u32 v7, v2, 16, 1
	v_cmp_o_f32_e32 vcc, v2, v2
	v_add3_u32 v2, v2, v7, s0
	v_cndmask_b32_sdwa v2, v3, v2, vcc dst_sel:DWORD dst_unused:UNUSED_PAD src0_sel:DWORD src1_sel:WORD_1
	global_store_short v[5:6], v2, off
	s_mov_b64 s[0:1], 0
.LBB135_1964:
	s_mov_b64 s[16:17], 0
.LBB135_1965:
	s_and_b64 vcc, exec, s[16:17]
	s_cbranch_vccz .LBB135_1967
; %bb.1966:
	s_cmp_lg_u32 s21, 11
	s_mov_b64 s[12:13], -1
	s_cselect_b64 s[0:1], -1, 0
.LBB135_1967:
	s_and_b64 vcc, exec, s[0:1]
	s_cbranch_vccnz .LBB135_2147
; %bb.1968:
	s_andn2_b64 vcc, exec, s[12:13]
	s_cbranch_vccnz .LBB135_1970
.LBB135_1969:
	v_cmp_neq_f64_e32 vcc, 0, v[0:1]
	s_mov_b64 s[14:15], -1
	v_cndmask_b32_e64 v2, 0, 1, vcc
	global_store_byte v[5:6], v2, off
.LBB135_1970:
	s_mov_b64 s[0:1], 0
	s_branch .LBB135_1972
.LBB135_1971:
	s_mov_b64 s[0:1], -1
	s_mov_b64 s[14:15], 0
.LBB135_1972:
	s_and_b64 vcc, exec, s[0:1]
	s_cbranch_vccz .LBB135_2011
; %bb.1973:
	s_cmp_lt_i32 s21, 5
	s_mov_b64 s[0:1], -1
	s_cbranch_scc1 .LBB135_1994
; %bb.1974:
	s_cmp_lt_i32 s21, 8
	s_cbranch_scc1 .LBB135_1984
; %bb.1975:
	s_cmp_lt_i32 s21, 9
	s_cbranch_scc1 .LBB135_1981
; %bb.1976:
	s_cmp_gt_i32 s21, 9
	s_cbranch_scc0 .LBB135_1978
; %bb.1977:
	v_mov_b32_e32 v2, 0
	v_mov_b32_e32 v3, v2
	global_store_dwordx4 v[5:6], v[0:3], off
	s_mov_b64 s[0:1], 0
.LBB135_1978:
	s_andn2_b64 vcc, exec, s[0:1]
	s_cbranch_vccnz .LBB135_1980
; %bb.1979:
	v_cvt_f32_f64_e32 v2, v[0:1]
	v_mov_b32_e32 v3, 0
	global_store_dwordx2 v[5:6], v[2:3], off
.LBB135_1980:
	s_mov_b64 s[0:1], 0
.LBB135_1981:
	s_andn2_b64 vcc, exec, s[0:1]
	s_cbranch_vccnz .LBB135_1983
; %bb.1982:
	s_movk_i32 s0, 0x1ff
	v_and_or_b32 v2, v1, s0, v0
	v_cmp_ne_u32_e32 vcc, 0, v2
	v_cndmask_b32_e64 v2, 0, 1, vcc
	v_lshrrev_b32_e32 v3, 8, v1
	s_movk_i32 s0, 0xffe
	v_bfe_u32 v7, v1, 20, 11
	v_and_or_b32 v2, v3, s0, v2
	v_sub_u32_e32 v8, 0x3f1, v7
	v_or_b32_e32 v3, 0x1000, v2
	v_med3_i32 v8, v8, 0, 13
	v_lshrrev_b32_e32 v11, v8, v3
	v_lshlrev_b32_e32 v8, v8, v11
	v_cmp_ne_u32_e32 vcc, v8, v3
	v_cndmask_b32_e64 v3, 0, 1, vcc
	v_add_u32_e32 v7, 0xfffffc10, v7
	v_or_b32_e32 v3, v11, v3
	v_lshl_or_b32 v8, v7, 12, v2
	v_cmp_gt_i32_e32 vcc, 1, v7
	v_cndmask_b32_e32 v3, v8, v3, vcc
	v_and_b32_e32 v8, 7, v3
	v_cmp_lt_i32_e32 vcc, 5, v8
	v_cndmask_b32_e64 v11, 0, 1, vcc
	v_cmp_eq_u32_e32 vcc, 3, v8
	v_cndmask_b32_e64 v8, 0, 1, vcc
	v_or_b32_e32 v8, v8, v11
	v_lshrrev_b32_e32 v3, 2, v3
	v_add_u32_e32 v3, v3, v8
	v_mov_b32_e32 v8, 0x7c00
	v_cmp_gt_i32_e32 vcc, 31, v7
	v_cndmask_b32_e32 v3, v8, v3, vcc
	v_mov_b32_e32 v11, 0x7e00
	v_cmp_ne_u32_e32 vcc, 0, v2
	s_movk_i32 s0, 0x40f
	v_cndmask_b32_e32 v2, v8, v11, vcc
	v_cmp_eq_u32_e32 vcc, s0, v7
	v_cndmask_b32_e32 v2, v3, v2, vcc
	v_lshrrev_b32_e32 v3, 16, v1
	s_mov_b32 s0, 0x8000
	v_and_or_b32 v2, v3, s0, v2
	v_and_b32_e32 v2, 0xffff, v2
	global_store_dword v[5:6], v2, off
.LBB135_1983:
	s_mov_b64 s[0:1], 0
.LBB135_1984:
	s_andn2_b64 vcc, exec, s[0:1]
	s_cbranch_vccnz .LBB135_1993
; %bb.1985:
	s_cmp_lt_i32 s21, 6
	s_mov_b64 s[0:1], -1
	s_cbranch_scc1 .LBB135_1991
; %bb.1986:
	s_cmp_gt_i32 s21, 6
	s_cbranch_scc0 .LBB135_1988
; %bb.1987:
	global_store_dwordx2 v[5:6], v[0:1], off
	s_mov_b64 s[0:1], 0
.LBB135_1988:
	s_andn2_b64 vcc, exec, s[0:1]
	s_cbranch_vccnz .LBB135_1990
; %bb.1989:
	v_cvt_f32_f64_e32 v2, v[0:1]
	global_store_dword v[5:6], v2, off
.LBB135_1990:
	s_mov_b64 s[0:1], 0
.LBB135_1991:
	s_andn2_b64 vcc, exec, s[0:1]
	s_cbranch_vccnz .LBB135_1993
; %bb.1992:
	s_movk_i32 s0, 0x1ff
	v_and_or_b32 v2, v1, s0, v0
	v_cmp_ne_u32_e32 vcc, 0, v2
	v_cndmask_b32_e64 v2, 0, 1, vcc
	v_lshrrev_b32_e32 v3, 8, v1
	s_movk_i32 s0, 0xffe
	v_bfe_u32 v7, v1, 20, 11
	v_and_or_b32 v2, v3, s0, v2
	v_sub_u32_e32 v8, 0x3f1, v7
	v_or_b32_e32 v3, 0x1000, v2
	v_med3_i32 v8, v8, 0, 13
	v_lshrrev_b32_e32 v11, v8, v3
	v_lshlrev_b32_e32 v8, v8, v11
	v_cmp_ne_u32_e32 vcc, v8, v3
	v_cndmask_b32_e64 v3, 0, 1, vcc
	v_add_u32_e32 v7, 0xfffffc10, v7
	v_or_b32_e32 v3, v11, v3
	v_lshl_or_b32 v8, v7, 12, v2
	v_cmp_gt_i32_e32 vcc, 1, v7
	v_cndmask_b32_e32 v3, v8, v3, vcc
	v_and_b32_e32 v8, 7, v3
	v_cmp_lt_i32_e32 vcc, 5, v8
	v_cndmask_b32_e64 v11, 0, 1, vcc
	v_cmp_eq_u32_e32 vcc, 3, v8
	v_cndmask_b32_e64 v8, 0, 1, vcc
	v_or_b32_e32 v8, v8, v11
	v_lshrrev_b32_e32 v3, 2, v3
	v_add_u32_e32 v3, v3, v8
	v_mov_b32_e32 v8, 0x7c00
	v_cmp_gt_i32_e32 vcc, 31, v7
	v_cndmask_b32_e32 v3, v8, v3, vcc
	v_mov_b32_e32 v11, 0x7e00
	v_cmp_ne_u32_e32 vcc, 0, v2
	s_movk_i32 s0, 0x40f
	v_cndmask_b32_e32 v2, v8, v11, vcc
	v_cmp_eq_u32_e32 vcc, s0, v7
	v_cndmask_b32_e32 v2, v3, v2, vcc
	v_lshrrev_b32_e32 v3, 16, v1
	s_mov_b32 s0, 0x8000
	v_and_or_b32 v2, v3, s0, v2
	global_store_short v[5:6], v2, off
.LBB135_1993:
	s_mov_b64 s[0:1], 0
.LBB135_1994:
	s_andn2_b64 vcc, exec, s[0:1]
	s_cbranch_vccnz .LBB135_2010
; %bb.1995:
	s_cmp_lt_i32 s21, 2
	s_mov_b64 s[0:1], -1
	s_cbranch_scc1 .LBB135_2005
; %bb.1996:
	s_cmp_lt_i32 s21, 3
	s_cbranch_scc1 .LBB135_2002
; %bb.1997:
	s_cmp_gt_i32 s21, 3
	s_cbranch_scc0 .LBB135_1999
; %bb.1998:
	v_trunc_f64_e32 v[2:3], v[0:1]
	s_movk_i32 s0, 0xffe0
	v_ldexp_f64 v[7:8], v[2:3], s0
	s_mov_b32 s0, 0
	s_mov_b32 s1, 0xc1f00000
	v_floor_f64_e32 v[7:8], v[7:8]
	v_fma_f64 v[2:3], v[7:8], s[0:1], v[2:3]
	v_cvt_i32_f64_e32 v8, v[7:8]
	s_mov_b64 s[0:1], 0
	v_cvt_u32_f64_e32 v7, v[2:3]
	global_store_dwordx2 v[5:6], v[7:8], off
.LBB135_1999:
	s_andn2_b64 vcc, exec, s[0:1]
	s_cbranch_vccnz .LBB135_2001
; %bb.2000:
	v_cvt_i32_f64_e32 v2, v[0:1]
	global_store_dword v[5:6], v2, off
.LBB135_2001:
	s_mov_b64 s[0:1], 0
.LBB135_2002:
	s_andn2_b64 vcc, exec, s[0:1]
	s_cbranch_vccnz .LBB135_2004
; %bb.2003:
	v_cvt_i32_f64_e32 v2, v[0:1]
	global_store_short v[5:6], v2, off
.LBB135_2004:
	s_mov_b64 s[0:1], 0
.LBB135_2005:
	s_andn2_b64 vcc, exec, s[0:1]
	s_cbranch_vccnz .LBB135_2010
; %bb.2006:
	s_cmp_gt_i32 s21, 0
	s_mov_b64 s[0:1], -1
	s_cbranch_scc0 .LBB135_2008
; %bb.2007:
	v_cvt_i32_f64_e32 v2, v[0:1]
	s_mov_b64 s[0:1], 0
	global_store_byte v[5:6], v2, off
.LBB135_2008:
	s_andn2_b64 vcc, exec, s[0:1]
	s_cbranch_vccnz .LBB135_2010
; %bb.2009:
	v_trunc_f64_e32 v[0:1], v[0:1]
	s_movk_i32 s0, 0xffe0
	v_ldexp_f64 v[2:3], v[0:1], s0
	s_mov_b32 s0, 0
	s_mov_b32 s1, 0xc1f00000
	v_floor_f64_e32 v[2:3], v[2:3]
	v_fma_f64 v[0:1], v[2:3], s[0:1], v[0:1]
	v_cvt_u32_f64_e32 v0, v[0:1]
	global_store_byte v[5:6], v0, off
.LBB135_2010:
	s_mov_b64 s[14:15], -1
.LBB135_2011:
	s_andn2_b64 vcc, exec, s[14:15]
	s_cbranch_vccnz .LBB135_2088
; %bb.2012:
	v_cmp_nge_f64_e32 vcc, s[4:5], v[9:10]
	v_mov_b32_e32 v0, s7
	v_mov_b32_e32 v1, s11
	;; [unrolled: 1-line block ×5, first 2 shown]
	s_cmp_lt_i32 s21, 11
	v_cndmask_b32_e32 v1, v0, v1, vcc
	v_cndmask_b32_e32 v0, v2, v3, vcc
	v_add_co_u32_e32 v4, vcc, s8, v4
	v_addc_co_u32_e32 v5, vcc, 0, v5, vcc
	s_cbranch_scc1 .LBB135_2133
; %bb.2013:
	s_mov_b64 s[6:7], -1
	s_mov_b64 s[4:5], 0
	s_cmp_gt_i32 s21, 25
	s_mov_b64 s[0:1], 0
	s_cbranch_scc0 .LBB135_2046
; %bb.2014:
	s_cmp_gt_i32 s21, 28
	s_cbranch_scc0 .LBB135_2030
; %bb.2015:
	s_cmp_gt_i32 s21, 43
	;; [unrolled: 3-line block ×3, first 2 shown]
	s_cbranch_scc0 .LBB135_2020
; %bb.2017:
	s_cmp_eq_u32 s21, 46
	s_mov_b64 s[0:1], -1
	s_cbranch_scc0 .LBB135_2019
; %bb.2018:
	v_cvt_f32_f64_e32 v2, v[0:1]
	s_movk_i32 s0, 0x7fff
	v_mov_b32_e32 v3, 0x7fc0
	v_bfe_u32 v6, v2, 16, 1
	v_cmp_o_f32_e32 vcc, v2, v2
	v_add3_u32 v2, v2, v6, s0
	v_cndmask_b32_sdwa v2, v3, v2, vcc dst_sel:DWORD dst_unused:UNUSED_PAD src0_sel:DWORD src1_sel:WORD_1
	global_store_dword v[4:5], v2, off
	s_mov_b64 s[0:1], 0
.LBB135_2019:
	s_mov_b64 s[6:7], 0
.LBB135_2020:
	s_and_b64 vcc, exec, s[6:7]
	s_cbranch_vccz .LBB135_2025
; %bb.2021:
	s_cmp_eq_u32 s21, 44
	s_mov_b64 s[0:1], -1
	s_cbranch_scc0 .LBB135_2025
; %bb.2022:
	v_cvt_f32_f64_e32 v2, v[0:1]
	s_movk_i32 s0, 0xff
	v_mov_b32_e32 v6, 0xff
	v_bfe_u32 v3, v2, 23, 8
	v_cmp_ne_u32_e32 vcc, s0, v3
	s_and_saveexec_b64 s[6:7], vcc
; %bb.2023:
	s_mov_b32 s0, 0x3fffff
	v_lshrrev_b32_e32 v6, 23, v2
	v_and_b32_e32 v7, 0x400000, v2
	v_and_or_b32 v2, v2, s0, v3
	v_cmp_ne_u32_e32 vcc, 0, v7
	v_cmp_ne_u32_e64 s[0:1], 0, v2
	s_and_b64 s[0:1], vcc, s[0:1]
	v_cndmask_b32_e64 v2, 0, 1, s[0:1]
	v_add_u32_e32 v6, v6, v2
; %bb.2024:
	s_or_b64 exec, exec, s[6:7]
	s_mov_b64 s[0:1], 0
	global_store_byte v[4:5], v6, off
.LBB135_2025:
	s_mov_b64 s[6:7], 0
.LBB135_2026:
	s_and_b64 vcc, exec, s[6:7]
	s_cbranch_vccz .LBB135_2029
; %bb.2027:
	s_cmp_eq_u32 s21, 29
	s_mov_b64 s[0:1], -1
	s_cbranch_scc0 .LBB135_2029
; %bb.2028:
	v_trunc_f64_e32 v[2:3], v[0:1]
	s_movk_i32 s0, 0xffe0
	v_ldexp_f64 v[6:7], v[2:3], s0
	s_mov_b32 s0, 0
	s_mov_b32 s1, 0xc1f00000
	v_floor_f64_e32 v[6:7], v[6:7]
	v_fma_f64 v[2:3], v[6:7], s[0:1], v[2:3]
	v_cvt_u32_f64_e32 v7, v[6:7]
	s_mov_b64 s[0:1], 0
	v_cvt_u32_f64_e32 v6, v[2:3]
	global_store_dwordx2 v[4:5], v[6:7], off
.LBB135_2029:
	s_mov_b64 s[6:7], 0
.LBB135_2030:
	s_and_b64 vcc, exec, s[6:7]
	s_cbranch_vccz .LBB135_2045
; %bb.2031:
	s_cmp_lt_i32 s21, 27
	s_mov_b64 s[6:7], -1
	s_cbranch_scc1 .LBB135_2037
; %bb.2032:
	s_cmp_gt_i32 s21, 27
	s_cbranch_scc0 .LBB135_2034
; %bb.2033:
	v_cvt_u32_f64_e32 v2, v[0:1]
	s_mov_b64 s[6:7], 0
	global_store_dword v[4:5], v2, off
.LBB135_2034:
	s_andn2_b64 vcc, exec, s[6:7]
	s_cbranch_vccnz .LBB135_2036
; %bb.2035:
	v_cvt_u32_f64_e32 v2, v[0:1]
	global_store_short v[4:5], v2, off
.LBB135_2036:
	s_mov_b64 s[6:7], 0
.LBB135_2037:
	s_andn2_b64 vcc, exec, s[6:7]
	s_cbranch_vccnz .LBB135_2045
; %bb.2038:
	v_cvt_f32_f64_e32 v2, v[0:1]
	s_mov_b32 s6, 0x43800000
	v_mov_b32_e32 v6, 0x80
	v_and_b32_e32 v3, 0x7fffffff, v2
	v_cmp_gt_u32_e32 vcc, s6, v3
	s_and_saveexec_b64 s[6:7], vcc
	s_cbranch_execz .LBB135_2044
; %bb.2039:
	s_mov_b32 s8, 0x3bffffff
	v_cmp_lt_u32_e32 vcc, s8, v3
	s_mov_b64 s[8:9], 0
                                        ; implicit-def: $vgpr3
	s_and_saveexec_b64 s[10:11], vcc
	s_xor_b64 s[10:11], exec, s[10:11]
	s_cbranch_execz .LBB135_2150
; %bb.2040:
	v_bfe_u32 v3, v2, 20, 1
	s_mov_b32 s12, 0x487ffff
	v_add3_u32 v3, v2, v3, s12
	s_mov_b64 s[8:9], exec
	v_lshrrev_b32_e32 v3, 20, v3
	s_andn2_saveexec_b64 s[10:11], s[10:11]
	s_cbranch_execnz .LBB135_2151
.LBB135_2041:
	s_or_b64 exec, exec, s[10:11]
	v_mov_b32_e32 v6, 0
	s_and_saveexec_b64 s[10:11], s[8:9]
.LBB135_2042:
	v_lshrrev_b32_e32 v2, 24, v2
	s_movk_i32 s8, 0x80
	v_and_or_b32 v6, v2, s8, v3
.LBB135_2043:
	s_or_b64 exec, exec, s[10:11]
.LBB135_2044:
	s_or_b64 exec, exec, s[6:7]
	global_store_byte v[4:5], v6, off
.LBB135_2045:
	s_mov_b64 s[6:7], 0
.LBB135_2046:
	s_and_b64 vcc, exec, s[6:7]
	s_cbranch_vccz .LBB135_2086
; %bb.2047:
	s_cmp_gt_i32 s21, 22
	s_mov_b64 s[4:5], -1
	s_cbranch_scc0 .LBB135_2079
; %bb.2048:
	s_cmp_lt_i32 s21, 24
	s_cbranch_scc1 .LBB135_2068
; %bb.2049:
	s_cmp_gt_i32 s21, 24
	s_cbranch_scc0 .LBB135_2057
; %bb.2050:
	v_cvt_f32_f64_e32 v2, v[0:1]
	s_mov_b32 s4, 0x47800000
	v_mov_b32_e32 v6, 0x80
	v_and_b32_e32 v3, 0x7fffffff, v2
	v_cmp_gt_u32_e32 vcc, s4, v3
	s_and_saveexec_b64 s[4:5], vcc
	s_cbranch_execz .LBB135_2056
; %bb.2051:
	s_mov_b32 s6, 0x37ffffff
	v_cmp_lt_u32_e32 vcc, s6, v3
	s_mov_b64 s[6:7], 0
                                        ; implicit-def: $vgpr3
	s_and_saveexec_b64 s[8:9], vcc
	s_xor_b64 s[8:9], exec, s[8:9]
	s_cbranch_execz .LBB135_2153
; %bb.2052:
	v_bfe_u32 v3, v2, 21, 1
	s_mov_b32 s10, 0x88fffff
	v_add3_u32 v3, v2, v3, s10
	s_mov_b64 s[6:7], exec
	v_lshrrev_b32_e32 v3, 21, v3
	s_andn2_saveexec_b64 s[8:9], s[8:9]
	s_cbranch_execnz .LBB135_2154
.LBB135_2053:
	s_or_b64 exec, exec, s[8:9]
	v_mov_b32_e32 v6, 0
	s_and_saveexec_b64 s[8:9], s[6:7]
.LBB135_2054:
	v_lshrrev_b32_e32 v2, 24, v2
	s_movk_i32 s6, 0x80
	v_and_or_b32 v6, v2, s6, v3
.LBB135_2055:
	s_or_b64 exec, exec, s[8:9]
.LBB135_2056:
	s_or_b64 exec, exec, s[4:5]
	s_mov_b64 s[4:5], 0
	global_store_byte v[4:5], v6, off
.LBB135_2057:
	s_and_b64 vcc, exec, s[4:5]
	s_cbranch_vccz .LBB135_2067
; %bb.2058:
	v_cvt_f32_f64_e32 v2, v[0:1]
	s_mov_b32 s4, 0x43f00000
                                        ; implicit-def: $vgpr3
	v_and_b32_e32 v6, 0x7fffffff, v2
	v_cmp_gt_u32_e32 vcc, s4, v6
	s_and_saveexec_b64 s[4:5], vcc
	s_xor_b64 s[4:5], exec, s[4:5]
	s_cbranch_execz .LBB135_2064
; %bb.2059:
	s_mov_b32 s6, 0x3c7fffff
	v_cmp_lt_u32_e32 vcc, s6, v6
                                        ; implicit-def: $vgpr3
	s_and_saveexec_b64 s[6:7], vcc
	s_xor_b64 s[6:7], exec, s[6:7]
; %bb.2060:
	v_bfe_u32 v3, v2, 20, 1
	s_mov_b32 s8, 0x407ffff
	v_add3_u32 v3, v2, v3, s8
	v_lshrrev_b32_e32 v6, 20, v3
	v_and_b32_e32 v3, 0xff00000, v3
	s_mov_b32 s8, 0x7f00000
	v_mov_b32_e32 v7, 0x7e
	v_cmp_ne_u32_e32 vcc, s8, v3
	v_cndmask_b32_e32 v3, v7, v6, vcc
; %bb.2061:
	s_andn2_saveexec_b64 s[6:7], s[6:7]
; %bb.2062:
	s_mov_b32 s8, 0x46800000
	v_add_f32_e64 v3, |v2|, s8
; %bb.2063:
	s_or_b64 exec, exec, s[6:7]
                                        ; implicit-def: $vgpr6
.LBB135_2064:
	s_andn2_saveexec_b64 s[4:5], s[4:5]
; %bb.2065:
	s_mov_b32 s6, 0x7f800000
	v_mov_b32_e32 v3, 0x7e
	v_mov_b32_e32 v7, 0x7f
	v_cmp_lt_u32_e32 vcc, s6, v6
	v_cndmask_b32_e32 v3, v3, v7, vcc
; %bb.2066:
	s_or_b64 exec, exec, s[4:5]
	v_lshrrev_b32_e32 v2, 24, v2
	s_movk_i32 s4, 0x80
	v_and_or_b32 v2, v2, s4, v3
	global_store_byte v[4:5], v2, off
.LBB135_2067:
	s_mov_b64 s[4:5], 0
.LBB135_2068:
	s_andn2_b64 vcc, exec, s[4:5]
	s_cbranch_vccnz .LBB135_2078
; %bb.2069:
	v_cvt_f32_f64_e32 v2, v[0:1]
	s_mov_b32 s4, 0x47800000
                                        ; implicit-def: $vgpr3
	v_and_b32_e32 v6, 0x7fffffff, v2
	v_cmp_gt_u32_e32 vcc, s4, v6
	s_and_saveexec_b64 s[4:5], vcc
	s_xor_b64 s[4:5], exec, s[4:5]
	s_cbranch_execz .LBB135_2075
; %bb.2070:
	s_mov_b32 s6, 0x387fffff
	v_cmp_lt_u32_e32 vcc, s6, v6
                                        ; implicit-def: $vgpr3
	s_and_saveexec_b64 s[6:7], vcc
	s_xor_b64 s[6:7], exec, s[6:7]
; %bb.2071:
	v_bfe_u32 v3, v2, 21, 1
	s_mov_b32 s8, 0x80fffff
	v_add3_u32 v3, v2, v3, s8
	v_lshrrev_b32_e32 v3, 21, v3
; %bb.2072:
	s_andn2_saveexec_b64 s[6:7], s[6:7]
; %bb.2073:
	s_mov_b32 s8, 0x43000000
	v_add_f32_e64 v3, |v2|, s8
; %bb.2074:
	s_or_b64 exec, exec, s[6:7]
                                        ; implicit-def: $vgpr6
.LBB135_2075:
	s_andn2_saveexec_b64 s[4:5], s[4:5]
; %bb.2076:
	s_mov_b32 s6, 0x7f800000
	v_mov_b32_e32 v3, 0x7c
	v_mov_b32_e32 v7, 0x7f
	v_cmp_lt_u32_e32 vcc, s6, v6
	v_cndmask_b32_e32 v3, v3, v7, vcc
; %bb.2077:
	s_or_b64 exec, exec, s[4:5]
	v_lshrrev_b32_e32 v2, 24, v2
	s_movk_i32 s4, 0x80
	v_and_or_b32 v2, v2, s4, v3
	global_store_byte v[4:5], v2, off
.LBB135_2078:
	s_mov_b64 s[4:5], 0
.LBB135_2079:
	s_andn2_b64 vcc, exec, s[4:5]
	s_mov_b64 s[4:5], 0
	s_cbranch_vccnz .LBB135_2086
; %bb.2080:
	s_cmp_gt_i32 s21, 14
	s_mov_b64 s[6:7], -1
	s_cbranch_scc0 .LBB135_2084
; %bb.2081:
	s_cmp_eq_u32 s21, 15
	s_mov_b64 s[0:1], -1
	s_cbranch_scc0 .LBB135_2083
; %bb.2082:
	v_cvt_f32_f64_e32 v2, v[0:1]
	s_movk_i32 s0, 0x7fff
	v_mov_b32_e32 v3, 0x7fc0
	v_bfe_u32 v6, v2, 16, 1
	v_cmp_o_f32_e32 vcc, v2, v2
	v_add3_u32 v2, v2, v6, s0
	v_cndmask_b32_sdwa v2, v3, v2, vcc dst_sel:DWORD dst_unused:UNUSED_PAD src0_sel:DWORD src1_sel:WORD_1
	global_store_short v[4:5], v2, off
	s_mov_b64 s[0:1], 0
.LBB135_2083:
	s_mov_b64 s[6:7], 0
.LBB135_2084:
	s_and_b64 vcc, exec, s[6:7]
	s_cbranch_vccz .LBB135_2086
; %bb.2085:
	s_cmp_lg_u32 s21, 11
	s_mov_b64 s[4:5], -1
	s_cselect_b64 s[0:1], -1, 0
.LBB135_2086:
	s_and_b64 vcc, exec, s[0:1]
	s_cbranch_vccnz .LBB135_2152
.LBB135_2087:
	s_mov_b64 s[0:1], 0
	s_branch .LBB135_2089
.LBB135_2088:
	s_mov_b64 s[0:1], 0
	s_mov_b64 s[4:5], 0
                                        ; implicit-def: $vgpr4_vgpr5
                                        ; implicit-def: $sgpr20
                                        ; implicit-def: $vgpr0_vgpr1
.LBB135_2089:
	s_and_b64 s[6:7], s[4:5], exec
	s_andn2_b64 s[4:5], s[28:29], exec
	s_and_b64 s[2:3], s[2:3], exec
	s_and_b64 s[0:1], s[0:1], exec
	s_or_b64 s[28:29], s[4:5], s[2:3]
.LBB135_2090:
	s_or_b64 exec, exec, s[30:31]
	s_and_saveexec_b64 s[2:3], s[28:29]
	s_cbranch_execz .LBB135_2093
; %bb.2091:
	; divergent unreachable
	s_or_b64 exec, exec, s[2:3]
	s_and_saveexec_b64 s[2:3], s[6:7]
	s_xor_b64 s[2:3], exec, s[2:3]
	s_cbranch_execnz .LBB135_2094
.LBB135_2092:
	s_or_b64 exec, exec, s[2:3]
	s_and_saveexec_b64 s[2:3], s[0:1]
	s_cbranch_execnz .LBB135_2095
	s_branch .LBB135_2132
.LBB135_2093:
	s_or_b64 exec, exec, s[2:3]
	s_and_saveexec_b64 s[2:3], s[6:7]
	s_xor_b64 s[2:3], exec, s[2:3]
	s_cbranch_execz .LBB135_2092
.LBB135_2094:
	s_waitcnt vmcnt(0)
	v_cmp_neq_f64_e32 vcc, 0, v[0:1]
	v_cndmask_b32_e64 v2, 0, 1, vcc
	global_store_byte v[4:5], v2, off
	s_or_b64 exec, exec, s[2:3]
	s_and_saveexec_b64 s[2:3], s[0:1]
	s_cbranch_execz .LBB135_2132
.LBB135_2095:
	s_sext_i32_i16 s2, s20
	s_cmp_lt_i32 s2, 5
	s_mov_b64 s[0:1], -1
	s_cbranch_scc1 .LBB135_2116
; %bb.2096:
	s_cmp_lt_i32 s2, 8
	s_cbranch_scc1 .LBB135_2106
; %bb.2097:
	s_cmp_lt_i32 s2, 9
	s_cbranch_scc1 .LBB135_2103
; %bb.2098:
	s_cmp_gt_i32 s2, 9
	s_cbranch_scc0 .LBB135_2100
; %bb.2099:
	v_mov_b32_e32 v2, 0
	s_waitcnt vmcnt(0)
	v_mov_b32_e32 v3, v2
	global_store_dwordx4 v[4:5], v[0:3], off
	s_mov_b64 s[0:1], 0
.LBB135_2100:
	s_andn2_b64 vcc, exec, s[0:1]
	s_cbranch_vccnz .LBB135_2102
; %bb.2101:
	s_waitcnt vmcnt(0)
	v_cvt_f32_f64_e32 v2, v[0:1]
	v_mov_b32_e32 v3, 0
	global_store_dwordx2 v[4:5], v[2:3], off
.LBB135_2102:
	s_mov_b64 s[0:1], 0
.LBB135_2103:
	s_andn2_b64 vcc, exec, s[0:1]
	s_cbranch_vccnz .LBB135_2105
; %bb.2104:
	s_movk_i32 s0, 0x1ff
	s_waitcnt vmcnt(0)
	v_and_or_b32 v2, v1, s0, v0
	v_cmp_ne_u32_e32 vcc, 0, v2
	v_cndmask_b32_e64 v2, 0, 1, vcc
	v_lshrrev_b32_e32 v3, 8, v1
	s_movk_i32 s0, 0xffe
	v_bfe_u32 v6, v1, 20, 11
	v_and_or_b32 v2, v3, s0, v2
	v_sub_u32_e32 v7, 0x3f1, v6
	v_or_b32_e32 v3, 0x1000, v2
	v_med3_i32 v7, v7, 0, 13
	v_lshrrev_b32_e32 v8, v7, v3
	v_lshlrev_b32_e32 v7, v7, v8
	v_cmp_ne_u32_e32 vcc, v7, v3
	v_cndmask_b32_e64 v3, 0, 1, vcc
	v_add_u32_e32 v6, 0xfffffc10, v6
	v_or_b32_e32 v3, v8, v3
	v_lshl_or_b32 v7, v6, 12, v2
	v_cmp_gt_i32_e32 vcc, 1, v6
	v_cndmask_b32_e32 v3, v7, v3, vcc
	v_and_b32_e32 v7, 7, v3
	v_cmp_lt_i32_e32 vcc, 5, v7
	v_cndmask_b32_e64 v8, 0, 1, vcc
	v_cmp_eq_u32_e32 vcc, 3, v7
	v_cndmask_b32_e64 v7, 0, 1, vcc
	v_or_b32_e32 v7, v7, v8
	v_lshrrev_b32_e32 v3, 2, v3
	v_add_u32_e32 v3, v3, v7
	v_mov_b32_e32 v7, 0x7c00
	v_cmp_gt_i32_e32 vcc, 31, v6
	v_cndmask_b32_e32 v3, v7, v3, vcc
	v_mov_b32_e32 v8, 0x7e00
	v_cmp_ne_u32_e32 vcc, 0, v2
	s_movk_i32 s0, 0x40f
	v_cndmask_b32_e32 v2, v7, v8, vcc
	v_cmp_eq_u32_e32 vcc, s0, v6
	v_cndmask_b32_e32 v2, v3, v2, vcc
	v_lshrrev_b32_e32 v3, 16, v1
	s_mov_b32 s0, 0x8000
	v_and_or_b32 v2, v3, s0, v2
	v_and_b32_e32 v2, 0xffff, v2
	global_store_dword v[4:5], v2, off
.LBB135_2105:
	s_mov_b64 s[0:1], 0
.LBB135_2106:
	s_andn2_b64 vcc, exec, s[0:1]
	s_cbranch_vccnz .LBB135_2115
; %bb.2107:
	s_sext_i32_i16 s2, s20
	s_cmp_lt_i32 s2, 6
	s_mov_b64 s[0:1], -1
	s_cbranch_scc1 .LBB135_2113
; %bb.2108:
	s_cmp_gt_i32 s2, 6
	s_cbranch_scc0 .LBB135_2110
; %bb.2109:
	s_waitcnt vmcnt(0)
	global_store_dwordx2 v[4:5], v[0:1], off
	s_mov_b64 s[0:1], 0
.LBB135_2110:
	s_andn2_b64 vcc, exec, s[0:1]
	s_cbranch_vccnz .LBB135_2112
; %bb.2111:
	s_waitcnt vmcnt(0)
	v_cvt_f32_f64_e32 v2, v[0:1]
	global_store_dword v[4:5], v2, off
.LBB135_2112:
	s_mov_b64 s[0:1], 0
.LBB135_2113:
	s_andn2_b64 vcc, exec, s[0:1]
	s_cbranch_vccnz .LBB135_2115
; %bb.2114:
	s_movk_i32 s0, 0x1ff
	s_waitcnt vmcnt(0)
	v_and_or_b32 v2, v1, s0, v0
	v_cmp_ne_u32_e32 vcc, 0, v2
	v_cndmask_b32_e64 v2, 0, 1, vcc
	v_lshrrev_b32_e32 v3, 8, v1
	s_movk_i32 s0, 0xffe
	v_bfe_u32 v6, v1, 20, 11
	v_and_or_b32 v2, v3, s0, v2
	v_sub_u32_e32 v7, 0x3f1, v6
	v_or_b32_e32 v3, 0x1000, v2
	v_med3_i32 v7, v7, 0, 13
	v_lshrrev_b32_e32 v8, v7, v3
	v_lshlrev_b32_e32 v7, v7, v8
	v_cmp_ne_u32_e32 vcc, v7, v3
	v_cndmask_b32_e64 v3, 0, 1, vcc
	v_add_u32_e32 v6, 0xfffffc10, v6
	v_or_b32_e32 v3, v8, v3
	v_lshl_or_b32 v7, v6, 12, v2
	v_cmp_gt_i32_e32 vcc, 1, v6
	v_cndmask_b32_e32 v3, v7, v3, vcc
	v_and_b32_e32 v7, 7, v3
	v_cmp_lt_i32_e32 vcc, 5, v7
	v_cndmask_b32_e64 v8, 0, 1, vcc
	v_cmp_eq_u32_e32 vcc, 3, v7
	v_cndmask_b32_e64 v7, 0, 1, vcc
	v_or_b32_e32 v7, v7, v8
	v_lshrrev_b32_e32 v3, 2, v3
	v_add_u32_e32 v3, v3, v7
	v_mov_b32_e32 v7, 0x7c00
	v_cmp_gt_i32_e32 vcc, 31, v6
	v_cndmask_b32_e32 v3, v7, v3, vcc
	v_mov_b32_e32 v8, 0x7e00
	v_cmp_ne_u32_e32 vcc, 0, v2
	s_movk_i32 s0, 0x40f
	v_cndmask_b32_e32 v2, v7, v8, vcc
	v_cmp_eq_u32_e32 vcc, s0, v6
	v_cndmask_b32_e32 v2, v3, v2, vcc
	v_lshrrev_b32_e32 v3, 16, v1
	s_mov_b32 s0, 0x8000
	v_and_or_b32 v2, v3, s0, v2
	global_store_short v[4:5], v2, off
.LBB135_2115:
	s_mov_b64 s[0:1], 0
.LBB135_2116:
	s_andn2_b64 vcc, exec, s[0:1]
	s_cbranch_vccnz .LBB135_2132
; %bb.2117:
	s_sext_i32_i16 s2, s20
	s_cmp_lt_i32 s2, 2
	s_mov_b64 s[0:1], -1
	s_cbranch_scc1 .LBB135_2127
; %bb.2118:
	s_cmp_lt_i32 s2, 3
	s_cbranch_scc1 .LBB135_2124
; %bb.2119:
	s_cmp_gt_i32 s2, 3
	s_cbranch_scc0 .LBB135_2121
; %bb.2120:
	s_waitcnt vmcnt(0)
	v_trunc_f64_e32 v[2:3], v[0:1]
	s_movk_i32 s0, 0xffe0
	v_ldexp_f64 v[6:7], v[2:3], s0
	s_mov_b32 s0, 0
	s_mov_b32 s1, 0xc1f00000
	v_floor_f64_e32 v[6:7], v[6:7]
	v_fma_f64 v[2:3], v[6:7], s[0:1], v[2:3]
	v_cvt_i32_f64_e32 v7, v[6:7]
	s_mov_b64 s[0:1], 0
	v_cvt_u32_f64_e32 v6, v[2:3]
	global_store_dwordx2 v[4:5], v[6:7], off
.LBB135_2121:
	s_andn2_b64 vcc, exec, s[0:1]
	s_cbranch_vccnz .LBB135_2123
; %bb.2122:
	s_waitcnt vmcnt(0)
	v_cvt_i32_f64_e32 v2, v[0:1]
	global_store_dword v[4:5], v2, off
.LBB135_2123:
	s_mov_b64 s[0:1], 0
.LBB135_2124:
	s_andn2_b64 vcc, exec, s[0:1]
	s_cbranch_vccnz .LBB135_2126
; %bb.2125:
	s_waitcnt vmcnt(0)
	v_cvt_i32_f64_e32 v2, v[0:1]
	global_store_short v[4:5], v2, off
.LBB135_2126:
	s_mov_b64 s[0:1], 0
.LBB135_2127:
	s_andn2_b64 vcc, exec, s[0:1]
	s_cbranch_vccnz .LBB135_2132
; %bb.2128:
	s_sext_i32_i16 s0, s20
	s_cmp_gt_i32 s0, 0
	s_mov_b64 s[0:1], -1
	s_cbranch_scc0 .LBB135_2130
; %bb.2129:
	s_waitcnt vmcnt(0)
	v_cvt_i32_f64_e32 v2, v[0:1]
	s_mov_b64 s[0:1], 0
	global_store_byte v[4:5], v2, off
.LBB135_2130:
	s_andn2_b64 vcc, exec, s[0:1]
	s_cbranch_vccnz .LBB135_2132
; %bb.2131:
	s_waitcnt vmcnt(0)
	v_trunc_f64_e32 v[0:1], v[0:1]
	s_movk_i32 s0, 0xffe0
	v_ldexp_f64 v[2:3], v[0:1], s0
	s_mov_b32 s0, 0
	s_mov_b32 s1, 0xc1f00000
	v_floor_f64_e32 v[2:3], v[2:3]
	v_fma_f64 v[0:1], v[2:3], s[0:1], v[0:1]
	v_cvt_u32_f64_e32 v0, v[0:1]
	global_store_byte v[4:5], v0, off
	s_endpgm
.LBB135_2132:
	s_endpgm
.LBB135_2133:
	s_mov_b64 s[4:5], 0
	s_mov_b64 s[0:1], -1
	s_branch .LBB135_2089
.LBB135_2134:
	s_trap 2
	s_or_b64 s[2:3], s[2:3], exec
	s_cbranch_execz .LBB135_1603
	s_branch .LBB135_1604
.LBB135_2135:
	s_andn2_saveexec_b64 s[18:19], s[18:19]
	s_cbranch_execz .LBB135_1683
.LBB135_2136:
	s_mov_b32 s22, 0x46000000
	v_add_f32_e64 v3, |v2|, s22
	v_and_b32_e32 v3, 0xff, v3
	v_cmp_ne_u32_e32 vcc, 0, v3
	s_andn2_b64 s[16:17], s[16:17], exec
	s_and_b64 s[22:23], vcc, exec
	s_or_b64 s[16:17], s[16:17], s[22:23]
	s_or_b64 exec, exec, s[18:19]
	v_mov_b32_e32 v5, 0
	s_and_saveexec_b64 s[18:19], s[16:17]
	s_cbranch_execnz .LBB135_1684
	s_branch .LBB135_1685
.LBB135_2137:
	s_trap 2
	s_or_b64 s[2:3], s[2:3], exec
	s_cbranch_execz .LBB135_1731
	s_branch .LBB135_1732
.LBB135_2138:
	s_andn2_saveexec_b64 s[16:17], s[16:17]
	s_cbranch_execz .LBB135_1696
.LBB135_2139:
	s_mov_b32 s18, 0x42800000
	v_add_f32_e64 v3, |v2|, s18
	v_and_b32_e32 v3, 0xff, v3
	v_cmp_ne_u32_e32 vcc, 0, v3
	s_andn2_b64 s[14:15], s[14:15], exec
	s_and_b64 s[18:19], vcc, exec
	s_or_b64 s[14:15], s[14:15], s[18:19]
	s_or_b64 exec, exec, s[16:17]
	v_mov_b32_e32 v5, 0
	s_and_saveexec_b64 s[16:17], s[14:15]
	s_cbranch_execnz .LBB135_1697
	s_branch .LBB135_1698
.LBB135_2140:
	s_andn2_saveexec_b64 s[18:19], s[18:19]
	s_cbranch_execz .LBB135_1802
.LBB135_2141:
	s_mov_b32 s22, 0x46000000
	v_add_f32_e64 v3, |v2|, s22
	v_and_b32_e32 v3, 0xff, v3
	v_cmp_ne_u32_e32 vcc, 0, v3
	s_andn2_b64 s[16:17], s[16:17], exec
	s_and_b64 s[22:23], vcc, exec
	s_or_b64 s[16:17], s[16:17], s[22:23]
	s_or_b64 exec, exec, s[18:19]
	v_mov_b32_e32 v5, 0
	s_and_saveexec_b64 s[18:19], s[16:17]
	s_cbranch_execnz .LBB135_1803
	s_branch .LBB135_1804
.LBB135_2142:
	s_trap 2
	s_or_b64 s[2:3], s[2:3], exec
	s_cbranch_execz .LBB135_1850
	s_branch .LBB135_1851
.LBB135_2143:
	s_andn2_saveexec_b64 s[16:17], s[16:17]
	s_cbranch_execz .LBB135_1815
.LBB135_2144:
	s_mov_b32 s18, 0x42800000
	v_add_f32_e64 v3, |v2|, s18
	v_and_b32_e32 v3, 0xff, v3
	v_cmp_ne_u32_e32 vcc, 0, v3
	s_andn2_b64 s[14:15], s[14:15], exec
	s_and_b64 s[18:19], vcc, exec
	s_or_b64 s[14:15], s[14:15], s[18:19]
	s_or_b64 exec, exec, s[16:17]
	v_mov_b32_e32 v5, 0
	s_and_saveexec_b64 s[16:17], s[14:15]
	s_cbranch_execnz .LBB135_1816
	s_branch .LBB135_1817
.LBB135_2145:
	s_andn2_saveexec_b64 s[18:19], s[18:19]
	s_cbranch_execz .LBB135_1921
.LBB135_2146:
	s_mov_b32 s22, 0x46000000
	v_add_f32_e64 v3, |v2|, s22
	v_and_b32_e32 v3, 0xff, v3
	v_cmp_ne_u32_e32 vcc, 0, v3
	s_andn2_b64 s[16:17], s[16:17], exec
	s_and_b64 s[22:23], vcc, exec
	s_or_b64 s[16:17], s[16:17], s[22:23]
	s_or_b64 exec, exec, s[18:19]
	v_mov_b32_e32 v7, 0
	s_and_saveexec_b64 s[18:19], s[16:17]
	s_cbranch_execnz .LBB135_1922
	s_branch .LBB135_1923
.LBB135_2147:
	s_trap 2
	s_or_b64 s[2:3], s[2:3], exec
	s_cbranch_execz .LBB135_1969
	s_branch .LBB135_1970
.LBB135_2148:
	s_andn2_saveexec_b64 s[16:17], s[16:17]
	s_cbranch_execz .LBB135_1934
.LBB135_2149:
	s_mov_b32 s18, 0x42800000
	v_add_f32_e64 v3, |v2|, s18
	v_and_b32_e32 v3, 0xff, v3
	v_cmp_ne_u32_e32 vcc, 0, v3
	s_andn2_b64 s[14:15], s[14:15], exec
	s_and_b64 s[18:19], vcc, exec
	s_or_b64 s[14:15], s[14:15], s[18:19]
	s_or_b64 exec, exec, s[16:17]
	v_mov_b32_e32 v7, 0
	s_and_saveexec_b64 s[16:17], s[14:15]
	s_cbranch_execnz .LBB135_1935
	s_branch .LBB135_1936
.LBB135_2150:
	s_andn2_saveexec_b64 s[10:11], s[10:11]
	s_cbranch_execz .LBB135_2041
.LBB135_2151:
	s_mov_b32 s12, 0x46000000
	v_add_f32_e64 v3, |v2|, s12
	v_and_b32_e32 v3, 0xff, v3
	v_cmp_ne_u32_e32 vcc, 0, v3
	s_andn2_b64 s[8:9], s[8:9], exec
	s_and_b64 s[12:13], vcc, exec
	s_or_b64 s[8:9], s[8:9], s[12:13]
	s_or_b64 exec, exec, s[10:11]
	v_mov_b32_e32 v6, 0
	s_and_saveexec_b64 s[10:11], s[8:9]
	s_cbranch_execnz .LBB135_2042
	s_branch .LBB135_2043
.LBB135_2152:
	s_mov_b64 s[4:5], 0
	s_or_b64 s[2:3], s[2:3], exec
	s_trap 2
	s_branch .LBB135_2087
.LBB135_2153:
	s_andn2_saveexec_b64 s[8:9], s[8:9]
	s_cbranch_execz .LBB135_2053
.LBB135_2154:
	s_mov_b32 s10, 0x42800000
	v_add_f32_e64 v3, |v2|, s10
	v_and_b32_e32 v3, 0xff, v3
	v_cmp_ne_u32_e32 vcc, 0, v3
	s_andn2_b64 s[6:7], s[6:7], exec
	s_and_b64 s[10:11], vcc, exec
	s_or_b64 s[6:7], s[6:7], s[10:11]
	s_or_b64 exec, exec, s[8:9]
	v_mov_b32_e32 v6, 0
	s_and_saveexec_b64 s[8:9], s[6:7]
	s_cbranch_execnz .LBB135_2054
	s_branch .LBB135_2055
	.section	.rodata,"a",@progbits
	.p2align	6, 0x0
	.amdhsa_kernel _ZN2at6native32elementwise_kernel_manual_unrollILi128ELi4EZNS0_15gpu_kernel_implINS0_13BUnaryFunctorIdddZNS0_12_GLOBAL__N_121threshold_kernel_implIdEEvRNS_18TensorIteratorBaseET_S8_EUlddE_EEEEvS7_RKS8_EUlibE0_EEviT1_
		.amdhsa_group_segment_fixed_size 0
		.amdhsa_private_segment_fixed_size 0
		.amdhsa_kernarg_size 384
		.amdhsa_user_sgpr_count 6
		.amdhsa_user_sgpr_private_segment_buffer 1
		.amdhsa_user_sgpr_dispatch_ptr 0
		.amdhsa_user_sgpr_queue_ptr 0
		.amdhsa_user_sgpr_kernarg_segment_ptr 1
		.amdhsa_user_sgpr_dispatch_id 0
		.amdhsa_user_sgpr_flat_scratch_init 0
		.amdhsa_user_sgpr_private_segment_size 0
		.amdhsa_uses_dynamic_stack 0
		.amdhsa_system_sgpr_private_segment_wavefront_offset 0
		.amdhsa_system_sgpr_workgroup_id_x 1
		.amdhsa_system_sgpr_workgroup_id_y 0
		.amdhsa_system_sgpr_workgroup_id_z 0
		.amdhsa_system_sgpr_workgroup_info 0
		.amdhsa_system_vgpr_workitem_id 0
		.amdhsa_next_free_vgpr 19
		.amdhsa_next_free_sgpr 84
		.amdhsa_reserve_vcc 1
		.amdhsa_reserve_flat_scratch 0
		.amdhsa_float_round_mode_32 0
		.amdhsa_float_round_mode_16_64 0
		.amdhsa_float_denorm_mode_32 3
		.amdhsa_float_denorm_mode_16_64 3
		.amdhsa_dx10_clamp 1
		.amdhsa_ieee_mode 1
		.amdhsa_fp16_overflow 0
		.amdhsa_exception_fp_ieee_invalid_op 0
		.amdhsa_exception_fp_denorm_src 0
		.amdhsa_exception_fp_ieee_div_zero 0
		.amdhsa_exception_fp_ieee_overflow 0
		.amdhsa_exception_fp_ieee_underflow 0
		.amdhsa_exception_fp_ieee_inexact 0
		.amdhsa_exception_int_div_zero 0
	.end_amdhsa_kernel
	.section	.text._ZN2at6native32elementwise_kernel_manual_unrollILi128ELi4EZNS0_15gpu_kernel_implINS0_13BUnaryFunctorIdddZNS0_12_GLOBAL__N_121threshold_kernel_implIdEEvRNS_18TensorIteratorBaseET_S8_EUlddE_EEEEvS7_RKS8_EUlibE0_EEviT1_,"axG",@progbits,_ZN2at6native32elementwise_kernel_manual_unrollILi128ELi4EZNS0_15gpu_kernel_implINS0_13BUnaryFunctorIdddZNS0_12_GLOBAL__N_121threshold_kernel_implIdEEvRNS_18TensorIteratorBaseET_S8_EUlddE_EEEEvS7_RKS8_EUlibE0_EEviT1_,comdat
.Lfunc_end135:
	.size	_ZN2at6native32elementwise_kernel_manual_unrollILi128ELi4EZNS0_15gpu_kernel_implINS0_13BUnaryFunctorIdddZNS0_12_GLOBAL__N_121threshold_kernel_implIdEEvRNS_18TensorIteratorBaseET_S8_EUlddE_EEEEvS7_RKS8_EUlibE0_EEviT1_, .Lfunc_end135-_ZN2at6native32elementwise_kernel_manual_unrollILi128ELi4EZNS0_15gpu_kernel_implINS0_13BUnaryFunctorIdddZNS0_12_GLOBAL__N_121threshold_kernel_implIdEEvRNS_18TensorIteratorBaseET_S8_EUlddE_EEEEvS7_RKS8_EUlibE0_EEviT1_
                                        ; -- End function
	.set _ZN2at6native32elementwise_kernel_manual_unrollILi128ELi4EZNS0_15gpu_kernel_implINS0_13BUnaryFunctorIdddZNS0_12_GLOBAL__N_121threshold_kernel_implIdEEvRNS_18TensorIteratorBaseET_S8_EUlddE_EEEEvS7_RKS8_EUlibE0_EEviT1_.num_vgpr, 19
	.set _ZN2at6native32elementwise_kernel_manual_unrollILi128ELi4EZNS0_15gpu_kernel_implINS0_13BUnaryFunctorIdddZNS0_12_GLOBAL__N_121threshold_kernel_implIdEEvRNS_18TensorIteratorBaseET_S8_EUlddE_EEEEvS7_RKS8_EUlibE0_EEviT1_.num_agpr, 0
	.set _ZN2at6native32elementwise_kernel_manual_unrollILi128ELi4EZNS0_15gpu_kernel_implINS0_13BUnaryFunctorIdddZNS0_12_GLOBAL__N_121threshold_kernel_implIdEEvRNS_18TensorIteratorBaseET_S8_EUlddE_EEEEvS7_RKS8_EUlibE0_EEviT1_.numbered_sgpr, 84
	.set _ZN2at6native32elementwise_kernel_manual_unrollILi128ELi4EZNS0_15gpu_kernel_implINS0_13BUnaryFunctorIdddZNS0_12_GLOBAL__N_121threshold_kernel_implIdEEvRNS_18TensorIteratorBaseET_S8_EUlddE_EEEEvS7_RKS8_EUlibE0_EEviT1_.num_named_barrier, 0
	.set _ZN2at6native32elementwise_kernel_manual_unrollILi128ELi4EZNS0_15gpu_kernel_implINS0_13BUnaryFunctorIdddZNS0_12_GLOBAL__N_121threshold_kernel_implIdEEvRNS_18TensorIteratorBaseET_S8_EUlddE_EEEEvS7_RKS8_EUlibE0_EEviT1_.private_seg_size, 0
	.set _ZN2at6native32elementwise_kernel_manual_unrollILi128ELi4EZNS0_15gpu_kernel_implINS0_13BUnaryFunctorIdddZNS0_12_GLOBAL__N_121threshold_kernel_implIdEEvRNS_18TensorIteratorBaseET_S8_EUlddE_EEEEvS7_RKS8_EUlibE0_EEviT1_.uses_vcc, 1
	.set _ZN2at6native32elementwise_kernel_manual_unrollILi128ELi4EZNS0_15gpu_kernel_implINS0_13BUnaryFunctorIdddZNS0_12_GLOBAL__N_121threshold_kernel_implIdEEvRNS_18TensorIteratorBaseET_S8_EUlddE_EEEEvS7_RKS8_EUlibE0_EEviT1_.uses_flat_scratch, 0
	.set _ZN2at6native32elementwise_kernel_manual_unrollILi128ELi4EZNS0_15gpu_kernel_implINS0_13BUnaryFunctorIdddZNS0_12_GLOBAL__N_121threshold_kernel_implIdEEvRNS_18TensorIteratorBaseET_S8_EUlddE_EEEEvS7_RKS8_EUlibE0_EEviT1_.has_dyn_sized_stack, 0
	.set _ZN2at6native32elementwise_kernel_manual_unrollILi128ELi4EZNS0_15gpu_kernel_implINS0_13BUnaryFunctorIdddZNS0_12_GLOBAL__N_121threshold_kernel_implIdEEvRNS_18TensorIteratorBaseET_S8_EUlddE_EEEEvS7_RKS8_EUlibE0_EEviT1_.has_recursion, 0
	.set _ZN2at6native32elementwise_kernel_manual_unrollILi128ELi4EZNS0_15gpu_kernel_implINS0_13BUnaryFunctorIdddZNS0_12_GLOBAL__N_121threshold_kernel_implIdEEvRNS_18TensorIteratorBaseET_S8_EUlddE_EEEEvS7_RKS8_EUlibE0_EEviT1_.has_indirect_call, 0
	.section	.AMDGPU.csdata,"",@progbits
; Kernel info:
; codeLenInByte = 40952
; TotalNumSgprs: 88
; NumVgprs: 19
; ScratchSize: 0
; MemoryBound: 1
; FloatMode: 240
; IeeeMode: 1
; LDSByteSize: 0 bytes/workgroup (compile time only)
; SGPRBlocks: 10
; VGPRBlocks: 4
; NumSGPRsForWavesPerEU: 88
; NumVGPRsForWavesPerEU: 19
; Occupancy: 9
; WaveLimiterHint : 1
; COMPUTE_PGM_RSRC2:SCRATCH_EN: 0
; COMPUTE_PGM_RSRC2:USER_SGPR: 6
; COMPUTE_PGM_RSRC2:TRAP_HANDLER: 0
; COMPUTE_PGM_RSRC2:TGID_X_EN: 1
; COMPUTE_PGM_RSRC2:TGID_Y_EN: 0
; COMPUTE_PGM_RSRC2:TGID_Z_EN: 0
; COMPUTE_PGM_RSRC2:TIDIG_COMP_CNT: 0
	.section	.text._ZN2at6native29vectorized_elementwise_kernelILi16ENS0_13BinaryFunctorIdddZNS0_12_GLOBAL__N_121threshold_kernel_implIdEEvRNS_18TensorIteratorBaseET_S7_EUlddE_EESt5arrayIPcLm3EEEEviT0_T1_,"axG",@progbits,_ZN2at6native29vectorized_elementwise_kernelILi16ENS0_13BinaryFunctorIdddZNS0_12_GLOBAL__N_121threshold_kernel_implIdEEvRNS_18TensorIteratorBaseET_S7_EUlddE_EESt5arrayIPcLm3EEEEviT0_T1_,comdat
	.globl	_ZN2at6native29vectorized_elementwise_kernelILi16ENS0_13BinaryFunctorIdddZNS0_12_GLOBAL__N_121threshold_kernel_implIdEEvRNS_18TensorIteratorBaseET_S7_EUlddE_EESt5arrayIPcLm3EEEEviT0_T1_ ; -- Begin function _ZN2at6native29vectorized_elementwise_kernelILi16ENS0_13BinaryFunctorIdddZNS0_12_GLOBAL__N_121threshold_kernel_implIdEEvRNS_18TensorIteratorBaseET_S7_EUlddE_EESt5arrayIPcLm3EEEEviT0_T1_
	.p2align	8
	.type	_ZN2at6native29vectorized_elementwise_kernelILi16ENS0_13BinaryFunctorIdddZNS0_12_GLOBAL__N_121threshold_kernel_implIdEEvRNS_18TensorIteratorBaseET_S7_EUlddE_EESt5arrayIPcLm3EEEEviT0_T1_,@function
_ZN2at6native29vectorized_elementwise_kernelILi16ENS0_13BinaryFunctorIdddZNS0_12_GLOBAL__N_121threshold_kernel_implIdEEvRNS_18TensorIteratorBaseET_S7_EUlddE_EESt5arrayIPcLm3EEEEviT0_T1_: ; @_ZN2at6native29vectorized_elementwise_kernelILi16ENS0_13BinaryFunctorIdddZNS0_12_GLOBAL__N_121threshold_kernel_implIdEEvRNS_18TensorIteratorBaseET_S7_EUlddE_EESt5arrayIPcLm3EEEEviT0_T1_
; %bb.0:
	s_load_dword s0, s[4:5], 0x0
	s_load_dwordx8 s[8:15], s[4:5], 0x8
	s_load_dwordx2 s[16:17], s[4:5], 0x28
	s_lshl_b32 s6, s6, 10
	s_waitcnt lgkmcnt(0)
	s_sub_i32 s18, s0, s6
	s_cmpk_gt_i32 s18, 0x3ff
	s_mov_b64 s[0:1], -1
	s_cbranch_scc0 .LBB136_2
; %bb.1:
	s_ashr_i32 s7, s6, 31
	s_lshl_b64 s[0:1], s[6:7], 3
	s_add_u32 s2, s14, s0
	s_addc_u32 s3, s15, s1
	v_lshlrev_b32_e32 v17, 5, v0
	global_load_dwordx4 v[1:4], v17, s[2:3]
	global_load_dwordx4 v[5:8], v17, s[2:3] offset:16
	s_add_u32 s2, s16, s0
	s_addc_u32 s3, s17, s1
	global_load_dwordx4 v[9:12], v17, s[2:3]
	global_load_dwordx4 v[13:16], v17, s[2:3] offset:16
	s_add_u32 s20, s12, s0
	s_addc_u32 s21, s13, s1
	v_mov_b32_e32 v18, s11
	v_mov_b32_e32 v19, s10
	s_waitcnt vmcnt(3)
	v_cmp_nge_f64_e32 vcc, s[8:9], v[1:2]
	v_cmp_nge_f64_e64 s[0:1], s[8:9], v[3:4]
	s_waitcnt vmcnt(2)
	v_cmp_nge_f64_e64 s[2:3], s[8:9], v[5:6]
	v_cmp_nge_f64_e64 s[4:5], s[8:9], v[7:8]
	s_waitcnt vmcnt(1)
	v_cndmask_b32_e32 v2, v18, v10, vcc
	v_cndmask_b32_e64 v4, v18, v12, s[0:1]
	v_cndmask_b32_e32 v1, v19, v9, vcc
	v_cndmask_b32_e64 v3, v19, v11, s[0:1]
	s_waitcnt vmcnt(0)
	v_cndmask_b32_e64 v6, v18, v14, s[2:3]
	v_cndmask_b32_e64 v8, v18, v16, s[4:5]
	;; [unrolled: 1-line block ×4, first 2 shown]
	global_store_dwordx4 v17, v[1:4], s[20:21]
	global_store_dwordx4 v17, v[5:8], s[20:21] offset:16
	s_mov_b64 s[0:1], 0
.LBB136_2:
	s_andn2_b64 vcc, exec, s[0:1]
	s_cbranch_vccnz .LBB136_15
; %bb.3:
	v_mov_b32_e32 v1, 0
	v_mov_b32_e32 v11, 0
	;; [unrolled: 1-line block ×3, first 2 shown]
	v_cmp_gt_i32_e32 vcc, s18, v0
	v_mov_b32_e32 v2, 0
	v_or_b32_e32 v3, s6, v0
	v_mov_b32_e32 v12, 0
	v_mov_b32_e32 v8, 0
	;; [unrolled: 1-line block ×3, first 2 shown]
	s_and_saveexec_b64 s[2:3], vcc
	s_cbranch_execz .LBB136_5
; %bb.4:
	v_mov_b32_e32 v4, 0
	v_lshlrev_b64 v[4:5], 3, v[3:4]
	v_mov_b32_e32 v6, s17
	v_add_co_u32_e64 v9, s[0:1], s16, v4
	v_addc_co_u32_e64 v10, s[0:1], v6, v5, s[0:1]
	v_mov_b32_e32 v6, s15
	v_add_co_u32_e64 v4, s[0:1], s14, v4
	v_addc_co_u32_e64 v5, s[0:1], v6, v5, s[0:1]
	global_load_dwordx2 v[11:12], v[4:5], off
	global_load_dwordx2 v[7:8], v[9:10], off
	v_or_b32_e32 v4, 0x100, v0
.LBB136_5:
	s_or_b64 exec, exec, s[2:3]
	v_mov_b32_e32 v9, 0
	v_mov_b32_e32 v10, 0
	v_cmp_gt_i32_e64 s[0:1], s18, v4
	s_and_saveexec_b64 s[2:3], s[0:1]
	s_cbranch_execz .LBB136_7
; %bb.6:
	v_add_u32_e32 v1, s6, v4
	v_mov_b32_e32 v2, 0
	v_lshlrev_b64 v[1:2], 3, v[1:2]
	v_mov_b32_e32 v6, s17
	v_add_co_u32_e64 v5, s[0:1], s16, v1
	v_addc_co_u32_e64 v6, s[0:1], v6, v2, s[0:1]
	v_mov_b32_e32 v9, s15
	v_add_co_u32_e64 v13, s[0:1], s14, v1
	v_addc_co_u32_e64 v14, s[0:1], v9, v2, s[0:1]
	global_load_dwordx2 v[1:2], v[13:14], off
	global_load_dwordx2 v[9:10], v[5:6], off
	v_add_u32_e32 v4, 0x100, v4
.LBB136_7:
	s_or_b64 exec, exec, s[2:3]
	v_mov_b32_e32 v5, 0
	v_mov_b32_e32 v17, 0
	;; [unrolled: 1-line block ×6, first 2 shown]
	v_cmp_gt_i32_e64 s[0:1], s18, v4
	s_and_saveexec_b64 s[2:3], s[0:1]
	s_cbranch_execz .LBB136_9
; %bb.8:
	v_add_u32_e32 v13, s6, v4
	v_mov_b32_e32 v14, 0
	v_lshlrev_b64 v[13:14], 3, v[13:14]
	v_mov_b32_e32 v16, s17
	v_add_co_u32_e64 v15, s[0:1], s16, v13
	v_addc_co_u32_e64 v16, s[0:1], v16, v14, s[0:1]
	v_mov_b32_e32 v17, s15
	v_add_co_u32_e64 v19, s[0:1], s14, v13
	v_addc_co_u32_e64 v20, s[0:1], v17, v14, s[0:1]
	global_load_dwordx2 v[17:18], v[19:20], off
	global_load_dwordx2 v[13:14], v[15:16], off
	v_add_u32_e32 v4, 0x100, v4
.LBB136_9:
	s_or_b64 exec, exec, s[2:3]
	v_mov_b32_e32 v15, 0
	v_mov_b32_e32 v16, 0
	v_cmp_gt_i32_e64 s[0:1], s18, v4
	s_and_saveexec_b64 s[2:3], s[0:1]
	s_cbranch_execnz .LBB136_16
; %bb.10:
	s_or_b64 exec, exec, s[2:3]
	s_and_saveexec_b64 s[0:1], vcc
	s_cbranch_execnz .LBB136_17
.LBB136_11:
	s_or_b64 exec, exec, s[0:1]
	v_cmp_gt_i32_e32 vcc, s18, v0
	s_and_saveexec_b64 s[0:1], vcc
	s_cbranch_execnz .LBB136_18
.LBB136_12:
	s_or_b64 exec, exec, s[0:1]
	v_cmp_gt_i32_e32 vcc, s18, v0
	s_and_saveexec_b64 s[0:1], vcc
	s_cbranch_execnz .LBB136_19
.LBB136_13:
	s_or_b64 exec, exec, s[0:1]
	v_cmp_gt_i32_e32 vcc, s18, v0
	s_and_saveexec_b64 s[0:1], vcc
	s_cbranch_execz .LBB136_15
.LBB136_14:
	s_waitcnt vmcnt(1)
	v_cmp_nge_f64_e32 vcc, s[8:9], v[5:6]
	v_add_u32_e32 v0, s6, v0
	v_mov_b32_e32 v1, 0
	v_lshlrev_b64 v[3:4], 3, v[0:1]
	v_mov_b32_e32 v2, s11
	v_mov_b32_e32 v5, s10
	;; [unrolled: 1-line block ×3, first 2 shown]
	s_waitcnt vmcnt(0)
	v_cndmask_b32_e32 v2, v2, v16, vcc
	v_cndmask_b32_e32 v1, v5, v15, vcc
	v_add_co_u32_e32 v3, vcc, s12, v3
	v_addc_co_u32_e32 v4, vcc, v6, v4, vcc
	global_store_dwordx2 v[3:4], v[1:2], off
.LBB136_15:
	s_endpgm
.LBB136_16:
	v_add_u32_e32 v4, s6, v4
	v_mov_b32_e32 v5, 0
	v_lshlrev_b64 v[4:5], 3, v[4:5]
	v_mov_b32_e32 v6, s17
	v_add_co_u32_e64 v19, s[0:1], s16, v4
	v_addc_co_u32_e64 v20, s[0:1], v6, v5, s[0:1]
	v_mov_b32_e32 v6, s15
	v_add_co_u32_e64 v21, s[0:1], s14, v4
	v_addc_co_u32_e64 v22, s[0:1], v6, v5, s[0:1]
	global_load_dwordx2 v[5:6], v[21:22], off
	global_load_dwordx2 v[15:16], v[19:20], off
	s_or_b64 exec, exec, s[2:3]
	s_and_saveexec_b64 s[0:1], vcc
	s_cbranch_execz .LBB136_11
.LBB136_17:
	s_waitcnt vmcnt(1)
	v_cmp_nge_f64_e32 vcc, s[8:9], v[11:12]
	v_mov_b32_e32 v4, 0
	v_lshlrev_b64 v[3:4], 3, v[3:4]
	v_mov_b32_e32 v19, s11
	v_mov_b32_e32 v11, s10
	v_mov_b32_e32 v12, s13
	v_or_b32_e32 v0, 0x100, v0
	s_waitcnt vmcnt(0)
	v_cndmask_b32_e32 v8, v19, v8, vcc
	v_cndmask_b32_e32 v7, v11, v7, vcc
	v_add_co_u32_e32 v3, vcc, s12, v3
	v_addc_co_u32_e32 v4, vcc, v12, v4, vcc
	global_store_dwordx2 v[3:4], v[7:8], off
	s_or_b64 exec, exec, s[0:1]
	v_cmp_gt_i32_e32 vcc, s18, v0
	s_and_saveexec_b64 s[0:1], vcc
	s_cbranch_execz .LBB136_12
.LBB136_18:
	s_waitcnt vmcnt(1)
	v_cmp_nge_f64_e32 vcc, s[8:9], v[1:2]
	v_add_u32_e32 v1, s6, v0
	v_mov_b32_e32 v2, 0
	s_waitcnt vmcnt(0)
	v_lshlrev_b64 v[7:8], 3, v[1:2]
	v_mov_b32_e32 v3, s11
	v_mov_b32_e32 v4, s10
	;; [unrolled: 1-line block ×3, first 2 shown]
	v_add_u32_e32 v0, 0x100, v0
	v_cndmask_b32_e32 v3, v3, v10, vcc
	v_cndmask_b32_e32 v2, v4, v9, vcc
	v_add_co_u32_e32 v7, vcc, s12, v7
	v_addc_co_u32_e32 v8, vcc, v11, v8, vcc
	global_store_dwordx2 v[7:8], v[2:3], off
	s_or_b64 exec, exec, s[0:1]
	v_cmp_gt_i32_e32 vcc, s18, v0
	s_and_saveexec_b64 s[0:1], vcc
	s_cbranch_execz .LBB136_13
.LBB136_19:
	s_waitcnt vmcnt(1)
	v_cmp_nge_f64_e32 vcc, s[8:9], v[17:18]
	v_add_u32_e32 v1, s6, v0
	v_mov_b32_e32 v2, 0
	s_waitcnt vmcnt(0)
	v_lshlrev_b64 v[7:8], 3, v[1:2]
	v_mov_b32_e32 v3, s11
	v_mov_b32_e32 v4, s10
	;; [unrolled: 1-line block ×3, first 2 shown]
	v_add_u32_e32 v0, 0x100, v0
	v_cndmask_b32_e32 v3, v3, v14, vcc
	v_cndmask_b32_e32 v2, v4, v13, vcc
	v_add_co_u32_e32 v7, vcc, s12, v7
	v_addc_co_u32_e32 v8, vcc, v9, v8, vcc
	global_store_dwordx2 v[7:8], v[2:3], off
	s_or_b64 exec, exec, s[0:1]
	v_cmp_gt_i32_e32 vcc, s18, v0
	s_and_saveexec_b64 s[0:1], vcc
	s_cbranch_execnz .LBB136_14
	s_branch .LBB136_15
	.section	.rodata,"a",@progbits
	.p2align	6, 0x0
	.amdhsa_kernel _ZN2at6native29vectorized_elementwise_kernelILi16ENS0_13BinaryFunctorIdddZNS0_12_GLOBAL__N_121threshold_kernel_implIdEEvRNS_18TensorIteratorBaseET_S7_EUlddE_EESt5arrayIPcLm3EEEEviT0_T1_
		.amdhsa_group_segment_fixed_size 0
		.amdhsa_private_segment_fixed_size 0
		.amdhsa_kernarg_size 48
		.amdhsa_user_sgpr_count 6
		.amdhsa_user_sgpr_private_segment_buffer 1
		.amdhsa_user_sgpr_dispatch_ptr 0
		.amdhsa_user_sgpr_queue_ptr 0
		.amdhsa_user_sgpr_kernarg_segment_ptr 1
		.amdhsa_user_sgpr_dispatch_id 0
		.amdhsa_user_sgpr_flat_scratch_init 0
		.amdhsa_user_sgpr_private_segment_size 0
		.amdhsa_uses_dynamic_stack 0
		.amdhsa_system_sgpr_private_segment_wavefront_offset 0
		.amdhsa_system_sgpr_workgroup_id_x 1
		.amdhsa_system_sgpr_workgroup_id_y 0
		.amdhsa_system_sgpr_workgroup_id_z 0
		.amdhsa_system_sgpr_workgroup_info 0
		.amdhsa_system_vgpr_workitem_id 0
		.amdhsa_next_free_vgpr 23
		.amdhsa_next_free_sgpr 22
		.amdhsa_reserve_vcc 1
		.amdhsa_reserve_flat_scratch 0
		.amdhsa_float_round_mode_32 0
		.amdhsa_float_round_mode_16_64 0
		.amdhsa_float_denorm_mode_32 3
		.amdhsa_float_denorm_mode_16_64 3
		.amdhsa_dx10_clamp 1
		.amdhsa_ieee_mode 1
		.amdhsa_fp16_overflow 0
		.amdhsa_exception_fp_ieee_invalid_op 0
		.amdhsa_exception_fp_denorm_src 0
		.amdhsa_exception_fp_ieee_div_zero 0
		.amdhsa_exception_fp_ieee_overflow 0
		.amdhsa_exception_fp_ieee_underflow 0
		.amdhsa_exception_fp_ieee_inexact 0
		.amdhsa_exception_int_div_zero 0
	.end_amdhsa_kernel
	.section	.text._ZN2at6native29vectorized_elementwise_kernelILi16ENS0_13BinaryFunctorIdddZNS0_12_GLOBAL__N_121threshold_kernel_implIdEEvRNS_18TensorIteratorBaseET_S7_EUlddE_EESt5arrayIPcLm3EEEEviT0_T1_,"axG",@progbits,_ZN2at6native29vectorized_elementwise_kernelILi16ENS0_13BinaryFunctorIdddZNS0_12_GLOBAL__N_121threshold_kernel_implIdEEvRNS_18TensorIteratorBaseET_S7_EUlddE_EESt5arrayIPcLm3EEEEviT0_T1_,comdat
.Lfunc_end136:
	.size	_ZN2at6native29vectorized_elementwise_kernelILi16ENS0_13BinaryFunctorIdddZNS0_12_GLOBAL__N_121threshold_kernel_implIdEEvRNS_18TensorIteratorBaseET_S7_EUlddE_EESt5arrayIPcLm3EEEEviT0_T1_, .Lfunc_end136-_ZN2at6native29vectorized_elementwise_kernelILi16ENS0_13BinaryFunctorIdddZNS0_12_GLOBAL__N_121threshold_kernel_implIdEEvRNS_18TensorIteratorBaseET_S7_EUlddE_EESt5arrayIPcLm3EEEEviT0_T1_
                                        ; -- End function
	.set _ZN2at6native29vectorized_elementwise_kernelILi16ENS0_13BinaryFunctorIdddZNS0_12_GLOBAL__N_121threshold_kernel_implIdEEvRNS_18TensorIteratorBaseET_S7_EUlddE_EESt5arrayIPcLm3EEEEviT0_T1_.num_vgpr, 23
	.set _ZN2at6native29vectorized_elementwise_kernelILi16ENS0_13BinaryFunctorIdddZNS0_12_GLOBAL__N_121threshold_kernel_implIdEEvRNS_18TensorIteratorBaseET_S7_EUlddE_EESt5arrayIPcLm3EEEEviT0_T1_.num_agpr, 0
	.set _ZN2at6native29vectorized_elementwise_kernelILi16ENS0_13BinaryFunctorIdddZNS0_12_GLOBAL__N_121threshold_kernel_implIdEEvRNS_18TensorIteratorBaseET_S7_EUlddE_EESt5arrayIPcLm3EEEEviT0_T1_.numbered_sgpr, 22
	.set _ZN2at6native29vectorized_elementwise_kernelILi16ENS0_13BinaryFunctorIdddZNS0_12_GLOBAL__N_121threshold_kernel_implIdEEvRNS_18TensorIteratorBaseET_S7_EUlddE_EESt5arrayIPcLm3EEEEviT0_T1_.num_named_barrier, 0
	.set _ZN2at6native29vectorized_elementwise_kernelILi16ENS0_13BinaryFunctorIdddZNS0_12_GLOBAL__N_121threshold_kernel_implIdEEvRNS_18TensorIteratorBaseET_S7_EUlddE_EESt5arrayIPcLm3EEEEviT0_T1_.private_seg_size, 0
	.set _ZN2at6native29vectorized_elementwise_kernelILi16ENS0_13BinaryFunctorIdddZNS0_12_GLOBAL__N_121threshold_kernel_implIdEEvRNS_18TensorIteratorBaseET_S7_EUlddE_EESt5arrayIPcLm3EEEEviT0_T1_.uses_vcc, 1
	.set _ZN2at6native29vectorized_elementwise_kernelILi16ENS0_13BinaryFunctorIdddZNS0_12_GLOBAL__N_121threshold_kernel_implIdEEvRNS_18TensorIteratorBaseET_S7_EUlddE_EESt5arrayIPcLm3EEEEviT0_T1_.uses_flat_scratch, 0
	.set _ZN2at6native29vectorized_elementwise_kernelILi16ENS0_13BinaryFunctorIdddZNS0_12_GLOBAL__N_121threshold_kernel_implIdEEvRNS_18TensorIteratorBaseET_S7_EUlddE_EESt5arrayIPcLm3EEEEviT0_T1_.has_dyn_sized_stack, 0
	.set _ZN2at6native29vectorized_elementwise_kernelILi16ENS0_13BinaryFunctorIdddZNS0_12_GLOBAL__N_121threshold_kernel_implIdEEvRNS_18TensorIteratorBaseET_S7_EUlddE_EESt5arrayIPcLm3EEEEviT0_T1_.has_recursion, 0
	.set _ZN2at6native29vectorized_elementwise_kernelILi16ENS0_13BinaryFunctorIdddZNS0_12_GLOBAL__N_121threshold_kernel_implIdEEvRNS_18TensorIteratorBaseET_S7_EUlddE_EESt5arrayIPcLm3EEEEviT0_T1_.has_indirect_call, 0
	.section	.AMDGPU.csdata,"",@progbits
; Kernel info:
; codeLenInByte = 1108
; TotalNumSgprs: 26
; NumVgprs: 23
; ScratchSize: 0
; MemoryBound: 0
; FloatMode: 240
; IeeeMode: 1
; LDSByteSize: 0 bytes/workgroup (compile time only)
; SGPRBlocks: 3
; VGPRBlocks: 5
; NumSGPRsForWavesPerEU: 26
; NumVGPRsForWavesPerEU: 23
; Occupancy: 10
; WaveLimiterHint : 0
; COMPUTE_PGM_RSRC2:SCRATCH_EN: 0
; COMPUTE_PGM_RSRC2:USER_SGPR: 6
; COMPUTE_PGM_RSRC2:TRAP_HANDLER: 0
; COMPUTE_PGM_RSRC2:TGID_X_EN: 1
; COMPUTE_PGM_RSRC2:TGID_Y_EN: 0
; COMPUTE_PGM_RSRC2:TGID_Z_EN: 0
; COMPUTE_PGM_RSRC2:TIDIG_COMP_CNT: 0
	.section	.text._ZN2at6native29vectorized_elementwise_kernelILi8ENS0_13BinaryFunctorIdddZNS0_12_GLOBAL__N_121threshold_kernel_implIdEEvRNS_18TensorIteratorBaseET_S7_EUlddE_EESt5arrayIPcLm3EEEEviT0_T1_,"axG",@progbits,_ZN2at6native29vectorized_elementwise_kernelILi8ENS0_13BinaryFunctorIdddZNS0_12_GLOBAL__N_121threshold_kernel_implIdEEvRNS_18TensorIteratorBaseET_S7_EUlddE_EESt5arrayIPcLm3EEEEviT0_T1_,comdat
	.globl	_ZN2at6native29vectorized_elementwise_kernelILi8ENS0_13BinaryFunctorIdddZNS0_12_GLOBAL__N_121threshold_kernel_implIdEEvRNS_18TensorIteratorBaseET_S7_EUlddE_EESt5arrayIPcLm3EEEEviT0_T1_ ; -- Begin function _ZN2at6native29vectorized_elementwise_kernelILi8ENS0_13BinaryFunctorIdddZNS0_12_GLOBAL__N_121threshold_kernel_implIdEEvRNS_18TensorIteratorBaseET_S7_EUlddE_EESt5arrayIPcLm3EEEEviT0_T1_
	.p2align	8
	.type	_ZN2at6native29vectorized_elementwise_kernelILi8ENS0_13BinaryFunctorIdddZNS0_12_GLOBAL__N_121threshold_kernel_implIdEEvRNS_18TensorIteratorBaseET_S7_EUlddE_EESt5arrayIPcLm3EEEEviT0_T1_,@function
_ZN2at6native29vectorized_elementwise_kernelILi8ENS0_13BinaryFunctorIdddZNS0_12_GLOBAL__N_121threshold_kernel_implIdEEvRNS_18TensorIteratorBaseET_S7_EUlddE_EESt5arrayIPcLm3EEEEviT0_T1_: ; @_ZN2at6native29vectorized_elementwise_kernelILi8ENS0_13BinaryFunctorIdddZNS0_12_GLOBAL__N_121threshold_kernel_implIdEEvRNS_18TensorIteratorBaseET_S7_EUlddE_EESt5arrayIPcLm3EEEEviT0_T1_
; %bb.0:
	s_load_dword s0, s[4:5], 0x0
	s_load_dwordx8 s[8:15], s[4:5], 0x8
	s_load_dwordx2 s[16:17], s[4:5], 0x28
	s_lshl_b32 s6, s6, 10
	s_waitcnt lgkmcnt(0)
	s_sub_i32 s18, s0, s6
	s_cmpk_gt_i32 s18, 0x3ff
	s_mov_b64 s[0:1], -1
	s_cbranch_scc0 .LBB137_2
; %bb.1:
	s_ashr_i32 s7, s6, 31
	s_lshl_b64 s[0:1], s[6:7], 3
	s_add_u32 s2, s14, s0
	s_addc_u32 s3, s15, s1
	v_lshlrev_b32_e32 v17, 5, v0
	global_load_dwordx4 v[1:4], v17, s[2:3]
	global_load_dwordx4 v[5:8], v17, s[2:3] offset:16
	s_add_u32 s2, s16, s0
	s_addc_u32 s3, s17, s1
	global_load_dwordx4 v[9:12], v17, s[2:3]
	global_load_dwordx4 v[13:16], v17, s[2:3] offset:16
	s_add_u32 s20, s12, s0
	s_addc_u32 s21, s13, s1
	v_mov_b32_e32 v18, s11
	v_mov_b32_e32 v19, s10
	s_waitcnt vmcnt(3)
	v_cmp_nge_f64_e32 vcc, s[8:9], v[1:2]
	v_cmp_nge_f64_e64 s[0:1], s[8:9], v[3:4]
	s_waitcnt vmcnt(2)
	v_cmp_nge_f64_e64 s[2:3], s[8:9], v[5:6]
	v_cmp_nge_f64_e64 s[4:5], s[8:9], v[7:8]
	s_waitcnt vmcnt(1)
	v_cndmask_b32_e32 v2, v18, v10, vcc
	v_cndmask_b32_e64 v4, v18, v12, s[0:1]
	v_cndmask_b32_e32 v1, v19, v9, vcc
	v_cndmask_b32_e64 v3, v19, v11, s[0:1]
	s_waitcnt vmcnt(0)
	v_cndmask_b32_e64 v6, v18, v14, s[2:3]
	v_cndmask_b32_e64 v8, v18, v16, s[4:5]
	;; [unrolled: 1-line block ×4, first 2 shown]
	global_store_dwordx4 v17, v[1:4], s[20:21]
	global_store_dwordx4 v17, v[5:8], s[20:21] offset:16
	s_mov_b64 s[0:1], 0
.LBB137_2:
	s_andn2_b64 vcc, exec, s[0:1]
	s_cbranch_vccnz .LBB137_15
; %bb.3:
	v_mov_b32_e32 v1, 0
	v_mov_b32_e32 v11, 0
	;; [unrolled: 1-line block ×3, first 2 shown]
	v_cmp_gt_i32_e32 vcc, s18, v0
	v_mov_b32_e32 v2, 0
	v_or_b32_e32 v3, s6, v0
	v_mov_b32_e32 v12, 0
	v_mov_b32_e32 v8, 0
	;; [unrolled: 1-line block ×3, first 2 shown]
	s_and_saveexec_b64 s[2:3], vcc
	s_cbranch_execz .LBB137_5
; %bb.4:
	v_mov_b32_e32 v4, 0
	v_lshlrev_b64 v[4:5], 3, v[3:4]
	v_mov_b32_e32 v6, s17
	v_add_co_u32_e64 v9, s[0:1], s16, v4
	v_addc_co_u32_e64 v10, s[0:1], v6, v5, s[0:1]
	v_mov_b32_e32 v6, s15
	v_add_co_u32_e64 v4, s[0:1], s14, v4
	v_addc_co_u32_e64 v5, s[0:1], v6, v5, s[0:1]
	global_load_dwordx2 v[11:12], v[4:5], off
	global_load_dwordx2 v[7:8], v[9:10], off
	v_or_b32_e32 v4, 0x100, v0
.LBB137_5:
	s_or_b64 exec, exec, s[2:3]
	v_mov_b32_e32 v9, 0
	v_mov_b32_e32 v10, 0
	v_cmp_gt_i32_e64 s[0:1], s18, v4
	s_and_saveexec_b64 s[2:3], s[0:1]
	s_cbranch_execz .LBB137_7
; %bb.6:
	v_add_u32_e32 v1, s6, v4
	v_mov_b32_e32 v2, 0
	v_lshlrev_b64 v[1:2], 3, v[1:2]
	v_mov_b32_e32 v6, s17
	v_add_co_u32_e64 v5, s[0:1], s16, v1
	v_addc_co_u32_e64 v6, s[0:1], v6, v2, s[0:1]
	v_mov_b32_e32 v9, s15
	v_add_co_u32_e64 v13, s[0:1], s14, v1
	v_addc_co_u32_e64 v14, s[0:1], v9, v2, s[0:1]
	global_load_dwordx2 v[1:2], v[13:14], off
	global_load_dwordx2 v[9:10], v[5:6], off
	v_add_u32_e32 v4, 0x100, v4
.LBB137_7:
	s_or_b64 exec, exec, s[2:3]
	v_mov_b32_e32 v5, 0
	v_mov_b32_e32 v17, 0
	;; [unrolled: 1-line block ×6, first 2 shown]
	v_cmp_gt_i32_e64 s[0:1], s18, v4
	s_and_saveexec_b64 s[2:3], s[0:1]
	s_cbranch_execz .LBB137_9
; %bb.8:
	v_add_u32_e32 v13, s6, v4
	v_mov_b32_e32 v14, 0
	v_lshlrev_b64 v[13:14], 3, v[13:14]
	v_mov_b32_e32 v16, s17
	v_add_co_u32_e64 v15, s[0:1], s16, v13
	v_addc_co_u32_e64 v16, s[0:1], v16, v14, s[0:1]
	v_mov_b32_e32 v17, s15
	v_add_co_u32_e64 v19, s[0:1], s14, v13
	v_addc_co_u32_e64 v20, s[0:1], v17, v14, s[0:1]
	global_load_dwordx2 v[17:18], v[19:20], off
	global_load_dwordx2 v[13:14], v[15:16], off
	v_add_u32_e32 v4, 0x100, v4
.LBB137_9:
	s_or_b64 exec, exec, s[2:3]
	v_mov_b32_e32 v15, 0
	v_mov_b32_e32 v16, 0
	v_cmp_gt_i32_e64 s[0:1], s18, v4
	s_and_saveexec_b64 s[2:3], s[0:1]
	s_cbranch_execnz .LBB137_16
; %bb.10:
	s_or_b64 exec, exec, s[2:3]
	s_and_saveexec_b64 s[0:1], vcc
	s_cbranch_execnz .LBB137_17
.LBB137_11:
	s_or_b64 exec, exec, s[0:1]
	v_cmp_gt_i32_e32 vcc, s18, v0
	s_and_saveexec_b64 s[0:1], vcc
	s_cbranch_execnz .LBB137_18
.LBB137_12:
	s_or_b64 exec, exec, s[0:1]
	v_cmp_gt_i32_e32 vcc, s18, v0
	s_and_saveexec_b64 s[0:1], vcc
	s_cbranch_execnz .LBB137_19
.LBB137_13:
	s_or_b64 exec, exec, s[0:1]
	v_cmp_gt_i32_e32 vcc, s18, v0
	s_and_saveexec_b64 s[0:1], vcc
	s_cbranch_execz .LBB137_15
.LBB137_14:
	s_waitcnt vmcnt(1)
	v_cmp_nge_f64_e32 vcc, s[8:9], v[5:6]
	v_add_u32_e32 v0, s6, v0
	v_mov_b32_e32 v1, 0
	v_lshlrev_b64 v[3:4], 3, v[0:1]
	v_mov_b32_e32 v2, s11
	v_mov_b32_e32 v5, s10
	;; [unrolled: 1-line block ×3, first 2 shown]
	s_waitcnt vmcnt(0)
	v_cndmask_b32_e32 v2, v2, v16, vcc
	v_cndmask_b32_e32 v1, v5, v15, vcc
	v_add_co_u32_e32 v3, vcc, s12, v3
	v_addc_co_u32_e32 v4, vcc, v6, v4, vcc
	global_store_dwordx2 v[3:4], v[1:2], off
.LBB137_15:
	s_endpgm
.LBB137_16:
	v_add_u32_e32 v4, s6, v4
	v_mov_b32_e32 v5, 0
	v_lshlrev_b64 v[4:5], 3, v[4:5]
	v_mov_b32_e32 v6, s17
	v_add_co_u32_e64 v19, s[0:1], s16, v4
	v_addc_co_u32_e64 v20, s[0:1], v6, v5, s[0:1]
	v_mov_b32_e32 v6, s15
	v_add_co_u32_e64 v21, s[0:1], s14, v4
	v_addc_co_u32_e64 v22, s[0:1], v6, v5, s[0:1]
	global_load_dwordx2 v[5:6], v[21:22], off
	global_load_dwordx2 v[15:16], v[19:20], off
	s_or_b64 exec, exec, s[2:3]
	s_and_saveexec_b64 s[0:1], vcc
	s_cbranch_execz .LBB137_11
.LBB137_17:
	s_waitcnt vmcnt(1)
	v_cmp_nge_f64_e32 vcc, s[8:9], v[11:12]
	v_mov_b32_e32 v4, 0
	v_lshlrev_b64 v[3:4], 3, v[3:4]
	v_mov_b32_e32 v19, s11
	v_mov_b32_e32 v11, s10
	;; [unrolled: 1-line block ×3, first 2 shown]
	v_or_b32_e32 v0, 0x100, v0
	s_waitcnt vmcnt(0)
	v_cndmask_b32_e32 v8, v19, v8, vcc
	v_cndmask_b32_e32 v7, v11, v7, vcc
	v_add_co_u32_e32 v3, vcc, s12, v3
	v_addc_co_u32_e32 v4, vcc, v12, v4, vcc
	global_store_dwordx2 v[3:4], v[7:8], off
	s_or_b64 exec, exec, s[0:1]
	v_cmp_gt_i32_e32 vcc, s18, v0
	s_and_saveexec_b64 s[0:1], vcc
	s_cbranch_execz .LBB137_12
.LBB137_18:
	s_waitcnt vmcnt(1)
	v_cmp_nge_f64_e32 vcc, s[8:9], v[1:2]
	v_add_u32_e32 v1, s6, v0
	v_mov_b32_e32 v2, 0
	s_waitcnt vmcnt(0)
	v_lshlrev_b64 v[7:8], 3, v[1:2]
	v_mov_b32_e32 v3, s11
	v_mov_b32_e32 v4, s10
	v_mov_b32_e32 v11, s13
	v_add_u32_e32 v0, 0x100, v0
	v_cndmask_b32_e32 v3, v3, v10, vcc
	v_cndmask_b32_e32 v2, v4, v9, vcc
	v_add_co_u32_e32 v7, vcc, s12, v7
	v_addc_co_u32_e32 v8, vcc, v11, v8, vcc
	global_store_dwordx2 v[7:8], v[2:3], off
	s_or_b64 exec, exec, s[0:1]
	v_cmp_gt_i32_e32 vcc, s18, v0
	s_and_saveexec_b64 s[0:1], vcc
	s_cbranch_execz .LBB137_13
.LBB137_19:
	s_waitcnt vmcnt(1)
	v_cmp_nge_f64_e32 vcc, s[8:9], v[17:18]
	v_add_u32_e32 v1, s6, v0
	v_mov_b32_e32 v2, 0
	s_waitcnt vmcnt(0)
	v_lshlrev_b64 v[7:8], 3, v[1:2]
	v_mov_b32_e32 v3, s11
	v_mov_b32_e32 v4, s10
	;; [unrolled: 1-line block ×3, first 2 shown]
	v_add_u32_e32 v0, 0x100, v0
	v_cndmask_b32_e32 v3, v3, v14, vcc
	v_cndmask_b32_e32 v2, v4, v13, vcc
	v_add_co_u32_e32 v7, vcc, s12, v7
	v_addc_co_u32_e32 v8, vcc, v9, v8, vcc
	global_store_dwordx2 v[7:8], v[2:3], off
	s_or_b64 exec, exec, s[0:1]
	v_cmp_gt_i32_e32 vcc, s18, v0
	s_and_saveexec_b64 s[0:1], vcc
	s_cbranch_execnz .LBB137_14
	s_branch .LBB137_15
	.section	.rodata,"a",@progbits
	.p2align	6, 0x0
	.amdhsa_kernel _ZN2at6native29vectorized_elementwise_kernelILi8ENS0_13BinaryFunctorIdddZNS0_12_GLOBAL__N_121threshold_kernel_implIdEEvRNS_18TensorIteratorBaseET_S7_EUlddE_EESt5arrayIPcLm3EEEEviT0_T1_
		.amdhsa_group_segment_fixed_size 0
		.amdhsa_private_segment_fixed_size 0
		.amdhsa_kernarg_size 48
		.amdhsa_user_sgpr_count 6
		.amdhsa_user_sgpr_private_segment_buffer 1
		.amdhsa_user_sgpr_dispatch_ptr 0
		.amdhsa_user_sgpr_queue_ptr 0
		.amdhsa_user_sgpr_kernarg_segment_ptr 1
		.amdhsa_user_sgpr_dispatch_id 0
		.amdhsa_user_sgpr_flat_scratch_init 0
		.amdhsa_user_sgpr_private_segment_size 0
		.amdhsa_uses_dynamic_stack 0
		.amdhsa_system_sgpr_private_segment_wavefront_offset 0
		.amdhsa_system_sgpr_workgroup_id_x 1
		.amdhsa_system_sgpr_workgroup_id_y 0
		.amdhsa_system_sgpr_workgroup_id_z 0
		.amdhsa_system_sgpr_workgroup_info 0
		.amdhsa_system_vgpr_workitem_id 0
		.amdhsa_next_free_vgpr 23
		.amdhsa_next_free_sgpr 22
		.amdhsa_reserve_vcc 1
		.amdhsa_reserve_flat_scratch 0
		.amdhsa_float_round_mode_32 0
		.amdhsa_float_round_mode_16_64 0
		.amdhsa_float_denorm_mode_32 3
		.amdhsa_float_denorm_mode_16_64 3
		.amdhsa_dx10_clamp 1
		.amdhsa_ieee_mode 1
		.amdhsa_fp16_overflow 0
		.amdhsa_exception_fp_ieee_invalid_op 0
		.amdhsa_exception_fp_denorm_src 0
		.amdhsa_exception_fp_ieee_div_zero 0
		.amdhsa_exception_fp_ieee_overflow 0
		.amdhsa_exception_fp_ieee_underflow 0
		.amdhsa_exception_fp_ieee_inexact 0
		.amdhsa_exception_int_div_zero 0
	.end_amdhsa_kernel
	.section	.text._ZN2at6native29vectorized_elementwise_kernelILi8ENS0_13BinaryFunctorIdddZNS0_12_GLOBAL__N_121threshold_kernel_implIdEEvRNS_18TensorIteratorBaseET_S7_EUlddE_EESt5arrayIPcLm3EEEEviT0_T1_,"axG",@progbits,_ZN2at6native29vectorized_elementwise_kernelILi8ENS0_13BinaryFunctorIdddZNS0_12_GLOBAL__N_121threshold_kernel_implIdEEvRNS_18TensorIteratorBaseET_S7_EUlddE_EESt5arrayIPcLm3EEEEviT0_T1_,comdat
.Lfunc_end137:
	.size	_ZN2at6native29vectorized_elementwise_kernelILi8ENS0_13BinaryFunctorIdddZNS0_12_GLOBAL__N_121threshold_kernel_implIdEEvRNS_18TensorIteratorBaseET_S7_EUlddE_EESt5arrayIPcLm3EEEEviT0_T1_, .Lfunc_end137-_ZN2at6native29vectorized_elementwise_kernelILi8ENS0_13BinaryFunctorIdddZNS0_12_GLOBAL__N_121threshold_kernel_implIdEEvRNS_18TensorIteratorBaseET_S7_EUlddE_EESt5arrayIPcLm3EEEEviT0_T1_
                                        ; -- End function
	.set _ZN2at6native29vectorized_elementwise_kernelILi8ENS0_13BinaryFunctorIdddZNS0_12_GLOBAL__N_121threshold_kernel_implIdEEvRNS_18TensorIteratorBaseET_S7_EUlddE_EESt5arrayIPcLm3EEEEviT0_T1_.num_vgpr, 23
	.set _ZN2at6native29vectorized_elementwise_kernelILi8ENS0_13BinaryFunctorIdddZNS0_12_GLOBAL__N_121threshold_kernel_implIdEEvRNS_18TensorIteratorBaseET_S7_EUlddE_EESt5arrayIPcLm3EEEEviT0_T1_.num_agpr, 0
	.set _ZN2at6native29vectorized_elementwise_kernelILi8ENS0_13BinaryFunctorIdddZNS0_12_GLOBAL__N_121threshold_kernel_implIdEEvRNS_18TensorIteratorBaseET_S7_EUlddE_EESt5arrayIPcLm3EEEEviT0_T1_.numbered_sgpr, 22
	.set _ZN2at6native29vectorized_elementwise_kernelILi8ENS0_13BinaryFunctorIdddZNS0_12_GLOBAL__N_121threshold_kernel_implIdEEvRNS_18TensorIteratorBaseET_S7_EUlddE_EESt5arrayIPcLm3EEEEviT0_T1_.num_named_barrier, 0
	.set _ZN2at6native29vectorized_elementwise_kernelILi8ENS0_13BinaryFunctorIdddZNS0_12_GLOBAL__N_121threshold_kernel_implIdEEvRNS_18TensorIteratorBaseET_S7_EUlddE_EESt5arrayIPcLm3EEEEviT0_T1_.private_seg_size, 0
	.set _ZN2at6native29vectorized_elementwise_kernelILi8ENS0_13BinaryFunctorIdddZNS0_12_GLOBAL__N_121threshold_kernel_implIdEEvRNS_18TensorIteratorBaseET_S7_EUlddE_EESt5arrayIPcLm3EEEEviT0_T1_.uses_vcc, 1
	.set _ZN2at6native29vectorized_elementwise_kernelILi8ENS0_13BinaryFunctorIdddZNS0_12_GLOBAL__N_121threshold_kernel_implIdEEvRNS_18TensorIteratorBaseET_S7_EUlddE_EESt5arrayIPcLm3EEEEviT0_T1_.uses_flat_scratch, 0
	.set _ZN2at6native29vectorized_elementwise_kernelILi8ENS0_13BinaryFunctorIdddZNS0_12_GLOBAL__N_121threshold_kernel_implIdEEvRNS_18TensorIteratorBaseET_S7_EUlddE_EESt5arrayIPcLm3EEEEviT0_T1_.has_dyn_sized_stack, 0
	.set _ZN2at6native29vectorized_elementwise_kernelILi8ENS0_13BinaryFunctorIdddZNS0_12_GLOBAL__N_121threshold_kernel_implIdEEvRNS_18TensorIteratorBaseET_S7_EUlddE_EESt5arrayIPcLm3EEEEviT0_T1_.has_recursion, 0
	.set _ZN2at6native29vectorized_elementwise_kernelILi8ENS0_13BinaryFunctorIdddZNS0_12_GLOBAL__N_121threshold_kernel_implIdEEvRNS_18TensorIteratorBaseET_S7_EUlddE_EESt5arrayIPcLm3EEEEviT0_T1_.has_indirect_call, 0
	.section	.AMDGPU.csdata,"",@progbits
; Kernel info:
; codeLenInByte = 1108
; TotalNumSgprs: 26
; NumVgprs: 23
; ScratchSize: 0
; MemoryBound: 0
; FloatMode: 240
; IeeeMode: 1
; LDSByteSize: 0 bytes/workgroup (compile time only)
; SGPRBlocks: 3
; VGPRBlocks: 5
; NumSGPRsForWavesPerEU: 26
; NumVGPRsForWavesPerEU: 23
; Occupancy: 10
; WaveLimiterHint : 0
; COMPUTE_PGM_RSRC2:SCRATCH_EN: 0
; COMPUTE_PGM_RSRC2:USER_SGPR: 6
; COMPUTE_PGM_RSRC2:TRAP_HANDLER: 0
; COMPUTE_PGM_RSRC2:TGID_X_EN: 1
; COMPUTE_PGM_RSRC2:TGID_Y_EN: 0
; COMPUTE_PGM_RSRC2:TGID_Z_EN: 0
; COMPUTE_PGM_RSRC2:TIDIG_COMP_CNT: 0
	.section	.text._ZN2at6native29vectorized_elementwise_kernelILi4ENS0_13BinaryFunctorIdddZNS0_12_GLOBAL__N_121threshold_kernel_implIdEEvRNS_18TensorIteratorBaseET_S7_EUlddE_EESt5arrayIPcLm3EEEEviT0_T1_,"axG",@progbits,_ZN2at6native29vectorized_elementwise_kernelILi4ENS0_13BinaryFunctorIdddZNS0_12_GLOBAL__N_121threshold_kernel_implIdEEvRNS_18TensorIteratorBaseET_S7_EUlddE_EESt5arrayIPcLm3EEEEviT0_T1_,comdat
	.globl	_ZN2at6native29vectorized_elementwise_kernelILi4ENS0_13BinaryFunctorIdddZNS0_12_GLOBAL__N_121threshold_kernel_implIdEEvRNS_18TensorIteratorBaseET_S7_EUlddE_EESt5arrayIPcLm3EEEEviT0_T1_ ; -- Begin function _ZN2at6native29vectorized_elementwise_kernelILi4ENS0_13BinaryFunctorIdddZNS0_12_GLOBAL__N_121threshold_kernel_implIdEEvRNS_18TensorIteratorBaseET_S7_EUlddE_EESt5arrayIPcLm3EEEEviT0_T1_
	.p2align	8
	.type	_ZN2at6native29vectorized_elementwise_kernelILi4ENS0_13BinaryFunctorIdddZNS0_12_GLOBAL__N_121threshold_kernel_implIdEEvRNS_18TensorIteratorBaseET_S7_EUlddE_EESt5arrayIPcLm3EEEEviT0_T1_,@function
_ZN2at6native29vectorized_elementwise_kernelILi4ENS0_13BinaryFunctorIdddZNS0_12_GLOBAL__N_121threshold_kernel_implIdEEvRNS_18TensorIteratorBaseET_S7_EUlddE_EESt5arrayIPcLm3EEEEviT0_T1_: ; @_ZN2at6native29vectorized_elementwise_kernelILi4ENS0_13BinaryFunctorIdddZNS0_12_GLOBAL__N_121threshold_kernel_implIdEEvRNS_18TensorIteratorBaseET_S7_EUlddE_EESt5arrayIPcLm3EEEEviT0_T1_
; %bb.0:
	s_load_dword s0, s[4:5], 0x0
	s_load_dwordx8 s[8:15], s[4:5], 0x8
	s_load_dwordx2 s[16:17], s[4:5], 0x28
	s_lshl_b32 s6, s6, 10
	s_waitcnt lgkmcnt(0)
	s_sub_i32 s18, s0, s6
	s_cmpk_gt_i32 s18, 0x3ff
	s_mov_b64 s[0:1], -1
	s_cbranch_scc0 .LBB138_2
; %bb.1:
	s_ashr_i32 s7, s6, 31
	s_lshl_b64 s[0:1], s[6:7], 3
	s_add_u32 s2, s14, s0
	s_addc_u32 s3, s15, s1
	v_lshlrev_b32_e32 v17, 5, v0
	global_load_dwordx4 v[1:4], v17, s[2:3]
	global_load_dwordx4 v[5:8], v17, s[2:3] offset:16
	s_add_u32 s2, s16, s0
	s_addc_u32 s3, s17, s1
	global_load_dwordx4 v[9:12], v17, s[2:3]
	global_load_dwordx4 v[13:16], v17, s[2:3] offset:16
	s_add_u32 s20, s12, s0
	s_addc_u32 s21, s13, s1
	v_mov_b32_e32 v18, s11
	v_mov_b32_e32 v19, s10
	s_waitcnt vmcnt(3)
	v_cmp_nge_f64_e32 vcc, s[8:9], v[1:2]
	v_cmp_nge_f64_e64 s[0:1], s[8:9], v[3:4]
	s_waitcnt vmcnt(2)
	v_cmp_nge_f64_e64 s[2:3], s[8:9], v[5:6]
	v_cmp_nge_f64_e64 s[4:5], s[8:9], v[7:8]
	s_waitcnt vmcnt(1)
	v_cndmask_b32_e32 v2, v18, v10, vcc
	v_cndmask_b32_e64 v4, v18, v12, s[0:1]
	v_cndmask_b32_e32 v1, v19, v9, vcc
	v_cndmask_b32_e64 v3, v19, v11, s[0:1]
	s_waitcnt vmcnt(0)
	v_cndmask_b32_e64 v6, v18, v14, s[2:3]
	v_cndmask_b32_e64 v8, v18, v16, s[4:5]
	v_cndmask_b32_e64 v5, v19, v13, s[2:3]
	v_cndmask_b32_e64 v7, v19, v15, s[4:5]
	global_store_dwordx4 v17, v[1:4], s[20:21]
	global_store_dwordx4 v17, v[5:8], s[20:21] offset:16
	s_mov_b64 s[0:1], 0
.LBB138_2:
	s_andn2_b64 vcc, exec, s[0:1]
	s_cbranch_vccnz .LBB138_15
; %bb.3:
	v_mov_b32_e32 v1, 0
	v_mov_b32_e32 v11, 0
	;; [unrolled: 1-line block ×3, first 2 shown]
	v_cmp_gt_i32_e32 vcc, s18, v0
	v_mov_b32_e32 v2, 0
	v_or_b32_e32 v3, s6, v0
	v_mov_b32_e32 v12, 0
	v_mov_b32_e32 v8, 0
	;; [unrolled: 1-line block ×3, first 2 shown]
	s_and_saveexec_b64 s[2:3], vcc
	s_cbranch_execz .LBB138_5
; %bb.4:
	v_mov_b32_e32 v4, 0
	v_lshlrev_b64 v[4:5], 3, v[3:4]
	v_mov_b32_e32 v6, s17
	v_add_co_u32_e64 v9, s[0:1], s16, v4
	v_addc_co_u32_e64 v10, s[0:1], v6, v5, s[0:1]
	v_mov_b32_e32 v6, s15
	v_add_co_u32_e64 v4, s[0:1], s14, v4
	v_addc_co_u32_e64 v5, s[0:1], v6, v5, s[0:1]
	global_load_dwordx2 v[11:12], v[4:5], off
	global_load_dwordx2 v[7:8], v[9:10], off
	v_or_b32_e32 v4, 0x100, v0
.LBB138_5:
	s_or_b64 exec, exec, s[2:3]
	v_mov_b32_e32 v9, 0
	v_mov_b32_e32 v10, 0
	v_cmp_gt_i32_e64 s[0:1], s18, v4
	s_and_saveexec_b64 s[2:3], s[0:1]
	s_cbranch_execz .LBB138_7
; %bb.6:
	v_add_u32_e32 v1, s6, v4
	v_mov_b32_e32 v2, 0
	v_lshlrev_b64 v[1:2], 3, v[1:2]
	v_mov_b32_e32 v6, s17
	v_add_co_u32_e64 v5, s[0:1], s16, v1
	v_addc_co_u32_e64 v6, s[0:1], v6, v2, s[0:1]
	v_mov_b32_e32 v9, s15
	v_add_co_u32_e64 v13, s[0:1], s14, v1
	v_addc_co_u32_e64 v14, s[0:1], v9, v2, s[0:1]
	global_load_dwordx2 v[1:2], v[13:14], off
	global_load_dwordx2 v[9:10], v[5:6], off
	v_add_u32_e32 v4, 0x100, v4
.LBB138_7:
	s_or_b64 exec, exec, s[2:3]
	v_mov_b32_e32 v5, 0
	v_mov_b32_e32 v17, 0
	v_mov_b32_e32 v13, 0
	v_mov_b32_e32 v6, 0
	v_mov_b32_e32 v18, 0
	v_mov_b32_e32 v14, 0
	v_cmp_gt_i32_e64 s[0:1], s18, v4
	s_and_saveexec_b64 s[2:3], s[0:1]
	s_cbranch_execz .LBB138_9
; %bb.8:
	v_add_u32_e32 v13, s6, v4
	v_mov_b32_e32 v14, 0
	v_lshlrev_b64 v[13:14], 3, v[13:14]
	v_mov_b32_e32 v16, s17
	v_add_co_u32_e64 v15, s[0:1], s16, v13
	v_addc_co_u32_e64 v16, s[0:1], v16, v14, s[0:1]
	v_mov_b32_e32 v17, s15
	v_add_co_u32_e64 v19, s[0:1], s14, v13
	v_addc_co_u32_e64 v20, s[0:1], v17, v14, s[0:1]
	global_load_dwordx2 v[17:18], v[19:20], off
	global_load_dwordx2 v[13:14], v[15:16], off
	v_add_u32_e32 v4, 0x100, v4
.LBB138_9:
	s_or_b64 exec, exec, s[2:3]
	v_mov_b32_e32 v15, 0
	v_mov_b32_e32 v16, 0
	v_cmp_gt_i32_e64 s[0:1], s18, v4
	s_and_saveexec_b64 s[2:3], s[0:1]
	s_cbranch_execnz .LBB138_16
; %bb.10:
	s_or_b64 exec, exec, s[2:3]
	s_and_saveexec_b64 s[0:1], vcc
	s_cbranch_execnz .LBB138_17
.LBB138_11:
	s_or_b64 exec, exec, s[0:1]
	v_cmp_gt_i32_e32 vcc, s18, v0
	s_and_saveexec_b64 s[0:1], vcc
	s_cbranch_execnz .LBB138_18
.LBB138_12:
	s_or_b64 exec, exec, s[0:1]
	v_cmp_gt_i32_e32 vcc, s18, v0
	s_and_saveexec_b64 s[0:1], vcc
	s_cbranch_execnz .LBB138_19
.LBB138_13:
	s_or_b64 exec, exec, s[0:1]
	v_cmp_gt_i32_e32 vcc, s18, v0
	s_and_saveexec_b64 s[0:1], vcc
	s_cbranch_execz .LBB138_15
.LBB138_14:
	s_waitcnt vmcnt(1)
	v_cmp_nge_f64_e32 vcc, s[8:9], v[5:6]
	v_add_u32_e32 v0, s6, v0
	v_mov_b32_e32 v1, 0
	v_lshlrev_b64 v[3:4], 3, v[0:1]
	v_mov_b32_e32 v2, s11
	v_mov_b32_e32 v5, s10
	;; [unrolled: 1-line block ×3, first 2 shown]
	s_waitcnt vmcnt(0)
	v_cndmask_b32_e32 v2, v2, v16, vcc
	v_cndmask_b32_e32 v1, v5, v15, vcc
	v_add_co_u32_e32 v3, vcc, s12, v3
	v_addc_co_u32_e32 v4, vcc, v6, v4, vcc
	global_store_dwordx2 v[3:4], v[1:2], off
.LBB138_15:
	s_endpgm
.LBB138_16:
	v_add_u32_e32 v4, s6, v4
	v_mov_b32_e32 v5, 0
	v_lshlrev_b64 v[4:5], 3, v[4:5]
	v_mov_b32_e32 v6, s17
	v_add_co_u32_e64 v19, s[0:1], s16, v4
	v_addc_co_u32_e64 v20, s[0:1], v6, v5, s[0:1]
	v_mov_b32_e32 v6, s15
	v_add_co_u32_e64 v21, s[0:1], s14, v4
	v_addc_co_u32_e64 v22, s[0:1], v6, v5, s[0:1]
	global_load_dwordx2 v[5:6], v[21:22], off
	global_load_dwordx2 v[15:16], v[19:20], off
	s_or_b64 exec, exec, s[2:3]
	s_and_saveexec_b64 s[0:1], vcc
	s_cbranch_execz .LBB138_11
.LBB138_17:
	s_waitcnt vmcnt(1)
	v_cmp_nge_f64_e32 vcc, s[8:9], v[11:12]
	v_mov_b32_e32 v4, 0
	v_lshlrev_b64 v[3:4], 3, v[3:4]
	v_mov_b32_e32 v19, s11
	v_mov_b32_e32 v11, s10
	;; [unrolled: 1-line block ×3, first 2 shown]
	v_or_b32_e32 v0, 0x100, v0
	s_waitcnt vmcnt(0)
	v_cndmask_b32_e32 v8, v19, v8, vcc
	v_cndmask_b32_e32 v7, v11, v7, vcc
	v_add_co_u32_e32 v3, vcc, s12, v3
	v_addc_co_u32_e32 v4, vcc, v12, v4, vcc
	global_store_dwordx2 v[3:4], v[7:8], off
	s_or_b64 exec, exec, s[0:1]
	v_cmp_gt_i32_e32 vcc, s18, v0
	s_and_saveexec_b64 s[0:1], vcc
	s_cbranch_execz .LBB138_12
.LBB138_18:
	s_waitcnt vmcnt(1)
	v_cmp_nge_f64_e32 vcc, s[8:9], v[1:2]
	v_add_u32_e32 v1, s6, v0
	v_mov_b32_e32 v2, 0
	s_waitcnt vmcnt(0)
	v_lshlrev_b64 v[7:8], 3, v[1:2]
	v_mov_b32_e32 v3, s11
	v_mov_b32_e32 v4, s10
	;; [unrolled: 1-line block ×3, first 2 shown]
	v_add_u32_e32 v0, 0x100, v0
	v_cndmask_b32_e32 v3, v3, v10, vcc
	v_cndmask_b32_e32 v2, v4, v9, vcc
	v_add_co_u32_e32 v7, vcc, s12, v7
	v_addc_co_u32_e32 v8, vcc, v11, v8, vcc
	global_store_dwordx2 v[7:8], v[2:3], off
	s_or_b64 exec, exec, s[0:1]
	v_cmp_gt_i32_e32 vcc, s18, v0
	s_and_saveexec_b64 s[0:1], vcc
	s_cbranch_execz .LBB138_13
.LBB138_19:
	s_waitcnt vmcnt(1)
	v_cmp_nge_f64_e32 vcc, s[8:9], v[17:18]
	v_add_u32_e32 v1, s6, v0
	v_mov_b32_e32 v2, 0
	s_waitcnt vmcnt(0)
	v_lshlrev_b64 v[7:8], 3, v[1:2]
	v_mov_b32_e32 v3, s11
	v_mov_b32_e32 v4, s10
	;; [unrolled: 1-line block ×3, first 2 shown]
	v_add_u32_e32 v0, 0x100, v0
	v_cndmask_b32_e32 v3, v3, v14, vcc
	v_cndmask_b32_e32 v2, v4, v13, vcc
	v_add_co_u32_e32 v7, vcc, s12, v7
	v_addc_co_u32_e32 v8, vcc, v9, v8, vcc
	global_store_dwordx2 v[7:8], v[2:3], off
	s_or_b64 exec, exec, s[0:1]
	v_cmp_gt_i32_e32 vcc, s18, v0
	s_and_saveexec_b64 s[0:1], vcc
	s_cbranch_execnz .LBB138_14
	s_branch .LBB138_15
	.section	.rodata,"a",@progbits
	.p2align	6, 0x0
	.amdhsa_kernel _ZN2at6native29vectorized_elementwise_kernelILi4ENS0_13BinaryFunctorIdddZNS0_12_GLOBAL__N_121threshold_kernel_implIdEEvRNS_18TensorIteratorBaseET_S7_EUlddE_EESt5arrayIPcLm3EEEEviT0_T1_
		.amdhsa_group_segment_fixed_size 0
		.amdhsa_private_segment_fixed_size 0
		.amdhsa_kernarg_size 48
		.amdhsa_user_sgpr_count 6
		.amdhsa_user_sgpr_private_segment_buffer 1
		.amdhsa_user_sgpr_dispatch_ptr 0
		.amdhsa_user_sgpr_queue_ptr 0
		.amdhsa_user_sgpr_kernarg_segment_ptr 1
		.amdhsa_user_sgpr_dispatch_id 0
		.amdhsa_user_sgpr_flat_scratch_init 0
		.amdhsa_user_sgpr_private_segment_size 0
		.amdhsa_uses_dynamic_stack 0
		.amdhsa_system_sgpr_private_segment_wavefront_offset 0
		.amdhsa_system_sgpr_workgroup_id_x 1
		.amdhsa_system_sgpr_workgroup_id_y 0
		.amdhsa_system_sgpr_workgroup_id_z 0
		.amdhsa_system_sgpr_workgroup_info 0
		.amdhsa_system_vgpr_workitem_id 0
		.amdhsa_next_free_vgpr 23
		.amdhsa_next_free_sgpr 22
		.amdhsa_reserve_vcc 1
		.amdhsa_reserve_flat_scratch 0
		.amdhsa_float_round_mode_32 0
		.amdhsa_float_round_mode_16_64 0
		.amdhsa_float_denorm_mode_32 3
		.amdhsa_float_denorm_mode_16_64 3
		.amdhsa_dx10_clamp 1
		.amdhsa_ieee_mode 1
		.amdhsa_fp16_overflow 0
		.amdhsa_exception_fp_ieee_invalid_op 0
		.amdhsa_exception_fp_denorm_src 0
		.amdhsa_exception_fp_ieee_div_zero 0
		.amdhsa_exception_fp_ieee_overflow 0
		.amdhsa_exception_fp_ieee_underflow 0
		.amdhsa_exception_fp_ieee_inexact 0
		.amdhsa_exception_int_div_zero 0
	.end_amdhsa_kernel
	.section	.text._ZN2at6native29vectorized_elementwise_kernelILi4ENS0_13BinaryFunctorIdddZNS0_12_GLOBAL__N_121threshold_kernel_implIdEEvRNS_18TensorIteratorBaseET_S7_EUlddE_EESt5arrayIPcLm3EEEEviT0_T1_,"axG",@progbits,_ZN2at6native29vectorized_elementwise_kernelILi4ENS0_13BinaryFunctorIdddZNS0_12_GLOBAL__N_121threshold_kernel_implIdEEvRNS_18TensorIteratorBaseET_S7_EUlddE_EESt5arrayIPcLm3EEEEviT0_T1_,comdat
.Lfunc_end138:
	.size	_ZN2at6native29vectorized_elementwise_kernelILi4ENS0_13BinaryFunctorIdddZNS0_12_GLOBAL__N_121threshold_kernel_implIdEEvRNS_18TensorIteratorBaseET_S7_EUlddE_EESt5arrayIPcLm3EEEEviT0_T1_, .Lfunc_end138-_ZN2at6native29vectorized_elementwise_kernelILi4ENS0_13BinaryFunctorIdddZNS0_12_GLOBAL__N_121threshold_kernel_implIdEEvRNS_18TensorIteratorBaseET_S7_EUlddE_EESt5arrayIPcLm3EEEEviT0_T1_
                                        ; -- End function
	.set _ZN2at6native29vectorized_elementwise_kernelILi4ENS0_13BinaryFunctorIdddZNS0_12_GLOBAL__N_121threshold_kernel_implIdEEvRNS_18TensorIteratorBaseET_S7_EUlddE_EESt5arrayIPcLm3EEEEviT0_T1_.num_vgpr, 23
	.set _ZN2at6native29vectorized_elementwise_kernelILi4ENS0_13BinaryFunctorIdddZNS0_12_GLOBAL__N_121threshold_kernel_implIdEEvRNS_18TensorIteratorBaseET_S7_EUlddE_EESt5arrayIPcLm3EEEEviT0_T1_.num_agpr, 0
	.set _ZN2at6native29vectorized_elementwise_kernelILi4ENS0_13BinaryFunctorIdddZNS0_12_GLOBAL__N_121threshold_kernel_implIdEEvRNS_18TensorIteratorBaseET_S7_EUlddE_EESt5arrayIPcLm3EEEEviT0_T1_.numbered_sgpr, 22
	.set _ZN2at6native29vectorized_elementwise_kernelILi4ENS0_13BinaryFunctorIdddZNS0_12_GLOBAL__N_121threshold_kernel_implIdEEvRNS_18TensorIteratorBaseET_S7_EUlddE_EESt5arrayIPcLm3EEEEviT0_T1_.num_named_barrier, 0
	.set _ZN2at6native29vectorized_elementwise_kernelILi4ENS0_13BinaryFunctorIdddZNS0_12_GLOBAL__N_121threshold_kernel_implIdEEvRNS_18TensorIteratorBaseET_S7_EUlddE_EESt5arrayIPcLm3EEEEviT0_T1_.private_seg_size, 0
	.set _ZN2at6native29vectorized_elementwise_kernelILi4ENS0_13BinaryFunctorIdddZNS0_12_GLOBAL__N_121threshold_kernel_implIdEEvRNS_18TensorIteratorBaseET_S7_EUlddE_EESt5arrayIPcLm3EEEEviT0_T1_.uses_vcc, 1
	.set _ZN2at6native29vectorized_elementwise_kernelILi4ENS0_13BinaryFunctorIdddZNS0_12_GLOBAL__N_121threshold_kernel_implIdEEvRNS_18TensorIteratorBaseET_S7_EUlddE_EESt5arrayIPcLm3EEEEviT0_T1_.uses_flat_scratch, 0
	.set _ZN2at6native29vectorized_elementwise_kernelILi4ENS0_13BinaryFunctorIdddZNS0_12_GLOBAL__N_121threshold_kernel_implIdEEvRNS_18TensorIteratorBaseET_S7_EUlddE_EESt5arrayIPcLm3EEEEviT0_T1_.has_dyn_sized_stack, 0
	.set _ZN2at6native29vectorized_elementwise_kernelILi4ENS0_13BinaryFunctorIdddZNS0_12_GLOBAL__N_121threshold_kernel_implIdEEvRNS_18TensorIteratorBaseET_S7_EUlddE_EESt5arrayIPcLm3EEEEviT0_T1_.has_recursion, 0
	.set _ZN2at6native29vectorized_elementwise_kernelILi4ENS0_13BinaryFunctorIdddZNS0_12_GLOBAL__N_121threshold_kernel_implIdEEvRNS_18TensorIteratorBaseET_S7_EUlddE_EESt5arrayIPcLm3EEEEviT0_T1_.has_indirect_call, 0
	.section	.AMDGPU.csdata,"",@progbits
; Kernel info:
; codeLenInByte = 1108
; TotalNumSgprs: 26
; NumVgprs: 23
; ScratchSize: 0
; MemoryBound: 0
; FloatMode: 240
; IeeeMode: 1
; LDSByteSize: 0 bytes/workgroup (compile time only)
; SGPRBlocks: 3
; VGPRBlocks: 5
; NumSGPRsForWavesPerEU: 26
; NumVGPRsForWavesPerEU: 23
; Occupancy: 10
; WaveLimiterHint : 0
; COMPUTE_PGM_RSRC2:SCRATCH_EN: 0
; COMPUTE_PGM_RSRC2:USER_SGPR: 6
; COMPUTE_PGM_RSRC2:TRAP_HANDLER: 0
; COMPUTE_PGM_RSRC2:TGID_X_EN: 1
; COMPUTE_PGM_RSRC2:TGID_Y_EN: 0
; COMPUTE_PGM_RSRC2:TGID_Z_EN: 0
; COMPUTE_PGM_RSRC2:TIDIG_COMP_CNT: 0
	.section	.text._ZN2at6native29vectorized_elementwise_kernelILi2ENS0_13BinaryFunctorIdddZNS0_12_GLOBAL__N_121threshold_kernel_implIdEEvRNS_18TensorIteratorBaseET_S7_EUlddE_EESt5arrayIPcLm3EEEEviT0_T1_,"axG",@progbits,_ZN2at6native29vectorized_elementwise_kernelILi2ENS0_13BinaryFunctorIdddZNS0_12_GLOBAL__N_121threshold_kernel_implIdEEvRNS_18TensorIteratorBaseET_S7_EUlddE_EESt5arrayIPcLm3EEEEviT0_T1_,comdat
	.globl	_ZN2at6native29vectorized_elementwise_kernelILi2ENS0_13BinaryFunctorIdddZNS0_12_GLOBAL__N_121threshold_kernel_implIdEEvRNS_18TensorIteratorBaseET_S7_EUlddE_EESt5arrayIPcLm3EEEEviT0_T1_ ; -- Begin function _ZN2at6native29vectorized_elementwise_kernelILi2ENS0_13BinaryFunctorIdddZNS0_12_GLOBAL__N_121threshold_kernel_implIdEEvRNS_18TensorIteratorBaseET_S7_EUlddE_EESt5arrayIPcLm3EEEEviT0_T1_
	.p2align	8
	.type	_ZN2at6native29vectorized_elementwise_kernelILi2ENS0_13BinaryFunctorIdddZNS0_12_GLOBAL__N_121threshold_kernel_implIdEEvRNS_18TensorIteratorBaseET_S7_EUlddE_EESt5arrayIPcLm3EEEEviT0_T1_,@function
_ZN2at6native29vectorized_elementwise_kernelILi2ENS0_13BinaryFunctorIdddZNS0_12_GLOBAL__N_121threshold_kernel_implIdEEvRNS_18TensorIteratorBaseET_S7_EUlddE_EESt5arrayIPcLm3EEEEviT0_T1_: ; @_ZN2at6native29vectorized_elementwise_kernelILi2ENS0_13BinaryFunctorIdddZNS0_12_GLOBAL__N_121threshold_kernel_implIdEEvRNS_18TensorIteratorBaseET_S7_EUlddE_EESt5arrayIPcLm3EEEEviT0_T1_
; %bb.0:
	s_load_dword s0, s[4:5], 0x0
	s_load_dwordx8 s[8:15], s[4:5], 0x8
	s_load_dwordx2 s[16:17], s[4:5], 0x28
	s_lshl_b32 s6, s6, 10
	s_waitcnt lgkmcnt(0)
	s_sub_i32 s18, s0, s6
	s_cmpk_gt_i32 s18, 0x3ff
	s_mov_b64 s[0:1], -1
	s_cbranch_scc0 .LBB139_2
; %bb.1:
	s_ashr_i32 s7, s6, 31
	s_lshl_b64 s[0:1], s[6:7], 3
	s_add_u32 s2, s14, s0
	s_addc_u32 s3, s15, s1
	v_lshlrev_b32_e32 v19, 4, v0
	v_mov_b32_e32 v1, s3
	v_add_co_u32_e32 v5, vcc, s2, v19
	v_addc_co_u32_e32 v6, vcc, 0, v1, vcc
	global_load_dwordx4 v[1:4], v19, s[2:3]
	v_add_co_u32_e32 v5, vcc, 0x1000, v5
	v_addc_co_u32_e32 v6, vcc, 0, v6, vcc
	global_load_dwordx4 v[5:8], v[5:6], off
	s_add_u32 s2, s16, s0
	s_addc_u32 s3, s17, s1
	v_mov_b32_e32 v9, s3
	v_add_co_u32_e32 v13, vcc, s2, v19
	s_movk_i32 s4, 0x1000
	v_addc_co_u32_e32 v14, vcc, 0, v9, vcc
	v_add_co_u32_e32 v13, vcc, s4, v13
	global_load_dwordx4 v[9:12], v19, s[2:3]
	v_addc_co_u32_e32 v14, vcc, 0, v14, vcc
	global_load_dwordx4 v[13:16], v[13:14], off
	s_add_u32 s20, s12, s0
	s_addc_u32 s21, s13, s1
	v_mov_b32_e32 v20, s11
	v_mov_b32_e32 v21, s10
	s_waitcnt vmcnt(3)
	v_cmp_nge_f64_e64 s[0:1], s[8:9], v[1:2]
	v_mov_b32_e32 v1, s21
	v_add_co_u32_e32 v2, vcc, s20, v19
	v_addc_co_u32_e32 v1, vcc, 0, v1, vcc
	v_add_co_u32_e32 v17, vcc, 0x1000, v2
	v_cmp_nge_f64_e64 s[2:3], s[8:9], v[3:4]
	v_addc_co_u32_e32 v18, vcc, 0, v1, vcc
	s_waitcnt vmcnt(2)
	v_cmp_nge_f64_e32 vcc, s[8:9], v[5:6]
	v_cmp_nge_f64_e64 s[4:5], s[8:9], v[7:8]
	s_waitcnt vmcnt(1)
	v_cndmask_b32_e64 v2, v20, v10, s[0:1]
	v_cndmask_b32_e64 v4, v20, v12, s[2:3]
	;; [unrolled: 1-line block ×4, first 2 shown]
	s_waitcnt vmcnt(0)
	v_cndmask_b32_e32 v5, v20, v14, vcc
	v_cndmask_b32_e64 v7, v20, v16, s[4:5]
	global_store_dwordx4 v19, v[1:4], s[20:21]
	v_cndmask_b32_e64 v6, v21, v15, s[4:5]
	v_cndmask_b32_e32 v4, v21, v13, vcc
	global_store_dwordx4 v[17:18], v[4:7], off
	s_mov_b64 s[0:1], 0
.LBB139_2:
	s_andn2_b64 vcc, exec, s[0:1]
	s_cbranch_vccnz .LBB139_15
; %bb.3:
	v_mov_b32_e32 v1, 0
	v_mov_b32_e32 v11, 0
	v_mov_b32_e32 v7, 0
	v_cmp_gt_i32_e32 vcc, s18, v0
	v_mov_b32_e32 v2, 0
	v_or_b32_e32 v3, s6, v0
	v_mov_b32_e32 v12, 0
	v_mov_b32_e32 v8, 0
	;; [unrolled: 1-line block ×3, first 2 shown]
	s_and_saveexec_b64 s[2:3], vcc
	s_cbranch_execz .LBB139_5
; %bb.4:
	v_mov_b32_e32 v4, 0
	v_lshlrev_b64 v[4:5], 3, v[3:4]
	v_mov_b32_e32 v6, s17
	v_add_co_u32_e64 v9, s[0:1], s16, v4
	v_addc_co_u32_e64 v10, s[0:1], v6, v5, s[0:1]
	v_mov_b32_e32 v6, s15
	v_add_co_u32_e64 v4, s[0:1], s14, v4
	v_addc_co_u32_e64 v5, s[0:1], v6, v5, s[0:1]
	global_load_dwordx2 v[11:12], v[4:5], off
	global_load_dwordx2 v[7:8], v[9:10], off
	v_or_b32_e32 v4, 0x100, v0
.LBB139_5:
	s_or_b64 exec, exec, s[2:3]
	v_mov_b32_e32 v9, 0
	v_mov_b32_e32 v10, 0
	v_cmp_gt_i32_e64 s[0:1], s18, v4
	s_and_saveexec_b64 s[2:3], s[0:1]
	s_cbranch_execz .LBB139_7
; %bb.6:
	v_add_u32_e32 v1, s6, v4
	v_mov_b32_e32 v2, 0
	v_lshlrev_b64 v[1:2], 3, v[1:2]
	v_mov_b32_e32 v6, s17
	v_add_co_u32_e64 v5, s[0:1], s16, v1
	v_addc_co_u32_e64 v6, s[0:1], v6, v2, s[0:1]
	v_mov_b32_e32 v9, s15
	v_add_co_u32_e64 v13, s[0:1], s14, v1
	v_addc_co_u32_e64 v14, s[0:1], v9, v2, s[0:1]
	global_load_dwordx2 v[1:2], v[13:14], off
	global_load_dwordx2 v[9:10], v[5:6], off
	v_add_u32_e32 v4, 0x100, v4
.LBB139_7:
	s_or_b64 exec, exec, s[2:3]
	v_mov_b32_e32 v5, 0
	v_mov_b32_e32 v17, 0
	;; [unrolled: 1-line block ×6, first 2 shown]
	v_cmp_gt_i32_e64 s[0:1], s18, v4
	s_and_saveexec_b64 s[2:3], s[0:1]
	s_cbranch_execz .LBB139_9
; %bb.8:
	v_add_u32_e32 v13, s6, v4
	v_mov_b32_e32 v14, 0
	v_lshlrev_b64 v[13:14], 3, v[13:14]
	v_mov_b32_e32 v16, s17
	v_add_co_u32_e64 v15, s[0:1], s16, v13
	v_addc_co_u32_e64 v16, s[0:1], v16, v14, s[0:1]
	v_mov_b32_e32 v17, s15
	v_add_co_u32_e64 v19, s[0:1], s14, v13
	v_addc_co_u32_e64 v20, s[0:1], v17, v14, s[0:1]
	global_load_dwordx2 v[17:18], v[19:20], off
	global_load_dwordx2 v[13:14], v[15:16], off
	v_add_u32_e32 v4, 0x100, v4
.LBB139_9:
	s_or_b64 exec, exec, s[2:3]
	v_mov_b32_e32 v15, 0
	v_mov_b32_e32 v16, 0
	v_cmp_gt_i32_e64 s[0:1], s18, v4
	s_and_saveexec_b64 s[2:3], s[0:1]
	s_cbranch_execnz .LBB139_16
; %bb.10:
	s_or_b64 exec, exec, s[2:3]
	s_and_saveexec_b64 s[0:1], vcc
	s_cbranch_execnz .LBB139_17
.LBB139_11:
	s_or_b64 exec, exec, s[0:1]
	v_cmp_gt_i32_e32 vcc, s18, v0
	s_and_saveexec_b64 s[0:1], vcc
	s_cbranch_execnz .LBB139_18
.LBB139_12:
	s_or_b64 exec, exec, s[0:1]
	v_cmp_gt_i32_e32 vcc, s18, v0
	s_and_saveexec_b64 s[0:1], vcc
	s_cbranch_execnz .LBB139_19
.LBB139_13:
	s_or_b64 exec, exec, s[0:1]
	v_cmp_gt_i32_e32 vcc, s18, v0
	s_and_saveexec_b64 s[0:1], vcc
	s_cbranch_execz .LBB139_15
.LBB139_14:
	s_waitcnt vmcnt(1)
	v_cmp_nge_f64_e32 vcc, s[8:9], v[5:6]
	v_add_u32_e32 v0, s6, v0
	v_mov_b32_e32 v1, 0
	v_lshlrev_b64 v[3:4], 3, v[0:1]
	v_mov_b32_e32 v2, s11
	v_mov_b32_e32 v5, s10
	;; [unrolled: 1-line block ×3, first 2 shown]
	s_waitcnt vmcnt(0)
	v_cndmask_b32_e32 v2, v2, v16, vcc
	v_cndmask_b32_e32 v1, v5, v15, vcc
	v_add_co_u32_e32 v3, vcc, s12, v3
	v_addc_co_u32_e32 v4, vcc, v6, v4, vcc
	global_store_dwordx2 v[3:4], v[1:2], off
.LBB139_15:
	s_endpgm
.LBB139_16:
	v_add_u32_e32 v4, s6, v4
	v_mov_b32_e32 v5, 0
	v_lshlrev_b64 v[4:5], 3, v[4:5]
	v_mov_b32_e32 v6, s17
	v_add_co_u32_e64 v19, s[0:1], s16, v4
	v_addc_co_u32_e64 v20, s[0:1], v6, v5, s[0:1]
	v_mov_b32_e32 v6, s15
	v_add_co_u32_e64 v21, s[0:1], s14, v4
	v_addc_co_u32_e64 v22, s[0:1], v6, v5, s[0:1]
	global_load_dwordx2 v[5:6], v[21:22], off
	global_load_dwordx2 v[15:16], v[19:20], off
	s_or_b64 exec, exec, s[2:3]
	s_and_saveexec_b64 s[0:1], vcc
	s_cbranch_execz .LBB139_11
.LBB139_17:
	s_waitcnt vmcnt(1)
	v_cmp_nge_f64_e32 vcc, s[8:9], v[11:12]
	v_mov_b32_e32 v4, 0
	v_lshlrev_b64 v[3:4], 3, v[3:4]
	v_mov_b32_e32 v19, s11
	v_mov_b32_e32 v11, s10
	;; [unrolled: 1-line block ×3, first 2 shown]
	v_or_b32_e32 v0, 0x100, v0
	s_waitcnt vmcnt(0)
	v_cndmask_b32_e32 v8, v19, v8, vcc
	v_cndmask_b32_e32 v7, v11, v7, vcc
	v_add_co_u32_e32 v3, vcc, s12, v3
	v_addc_co_u32_e32 v4, vcc, v12, v4, vcc
	global_store_dwordx2 v[3:4], v[7:8], off
	s_or_b64 exec, exec, s[0:1]
	v_cmp_gt_i32_e32 vcc, s18, v0
	s_and_saveexec_b64 s[0:1], vcc
	s_cbranch_execz .LBB139_12
.LBB139_18:
	s_waitcnt vmcnt(1)
	v_cmp_nge_f64_e32 vcc, s[8:9], v[1:2]
	v_add_u32_e32 v1, s6, v0
	v_mov_b32_e32 v2, 0
	s_waitcnt vmcnt(0)
	v_lshlrev_b64 v[7:8], 3, v[1:2]
	v_mov_b32_e32 v3, s11
	v_mov_b32_e32 v4, s10
	;; [unrolled: 1-line block ×3, first 2 shown]
	v_add_u32_e32 v0, 0x100, v0
	v_cndmask_b32_e32 v3, v3, v10, vcc
	v_cndmask_b32_e32 v2, v4, v9, vcc
	v_add_co_u32_e32 v7, vcc, s12, v7
	v_addc_co_u32_e32 v8, vcc, v11, v8, vcc
	global_store_dwordx2 v[7:8], v[2:3], off
	s_or_b64 exec, exec, s[0:1]
	v_cmp_gt_i32_e32 vcc, s18, v0
	s_and_saveexec_b64 s[0:1], vcc
	s_cbranch_execz .LBB139_13
.LBB139_19:
	s_waitcnt vmcnt(1)
	v_cmp_nge_f64_e32 vcc, s[8:9], v[17:18]
	v_add_u32_e32 v1, s6, v0
	v_mov_b32_e32 v2, 0
	s_waitcnt vmcnt(0)
	v_lshlrev_b64 v[7:8], 3, v[1:2]
	v_mov_b32_e32 v3, s11
	v_mov_b32_e32 v4, s10
	;; [unrolled: 1-line block ×3, first 2 shown]
	v_add_u32_e32 v0, 0x100, v0
	v_cndmask_b32_e32 v3, v3, v14, vcc
	v_cndmask_b32_e32 v2, v4, v13, vcc
	v_add_co_u32_e32 v7, vcc, s12, v7
	v_addc_co_u32_e32 v8, vcc, v9, v8, vcc
	global_store_dwordx2 v[7:8], v[2:3], off
	s_or_b64 exec, exec, s[0:1]
	v_cmp_gt_i32_e32 vcc, s18, v0
	s_and_saveexec_b64 s[0:1], vcc
	s_cbranch_execnz .LBB139_14
	s_branch .LBB139_15
	.section	.rodata,"a",@progbits
	.p2align	6, 0x0
	.amdhsa_kernel _ZN2at6native29vectorized_elementwise_kernelILi2ENS0_13BinaryFunctorIdddZNS0_12_GLOBAL__N_121threshold_kernel_implIdEEvRNS_18TensorIteratorBaseET_S7_EUlddE_EESt5arrayIPcLm3EEEEviT0_T1_
		.amdhsa_group_segment_fixed_size 0
		.amdhsa_private_segment_fixed_size 0
		.amdhsa_kernarg_size 48
		.amdhsa_user_sgpr_count 6
		.amdhsa_user_sgpr_private_segment_buffer 1
		.amdhsa_user_sgpr_dispatch_ptr 0
		.amdhsa_user_sgpr_queue_ptr 0
		.amdhsa_user_sgpr_kernarg_segment_ptr 1
		.amdhsa_user_sgpr_dispatch_id 0
		.amdhsa_user_sgpr_flat_scratch_init 0
		.amdhsa_user_sgpr_private_segment_size 0
		.amdhsa_uses_dynamic_stack 0
		.amdhsa_system_sgpr_private_segment_wavefront_offset 0
		.amdhsa_system_sgpr_workgroup_id_x 1
		.amdhsa_system_sgpr_workgroup_id_y 0
		.amdhsa_system_sgpr_workgroup_id_z 0
		.amdhsa_system_sgpr_workgroup_info 0
		.amdhsa_system_vgpr_workitem_id 0
		.amdhsa_next_free_vgpr 23
		.amdhsa_next_free_sgpr 22
		.amdhsa_reserve_vcc 1
		.amdhsa_reserve_flat_scratch 0
		.amdhsa_float_round_mode_32 0
		.amdhsa_float_round_mode_16_64 0
		.amdhsa_float_denorm_mode_32 3
		.amdhsa_float_denorm_mode_16_64 3
		.amdhsa_dx10_clamp 1
		.amdhsa_ieee_mode 1
		.amdhsa_fp16_overflow 0
		.amdhsa_exception_fp_ieee_invalid_op 0
		.amdhsa_exception_fp_denorm_src 0
		.amdhsa_exception_fp_ieee_div_zero 0
		.amdhsa_exception_fp_ieee_overflow 0
		.amdhsa_exception_fp_ieee_underflow 0
		.amdhsa_exception_fp_ieee_inexact 0
		.amdhsa_exception_int_div_zero 0
	.end_amdhsa_kernel
	.section	.text._ZN2at6native29vectorized_elementwise_kernelILi2ENS0_13BinaryFunctorIdddZNS0_12_GLOBAL__N_121threshold_kernel_implIdEEvRNS_18TensorIteratorBaseET_S7_EUlddE_EESt5arrayIPcLm3EEEEviT0_T1_,"axG",@progbits,_ZN2at6native29vectorized_elementwise_kernelILi2ENS0_13BinaryFunctorIdddZNS0_12_GLOBAL__N_121threshold_kernel_implIdEEvRNS_18TensorIteratorBaseET_S7_EUlddE_EESt5arrayIPcLm3EEEEviT0_T1_,comdat
.Lfunc_end139:
	.size	_ZN2at6native29vectorized_elementwise_kernelILi2ENS0_13BinaryFunctorIdddZNS0_12_GLOBAL__N_121threshold_kernel_implIdEEvRNS_18TensorIteratorBaseET_S7_EUlddE_EESt5arrayIPcLm3EEEEviT0_T1_, .Lfunc_end139-_ZN2at6native29vectorized_elementwise_kernelILi2ENS0_13BinaryFunctorIdddZNS0_12_GLOBAL__N_121threshold_kernel_implIdEEvRNS_18TensorIteratorBaseET_S7_EUlddE_EESt5arrayIPcLm3EEEEviT0_T1_
                                        ; -- End function
	.set _ZN2at6native29vectorized_elementwise_kernelILi2ENS0_13BinaryFunctorIdddZNS0_12_GLOBAL__N_121threshold_kernel_implIdEEvRNS_18TensorIteratorBaseET_S7_EUlddE_EESt5arrayIPcLm3EEEEviT0_T1_.num_vgpr, 23
	.set _ZN2at6native29vectorized_elementwise_kernelILi2ENS0_13BinaryFunctorIdddZNS0_12_GLOBAL__N_121threshold_kernel_implIdEEvRNS_18TensorIteratorBaseET_S7_EUlddE_EESt5arrayIPcLm3EEEEviT0_T1_.num_agpr, 0
	.set _ZN2at6native29vectorized_elementwise_kernelILi2ENS0_13BinaryFunctorIdddZNS0_12_GLOBAL__N_121threshold_kernel_implIdEEvRNS_18TensorIteratorBaseET_S7_EUlddE_EESt5arrayIPcLm3EEEEviT0_T1_.numbered_sgpr, 22
	.set _ZN2at6native29vectorized_elementwise_kernelILi2ENS0_13BinaryFunctorIdddZNS0_12_GLOBAL__N_121threshold_kernel_implIdEEvRNS_18TensorIteratorBaseET_S7_EUlddE_EESt5arrayIPcLm3EEEEviT0_T1_.num_named_barrier, 0
	.set _ZN2at6native29vectorized_elementwise_kernelILi2ENS0_13BinaryFunctorIdddZNS0_12_GLOBAL__N_121threshold_kernel_implIdEEvRNS_18TensorIteratorBaseET_S7_EUlddE_EESt5arrayIPcLm3EEEEviT0_T1_.private_seg_size, 0
	.set _ZN2at6native29vectorized_elementwise_kernelILi2ENS0_13BinaryFunctorIdddZNS0_12_GLOBAL__N_121threshold_kernel_implIdEEvRNS_18TensorIteratorBaseET_S7_EUlddE_EESt5arrayIPcLm3EEEEviT0_T1_.uses_vcc, 1
	.set _ZN2at6native29vectorized_elementwise_kernelILi2ENS0_13BinaryFunctorIdddZNS0_12_GLOBAL__N_121threshold_kernel_implIdEEvRNS_18TensorIteratorBaseET_S7_EUlddE_EESt5arrayIPcLm3EEEEviT0_T1_.uses_flat_scratch, 0
	.set _ZN2at6native29vectorized_elementwise_kernelILi2ENS0_13BinaryFunctorIdddZNS0_12_GLOBAL__N_121threshold_kernel_implIdEEvRNS_18TensorIteratorBaseET_S7_EUlddE_EESt5arrayIPcLm3EEEEviT0_T1_.has_dyn_sized_stack, 0
	.set _ZN2at6native29vectorized_elementwise_kernelILi2ENS0_13BinaryFunctorIdddZNS0_12_GLOBAL__N_121threshold_kernel_implIdEEvRNS_18TensorIteratorBaseET_S7_EUlddE_EESt5arrayIPcLm3EEEEviT0_T1_.has_recursion, 0
	.set _ZN2at6native29vectorized_elementwise_kernelILi2ENS0_13BinaryFunctorIdddZNS0_12_GLOBAL__N_121threshold_kernel_implIdEEvRNS_18TensorIteratorBaseET_S7_EUlddE_EESt5arrayIPcLm3EEEEviT0_T1_.has_indirect_call, 0
	.section	.AMDGPU.csdata,"",@progbits
; Kernel info:
; codeLenInByte = 1180
; TotalNumSgprs: 26
; NumVgprs: 23
; ScratchSize: 0
; MemoryBound: 0
; FloatMode: 240
; IeeeMode: 1
; LDSByteSize: 0 bytes/workgroup (compile time only)
; SGPRBlocks: 3
; VGPRBlocks: 5
; NumSGPRsForWavesPerEU: 26
; NumVGPRsForWavesPerEU: 23
; Occupancy: 10
; WaveLimiterHint : 1
; COMPUTE_PGM_RSRC2:SCRATCH_EN: 0
; COMPUTE_PGM_RSRC2:USER_SGPR: 6
; COMPUTE_PGM_RSRC2:TRAP_HANDLER: 0
; COMPUTE_PGM_RSRC2:TGID_X_EN: 1
; COMPUTE_PGM_RSRC2:TGID_Y_EN: 0
; COMPUTE_PGM_RSRC2:TGID_Z_EN: 0
; COMPUTE_PGM_RSRC2:TIDIG_COMP_CNT: 0
	.section	.text._ZN2at6native27unrolled_elementwise_kernelINS0_13BinaryFunctorIdddZNS0_12_GLOBAL__N_121threshold_kernel_implIdEEvRNS_18TensorIteratorBaseET_S7_EUlddE_EESt5arrayIPcLm3EELi4E23TrivialOffsetCalculatorILi2EjESD_ILi1EjENS0_6memory15LoadWithoutCastENSG_16StoreWithoutCastEEEviS7_T0_T2_T3_T4_T5_,"axG",@progbits,_ZN2at6native27unrolled_elementwise_kernelINS0_13BinaryFunctorIdddZNS0_12_GLOBAL__N_121threshold_kernel_implIdEEvRNS_18TensorIteratorBaseET_S7_EUlddE_EESt5arrayIPcLm3EELi4E23TrivialOffsetCalculatorILi2EjESD_ILi1EjENS0_6memory15LoadWithoutCastENSG_16StoreWithoutCastEEEviS7_T0_T2_T3_T4_T5_,comdat
	.globl	_ZN2at6native27unrolled_elementwise_kernelINS0_13BinaryFunctorIdddZNS0_12_GLOBAL__N_121threshold_kernel_implIdEEvRNS_18TensorIteratorBaseET_S7_EUlddE_EESt5arrayIPcLm3EELi4E23TrivialOffsetCalculatorILi2EjESD_ILi1EjENS0_6memory15LoadWithoutCastENSG_16StoreWithoutCastEEEviS7_T0_T2_T3_T4_T5_ ; -- Begin function _ZN2at6native27unrolled_elementwise_kernelINS0_13BinaryFunctorIdddZNS0_12_GLOBAL__N_121threshold_kernel_implIdEEvRNS_18TensorIteratorBaseET_S7_EUlddE_EESt5arrayIPcLm3EELi4E23TrivialOffsetCalculatorILi2EjESD_ILi1EjENS0_6memory15LoadWithoutCastENSG_16StoreWithoutCastEEEviS7_T0_T2_T3_T4_T5_
	.p2align	8
	.type	_ZN2at6native27unrolled_elementwise_kernelINS0_13BinaryFunctorIdddZNS0_12_GLOBAL__N_121threshold_kernel_implIdEEvRNS_18TensorIteratorBaseET_S7_EUlddE_EESt5arrayIPcLm3EELi4E23TrivialOffsetCalculatorILi2EjESD_ILi1EjENS0_6memory15LoadWithoutCastENSG_16StoreWithoutCastEEEviS7_T0_T2_T3_T4_T5_,@function
_ZN2at6native27unrolled_elementwise_kernelINS0_13BinaryFunctorIdddZNS0_12_GLOBAL__N_121threshold_kernel_implIdEEvRNS_18TensorIteratorBaseET_S7_EUlddE_EESt5arrayIPcLm3EELi4E23TrivialOffsetCalculatorILi2EjESD_ILi1EjENS0_6memory15LoadWithoutCastENSG_16StoreWithoutCastEEEviS7_T0_T2_T3_T4_T5_: ; @_ZN2at6native27unrolled_elementwise_kernelINS0_13BinaryFunctorIdddZNS0_12_GLOBAL__N_121threshold_kernel_implIdEEvRNS_18TensorIteratorBaseET_S7_EUlddE_EESt5arrayIPcLm3EELi4E23TrivialOffsetCalculatorILi2EjESD_ILi1EjENS0_6memory15LoadWithoutCastENSG_16StoreWithoutCastEEEviS7_T0_T2_T3_T4_T5_
; %bb.0:
	s_load_dword s0, s[4:5], 0x0
	s_load_dwordx8 s[8:15], s[4:5], 0x8
	s_load_dwordx2 s[2:3], s[4:5], 0x28
	s_lshl_b32 s6, s6, 10
	v_mov_b32_e32 v1, 0
	s_waitcnt lgkmcnt(0)
	s_sub_i32 s7, s0, s6
	v_mov_b32_e32 v9, 0
	v_mov_b32_e32 v7, 0
	v_cmp_gt_i32_e32 vcc, s7, v0
	v_mov_b32_e32 v2, 0
	v_or_b32_e32 v3, s6, v0
	v_mov_b32_e32 v10, 0
	v_mov_b32_e32 v8, 0
	;; [unrolled: 1-line block ×3, first 2 shown]
	s_and_saveexec_b64 s[4:5], vcc
	s_cbranch_execz .LBB140_2
; %bb.1:
	v_mov_b32_e32 v4, 0
	v_lshlrev_b64 v[4:5], 3, v[3:4]
	v_mov_b32_e32 v6, s15
	v_add_co_u32_e64 v11, s[0:1], s14, v4
	v_addc_co_u32_e64 v12, s[0:1], v6, v5, s[0:1]
	v_mov_b32_e32 v6, s3
	v_add_co_u32_e64 v4, s[0:1], s2, v4
	v_addc_co_u32_e64 v5, s[0:1], v6, v5, s[0:1]
	global_load_dwordx2 v[9:10], v[11:12], off
	global_load_dwordx2 v[7:8], v[4:5], off
	v_or_b32_e32 v4, 0x100, v0
.LBB140_2:
	s_or_b64 exec, exec, s[4:5]
	v_mov_b32_e32 v11, 0
	v_mov_b32_e32 v12, 0
	v_cmp_gt_i32_e64 s[0:1], s7, v4
	s_and_saveexec_b64 s[4:5], s[0:1]
	s_cbranch_execz .LBB140_4
; %bb.3:
	v_add_u32_e32 v1, s6, v4
	v_mov_b32_e32 v2, 0
	v_lshlrev_b64 v[1:2], 3, v[1:2]
	v_mov_b32_e32 v6, s15
	v_add_co_u32_e64 v5, s[0:1], s14, v1
	v_addc_co_u32_e64 v6, s[0:1], v6, v2, s[0:1]
	v_mov_b32_e32 v11, s3
	v_add_co_u32_e64 v13, s[0:1], s2, v1
	v_addc_co_u32_e64 v14, s[0:1], v11, v2, s[0:1]
	global_load_dwordx2 v[1:2], v[5:6], off
	global_load_dwordx2 v[11:12], v[13:14], off
	v_add_u32_e32 v4, 0x100, v4
.LBB140_4:
	s_or_b64 exec, exec, s[4:5]
	v_mov_b32_e32 v5, 0
	v_mov_b32_e32 v17, 0
	;; [unrolled: 1-line block ×6, first 2 shown]
	v_cmp_gt_i32_e64 s[0:1], s7, v4
	s_and_saveexec_b64 s[4:5], s[0:1]
	s_cbranch_execz .LBB140_6
; %bb.5:
	v_add_u32_e32 v13, s6, v4
	v_mov_b32_e32 v14, 0
	v_lshlrev_b64 v[13:14], 3, v[13:14]
	v_mov_b32_e32 v16, s15
	v_add_co_u32_e64 v15, s[0:1], s14, v13
	v_addc_co_u32_e64 v16, s[0:1], v16, v14, s[0:1]
	v_mov_b32_e32 v17, s3
	v_add_co_u32_e64 v19, s[0:1], s2, v13
	v_addc_co_u32_e64 v20, s[0:1], v17, v14, s[0:1]
	global_load_dwordx2 v[17:18], v[15:16], off
	global_load_dwordx2 v[13:14], v[19:20], off
	v_add_u32_e32 v4, 0x100, v4
.LBB140_6:
	s_or_b64 exec, exec, s[4:5]
	v_mov_b32_e32 v15, 0
	v_mov_b32_e32 v16, 0
	v_cmp_gt_i32_e64 s[0:1], s7, v4
	s_and_saveexec_b64 s[4:5], s[0:1]
	s_cbranch_execnz .LBB140_12
; %bb.7:
	s_or_b64 exec, exec, s[4:5]
	s_and_saveexec_b64 s[2:3], vcc
	s_cbranch_execnz .LBB140_13
.LBB140_8:
	s_or_b64 exec, exec, s[2:3]
	v_cmp_gt_i32_e32 vcc, s7, v0
	s_and_saveexec_b64 s[0:1], vcc
	s_cbranch_execnz .LBB140_14
.LBB140_9:
	s_or_b64 exec, exec, s[0:1]
	v_cmp_gt_i32_e32 vcc, s7, v0
	s_and_saveexec_b64 s[0:1], vcc
	s_cbranch_execnz .LBB140_15
.LBB140_10:
	s_or_b64 exec, exec, s[0:1]
	v_cmp_gt_i32_e32 vcc, s7, v0
	s_and_saveexec_b64 s[0:1], vcc
	s_cbranch_execnz .LBB140_16
.LBB140_11:
	s_endpgm
.LBB140_12:
	v_add_u32_e32 v4, s6, v4
	v_mov_b32_e32 v5, 0
	v_lshlrev_b64 v[4:5], 3, v[4:5]
	v_mov_b32_e32 v6, s15
	v_add_co_u32_e64 v19, s[0:1], s14, v4
	v_addc_co_u32_e64 v20, s[0:1], v6, v5, s[0:1]
	v_mov_b32_e32 v6, s3
	v_add_co_u32_e64 v21, s[0:1], s2, v4
	v_addc_co_u32_e64 v22, s[0:1], v6, v5, s[0:1]
	global_load_dwordx2 v[5:6], v[19:20], off
	global_load_dwordx2 v[15:16], v[21:22], off
	s_or_b64 exec, exec, s[4:5]
	s_and_saveexec_b64 s[2:3], vcc
	s_cbranch_execz .LBB140_8
.LBB140_13:
	s_waitcnt vmcnt(1)
	v_cmp_nge_f64_e32 vcc, s[8:9], v[9:10]
	v_mov_b32_e32 v4, 0
	v_lshlrev_b64 v[3:4], 3, v[3:4]
	v_mov_b32_e32 v9, s13
	v_add_co_u32_e64 v3, s[0:1], s12, v3
	v_mov_b32_e32 v19, s11
	v_addc_co_u32_e64 v4, s[0:1], v9, v4, s[0:1]
	v_mov_b32_e32 v9, s10
	v_or_b32_e32 v0, 0x100, v0
	s_waitcnt vmcnt(0)
	v_cndmask_b32_e32 v8, v19, v8, vcc
	v_cndmask_b32_e32 v7, v9, v7, vcc
	global_store_dwordx2 v[3:4], v[7:8], off
	s_or_b64 exec, exec, s[2:3]
	v_cmp_gt_i32_e32 vcc, s7, v0
	s_and_saveexec_b64 s[0:1], vcc
	s_cbranch_execz .LBB140_9
.LBB140_14:
	s_waitcnt vmcnt(1)
	v_cmp_nge_f64_e32 vcc, s[8:9], v[1:2]
	v_mov_b32_e32 v3, s11
	s_waitcnt vmcnt(0)
	v_add_u32_e32 v8, 0x100, v0
	v_add_u32_e32 v0, s6, v0
	v_mov_b32_e32 v1, 0
	v_mov_b32_e32 v7, s10
	v_cndmask_b32_e32 v2, v3, v12, vcc
	v_lshlrev_b64 v[3:4], 3, v[0:1]
	v_cndmask_b32_e32 v1, v7, v11, vcc
	v_mov_b32_e32 v0, s13
	v_add_co_u32_e32 v3, vcc, s12, v3
	v_addc_co_u32_e32 v4, vcc, v0, v4, vcc
	v_mov_b32_e32 v0, v8
	global_store_dwordx2 v[3:4], v[1:2], off
	s_or_b64 exec, exec, s[0:1]
	v_cmp_gt_i32_e32 vcc, s7, v0
	s_and_saveexec_b64 s[0:1], vcc
	s_cbranch_execz .LBB140_10
.LBB140_15:
	s_waitcnt vmcnt(1)
	v_cmp_nge_f64_e32 vcc, s[8:9], v[17:18]
	s_waitcnt vmcnt(0)
	v_add_u32_e32 v8, 0x100, v0
	v_add_u32_e32 v0, s6, v0
	v_mov_b32_e32 v1, 0
	v_lshlrev_b64 v[3:4], 3, v[0:1]
	v_mov_b32_e32 v2, s11
	v_mov_b32_e32 v7, s10
	;; [unrolled: 1-line block ×3, first 2 shown]
	v_cndmask_b32_e32 v2, v2, v14, vcc
	v_cndmask_b32_e32 v1, v7, v13, vcc
	v_add_co_u32_e32 v3, vcc, s12, v3
	v_addc_co_u32_e32 v4, vcc, v0, v4, vcc
	v_mov_b32_e32 v0, v8
	global_store_dwordx2 v[3:4], v[1:2], off
	s_or_b64 exec, exec, s[0:1]
	v_cmp_gt_i32_e32 vcc, s7, v0
	s_and_saveexec_b64 s[0:1], vcc
	s_cbranch_execz .LBB140_11
.LBB140_16:
	s_waitcnt vmcnt(1)
	v_cmp_nge_f64_e32 vcc, s[8:9], v[5:6]
	v_add_u32_e32 v0, s6, v0
	v_mov_b32_e32 v1, 0
	v_lshlrev_b64 v[3:4], 3, v[0:1]
	v_mov_b32_e32 v2, s11
	v_mov_b32_e32 v5, s10
	;; [unrolled: 1-line block ×3, first 2 shown]
	s_waitcnt vmcnt(0)
	v_cndmask_b32_e32 v2, v2, v16, vcc
	v_cndmask_b32_e32 v1, v5, v15, vcc
	v_add_co_u32_e32 v3, vcc, s12, v3
	v_addc_co_u32_e32 v4, vcc, v6, v4, vcc
	global_store_dwordx2 v[3:4], v[1:2], off
	s_endpgm
	.section	.rodata,"a",@progbits
	.p2align	6, 0x0
	.amdhsa_kernel _ZN2at6native27unrolled_elementwise_kernelINS0_13BinaryFunctorIdddZNS0_12_GLOBAL__N_121threshold_kernel_implIdEEvRNS_18TensorIteratorBaseET_S7_EUlddE_EESt5arrayIPcLm3EELi4E23TrivialOffsetCalculatorILi2EjESD_ILi1EjENS0_6memory15LoadWithoutCastENSG_16StoreWithoutCastEEEviS7_T0_T2_T3_T4_T5_
		.amdhsa_group_segment_fixed_size 0
		.amdhsa_private_segment_fixed_size 0
		.amdhsa_kernarg_size 52
		.amdhsa_user_sgpr_count 6
		.amdhsa_user_sgpr_private_segment_buffer 1
		.amdhsa_user_sgpr_dispatch_ptr 0
		.amdhsa_user_sgpr_queue_ptr 0
		.amdhsa_user_sgpr_kernarg_segment_ptr 1
		.amdhsa_user_sgpr_dispatch_id 0
		.amdhsa_user_sgpr_flat_scratch_init 0
		.amdhsa_user_sgpr_private_segment_size 0
		.amdhsa_uses_dynamic_stack 0
		.amdhsa_system_sgpr_private_segment_wavefront_offset 0
		.amdhsa_system_sgpr_workgroup_id_x 1
		.amdhsa_system_sgpr_workgroup_id_y 0
		.amdhsa_system_sgpr_workgroup_id_z 0
		.amdhsa_system_sgpr_workgroup_info 0
		.amdhsa_system_vgpr_workitem_id 0
		.amdhsa_next_free_vgpr 23
		.amdhsa_next_free_sgpr 16
		.amdhsa_reserve_vcc 1
		.amdhsa_reserve_flat_scratch 0
		.amdhsa_float_round_mode_32 0
		.amdhsa_float_round_mode_16_64 0
		.amdhsa_float_denorm_mode_32 3
		.amdhsa_float_denorm_mode_16_64 3
		.amdhsa_dx10_clamp 1
		.amdhsa_ieee_mode 1
		.amdhsa_fp16_overflow 0
		.amdhsa_exception_fp_ieee_invalid_op 0
		.amdhsa_exception_fp_denorm_src 0
		.amdhsa_exception_fp_ieee_div_zero 0
		.amdhsa_exception_fp_ieee_overflow 0
		.amdhsa_exception_fp_ieee_underflow 0
		.amdhsa_exception_fp_ieee_inexact 0
		.amdhsa_exception_int_div_zero 0
	.end_amdhsa_kernel
	.section	.text._ZN2at6native27unrolled_elementwise_kernelINS0_13BinaryFunctorIdddZNS0_12_GLOBAL__N_121threshold_kernel_implIdEEvRNS_18TensorIteratorBaseET_S7_EUlddE_EESt5arrayIPcLm3EELi4E23TrivialOffsetCalculatorILi2EjESD_ILi1EjENS0_6memory15LoadWithoutCastENSG_16StoreWithoutCastEEEviS7_T0_T2_T3_T4_T5_,"axG",@progbits,_ZN2at6native27unrolled_elementwise_kernelINS0_13BinaryFunctorIdddZNS0_12_GLOBAL__N_121threshold_kernel_implIdEEvRNS_18TensorIteratorBaseET_S7_EUlddE_EESt5arrayIPcLm3EELi4E23TrivialOffsetCalculatorILi2EjESD_ILi1EjENS0_6memory15LoadWithoutCastENSG_16StoreWithoutCastEEEviS7_T0_T2_T3_T4_T5_,comdat
.Lfunc_end140:
	.size	_ZN2at6native27unrolled_elementwise_kernelINS0_13BinaryFunctorIdddZNS0_12_GLOBAL__N_121threshold_kernel_implIdEEvRNS_18TensorIteratorBaseET_S7_EUlddE_EESt5arrayIPcLm3EELi4E23TrivialOffsetCalculatorILi2EjESD_ILi1EjENS0_6memory15LoadWithoutCastENSG_16StoreWithoutCastEEEviS7_T0_T2_T3_T4_T5_, .Lfunc_end140-_ZN2at6native27unrolled_elementwise_kernelINS0_13BinaryFunctorIdddZNS0_12_GLOBAL__N_121threshold_kernel_implIdEEvRNS_18TensorIteratorBaseET_S7_EUlddE_EESt5arrayIPcLm3EELi4E23TrivialOffsetCalculatorILi2EjESD_ILi1EjENS0_6memory15LoadWithoutCastENSG_16StoreWithoutCastEEEviS7_T0_T2_T3_T4_T5_
                                        ; -- End function
	.set _ZN2at6native27unrolled_elementwise_kernelINS0_13BinaryFunctorIdddZNS0_12_GLOBAL__N_121threshold_kernel_implIdEEvRNS_18TensorIteratorBaseET_S7_EUlddE_EESt5arrayIPcLm3EELi4E23TrivialOffsetCalculatorILi2EjESD_ILi1EjENS0_6memory15LoadWithoutCastENSG_16StoreWithoutCastEEEviS7_T0_T2_T3_T4_T5_.num_vgpr, 23
	.set _ZN2at6native27unrolled_elementwise_kernelINS0_13BinaryFunctorIdddZNS0_12_GLOBAL__N_121threshold_kernel_implIdEEvRNS_18TensorIteratorBaseET_S7_EUlddE_EESt5arrayIPcLm3EELi4E23TrivialOffsetCalculatorILi2EjESD_ILi1EjENS0_6memory15LoadWithoutCastENSG_16StoreWithoutCastEEEviS7_T0_T2_T3_T4_T5_.num_agpr, 0
	.set _ZN2at6native27unrolled_elementwise_kernelINS0_13BinaryFunctorIdddZNS0_12_GLOBAL__N_121threshold_kernel_implIdEEvRNS_18TensorIteratorBaseET_S7_EUlddE_EESt5arrayIPcLm3EELi4E23TrivialOffsetCalculatorILi2EjESD_ILi1EjENS0_6memory15LoadWithoutCastENSG_16StoreWithoutCastEEEviS7_T0_T2_T3_T4_T5_.numbered_sgpr, 16
	.set _ZN2at6native27unrolled_elementwise_kernelINS0_13BinaryFunctorIdddZNS0_12_GLOBAL__N_121threshold_kernel_implIdEEvRNS_18TensorIteratorBaseET_S7_EUlddE_EESt5arrayIPcLm3EELi4E23TrivialOffsetCalculatorILi2EjESD_ILi1EjENS0_6memory15LoadWithoutCastENSG_16StoreWithoutCastEEEviS7_T0_T2_T3_T4_T5_.num_named_barrier, 0
	.set _ZN2at6native27unrolled_elementwise_kernelINS0_13BinaryFunctorIdddZNS0_12_GLOBAL__N_121threshold_kernel_implIdEEvRNS_18TensorIteratorBaseET_S7_EUlddE_EESt5arrayIPcLm3EELi4E23TrivialOffsetCalculatorILi2EjESD_ILi1EjENS0_6memory15LoadWithoutCastENSG_16StoreWithoutCastEEEviS7_T0_T2_T3_T4_T5_.private_seg_size, 0
	.set _ZN2at6native27unrolled_elementwise_kernelINS0_13BinaryFunctorIdddZNS0_12_GLOBAL__N_121threshold_kernel_implIdEEvRNS_18TensorIteratorBaseET_S7_EUlddE_EESt5arrayIPcLm3EELi4E23TrivialOffsetCalculatorILi2EjESD_ILi1EjENS0_6memory15LoadWithoutCastENSG_16StoreWithoutCastEEEviS7_T0_T2_T3_T4_T5_.uses_vcc, 1
	.set _ZN2at6native27unrolled_elementwise_kernelINS0_13BinaryFunctorIdddZNS0_12_GLOBAL__N_121threshold_kernel_implIdEEvRNS_18TensorIteratorBaseET_S7_EUlddE_EESt5arrayIPcLm3EELi4E23TrivialOffsetCalculatorILi2EjESD_ILi1EjENS0_6memory15LoadWithoutCastENSG_16StoreWithoutCastEEEviS7_T0_T2_T3_T4_T5_.uses_flat_scratch, 0
	.set _ZN2at6native27unrolled_elementwise_kernelINS0_13BinaryFunctorIdddZNS0_12_GLOBAL__N_121threshold_kernel_implIdEEvRNS_18TensorIteratorBaseET_S7_EUlddE_EESt5arrayIPcLm3EELi4E23TrivialOffsetCalculatorILi2EjESD_ILi1EjENS0_6memory15LoadWithoutCastENSG_16StoreWithoutCastEEEviS7_T0_T2_T3_T4_T5_.has_dyn_sized_stack, 0
	.set _ZN2at6native27unrolled_elementwise_kernelINS0_13BinaryFunctorIdddZNS0_12_GLOBAL__N_121threshold_kernel_implIdEEvRNS_18TensorIteratorBaseET_S7_EUlddE_EESt5arrayIPcLm3EELi4E23TrivialOffsetCalculatorILi2EjESD_ILi1EjENS0_6memory15LoadWithoutCastENSG_16StoreWithoutCastEEEviS7_T0_T2_T3_T4_T5_.has_recursion, 0
	.set _ZN2at6native27unrolled_elementwise_kernelINS0_13BinaryFunctorIdddZNS0_12_GLOBAL__N_121threshold_kernel_implIdEEvRNS_18TensorIteratorBaseET_S7_EUlddE_EESt5arrayIPcLm3EELi4E23TrivialOffsetCalculatorILi2EjESD_ILi1EjENS0_6memory15LoadWithoutCastENSG_16StoreWithoutCastEEEviS7_T0_T2_T3_T4_T5_.has_indirect_call, 0
	.section	.AMDGPU.csdata,"",@progbits
; Kernel info:
; codeLenInByte = 908
; TotalNumSgprs: 20
; NumVgprs: 23
; ScratchSize: 0
; MemoryBound: 0
; FloatMode: 240
; IeeeMode: 1
; LDSByteSize: 0 bytes/workgroup (compile time only)
; SGPRBlocks: 2
; VGPRBlocks: 5
; NumSGPRsForWavesPerEU: 20
; NumVGPRsForWavesPerEU: 23
; Occupancy: 10
; WaveLimiterHint : 0
; COMPUTE_PGM_RSRC2:SCRATCH_EN: 0
; COMPUTE_PGM_RSRC2:USER_SGPR: 6
; COMPUTE_PGM_RSRC2:TRAP_HANDLER: 0
; COMPUTE_PGM_RSRC2:TGID_X_EN: 1
; COMPUTE_PGM_RSRC2:TGID_Y_EN: 0
; COMPUTE_PGM_RSRC2:TGID_Z_EN: 0
; COMPUTE_PGM_RSRC2:TIDIG_COMP_CNT: 0
	.section	.text._ZN2at6native32elementwise_kernel_manual_unrollILi128ELi4EZNS0_22gpu_kernel_impl_nocastINS0_13BinaryFunctorIdddZNS0_12_GLOBAL__N_121threshold_kernel_implIdEEvRNS_18TensorIteratorBaseET_S8_EUlddE_EEEEvS7_RKS8_EUlibE_EEviT1_,"axG",@progbits,_ZN2at6native32elementwise_kernel_manual_unrollILi128ELi4EZNS0_22gpu_kernel_impl_nocastINS0_13BinaryFunctorIdddZNS0_12_GLOBAL__N_121threshold_kernel_implIdEEvRNS_18TensorIteratorBaseET_S8_EUlddE_EEEEvS7_RKS8_EUlibE_EEviT1_,comdat
	.globl	_ZN2at6native32elementwise_kernel_manual_unrollILi128ELi4EZNS0_22gpu_kernel_impl_nocastINS0_13BinaryFunctorIdddZNS0_12_GLOBAL__N_121threshold_kernel_implIdEEvRNS_18TensorIteratorBaseET_S8_EUlddE_EEEEvS7_RKS8_EUlibE_EEviT1_ ; -- Begin function _ZN2at6native32elementwise_kernel_manual_unrollILi128ELi4EZNS0_22gpu_kernel_impl_nocastINS0_13BinaryFunctorIdddZNS0_12_GLOBAL__N_121threshold_kernel_implIdEEvRNS_18TensorIteratorBaseET_S8_EUlddE_EEEEvS7_RKS8_EUlibE_EEviT1_
	.p2align	8
	.type	_ZN2at6native32elementwise_kernel_manual_unrollILi128ELi4EZNS0_22gpu_kernel_impl_nocastINS0_13BinaryFunctorIdddZNS0_12_GLOBAL__N_121threshold_kernel_implIdEEvRNS_18TensorIteratorBaseET_S8_EUlddE_EEEEvS7_RKS8_EUlibE_EEviT1_,@function
_ZN2at6native32elementwise_kernel_manual_unrollILi128ELi4EZNS0_22gpu_kernel_impl_nocastINS0_13BinaryFunctorIdddZNS0_12_GLOBAL__N_121threshold_kernel_implIdEEvRNS_18TensorIteratorBaseET_S8_EUlddE_EEEEvS7_RKS8_EUlibE_EEviT1_: ; @_ZN2at6native32elementwise_kernel_manual_unrollILi128ELi4EZNS0_22gpu_kernel_impl_nocastINS0_13BinaryFunctorIdddZNS0_12_GLOBAL__N_121threshold_kernel_implIdEEvRNS_18TensorIteratorBaseET_S8_EUlddE_EEEEvS7_RKS8_EUlibE_EEviT1_
; %bb.0:
	s_load_dword s40, s[4:5], 0x0
	s_load_dword s33, s[4:5], 0x8
	s_add_u32 s16, s4, 8
	s_addc_u32 s17, s5, 0
	v_lshl_or_b32 v11, s6, 9, v0
	v_or_b32_e32 v21, 0x180, v11
	s_waitcnt lgkmcnt(0)
	s_add_i32 s38, s33, -1
	s_cmp_gt_u32 s38, 1
	v_cmp_le_i32_e32 vcc, s40, v21
	s_cselect_b64 s[18:19], -1, 0
	s_and_saveexec_b64 s[0:1], vcc
	s_xor_b64 s[20:21], exec, s[0:1]
	s_cbranch_execz .LBB141_54
; %bb.1:
	s_load_dwordx4 s[12:15], s[16:17], 0x4
	s_load_dwordx2 s[26:27], s[16:17], 0x14
	s_load_dwordx4 s[8:11], s[16:17], 0xc4
	s_load_dwordx2 s[24:25], s[16:17], 0xd4
	s_load_dwordx2 s[22:23], s[16:17], 0x1a8
	s_load_dwordx8 s[0:7], s[16:17], 0x188
	s_cmp_lg_u32 s33, 0
	s_cselect_b64 s[30:31], -1, 0
	s_min_u32 s39, s38, 15
	s_cmp_gt_u32 s33, 1
	s_cselect_b64 s[28:29], -1, 0
	v_cmp_gt_i32_e32 vcc, s40, v11
	s_and_saveexec_b64 s[34:35], vcc
	s_cbranch_execnz .LBB141_5
; %bb.2:
	s_or_b64 exec, exec, s[34:35]
	v_cmp_gt_i32_e32 vcc, s40, v11
	s_and_saveexec_b64 s[34:35], vcc
	s_cbranch_execnz .LBB141_17
.LBB141_3:
	s_or_b64 exec, exec, s[34:35]
	v_cmp_gt_i32_e32 vcc, s40, v11
	s_and_saveexec_b64 s[34:35], vcc
	s_cbranch_execnz .LBB141_29
.LBB141_4:
	s_or_b64 exec, exec, s[34:35]
	v_cmp_gt_i32_e32 vcc, s40, v11
	s_and_saveexec_b64 s[34:35], vcc
	s_cbranch_execnz .LBB141_41
	s_branch .LBB141_53
.LBB141_5:
	s_andn2_b64 vcc, exec, s[18:19]
	s_cbranch_vccnz .LBB141_11
; %bb.6:
	s_andn2_b64 vcc, exec, s[30:31]
	s_cbranch_vccnz .LBB141_12
; %bb.7:
	s_add_i32 s36, s39, 1
	s_and_b32 s41, s36, 30
	s_add_u32 s36, s16, 0xffffffe8
	s_addc_u32 s37, s17, -1
	v_mov_b32_e32 v2, 0
	v_mov_b32_e32 v4, 0
	;; [unrolled: 1-line block ×4, first 2 shown]
.LBB141_8:                              ; =>This Inner Loop Header: Depth=1
	s_load_dwordx4 s[44:47], s[36:37], 0x1c
	s_load_dwordx2 s[42:43], s[36:37], 0x2c
	s_load_dwordx2 s[52:53], s[36:37], 0xec
	s_load_dwordx4 s[48:51], s[36:37], 0xdc
	s_add_u32 s36, s36, 24
	s_waitcnt lgkmcnt(0)
	v_mul_hi_u32 v3, s45, v1
	s_addc_u32 s37, s37, 0
	s_add_i32 s41, s41, -2
	s_cmp_lg_u32 s41, 0
	v_add_u32_e32 v3, v1, v3
	v_lshrrev_b32_e32 v3, s46, v3
	v_mul_lo_u32 v5, v3, s44
	v_mul_hi_u32 v6, s42, v3
	v_sub_u32_e32 v5, v1, v5
	v_add_u32_e32 v1, v3, v6
	v_lshrrev_b32_e32 v1, s43, v1
	v_mul_lo_u32 v8, v1, s47
	v_mul_lo_u32 v6, v5, s48
	;; [unrolled: 1-line block ×4, first 2 shown]
	v_sub_u32_e32 v3, v3, v8
	v_mul_lo_u32 v8, v3, s51
	v_mul_lo_u32 v9, v3, s52
	;; [unrolled: 1-line block ×3, first 2 shown]
	v_add3_u32 v0, v6, v0, v8
	v_add3_u32 v4, v7, v4, v9
	;; [unrolled: 1-line block ×3, first 2 shown]
	s_cbranch_scc1 .LBB141_8
; %bb.9:
	s_bitcmp1_b32 s39, 0
	s_cselect_b64 s[42:43], -1, 0
	s_and_b64 vcc, exec, s[42:43]
	s_cbranch_vccnz .LBB141_13
; %bb.10:
	s_load_dwordx2 s[42:43], s[36:37], 0x1c
	s_load_dword s41, s[36:37], 0x24
	s_load_dwordx2 s[44:45], s[36:37], 0xdc
	s_waitcnt lgkmcnt(0)
	v_mul_hi_u32 v3, s43, v1
	v_add_u32_e32 v3, v1, v3
	v_lshrrev_b32_e32 v3, s41, v3
	v_mul_lo_u32 v3, v3, s42
	s_load_dword s41, s[36:37], 0xe4
	v_sub_u32_e32 v3, v1, v3
	v_mad_u64_u32 v[0:1], s[36:37], v3, s44, v[0:1]
	v_mad_u64_u32 v[4:5], s[36:37], v3, s45, v[4:5]
	s_waitcnt lgkmcnt(0)
	v_mad_u64_u32 v[2:3], s[36:37], v3, s41, v[2:3]
	s_cbranch_execz .LBB141_14
	s_branch .LBB141_16
.LBB141_11:
                                        ; implicit-def: $vgpr0
                                        ; implicit-def: $vgpr4
                                        ; implicit-def: $vgpr2
	s_branch .LBB141_14
.LBB141_12:
	v_mov_b32_e32 v0, 0
	v_mov_b32_e32 v4, 0
	;; [unrolled: 1-line block ×3, first 2 shown]
.LBB141_13:
	s_cbranch_execnz .LBB141_16
.LBB141_14:
	s_waitcnt lgkmcnt(0)
	v_mul_hi_u32 v0, s13, v11
	s_andn2_b64 vcc, exec, s[28:29]
	v_add_u32_e32 v0, v11, v0
	v_lshrrev_b32_e32 v1, s14, v0
	v_mul_lo_u32 v0, v1, s12
	v_sub_u32_e32 v2, v11, v0
	v_mul_lo_u32 v0, v2, s8
	v_mul_lo_u32 v4, v2, s9
	;; [unrolled: 1-line block ×3, first 2 shown]
	s_cbranch_vccnz .LBB141_16
; %bb.15:
	v_mul_hi_u32 v3, s26, v1
	v_add_u32_e32 v3, v1, v3
	v_lshrrev_b32_e32 v3, s27, v3
	v_mul_lo_u32 v3, v3, s15
	v_sub_u32_e32 v3, v1, v3
	v_mad_u64_u32 v[0:1], s[36:37], v3, s11, v[0:1]
	v_mad_u64_u32 v[4:5], s[36:37], v3, s24, v[4:5]
	;; [unrolled: 1-line block ×3, first 2 shown]
.LBB141_16:
	s_waitcnt lgkmcnt(0)
	global_load_dwordx2 v[5:6], v4, s[2:3]
	global_load_dwordx2 v[7:8], v2, s[4:5]
	v_mov_b32_e32 v1, s23
	v_mov_b32_e32 v3, s22
	v_add_u32_e32 v11, 0x80, v11
	s_waitcnt vmcnt(1)
	v_cmp_nge_f64_e32 vcc, s[6:7], v[5:6]
	s_waitcnt vmcnt(0)
	v_cndmask_b32_e32 v2, v1, v8, vcc
	v_cndmask_b32_e32 v1, v3, v7, vcc
	global_store_dwordx2 v0, v[1:2], s[0:1]
	s_or_b64 exec, exec, s[34:35]
	v_cmp_gt_i32_e32 vcc, s40, v11
	s_and_saveexec_b64 s[34:35], vcc
	s_cbranch_execz .LBB141_3
.LBB141_17:
	s_andn2_b64 vcc, exec, s[18:19]
	s_cbranch_vccnz .LBB141_23
; %bb.18:
	s_andn2_b64 vcc, exec, s[30:31]
	s_cbranch_vccnz .LBB141_24
; %bb.19:
	s_add_i32 s36, s39, 1
	s_and_b32 s41, s36, 30
	s_add_u32 s36, s16, 0xffffffe8
	s_addc_u32 s37, s17, -1
	v_mov_b32_e32 v2, 0
	v_mov_b32_e32 v4, 0
	;; [unrolled: 1-line block ×4, first 2 shown]
.LBB141_20:                             ; =>This Inner Loop Header: Depth=1
	s_load_dwordx4 s[44:47], s[36:37], 0x1c
	s_load_dwordx2 s[42:43], s[36:37], 0x2c
	s_load_dwordx2 s[52:53], s[36:37], 0xec
	s_load_dwordx4 s[48:51], s[36:37], 0xdc
	s_add_u32 s36, s36, 24
	s_waitcnt lgkmcnt(0)
	v_mul_hi_u32 v3, s45, v1
	s_addc_u32 s37, s37, 0
	s_add_i32 s41, s41, -2
	s_cmp_eq_u32 s41, 0
	v_add_u32_e32 v3, v1, v3
	v_lshrrev_b32_e32 v3, s46, v3
	v_mul_lo_u32 v5, v3, s44
	v_mul_hi_u32 v6, s42, v3
	v_sub_u32_e32 v5, v1, v5
	v_add_u32_e32 v1, v3, v6
	v_lshrrev_b32_e32 v1, s43, v1
	v_mul_lo_u32 v8, v1, s47
	v_mul_lo_u32 v6, v5, s48
	;; [unrolled: 1-line block ×4, first 2 shown]
	v_sub_u32_e32 v3, v3, v8
	v_mul_lo_u32 v8, v3, s51
	v_mul_lo_u32 v9, v3, s52
	;; [unrolled: 1-line block ×3, first 2 shown]
	v_add3_u32 v0, v6, v0, v8
	v_add3_u32 v4, v7, v4, v9
	;; [unrolled: 1-line block ×3, first 2 shown]
	s_cbranch_scc0 .LBB141_20
; %bb.21:
	s_bitcmp1_b32 s39, 0
	s_cselect_b64 s[42:43], -1, 0
	s_and_b64 vcc, exec, s[42:43]
	s_cbranch_vccnz .LBB141_25
; %bb.22:
	s_load_dwordx2 s[42:43], s[36:37], 0x1c
	s_load_dword s41, s[36:37], 0x24
	s_load_dwordx2 s[44:45], s[36:37], 0xdc
	s_waitcnt lgkmcnt(0)
	v_mul_hi_u32 v3, s43, v1
	v_add_u32_e32 v3, v1, v3
	v_lshrrev_b32_e32 v3, s41, v3
	v_mul_lo_u32 v3, v3, s42
	s_load_dword s41, s[36:37], 0xe4
	v_sub_u32_e32 v3, v1, v3
	v_mad_u64_u32 v[0:1], s[36:37], v3, s44, v[0:1]
	v_mad_u64_u32 v[4:5], s[36:37], v3, s45, v[4:5]
	s_waitcnt lgkmcnt(0)
	v_mad_u64_u32 v[2:3], s[36:37], v3, s41, v[2:3]
	s_branch .LBB141_25
.LBB141_23:
                                        ; implicit-def: $vgpr0
                                        ; implicit-def: $vgpr4
                                        ; implicit-def: $vgpr2
	s_branch .LBB141_26
.LBB141_24:
	v_mov_b32_e32 v0, 0
	v_mov_b32_e32 v4, 0
	;; [unrolled: 1-line block ×3, first 2 shown]
.LBB141_25:
	s_cbranch_execnz .LBB141_28
.LBB141_26:
	s_waitcnt lgkmcnt(0)
	v_mul_hi_u32 v0, s13, v11
	s_andn2_b64 vcc, exec, s[28:29]
	v_add_u32_e32 v0, v11, v0
	v_lshrrev_b32_e32 v1, s14, v0
	v_mul_lo_u32 v0, v1, s12
	v_sub_u32_e32 v2, v11, v0
	v_mul_lo_u32 v0, v2, s8
	v_mul_lo_u32 v4, v2, s9
	;; [unrolled: 1-line block ×3, first 2 shown]
	s_cbranch_vccnz .LBB141_28
; %bb.27:
	v_mul_hi_u32 v3, s26, v1
	v_add_u32_e32 v3, v1, v3
	v_lshrrev_b32_e32 v3, s27, v3
	v_mul_lo_u32 v3, v3, s15
	v_sub_u32_e32 v3, v1, v3
	v_mad_u64_u32 v[0:1], s[36:37], v3, s11, v[0:1]
	v_mad_u64_u32 v[4:5], s[36:37], v3, s24, v[4:5]
	;; [unrolled: 1-line block ×3, first 2 shown]
.LBB141_28:
	s_waitcnt lgkmcnt(0)
	global_load_dwordx2 v[5:6], v4, s[2:3]
	global_load_dwordx2 v[7:8], v2, s[4:5]
	v_mov_b32_e32 v1, s23
	v_mov_b32_e32 v3, s22
	v_add_u32_e32 v11, 0x80, v11
	s_waitcnt vmcnt(1)
	v_cmp_nge_f64_e32 vcc, s[6:7], v[5:6]
	s_waitcnt vmcnt(0)
	v_cndmask_b32_e32 v2, v1, v8, vcc
	v_cndmask_b32_e32 v1, v3, v7, vcc
	global_store_dwordx2 v0, v[1:2], s[0:1]
	s_or_b64 exec, exec, s[34:35]
	v_cmp_gt_i32_e32 vcc, s40, v11
	s_and_saveexec_b64 s[34:35], vcc
	s_cbranch_execz .LBB141_4
.LBB141_29:
	s_andn2_b64 vcc, exec, s[18:19]
	s_cbranch_vccnz .LBB141_35
; %bb.30:
	s_andn2_b64 vcc, exec, s[30:31]
	s_cbranch_vccnz .LBB141_36
; %bb.31:
	s_add_i32 s36, s39, 1
	s_and_b32 s41, s36, 30
	s_add_u32 s36, s16, 0xffffffe8
	s_addc_u32 s37, s17, -1
	v_mov_b32_e32 v2, 0
	v_mov_b32_e32 v4, 0
	;; [unrolled: 1-line block ×4, first 2 shown]
.LBB141_32:                             ; =>This Inner Loop Header: Depth=1
	s_load_dwordx4 s[44:47], s[36:37], 0x1c
	s_load_dwordx2 s[42:43], s[36:37], 0x2c
	s_load_dwordx2 s[52:53], s[36:37], 0xec
	s_load_dwordx4 s[48:51], s[36:37], 0xdc
	s_add_u32 s36, s36, 24
	s_waitcnt lgkmcnt(0)
	v_mul_hi_u32 v3, s45, v1
	s_addc_u32 s37, s37, 0
	s_add_i32 s41, s41, -2
	s_cmp_eq_u32 s41, 0
	v_add_u32_e32 v3, v1, v3
	v_lshrrev_b32_e32 v3, s46, v3
	v_mul_lo_u32 v5, v3, s44
	v_mul_hi_u32 v6, s42, v3
	v_sub_u32_e32 v5, v1, v5
	v_add_u32_e32 v1, v3, v6
	v_lshrrev_b32_e32 v1, s43, v1
	v_mul_lo_u32 v8, v1, s47
	v_mul_lo_u32 v6, v5, s48
	;; [unrolled: 1-line block ×4, first 2 shown]
	v_sub_u32_e32 v3, v3, v8
	v_mul_lo_u32 v8, v3, s51
	v_mul_lo_u32 v9, v3, s52
	;; [unrolled: 1-line block ×3, first 2 shown]
	v_add3_u32 v0, v6, v0, v8
	v_add3_u32 v4, v7, v4, v9
	;; [unrolled: 1-line block ×3, first 2 shown]
	s_cbranch_scc0 .LBB141_32
; %bb.33:
	s_bitcmp1_b32 s39, 0
	s_cselect_b64 s[42:43], -1, 0
	s_and_b64 vcc, exec, s[42:43]
	s_cbranch_vccnz .LBB141_37
; %bb.34:
	s_load_dwordx2 s[42:43], s[36:37], 0x1c
	s_load_dword s41, s[36:37], 0x24
	s_load_dwordx2 s[44:45], s[36:37], 0xdc
	s_waitcnt lgkmcnt(0)
	v_mul_hi_u32 v3, s43, v1
	v_add_u32_e32 v3, v1, v3
	v_lshrrev_b32_e32 v3, s41, v3
	v_mul_lo_u32 v3, v3, s42
	s_load_dword s41, s[36:37], 0xe4
	v_sub_u32_e32 v3, v1, v3
	v_mad_u64_u32 v[0:1], s[36:37], v3, s44, v[0:1]
	v_mad_u64_u32 v[4:5], s[36:37], v3, s45, v[4:5]
	s_waitcnt lgkmcnt(0)
	v_mad_u64_u32 v[2:3], s[36:37], v3, s41, v[2:3]
	s_branch .LBB141_37
.LBB141_35:
                                        ; implicit-def: $vgpr0
                                        ; implicit-def: $vgpr4
                                        ; implicit-def: $vgpr2
	s_branch .LBB141_38
.LBB141_36:
	v_mov_b32_e32 v0, 0
	v_mov_b32_e32 v4, 0
	;; [unrolled: 1-line block ×3, first 2 shown]
.LBB141_37:
	s_cbranch_execnz .LBB141_40
.LBB141_38:
	s_waitcnt lgkmcnt(0)
	v_mul_hi_u32 v0, s13, v11
	s_andn2_b64 vcc, exec, s[28:29]
	v_add_u32_e32 v0, v11, v0
	v_lshrrev_b32_e32 v1, s14, v0
	v_mul_lo_u32 v0, v1, s12
	v_sub_u32_e32 v2, v11, v0
	v_mul_lo_u32 v0, v2, s8
	v_mul_lo_u32 v4, v2, s9
	v_mul_lo_u32 v2, v2, s10
	s_cbranch_vccnz .LBB141_40
; %bb.39:
	v_mul_hi_u32 v3, s26, v1
	v_add_u32_e32 v3, v1, v3
	v_lshrrev_b32_e32 v3, s27, v3
	v_mul_lo_u32 v3, v3, s15
	v_sub_u32_e32 v3, v1, v3
	v_mad_u64_u32 v[0:1], s[36:37], v3, s11, v[0:1]
	v_mad_u64_u32 v[4:5], s[36:37], v3, s24, v[4:5]
	;; [unrolled: 1-line block ×3, first 2 shown]
.LBB141_40:
	s_waitcnt lgkmcnt(0)
	global_load_dwordx2 v[5:6], v4, s[2:3]
	global_load_dwordx2 v[7:8], v2, s[4:5]
	v_mov_b32_e32 v1, s23
	v_mov_b32_e32 v3, s22
	v_add_u32_e32 v11, 0x80, v11
	s_waitcnt vmcnt(1)
	v_cmp_nge_f64_e32 vcc, s[6:7], v[5:6]
	s_waitcnt vmcnt(0)
	v_cndmask_b32_e32 v2, v1, v8, vcc
	v_cndmask_b32_e32 v1, v3, v7, vcc
	global_store_dwordx2 v0, v[1:2], s[0:1]
	s_or_b64 exec, exec, s[34:35]
	v_cmp_gt_i32_e32 vcc, s40, v11
	s_and_saveexec_b64 s[34:35], vcc
	s_cbranch_execz .LBB141_53
.LBB141_41:
	s_andn2_b64 vcc, exec, s[18:19]
	s_cbranch_vccnz .LBB141_47
; %bb.42:
	s_andn2_b64 vcc, exec, s[30:31]
	s_cbranch_vccnz .LBB141_48
; %bb.43:
	s_add_i32 s30, s39, 1
	s_and_b32 s36, s30, 30
	s_add_u32 s30, s16, 0xffffffe8
	s_addc_u32 s31, s17, -1
	v_mov_b32_e32 v2, 0
	v_mov_b32_e32 v4, 0
	;; [unrolled: 1-line block ×4, first 2 shown]
.LBB141_44:                             ; =>This Inner Loop Header: Depth=1
	s_load_dwordx4 s[40:43], s[30:31], 0x1c
	s_load_dwordx2 s[48:49], s[30:31], 0x2c
	s_load_dwordx2 s[50:51], s[30:31], 0xec
	s_load_dwordx4 s[44:47], s[30:31], 0xdc
	s_add_u32 s30, s30, 24
	s_waitcnt lgkmcnt(0)
	v_mul_hi_u32 v3, s41, v1
	s_addc_u32 s31, s31, 0
	s_add_i32 s36, s36, -2
	s_cmp_eq_u32 s36, 0
	v_add_u32_e32 v3, v1, v3
	v_lshrrev_b32_e32 v3, s42, v3
	v_mul_lo_u32 v5, v3, s40
	v_mul_hi_u32 v6, s48, v3
	v_sub_u32_e32 v5, v1, v5
	v_add_u32_e32 v1, v3, v6
	v_lshrrev_b32_e32 v1, s49, v1
	v_mul_lo_u32 v8, v1, s43
	v_mul_lo_u32 v6, v5, s44
	;; [unrolled: 1-line block ×4, first 2 shown]
	v_sub_u32_e32 v3, v3, v8
	v_mul_lo_u32 v8, v3, s47
	v_mul_lo_u32 v9, v3, s50
	;; [unrolled: 1-line block ×3, first 2 shown]
	v_add3_u32 v0, v6, v0, v8
	v_add3_u32 v4, v7, v4, v9
	;; [unrolled: 1-line block ×3, first 2 shown]
	s_cbranch_scc0 .LBB141_44
; %bb.45:
	s_bitcmp1_b32 s39, 0
	s_cselect_b64 s[36:37], -1, 0
	s_and_b64 vcc, exec, s[36:37]
	s_cbranch_vccnz .LBB141_49
; %bb.46:
	s_load_dwordx2 s[36:37], s[30:31], 0x1c
	s_load_dword s39, s[30:31], 0x24
	s_load_dwordx2 s[40:41], s[30:31], 0xdc
	s_waitcnt lgkmcnt(0)
	v_mul_hi_u32 v3, s37, v1
	v_add_u32_e32 v3, v1, v3
	v_lshrrev_b32_e32 v3, s39, v3
	v_mul_lo_u32 v3, v3, s36
	s_load_dword s36, s[30:31], 0xe4
	v_sub_u32_e32 v3, v1, v3
	v_mad_u64_u32 v[0:1], s[30:31], v3, s40, v[0:1]
	v_mad_u64_u32 v[4:5], s[30:31], v3, s41, v[4:5]
	s_waitcnt lgkmcnt(0)
	v_mad_u64_u32 v[2:3], s[30:31], v3, s36, v[2:3]
	s_branch .LBB141_49
.LBB141_47:
                                        ; implicit-def: $vgpr0
                                        ; implicit-def: $vgpr4
                                        ; implicit-def: $vgpr2
	s_branch .LBB141_50
.LBB141_48:
	v_mov_b32_e32 v0, 0
	v_mov_b32_e32 v4, 0
	;; [unrolled: 1-line block ×3, first 2 shown]
.LBB141_49:
	s_cbranch_execnz .LBB141_52
.LBB141_50:
	s_waitcnt lgkmcnt(0)
	v_mul_hi_u32 v0, s13, v11
	s_andn2_b64 vcc, exec, s[28:29]
	v_add_u32_e32 v0, v11, v0
	v_lshrrev_b32_e32 v1, s14, v0
	v_mul_lo_u32 v0, v1, s12
	v_sub_u32_e32 v2, v11, v0
	v_mul_lo_u32 v0, v2, s8
	v_mul_lo_u32 v4, v2, s9
	;; [unrolled: 1-line block ×3, first 2 shown]
	s_cbranch_vccnz .LBB141_52
; %bb.51:
	v_mul_hi_u32 v3, s26, v1
	v_add_u32_e32 v3, v1, v3
	v_lshrrev_b32_e32 v3, s27, v3
	v_mul_lo_u32 v3, v3, s15
	v_sub_u32_e32 v3, v1, v3
	v_mad_u64_u32 v[0:1], s[8:9], v3, s11, v[0:1]
	v_mad_u64_u32 v[4:5], s[8:9], v3, s24, v[4:5]
	;; [unrolled: 1-line block ×3, first 2 shown]
.LBB141_52:
	s_waitcnt lgkmcnt(0)
	global_load_dwordx2 v[5:6], v4, s[2:3]
	global_load_dwordx2 v[7:8], v2, s[4:5]
	v_mov_b32_e32 v1, s23
	s_waitcnt vmcnt(1)
	v_cmp_nge_f64_e32 vcc, s[6:7], v[5:6]
	s_waitcnt vmcnt(0)
	v_cndmask_b32_e32 v2, v1, v8, vcc
	v_mov_b32_e32 v1, s22
	v_cndmask_b32_e32 v1, v1, v7, vcc
	global_store_dwordx2 v0, v[1:2], s[0:1]
.LBB141_53:
	s_or_b64 exec, exec, s[34:35]
                                        ; implicit-def: $vgpr21
                                        ; implicit-def: $vgpr11
.LBB141_54:
	s_waitcnt lgkmcnt(0)
	s_andn2_saveexec_b64 s[0:1], s[20:21]
	s_cbranch_execz .LBB141_61
; %bb.55:
	v_cndmask_b32_e64 v0, 0, 1, s[18:19]
	v_cmp_ne_u32_e64 s[0:1], 1, v0
	s_andn2_b64 vcc, exec, s[18:19]
	s_cbranch_vccnz .LBB141_62
; %bb.56:
	s_cmp_lg_u32 s33, 0
	s_cbranch_scc0 .LBB141_63
; %bb.57:
	s_min_u32 s4, s38, 15
	s_add_i32 s2, s4, 1
	s_and_b32 s5, s2, 30
	s_add_u32 s2, s16, 0xffffffe8
	s_addc_u32 s3, s17, -1
	v_mov_b32_e32 v2, 0
	v_mov_b32_e32 v4, 0
	;; [unrolled: 1-line block ×4, first 2 shown]
.LBB141_58:                             ; =>This Inner Loop Header: Depth=1
	s_load_dwordx4 s[8:11], s[2:3], 0x1c
	s_load_dwordx2 s[6:7], s[2:3], 0x2c
	s_load_dwordx2 s[18:19], s[2:3], 0xec
	s_load_dwordx4 s[12:15], s[2:3], 0xdc
	s_add_u32 s2, s2, 24
	s_waitcnt lgkmcnt(0)
	v_mul_hi_u32 v3, s9, v1
	s_addc_u32 s3, s3, 0
	s_add_i32 s5, s5, -2
	s_cmp_lg_u32 s5, 0
	v_add_u32_e32 v3, v1, v3
	v_lshrrev_b32_e32 v3, s10, v3
	v_mul_lo_u32 v5, v3, s8
	v_mul_hi_u32 v6, s6, v3
	v_sub_u32_e32 v5, v1, v5
	v_add_u32_e32 v1, v3, v6
	v_lshrrev_b32_e32 v1, s7, v1
	v_mul_lo_u32 v8, v1, s11
	v_mul_lo_u32 v6, v5, s12
	;; [unrolled: 1-line block ×4, first 2 shown]
	v_sub_u32_e32 v3, v3, v8
	v_mul_lo_u32 v8, v3, s15
	v_mul_lo_u32 v9, v3, s18
	;; [unrolled: 1-line block ×3, first 2 shown]
	v_add3_u32 v0, v6, v0, v8
	v_add3_u32 v4, v7, v4, v9
	;; [unrolled: 1-line block ×3, first 2 shown]
	s_cbranch_scc1 .LBB141_58
; %bb.59:
	s_bitcmp1_b32 s4, 0
	s_cselect_b64 s[4:5], -1, 0
	s_and_b64 vcc, exec, s[4:5]
	s_cbranch_vccnz .LBB141_64
; %bb.60:
	s_load_dwordx2 s[4:5], s[2:3], 0x1c
	s_load_dword s8, s[2:3], 0x24
	s_load_dwordx2 s[6:7], s[2:3], 0xdc
	s_waitcnt lgkmcnt(0)
	v_mul_hi_u32 v3, s5, v1
	v_add_u32_e32 v3, v1, v3
	v_lshrrev_b32_e32 v3, s8, v3
	v_mul_lo_u32 v3, v3, s4
	s_load_dword s4, s[2:3], 0xe4
	v_sub_u32_e32 v3, v1, v3
	v_mad_u64_u32 v[0:1], s[2:3], v3, s6, v[0:1]
	v_mad_u64_u32 v[4:5], s[2:3], v3, s7, v[4:5]
	s_waitcnt lgkmcnt(0)
	v_mad_u64_u32 v[2:3], s[2:3], v3, s4, v[2:3]
	s_cbranch_execz .LBB141_65
	s_branch .LBB141_67
.LBB141_61:
	s_endpgm
.LBB141_62:
                                        ; implicit-def: $vgpr0
                                        ; implicit-def: $vgpr4
                                        ; implicit-def: $vgpr2
	s_branch .LBB141_65
.LBB141_63:
	v_mov_b32_e32 v0, 0
	v_mov_b32_e32 v4, 0
	;; [unrolled: 1-line block ×3, first 2 shown]
.LBB141_64:
	s_cbranch_execnz .LBB141_67
.LBB141_65:
	s_load_dwordx4 s[4:7], s[16:17], 0x4
	s_load_dwordx4 s[8:11], s[16:17], 0xc4
	s_cmp_lt_u32 s33, 2
	s_waitcnt lgkmcnt(0)
	v_mul_hi_u32 v0, s5, v11
	v_add_u32_e32 v0, v11, v0
	v_lshrrev_b32_e32 v1, s6, v0
	v_mul_lo_u32 v0, v1, s4
	v_sub_u32_e32 v2, v11, v0
	v_mul_lo_u32 v0, v2, s8
	v_mul_lo_u32 v4, v2, s9
	v_mul_lo_u32 v2, v2, s10
	s_cbranch_scc1 .LBB141_67
; %bb.66:
	s_load_dwordx4 s[4:7], s[16:17], 0x10
	s_load_dwordx4 s[8:11], s[16:17], 0xd0
	s_waitcnt lgkmcnt(0)
	v_mul_hi_u32 v3, s5, v1
	v_add_u32_e32 v3, v1, v3
	v_lshrrev_b32_e32 v3, s6, v3
	v_mul_lo_u32 v3, v3, s4
	v_sub_u32_e32 v3, v1, v3
	v_mad_u64_u32 v[0:1], s[2:3], v3, s8, v[0:1]
	v_mad_u64_u32 v[4:5], s[2:3], v3, s9, v[4:5]
	;; [unrolled: 1-line block ×3, first 2 shown]
.LBB141_67:
	s_and_b64 vcc, exec, s[0:1]
	v_add_u32_e32 v1, 0x80, v11
	s_cbranch_vccnz .LBB141_73
; %bb.68:
	s_cmp_lg_u32 s33, 0
	s_cbranch_scc0 .LBB141_74
; %bb.69:
	s_min_u32 s4, s38, 15
	s_add_i32 s2, s4, 1
	s_and_b32 s5, s2, 30
	s_add_u32 s2, s16, 0xffffffe8
	s_addc_u32 s3, s17, -1
	v_mov_b32_e32 v7, 0
	v_mov_b32_e32 v9, 0
	;; [unrolled: 1-line block ×4, first 2 shown]
.LBB141_70:                             ; =>This Inner Loop Header: Depth=1
	s_load_dwordx4 s[8:11], s[2:3], 0x1c
	s_load_dwordx2 s[6:7], s[2:3], 0x2c
	s_load_dwordx2 s[18:19], s[2:3], 0xec
	s_load_dwordx4 s[12:15], s[2:3], 0xdc
	s_add_u32 s2, s2, 24
	s_waitcnt lgkmcnt(0)
	v_mul_hi_u32 v6, s9, v3
	s_addc_u32 s3, s3, 0
	s_add_i32 s5, s5, -2
	s_cmp_lg_u32 s5, 0
	v_add_u32_e32 v6, v3, v6
	v_lshrrev_b32_e32 v6, s10, v6
	v_mul_lo_u32 v8, v6, s8
	v_mul_hi_u32 v10, s6, v6
	v_sub_u32_e32 v8, v3, v8
	v_add_u32_e32 v3, v6, v10
	v_lshrrev_b32_e32 v3, s7, v3
	v_mul_lo_u32 v13, v3, s11
	v_mul_lo_u32 v10, v8, s12
	;; [unrolled: 1-line block ×4, first 2 shown]
	v_sub_u32_e32 v6, v6, v13
	v_mul_lo_u32 v13, v6, s15
	v_mul_lo_u32 v14, v6, s18
	v_mul_lo_u32 v6, v6, s19
	v_add3_u32 v5, v10, v5, v13
	v_add3_u32 v9, v12, v9, v14
	;; [unrolled: 1-line block ×3, first 2 shown]
	s_cbranch_scc1 .LBB141_70
; %bb.71:
	s_bitcmp1_b32 s4, 0
	s_cselect_b64 s[4:5], -1, 0
	s_and_b64 vcc, exec, s[4:5]
	s_cbranch_vccnz .LBB141_75
; %bb.72:
	s_load_dwordx2 s[4:5], s[2:3], 0x1c
	s_load_dword s8, s[2:3], 0x24
	s_load_dwordx2 s[6:7], s[2:3], 0xdc
	s_waitcnt lgkmcnt(0)
	v_mul_hi_u32 v6, s5, v3
	v_add_u32_e32 v6, v3, v6
	v_lshrrev_b32_e32 v6, s8, v6
	v_mul_lo_u32 v6, v6, s4
	s_load_dword s4, s[2:3], 0xe4
	v_sub_u32_e32 v3, v3, v6
	v_mad_u64_u32 v[5:6], s[2:3], v3, s6, v[5:6]
	v_mad_u64_u32 v[9:10], s[2:3], v3, s7, v[9:10]
	s_waitcnt lgkmcnt(0)
	v_mad_u64_u32 v[7:8], s[2:3], v3, s4, v[7:8]
	s_cbranch_execz .LBB141_76
	s_branch .LBB141_78
.LBB141_73:
                                        ; implicit-def: $vgpr5
                                        ; implicit-def: $vgpr9
                                        ; implicit-def: $vgpr7
	s_branch .LBB141_76
.LBB141_74:
	v_mov_b32_e32 v5, 0
	v_mov_b32_e32 v9, 0
	;; [unrolled: 1-line block ×3, first 2 shown]
.LBB141_75:
	s_cbranch_execnz .LBB141_78
.LBB141_76:
	s_load_dwordx4 s[4:7], s[16:17], 0x4
	s_load_dwordx4 s[8:11], s[16:17], 0xc4
	s_cmp_lt_u32 s33, 2
	s_waitcnt lgkmcnt(0)
	v_mul_hi_u32 v3, s5, v1
	v_add_u32_e32 v3, v1, v3
	v_lshrrev_b32_e32 v3, s6, v3
	v_mul_lo_u32 v5, v3, s4
	v_sub_u32_e32 v1, v1, v5
	v_mul_lo_u32 v5, v1, s8
	v_mul_lo_u32 v9, v1, s9
	;; [unrolled: 1-line block ×3, first 2 shown]
	s_cbranch_scc1 .LBB141_78
; %bb.77:
	s_load_dwordx4 s[4:7], s[16:17], 0x10
	s_load_dwordx4 s[8:11], s[16:17], 0xd0
	s_waitcnt lgkmcnt(0)
	v_mul_hi_u32 v1, s5, v3
	v_add_u32_e32 v1, v3, v1
	v_lshrrev_b32_e32 v1, s6, v1
	v_mul_lo_u32 v1, v1, s4
	v_sub_u32_e32 v1, v3, v1
	v_mad_u64_u32 v[5:6], s[2:3], v1, s8, v[5:6]
	v_mad_u64_u32 v[9:10], s[2:3], v1, s9, v[9:10]
	;; [unrolled: 1-line block ×3, first 2 shown]
.LBB141_78:
	s_and_b64 vcc, exec, s[0:1]
	v_add_u32_e32 v1, 0x100, v11
	s_cbranch_vccnz .LBB141_84
; %bb.79:
	s_cmp_lg_u32 s33, 0
	s_cbranch_scc0 .LBB141_85
; %bb.80:
	s_min_u32 s4, s38, 15
	s_add_i32 s2, s4, 1
	s_and_b32 s5, s2, 30
	s_add_u32 s2, s16, 0xffffffe8
	s_addc_u32 s3, s17, -1
	v_mov_b32_e32 v12, 0
	v_mov_b32_e32 v14, 0
	;; [unrolled: 1-line block ×4, first 2 shown]
.LBB141_81:                             ; =>This Inner Loop Header: Depth=1
	s_load_dwordx4 s[8:11], s[2:3], 0x1c
	s_load_dwordx2 s[6:7], s[2:3], 0x2c
	s_load_dwordx2 s[18:19], s[2:3], 0xec
	s_load_dwordx4 s[12:15], s[2:3], 0xdc
	s_add_u32 s2, s2, 24
	s_waitcnt lgkmcnt(0)
	v_mul_hi_u32 v6, s9, v3
	s_addc_u32 s3, s3, 0
	s_add_i32 s5, s5, -2
	s_cmp_lg_u32 s5, 0
	v_add_u32_e32 v6, v3, v6
	v_lshrrev_b32_e32 v6, s10, v6
	v_mul_lo_u32 v8, v6, s8
	v_mul_hi_u32 v11, s6, v6
	v_sub_u32_e32 v8, v3, v8
	v_add_u32_e32 v3, v6, v11
	v_lshrrev_b32_e32 v3, s7, v3
	v_mul_lo_u32 v15, v3, s11
	v_mul_lo_u32 v11, v8, s12
	;; [unrolled: 1-line block ×4, first 2 shown]
	v_sub_u32_e32 v6, v6, v15
	v_mul_lo_u32 v15, v6, s15
	v_mul_lo_u32 v16, v6, s18
	;; [unrolled: 1-line block ×3, first 2 shown]
	v_add3_u32 v10, v11, v10, v15
	v_add3_u32 v14, v13, v14, v16
	;; [unrolled: 1-line block ×3, first 2 shown]
	s_cbranch_scc1 .LBB141_81
; %bb.82:
	s_bitcmp1_b32 s4, 0
	s_cselect_b64 s[4:5], -1, 0
	s_and_b64 vcc, exec, s[4:5]
	s_cbranch_vccnz .LBB141_86
; %bb.83:
	s_load_dwordx2 s[4:5], s[2:3], 0x1c
	s_load_dword s8, s[2:3], 0x24
	s_load_dwordx2 s[6:7], s[2:3], 0xdc
	s_waitcnt lgkmcnt(0)
	v_mul_hi_u32 v6, s5, v3
	v_add_u32_e32 v6, v3, v6
	v_lshrrev_b32_e32 v6, s8, v6
	v_mul_lo_u32 v6, v6, s4
	s_load_dword s4, s[2:3], 0xe4
	v_sub_u32_e32 v3, v3, v6
	v_mad_u64_u32 v[10:11], s[2:3], v3, s6, v[10:11]
	v_mad_u64_u32 v[14:15], s[2:3], v3, s7, v[14:15]
	s_waitcnt lgkmcnt(0)
	v_mad_u64_u32 v[12:13], s[2:3], v3, s4, v[12:13]
	s_cbranch_execz .LBB141_87
	s_branch .LBB141_89
.LBB141_84:
                                        ; implicit-def: $vgpr10
                                        ; implicit-def: $vgpr14
                                        ; implicit-def: $vgpr12
	s_branch .LBB141_87
.LBB141_85:
	v_mov_b32_e32 v10, 0
	v_mov_b32_e32 v14, 0
	;; [unrolled: 1-line block ×3, first 2 shown]
.LBB141_86:
	s_cbranch_execnz .LBB141_89
.LBB141_87:
	s_load_dwordx4 s[4:7], s[16:17], 0x4
	s_load_dwordx4 s[8:11], s[16:17], 0xc4
	s_cmp_lt_u32 s33, 2
	s_waitcnt lgkmcnt(0)
	v_mul_hi_u32 v3, s5, v1
	v_add_u32_e32 v3, v1, v3
	v_lshrrev_b32_e32 v3, s6, v3
	v_mul_lo_u32 v6, v3, s4
	v_sub_u32_e32 v1, v1, v6
	v_mul_lo_u32 v10, v1, s8
	v_mul_lo_u32 v14, v1, s9
	;; [unrolled: 1-line block ×3, first 2 shown]
	s_cbranch_scc1 .LBB141_89
; %bb.88:
	s_load_dwordx4 s[4:7], s[16:17], 0x10
	s_load_dwordx4 s[8:11], s[16:17], 0xd0
	s_waitcnt lgkmcnt(0)
	v_mul_hi_u32 v1, s5, v3
	v_add_u32_e32 v1, v3, v1
	v_lshrrev_b32_e32 v1, s6, v1
	v_mul_lo_u32 v1, v1, s4
	v_sub_u32_e32 v1, v3, v1
	v_mad_u64_u32 v[10:11], s[2:3], v1, s8, v[10:11]
	v_mad_u64_u32 v[14:15], s[2:3], v1, s9, v[14:15]
	;; [unrolled: 1-line block ×3, first 2 shown]
.LBB141_89:
	s_and_b64 vcc, exec, s[0:1]
	s_cbranch_vccnz .LBB141_95
; %bb.90:
	s_cmp_lg_u32 s33, 0
	s_cbranch_scc0 .LBB141_96
; %bb.91:
	s_min_u32 s2, s38, 15
	s_add_i32 s0, s2, 1
	s_and_b32 s3, s0, 30
	s_add_u32 s0, s16, 0xffffffe8
	s_addc_u32 s1, s17, -1
	v_mov_b32_e32 v17, 0
	v_mov_b32_e32 v19, 0
	;; [unrolled: 1-line block ×4, first 2 shown]
.LBB141_92:                             ; =>This Inner Loop Header: Depth=1
	s_load_dwordx4 s[4:7], s[0:1], 0x1c
	s_load_dwordx2 s[12:13], s[0:1], 0x2c
	s_load_dwordx2 s[14:15], s[0:1], 0xec
	s_load_dwordx4 s[8:11], s[0:1], 0xdc
	s_add_u32 s0, s0, 24
	s_waitcnt lgkmcnt(0)
	v_mul_hi_u32 v3, s5, v1
	s_addc_u32 s1, s1, 0
	s_add_i32 s3, s3, -2
	s_cmp_lg_u32 s3, 0
	v_add_u32_e32 v3, v1, v3
	v_lshrrev_b32_e32 v3, s6, v3
	v_mul_lo_u32 v6, v3, s4
	v_mul_hi_u32 v8, s12, v3
	v_sub_u32_e32 v6, v1, v6
	v_add_u32_e32 v1, v3, v8
	v_lshrrev_b32_e32 v1, s13, v1
	v_mul_lo_u32 v13, v1, s7
	v_mul_lo_u32 v8, v6, s8
	;; [unrolled: 1-line block ×4, first 2 shown]
	v_sub_u32_e32 v3, v3, v13
	v_mul_lo_u32 v13, v3, s11
	v_mul_lo_u32 v16, v3, s14
	;; [unrolled: 1-line block ×3, first 2 shown]
	v_add3_u32 v15, v8, v15, v13
	v_add3_u32 v19, v11, v19, v16
	;; [unrolled: 1-line block ×3, first 2 shown]
	s_cbranch_scc1 .LBB141_92
; %bb.93:
	s_bitcmp1_b32 s2, 0
	s_cselect_b64 s[2:3], -1, 0
	s_and_b64 vcc, exec, s[2:3]
	s_cbranch_vccnz .LBB141_97
; %bb.94:
	s_load_dwordx2 s[2:3], s[0:1], 0x1c
	s_load_dword s6, s[0:1], 0x24
	s_load_dwordx2 s[4:5], s[0:1], 0xdc
	s_waitcnt lgkmcnt(0)
	v_mul_hi_u32 v3, s3, v1
	v_add_u32_e32 v3, v1, v3
	v_lshrrev_b32_e32 v3, s6, v3
	v_mul_lo_u32 v3, v3, s2
	s_load_dword s2, s[0:1], 0xe4
	v_sub_u32_e32 v1, v1, v3
	v_mad_u64_u32 v[15:16], s[0:1], v1, s4, v[15:16]
	v_mad_u64_u32 v[19:20], s[0:1], v1, s5, v[19:20]
	s_waitcnt lgkmcnt(0)
	v_mad_u64_u32 v[17:18], s[0:1], v1, s2, v[17:18]
	s_cbranch_execz .LBB141_98
	s_branch .LBB141_100
.LBB141_95:
                                        ; implicit-def: $vgpr15
                                        ; implicit-def: $vgpr19
                                        ; implicit-def: $vgpr17
	s_branch .LBB141_98
.LBB141_96:
	v_mov_b32_e32 v15, 0
	v_mov_b32_e32 v19, 0
	;; [unrolled: 1-line block ×3, first 2 shown]
.LBB141_97:
	s_cbranch_execnz .LBB141_100
.LBB141_98:
	s_load_dwordx4 s[0:3], s[16:17], 0x4
	s_load_dwordx4 s[4:7], s[16:17], 0xc4
	s_cmp_lt_u32 s33, 2
	s_waitcnt lgkmcnt(0)
	v_mul_hi_u32 v1, s1, v21
	v_add_u32_e32 v1, v21, v1
	v_lshrrev_b32_e32 v1, s2, v1
	v_mul_lo_u32 v3, v1, s0
	v_sub_u32_e32 v3, v21, v3
	v_mul_lo_u32 v15, v3, s4
	v_mul_lo_u32 v19, v3, s5
	v_mul_lo_u32 v17, v3, s6
	s_cbranch_scc1 .LBB141_100
; %bb.99:
	s_load_dwordx4 s[0:3], s[16:17], 0x10
	s_load_dwordx4 s[4:7], s[16:17], 0xd0
	s_waitcnt lgkmcnt(0)
	v_mul_hi_u32 v3, s1, v1
	v_add_u32_e32 v3, v1, v3
	v_lshrrev_b32_e32 v3, s2, v3
	v_mul_lo_u32 v3, v3, s0
	v_sub_u32_e32 v1, v1, v3
	v_mad_u64_u32 v[15:16], s[0:1], v1, s4, v[15:16]
	v_mad_u64_u32 v[19:20], s[0:1], v1, s5, v[19:20]
	;; [unrolled: 1-line block ×3, first 2 shown]
.LBB141_100:
	s_load_dwordx8 s[8:15], s[16:17], 0x188
	s_load_dwordx2 s[4:5], s[16:17], 0x1a8
	s_waitcnt lgkmcnt(0)
	global_load_dwordx2 v[3:4], v4, s[10:11]
	s_nop 0
	global_load_dwordx2 v[1:2], v2, s[12:13]
	v_mov_b32_e32 v11, s5
	s_waitcnt vmcnt(1)
	v_cmp_nge_f64_e32 vcc, s[14:15], v[3:4]
	global_load_dwordx2 v[3:4], v9, s[10:11]
	global_load_dwordx2 v[20:21], v7, s[12:13]
	s_waitcnt vmcnt(2)
	v_cndmask_b32_e32 v2, v11, v2, vcc
	s_waitcnt vmcnt(1)
	v_cmp_nge_f64_e64 s[0:1], s[14:15], v[3:4]
	global_load_dwordx2 v[3:4], v14, s[10:11]
	global_load_dwordx2 v[6:7], v12, s[12:13]
	v_mov_b32_e32 v12, s4
	v_cndmask_b32_e32 v1, v12, v1, vcc
	s_waitcnt vmcnt(1)
	v_cmp_nge_f64_e64 s[2:3], s[14:15], v[3:4]
	global_load_dwordx2 v[3:4], v19, s[10:11]
	global_load_dwordx2 v[8:9], v17, s[12:13]
	s_waitcnt vmcnt(2)
	v_cndmask_b32_e64 v7, v11, v7, s[2:3]
	v_cndmask_b32_e64 v6, v12, v6, s[2:3]
	s_waitcnt vmcnt(1)
	v_cmp_nge_f64_e64 s[4:5], s[14:15], v[3:4]
	v_cndmask_b32_e64 v4, v11, v21, s[0:1]
	v_cndmask_b32_e64 v3, v12, v20, s[0:1]
	s_waitcnt vmcnt(0)
	v_cndmask_b32_e64 v9, v11, v9, s[4:5]
	v_cndmask_b32_e64 v8, v12, v8, s[4:5]
	global_store_dwordx2 v0, v[1:2], s[8:9]
	global_store_dwordx2 v5, v[3:4], s[8:9]
	;; [unrolled: 1-line block ×4, first 2 shown]
	s_endpgm
	.section	.rodata,"a",@progbits
	.p2align	6, 0x0
	.amdhsa_kernel _ZN2at6native32elementwise_kernel_manual_unrollILi128ELi4EZNS0_22gpu_kernel_impl_nocastINS0_13BinaryFunctorIdddZNS0_12_GLOBAL__N_121threshold_kernel_implIdEEvRNS_18TensorIteratorBaseET_S8_EUlddE_EEEEvS7_RKS8_EUlibE_EEviT1_
		.amdhsa_group_segment_fixed_size 0
		.amdhsa_private_segment_fixed_size 0
		.amdhsa_kernarg_size 440
		.amdhsa_user_sgpr_count 6
		.amdhsa_user_sgpr_private_segment_buffer 1
		.amdhsa_user_sgpr_dispatch_ptr 0
		.amdhsa_user_sgpr_queue_ptr 0
		.amdhsa_user_sgpr_kernarg_segment_ptr 1
		.amdhsa_user_sgpr_dispatch_id 0
		.amdhsa_user_sgpr_flat_scratch_init 0
		.amdhsa_user_sgpr_private_segment_size 0
		.amdhsa_uses_dynamic_stack 0
		.amdhsa_system_sgpr_private_segment_wavefront_offset 0
		.amdhsa_system_sgpr_workgroup_id_x 1
		.amdhsa_system_sgpr_workgroup_id_y 0
		.amdhsa_system_sgpr_workgroup_id_z 0
		.amdhsa_system_sgpr_workgroup_info 0
		.amdhsa_system_vgpr_workitem_id 0
		.amdhsa_next_free_vgpr 22
		.amdhsa_next_free_sgpr 54
		.amdhsa_reserve_vcc 1
		.amdhsa_reserve_flat_scratch 0
		.amdhsa_float_round_mode_32 0
		.amdhsa_float_round_mode_16_64 0
		.amdhsa_float_denorm_mode_32 3
		.amdhsa_float_denorm_mode_16_64 3
		.amdhsa_dx10_clamp 1
		.amdhsa_ieee_mode 1
		.amdhsa_fp16_overflow 0
		.amdhsa_exception_fp_ieee_invalid_op 0
		.amdhsa_exception_fp_denorm_src 0
		.amdhsa_exception_fp_ieee_div_zero 0
		.amdhsa_exception_fp_ieee_overflow 0
		.amdhsa_exception_fp_ieee_underflow 0
		.amdhsa_exception_fp_ieee_inexact 0
		.amdhsa_exception_int_div_zero 0
	.end_amdhsa_kernel
	.section	.text._ZN2at6native32elementwise_kernel_manual_unrollILi128ELi4EZNS0_22gpu_kernel_impl_nocastINS0_13BinaryFunctorIdddZNS0_12_GLOBAL__N_121threshold_kernel_implIdEEvRNS_18TensorIteratorBaseET_S8_EUlddE_EEEEvS7_RKS8_EUlibE_EEviT1_,"axG",@progbits,_ZN2at6native32elementwise_kernel_manual_unrollILi128ELi4EZNS0_22gpu_kernel_impl_nocastINS0_13BinaryFunctorIdddZNS0_12_GLOBAL__N_121threshold_kernel_implIdEEvRNS_18TensorIteratorBaseET_S8_EUlddE_EEEEvS7_RKS8_EUlibE_EEviT1_,comdat
.Lfunc_end141:
	.size	_ZN2at6native32elementwise_kernel_manual_unrollILi128ELi4EZNS0_22gpu_kernel_impl_nocastINS0_13BinaryFunctorIdddZNS0_12_GLOBAL__N_121threshold_kernel_implIdEEvRNS_18TensorIteratorBaseET_S8_EUlddE_EEEEvS7_RKS8_EUlibE_EEviT1_, .Lfunc_end141-_ZN2at6native32elementwise_kernel_manual_unrollILi128ELi4EZNS0_22gpu_kernel_impl_nocastINS0_13BinaryFunctorIdddZNS0_12_GLOBAL__N_121threshold_kernel_implIdEEvRNS_18TensorIteratorBaseET_S8_EUlddE_EEEEvS7_RKS8_EUlibE_EEviT1_
                                        ; -- End function
	.set _ZN2at6native32elementwise_kernel_manual_unrollILi128ELi4EZNS0_22gpu_kernel_impl_nocastINS0_13BinaryFunctorIdddZNS0_12_GLOBAL__N_121threshold_kernel_implIdEEvRNS_18TensorIteratorBaseET_S8_EUlddE_EEEEvS7_RKS8_EUlibE_EEviT1_.num_vgpr, 22
	.set _ZN2at6native32elementwise_kernel_manual_unrollILi128ELi4EZNS0_22gpu_kernel_impl_nocastINS0_13BinaryFunctorIdddZNS0_12_GLOBAL__N_121threshold_kernel_implIdEEvRNS_18TensorIteratorBaseET_S8_EUlddE_EEEEvS7_RKS8_EUlibE_EEviT1_.num_agpr, 0
	.set _ZN2at6native32elementwise_kernel_manual_unrollILi128ELi4EZNS0_22gpu_kernel_impl_nocastINS0_13BinaryFunctorIdddZNS0_12_GLOBAL__N_121threshold_kernel_implIdEEvRNS_18TensorIteratorBaseET_S8_EUlddE_EEEEvS7_RKS8_EUlibE_EEviT1_.numbered_sgpr, 54
	.set _ZN2at6native32elementwise_kernel_manual_unrollILi128ELi4EZNS0_22gpu_kernel_impl_nocastINS0_13BinaryFunctorIdddZNS0_12_GLOBAL__N_121threshold_kernel_implIdEEvRNS_18TensorIteratorBaseET_S8_EUlddE_EEEEvS7_RKS8_EUlibE_EEviT1_.num_named_barrier, 0
	.set _ZN2at6native32elementwise_kernel_manual_unrollILi128ELi4EZNS0_22gpu_kernel_impl_nocastINS0_13BinaryFunctorIdddZNS0_12_GLOBAL__N_121threshold_kernel_implIdEEvRNS_18TensorIteratorBaseET_S8_EUlddE_EEEEvS7_RKS8_EUlibE_EEviT1_.private_seg_size, 0
	.set _ZN2at6native32elementwise_kernel_manual_unrollILi128ELi4EZNS0_22gpu_kernel_impl_nocastINS0_13BinaryFunctorIdddZNS0_12_GLOBAL__N_121threshold_kernel_implIdEEvRNS_18TensorIteratorBaseET_S8_EUlddE_EEEEvS7_RKS8_EUlibE_EEviT1_.uses_vcc, 1
	.set _ZN2at6native32elementwise_kernel_manual_unrollILi128ELi4EZNS0_22gpu_kernel_impl_nocastINS0_13BinaryFunctorIdddZNS0_12_GLOBAL__N_121threshold_kernel_implIdEEvRNS_18TensorIteratorBaseET_S8_EUlddE_EEEEvS7_RKS8_EUlibE_EEviT1_.uses_flat_scratch, 0
	.set _ZN2at6native32elementwise_kernel_manual_unrollILi128ELi4EZNS0_22gpu_kernel_impl_nocastINS0_13BinaryFunctorIdddZNS0_12_GLOBAL__N_121threshold_kernel_implIdEEvRNS_18TensorIteratorBaseET_S8_EUlddE_EEEEvS7_RKS8_EUlibE_EEviT1_.has_dyn_sized_stack, 0
	.set _ZN2at6native32elementwise_kernel_manual_unrollILi128ELi4EZNS0_22gpu_kernel_impl_nocastINS0_13BinaryFunctorIdddZNS0_12_GLOBAL__N_121threshold_kernel_implIdEEvRNS_18TensorIteratorBaseET_S8_EUlddE_EEEEvS7_RKS8_EUlibE_EEviT1_.has_recursion, 0
	.set _ZN2at6native32elementwise_kernel_manual_unrollILi128ELi4EZNS0_22gpu_kernel_impl_nocastINS0_13BinaryFunctorIdddZNS0_12_GLOBAL__N_121threshold_kernel_implIdEEvRNS_18TensorIteratorBaseET_S8_EUlddE_EEEEvS7_RKS8_EUlibE_EEviT1_.has_indirect_call, 0
	.section	.AMDGPU.csdata,"",@progbits
; Kernel info:
; codeLenInByte = 4848
; TotalNumSgprs: 58
; NumVgprs: 22
; ScratchSize: 0
; MemoryBound: 0
; FloatMode: 240
; IeeeMode: 1
; LDSByteSize: 0 bytes/workgroup (compile time only)
; SGPRBlocks: 7
; VGPRBlocks: 5
; NumSGPRsForWavesPerEU: 58
; NumVGPRsForWavesPerEU: 22
; Occupancy: 10
; WaveLimiterHint : 1
; COMPUTE_PGM_RSRC2:SCRATCH_EN: 0
; COMPUTE_PGM_RSRC2:USER_SGPR: 6
; COMPUTE_PGM_RSRC2:TRAP_HANDLER: 0
; COMPUTE_PGM_RSRC2:TGID_X_EN: 1
; COMPUTE_PGM_RSRC2:TGID_Y_EN: 0
; COMPUTE_PGM_RSRC2:TGID_Z_EN: 0
; COMPUTE_PGM_RSRC2:TIDIG_COMP_CNT: 0
	.section	.text._ZN2at6native32elementwise_kernel_manual_unrollILi128ELi4EZNS0_15gpu_kernel_implINS0_13BinaryFunctorIdddZNS0_12_GLOBAL__N_121threshold_kernel_implIdEEvRNS_18TensorIteratorBaseET_S8_EUlddE_EEEEvS7_RKS8_EUlibE_EEviT1_,"axG",@progbits,_ZN2at6native32elementwise_kernel_manual_unrollILi128ELi4EZNS0_15gpu_kernel_implINS0_13BinaryFunctorIdddZNS0_12_GLOBAL__N_121threshold_kernel_implIdEEvRNS_18TensorIteratorBaseET_S8_EUlddE_EEEEvS7_RKS8_EUlibE_EEviT1_,comdat
	.globl	_ZN2at6native32elementwise_kernel_manual_unrollILi128ELi4EZNS0_15gpu_kernel_implINS0_13BinaryFunctorIdddZNS0_12_GLOBAL__N_121threshold_kernel_implIdEEvRNS_18TensorIteratorBaseET_S8_EUlddE_EEEEvS7_RKS8_EUlibE_EEviT1_ ; -- Begin function _ZN2at6native32elementwise_kernel_manual_unrollILi128ELi4EZNS0_15gpu_kernel_implINS0_13BinaryFunctorIdddZNS0_12_GLOBAL__N_121threshold_kernel_implIdEEvRNS_18TensorIteratorBaseET_S8_EUlddE_EEEEvS7_RKS8_EUlibE_EEviT1_
	.p2align	8
	.type	_ZN2at6native32elementwise_kernel_manual_unrollILi128ELi4EZNS0_15gpu_kernel_implINS0_13BinaryFunctorIdddZNS0_12_GLOBAL__N_121threshold_kernel_implIdEEvRNS_18TensorIteratorBaseET_S8_EUlddE_EEEEvS7_RKS8_EUlibE_EEviT1_,@function
_ZN2at6native32elementwise_kernel_manual_unrollILi128ELi4EZNS0_15gpu_kernel_implINS0_13BinaryFunctorIdddZNS0_12_GLOBAL__N_121threshold_kernel_implIdEEvRNS_18TensorIteratorBaseET_S8_EUlddE_EEEEvS7_RKS8_EUlibE_EEviT1_: ; @_ZN2at6native32elementwise_kernel_manual_unrollILi128ELi4EZNS0_15gpu_kernel_implINS0_13BinaryFunctorIdddZNS0_12_GLOBAL__N_121threshold_kernel_implIdEEvRNS_18TensorIteratorBaseET_S8_EUlddE_EEEEvS7_RKS8_EUlibE_EEviT1_
; %bb.0:
	s_load_dword s33, s[4:5], 0x40
	s_load_dword s52, s[4:5], 0x0
	s_load_dwordx4 s[16:19], s[4:5], 0x8
	s_load_dwordx2 s[2:3], s[4:5], 0x18
	s_load_dwordx8 s[8:15], s[4:5], 0x20
	v_lshl_or_b32 v18, s6, 9, v0
	v_or_b32_e32 v0, 0x180, v18
	s_waitcnt lgkmcnt(0)
	s_lshr_b32 s58, s33, 8
	s_lshr_b32 s11, s33, 16
	v_cmp_le_i32_e32 vcc, s52, v0
	s_mov_b64 s[4:5], 0
	s_mov_b64 s[20:21], 0
	s_and_saveexec_b64 s[0:1], vcc
	s_xor_b64 s[6:7], exec, s[0:1]
	s_cbranch_execz .LBB142_1544
; %bb.1:
	v_cmp_gt_i32_e32 vcc, s52, v18
	s_mov_b64 s[0:1], -1
	s_mov_b64 s[30:31], 0
	s_mov_b64 s[24:25], 0
	;; [unrolled: 1-line block ×3, first 2 shown]
	s_and_saveexec_b64 s[26:27], vcc
	s_cbranch_execz .LBB142_383
; %bb.2:
	v_mul_lo_u32 v0, v18, s9
	v_mov_b32_e32 v1, s19
	s_and_b32 s28, s58, 0xff
	s_cmp_lt_i32 s28, 11
	v_ashrrev_i32_e32 v3, 31, v0
	v_add_co_u32_e32 v2, vcc, s18, v0
	v_addc_co_u32_e32 v3, vcc, v1, v3, vcc
	s_cbranch_scc1 .LBB142_9
; %bb.3:
	s_and_b32 s29, 0xffff, s28
	s_cmp_gt_i32 s29, 25
	s_cbranch_scc0 .LBB142_18
; %bb.4:
	s_cmp_gt_i32 s29, 28
	s_cbranch_scc0 .LBB142_28
; %bb.5:
	;; [unrolled: 3-line block ×4, first 2 shown]
	s_cmp_eq_u32 s29, 46
	s_cbranch_scc0 .LBB142_37
; %bb.8:
	global_load_dword v0, v[2:3], off
	s_waitcnt vmcnt(0)
	v_lshlrev_b32_e32 v0, 16, v0
	v_cvt_f64_f32_e32 v[0:1], v0
	s_branch .LBB142_39
.LBB142_9:
                                        ; implicit-def: $vgpr0_vgpr1
	s_mov_b64 s[0:1], 0
	s_cbranch_execnz .LBB142_105
.LBB142_10:
	s_andn2_b64 vcc, exec, s[0:1]
	s_cbranch_vccnz .LBB142_152
.LBB142_11:
	v_mul_lo_u32 v2, v18, s10
	v_mov_b32_e32 v3, s3
	s_and_b32 s34, s11, 0xff
	s_cmp_lt_i32 s34, 11
	v_ashrrev_i32_e32 v4, 31, v2
	v_add_co_u32_e32 v2, vcc, s2, v2
	v_addc_co_u32_e32 v3, vcc, v3, v4, vcc
	s_cbranch_scc1 .LBB142_19
; %bb.12:
	s_and_b32 s35, 0xffff, s34
	s_cmp_gt_i32 s35, 25
	s_cbranch_scc0 .LBB142_29
; %bb.13:
	s_cmp_gt_i32 s35, 28
	s_cbranch_scc0 .LBB142_32
; %bb.14:
	;; [unrolled: 3-line block ×4, first 2 shown]
	s_cmp_eq_u32 s35, 46
	s_mov_b64 s[20:21], 0
	s_cbranch_scc0 .LBB142_153
; %bb.17:
	global_load_dword v4, v[2:3], off
	s_mov_b64 s[0:1], -1
	s_mov_b64 s[22:23], 0
	s_waitcnt vmcnt(0)
	v_lshlrev_b32_e32 v4, 16, v4
	v_cvt_f64_f32_e32 v[4:5], v4
	s_branch .LBB142_155
.LBB142_18:
	s_mov_b64 s[0:1], 0
                                        ; implicit-def: $vgpr0_vgpr1
	s_cbranch_execnz .LBB142_72
	s_branch .LBB142_104
.LBB142_19:
	s_mov_b64 s[22:23], 0
                                        ; implicit-def: $vgpr4_vgpr5
	s_mov_b64 s[0:1], 0
	s_cbranch_execnz .LBB142_332
.LBB142_20:
	s_andn2_b64 vcc, exec, s[0:1]
	s_cbranch_vccnz .LBB142_380
.LBB142_21:
	s_waitcnt vmcnt(0)
	v_cmp_nge_f64_e32 vcc, s[12:13], v[0:1]
	v_mul_lo_u32 v3, v18, s8
	v_mov_b32_e32 v2, s15
	v_mov_b32_e32 v0, s14
	;; [unrolled: 1-line block ×3, first 2 shown]
	s_and_b32 s36, s33, 0xff
	s_cmp_lt_i32 s36, 11
	v_cndmask_b32_e32 v1, v2, v5, vcc
	v_ashrrev_i32_e32 v2, 31, v3
	v_cndmask_b32_e32 v0, v0, v4, vcc
	v_add_co_u32_e32 v4, vcc, s16, v3
	v_addc_co_u32_e32 v5, vcc, v6, v2, vcc
	s_cbranch_scc1 .LBB142_30
; %bb.22:
	s_and_b32 s37, 0xffff, s36
	s_cmp_gt_i32 s37, 25
	s_cbranch_scc0 .LBB142_33
; %bb.23:
	s_cmp_gt_i32 s37, 28
	s_cbranch_scc0 .LBB142_36
; %bb.24:
	;; [unrolled: 3-line block ×4, first 2 shown]
	s_mov_b64 s[28:29], 0
	s_mov_b64 s[0:1], -1
	s_cmp_eq_u32 s37, 46
	s_mov_b64 s[20:21], 0
	s_cbranch_scc0 .LBB142_159
; %bb.27:
	v_cvt_f32_f64_e32 v2, v[0:1]
	s_movk_i32 s0, 0x7fff
	v_mov_b32_e32 v3, 0x7fc0
	s_mov_b64 s[20:21], -1
	v_bfe_u32 v6, v2, 16, 1
	v_cmp_o_f32_e32 vcc, v2, v2
	v_add3_u32 v2, v2, v6, s0
	v_cndmask_b32_sdwa v2, v3, v2, vcc dst_sel:DWORD dst_unused:UNUSED_PAD src0_sel:DWORD src1_sel:WORD_1
	global_store_dword v[4:5], v2, off
	s_mov_b64 s[0:1], 0
	s_branch .LBB142_159
.LBB142_28:
	s_mov_b64 s[20:21], -1
	s_mov_b64 s[0:1], 0
                                        ; implicit-def: $vgpr0_vgpr1
	s_branch .LBB142_51
.LBB142_29:
	s_mov_b64 s[20:21], -1
	s_mov_b64 s[22:23], 0
	s_mov_b64 s[0:1], 0
                                        ; implicit-def: $vgpr4_vgpr5
	s_branch .LBB142_298
.LBB142_30:
	s_mov_b64 s[28:29], -1
	s_mov_b64 s[0:1], 0
	s_mov_b64 s[20:21], 0
	s_branch .LBB142_228
.LBB142_31:
	s_mov_b64 s[20:21], -1
	s_mov_b64 s[0:1], 0
                                        ; implicit-def: $vgpr0_vgpr1
	s_branch .LBB142_46
.LBB142_32:
	s_mov_b64 s[20:21], -1
	s_mov_b64 s[22:23], 0
	s_mov_b64 s[0:1], 0
                                        ; implicit-def: $vgpr4_vgpr5
	s_branch .LBB142_277
.LBB142_33:
	s_mov_b64 s[28:29], -1
	s_mov_b64 s[0:1], 0
	s_mov_b64 s[20:21], 0
	s_branch .LBB142_186
.LBB142_34:
	s_mov_b64 s[20:21], -1
	s_branch .LBB142_38
.LBB142_35:
	s_mov_b64 s[20:21], -1
	s_mov_b64 s[22:23], 0
	s_mov_b64 s[0:1], 0
                                        ; implicit-def: $vgpr4_vgpr5
	s_branch .LBB142_272
.LBB142_36:
	s_mov_b64 s[28:29], -1
	s_mov_b64 s[0:1], 0
	s_mov_b64 s[20:21], 0
	s_branch .LBB142_169
.LBB142_37:
	s_mov_b64 s[24:25], -1
.LBB142_38:
	s_mov_b64 s[0:1], 0
                                        ; implicit-def: $vgpr0_vgpr1
.LBB142_39:
	s_and_b64 vcc, exec, s[20:21]
	s_cbranch_vccz .LBB142_45
; %bb.40:
	s_cmp_eq_u32 s29, 44
	s_cbranch_scc0 .LBB142_44
; %bb.41:
	global_load_ubyte v4, v[2:3], off
	s_movk_i32 s20, 0xff
	v_bfrev_b32_e32 v5, 4
	v_mov_b32_e32 v6, 0x7ff80000
	v_bfrev_b32_e32 v7, 28
	s_mov_b64 s[0:1], -1
	s_mov_b64 s[24:25], 0
	s_waitcnt vmcnt(0)
	v_lshlrev_b32_e32 v0, 23, v4
	v_cvt_f64_f32_e32 v[0:1], v0
	v_cmp_ne_u32_e32 vcc, s20, v4
	v_cndmask_b32_e32 v0, v5, v0, vcc
	v_cndmask_b32_e32 v1, v6, v1, vcc
	v_cmp_ne_u32_e32 vcc, 0, v4
	v_cndmask_b32_e32 v1, v7, v1, vcc
	v_cndmask_b32_e32 v0, 0, v0, vcc
	s_branch .LBB142_45
.LBB142_42:
	s_mov_b64 s[20:21], -1
	s_mov_b64 s[22:23], 0
	s_branch .LBB142_154
.LBB142_43:
	s_mov_b64 s[28:29], -1
	s_mov_b64 s[0:1], 0
	s_mov_b64 s[20:21], 0
	s_branch .LBB142_165
.LBB142_44:
	s_mov_b64 s[24:25], -1
                                        ; implicit-def: $vgpr0_vgpr1
.LBB142_45:
	s_mov_b64 s[20:21], 0
.LBB142_46:
	s_and_b64 vcc, exec, s[20:21]
	s_cbranch_vccz .LBB142_50
; %bb.47:
	s_cmp_eq_u32 s29, 29
	s_cbranch_scc0 .LBB142_49
; %bb.48:
	global_load_dwordx2 v[0:1], v[2:3], off
	s_mov_b64 s[0:1], -1
	s_mov_b64 s[24:25], 0
	s_mov_b64 s[20:21], 0
	s_waitcnt vmcnt(0)
	v_cvt_f64_u32_e32 v[4:5], v1
	v_cvt_f64_u32_e32 v[0:1], v0
	v_ldexp_f64 v[4:5], v[4:5], 32
	v_add_f64 v[0:1], v[4:5], v[0:1]
	s_branch .LBB142_51
.LBB142_49:
	s_mov_b64 s[24:25], -1
                                        ; implicit-def: $vgpr0_vgpr1
.LBB142_50:
	s_mov_b64 s[20:21], 0
.LBB142_51:
	s_and_b64 vcc, exec, s[20:21]
	s_cbranch_vccz .LBB142_71
; %bb.52:
	s_cmp_lt_i32 s29, 27
	s_cbranch_scc1 .LBB142_55
; %bb.53:
	s_cmp_gt_i32 s29, 27
	s_cbranch_scc0 .LBB142_56
; %bb.54:
	global_load_dword v0, v[2:3], off
	s_mov_b64 s[0:1], 0
	s_waitcnt vmcnt(0)
	v_cvt_f64_u32_e32 v[0:1], v0
	s_branch .LBB142_57
.LBB142_55:
	s_mov_b64 s[0:1], -1
                                        ; implicit-def: $vgpr0_vgpr1
	s_branch .LBB142_60
.LBB142_56:
	s_mov_b64 s[0:1], -1
                                        ; implicit-def: $vgpr0_vgpr1
.LBB142_57:
	s_andn2_b64 vcc, exec, s[0:1]
	s_cbranch_vccnz .LBB142_59
; %bb.58:
	global_load_ushort v0, v[2:3], off
	s_waitcnt vmcnt(0)
	v_cvt_f64_u32_e32 v[0:1], v0
.LBB142_59:
	s_mov_b64 s[0:1], 0
.LBB142_60:
	s_andn2_b64 vcc, exec, s[0:1]
	s_cbranch_vccnz .LBB142_70
; %bb.61:
	global_load_ubyte v4, v[2:3], off
	s_movk_i32 s0, 0x7f
	s_waitcnt vmcnt(0)
	v_cmp_lt_i16_e32 vcc, s0, v4
	s_mov_b64 s[0:1], 0
	s_and_saveexec_b64 s[20:21], vcc
	s_xor_b64 s[20:21], exec, s[20:21]
	s_cbranch_execz .LBB142_65
; %bb.62:
	s_movk_i32 s0, 0x80
	v_cmp_eq_u16_e32 vcc, s0, v4
	s_mov_b64 s[0:1], -1
	s_and_saveexec_b64 s[22:23], vcc
; %bb.63:
	s_xor_b64 s[0:1], exec, -1
; %bb.64:
	s_or_b64 exec, exec, s[22:23]
	s_and_b64 s[0:1], s[0:1], exec
.LBB142_65:
	s_or_saveexec_b64 s[20:21], s[20:21]
	v_bfrev_b32_e32 v0, 4
	v_mov_b32_e32 v1, 0x7ff80000
	s_xor_b64 exec, exec, s[20:21]
; %bb.66:
	v_cmp_ne_u16_e32 vcc, 0, v4
	v_mov_b32_e32 v0, 0
	s_andn2_b64 s[0:1], s[0:1], exec
	s_and_b64 s[22:23], vcc, exec
	v_mov_b32_e32 v1, 0
	s_or_b64 s[0:1], s[0:1], s[22:23]
; %bb.67:
	s_or_b64 exec, exec, s[20:21]
	s_and_saveexec_b64 s[20:21], s[0:1]
	s_cbranch_execz .LBB142_69
; %bb.68:
	v_and_b32_e32 v1, 0xffff, v4
	v_lshlrev_b32_e32 v0, 24, v4
	v_and_b32_e32 v4, 7, v1
	v_ffbh_u32_e32 v6, v4
	v_min_u32_e32 v6, 32, v6
	v_subrev_u32_e32 v7, 28, v6
	v_bfe_u32 v5, v1, 3, 4
	v_lshlrev_b32_e32 v1, v7, v1
	v_sub_u32_e32 v6, 29, v6
	v_and_b32_e32 v1, 7, v1
	v_cmp_eq_u32_e32 vcc, 0, v5
	v_cndmask_b32_e32 v5, v5, v6, vcc
	v_cndmask_b32_e32 v1, v4, v1, vcc
	v_mov_b32_e32 v4, 0x3b800000
	v_lshlrev_b32_e32 v1, 20, v1
	v_and_b32_e32 v0, 0x80000000, v0
	v_lshl_add_u32 v4, v5, 23, v4
	v_or3_b32 v0, v0, v4, v1
	v_cvt_f64_f32_e32 v[0:1], v0
.LBB142_69:
	s_or_b64 exec, exec, s[20:21]
.LBB142_70:
	s_mov_b64 s[0:1], -1
.LBB142_71:
	s_branch .LBB142_104
.LBB142_72:
	s_cmp_gt_i32 s29, 22
	s_cbranch_scc0 .LBB142_84
; %bb.73:
	s_cmp_lt_i32 s29, 24
	s_cbranch_scc1 .LBB142_85
; %bb.74:
	s_cmp_gt_i32 s29, 24
	s_cbranch_scc0 .LBB142_86
; %bb.75:
	global_load_ubyte v4, v[2:3], off
	s_movk_i32 s0, 0x7f
	s_waitcnt vmcnt(0)
	v_cmp_lt_i16_e32 vcc, s0, v4
	s_mov_b64 s[0:1], 0
	s_and_saveexec_b64 s[20:21], vcc
	s_xor_b64 s[20:21], exec, s[20:21]
	s_cbranch_execz .LBB142_79
; %bb.76:
	s_movk_i32 s0, 0x80
	v_cmp_eq_u16_e32 vcc, s0, v4
	s_mov_b64 s[0:1], -1
	s_and_saveexec_b64 s[22:23], vcc
; %bb.77:
	s_xor_b64 s[0:1], exec, -1
; %bb.78:
	s_or_b64 exec, exec, s[22:23]
	s_and_b64 s[0:1], s[0:1], exec
.LBB142_79:
	s_or_saveexec_b64 s[20:21], s[20:21]
	v_bfrev_b32_e32 v0, 4
	v_mov_b32_e32 v1, 0x7ff80000
	s_xor_b64 exec, exec, s[20:21]
; %bb.80:
	v_cmp_ne_u16_e32 vcc, 0, v4
	v_mov_b32_e32 v0, 0
	s_andn2_b64 s[0:1], s[0:1], exec
	s_and_b64 s[22:23], vcc, exec
	v_mov_b32_e32 v1, 0
	s_or_b64 s[0:1], s[0:1], s[22:23]
; %bb.81:
	s_or_b64 exec, exec, s[20:21]
	s_and_saveexec_b64 s[20:21], s[0:1]
	s_cbranch_execz .LBB142_83
; %bb.82:
	v_and_b32_e32 v1, 0xffff, v4
	v_lshlrev_b32_e32 v0, 24, v4
	v_and_b32_e32 v4, 3, v1
	v_ffbh_u32_e32 v6, v4
	v_min_u32_e32 v6, 32, v6
	v_subrev_u32_e32 v7, 29, v6
	v_bfe_u32 v5, v1, 2, 5
	v_lshlrev_b32_e32 v1, v7, v1
	v_sub_u32_e32 v6, 30, v6
	v_and_b32_e32 v1, 3, v1
	v_cmp_eq_u32_e32 vcc, 0, v5
	v_cndmask_b32_e32 v5, v5, v6, vcc
	v_cndmask_b32_e32 v1, v4, v1, vcc
	v_mov_b32_e32 v4, 0x37800000
	v_lshlrev_b32_e32 v1, 21, v1
	v_and_b32_e32 v0, 0x80000000, v0
	v_lshl_add_u32 v4, v5, 23, v4
	v_or3_b32 v0, v0, v4, v1
	v_cvt_f64_f32_e32 v[0:1], v0
.LBB142_83:
	s_or_b64 exec, exec, s[20:21]
	s_mov_b64 s[0:1], 0
	s_branch .LBB142_87
.LBB142_84:
	s_mov_b64 s[20:21], -1
                                        ; implicit-def: $vgpr0_vgpr1
	s_branch .LBB142_93
.LBB142_85:
	s_mov_b64 s[0:1], -1
                                        ; implicit-def: $vgpr0_vgpr1
	s_branch .LBB142_90
.LBB142_86:
	s_mov_b64 s[0:1], -1
                                        ; implicit-def: $vgpr0_vgpr1
.LBB142_87:
	s_and_b64 vcc, exec, s[0:1]
	s_cbranch_vccz .LBB142_89
; %bb.88:
	global_load_ubyte v0, v[2:3], off
	s_mov_b32 s0, 0x7f800000
	s_waitcnt vmcnt(0)
	v_lshlrev_b32_e32 v0, 24, v0
	v_and_b32_e32 v1, 0x7f000000, v0
	v_ffbh_u32_e32 v4, v1
	v_min_u32_e32 v4, 32, v4
	v_sub_u32_e64 v4, v4, 4 clamp
	v_lshlrev_b32_e32 v6, v4, v1
	v_lshlrev_b32_e32 v4, 23, v4
	v_lshrrev_b32_e32 v6, 4, v6
	v_add_u32_e32 v5, 0x1000000, v1
	v_sub_u32_e32 v4, v6, v4
	v_ashrrev_i32_e32 v5, 8, v5
	v_add_u32_e32 v4, 0x3c000000, v4
	v_and_or_b32 v4, v5, s0, v4
	v_cmp_ne_u32_e32 vcc, 0, v1
	v_cndmask_b32_e32 v1, 0, v4, vcc
	s_brev_b32 s0, 1
	v_and_or_b32 v0, v0, s0, v1
	v_cvt_f64_f32_e32 v[0:1], v0
.LBB142_89:
	s_mov_b64 s[0:1], 0
.LBB142_90:
	s_andn2_b64 vcc, exec, s[0:1]
	s_cbranch_vccnz .LBB142_92
; %bb.91:
	global_load_ubyte v0, v[2:3], off
	s_movk_i32 s0, 0x7f00
	s_brev_b32 s1, 16
	s_waitcnt vmcnt(0)
	v_lshlrev_b16_e32 v1, 8, v0
	v_lshlrev_b32_e32 v0, 25, v0
	v_lshrrev_b32_e32 v4, 4, v0
	v_and_or_b32 v5, v1, s0, 0.5
	v_or_b32_e32 v4, 0x70000000, v4
	v_add_f32_e32 v5, -0.5, v5
	v_mul_f32_e32 v4, 0x7800000, v4
	v_cmp_gt_u32_e32 vcc, s1, v0
	v_bfe_i32 v1, v1, 0, 16
	v_cndmask_b32_e32 v0, v4, v5, vcc
	s_brev_b32 s0, 1
	v_and_or_b32 v0, v1, s0, v0
	v_cvt_f64_f32_e32 v[0:1], v0
.LBB142_92:
	s_mov_b64 s[20:21], 0
	s_mov_b64 s[0:1], -1
.LBB142_93:
	s_andn2_b64 vcc, exec, s[20:21]
	s_cbranch_vccnz .LBB142_104
; %bb.94:
	s_cmp_gt_i32 s29, 14
	s_cbranch_scc0 .LBB142_97
; %bb.95:
	s_cmp_eq_u32 s29, 15
	s_cbranch_scc0 .LBB142_98
; %bb.96:
	global_load_ushort v0, v[2:3], off
	s_mov_b64 s[0:1], -1
	s_mov_b64 s[24:25], 0
	s_waitcnt vmcnt(0)
	v_lshlrev_b32_e32 v0, 16, v0
	v_cvt_f64_f32_e32 v[0:1], v0
	s_branch .LBB142_99
.LBB142_97:
	s_mov_b64 s[20:21], -1
                                        ; implicit-def: $vgpr0_vgpr1
	s_branch .LBB142_100
.LBB142_98:
	s_mov_b64 s[24:25], -1
                                        ; implicit-def: $vgpr0_vgpr1
.LBB142_99:
	s_mov_b64 s[20:21], 0
.LBB142_100:
	s_and_b64 vcc, exec, s[20:21]
	s_cbranch_vccz .LBB142_104
; %bb.101:
	s_cmp_eq_u32 s29, 11
	s_cbranch_scc0 .LBB142_103
; %bb.102:
	global_load_ubyte v1, v[2:3], off
	v_mov_b32_e32 v4, 0x3ff00000
	v_mov_b32_e32 v0, 0
	s_mov_b64 s[0:1], -1
	s_mov_b64 s[24:25], 0
	s_waitcnt vmcnt(0)
	v_cmp_ne_u16_e32 vcc, 0, v1
	v_cndmask_b32_e32 v1, 0, v4, vcc
	s_branch .LBB142_104
.LBB142_103:
	s_mov_b64 s[24:25], -1
                                        ; implicit-def: $vgpr0_vgpr1
.LBB142_104:
	s_branch .LBB142_10
.LBB142_105:
	s_and_b32 s20, 0xffff, s28
	s_cmp_lt_i32 s20, 5
	s_cbranch_scc1 .LBB142_110
; %bb.106:
	s_cmp_lt_i32 s20, 8
	s_cbranch_scc1 .LBB142_111
; %bb.107:
	;; [unrolled: 3-line block ×3, first 2 shown]
	s_cmp_gt_i32 s20, 9
	s_cbranch_scc0 .LBB142_113
; %bb.109:
	global_load_dwordx2 v[0:1], v[2:3], off
	s_mov_b64 s[0:1], 0
	s_branch .LBB142_114
.LBB142_110:
                                        ; implicit-def: $vgpr0_vgpr1
	s_branch .LBB142_132
.LBB142_111:
	s_mov_b64 s[0:1], -1
                                        ; implicit-def: $vgpr0_vgpr1
	s_branch .LBB142_120
.LBB142_112:
	s_mov_b64 s[0:1], -1
                                        ; implicit-def: $vgpr0_vgpr1
	s_branch .LBB142_117
.LBB142_113:
	s_mov_b64 s[0:1], -1
                                        ; implicit-def: $vgpr0_vgpr1
.LBB142_114:
	s_andn2_b64 vcc, exec, s[0:1]
	s_cbranch_vccnz .LBB142_116
; %bb.115:
	global_load_dword v0, v[2:3], off
	s_waitcnt vmcnt(0)
	v_cvt_f64_f32_e32 v[0:1], v0
.LBB142_116:
	s_mov_b64 s[0:1], 0
.LBB142_117:
	s_andn2_b64 vcc, exec, s[0:1]
	s_cbranch_vccnz .LBB142_119
; %bb.118:
	global_load_dword v0, v[2:3], off
	s_waitcnt vmcnt(0)
	v_cvt_f32_f16_e32 v0, v0
	v_cvt_f64_f32_e32 v[0:1], v0
.LBB142_119:
	s_mov_b64 s[0:1], 0
.LBB142_120:
	s_andn2_b64 vcc, exec, s[0:1]
	s_cbranch_vccnz .LBB142_131
; %bb.121:
	s_cmp_lt_i32 s20, 6
	s_cbranch_scc1 .LBB142_124
; %bb.122:
	s_cmp_gt_i32 s20, 6
	s_cbranch_scc0 .LBB142_125
; %bb.123:
	global_load_dwordx2 v[0:1], v[2:3], off
	s_mov_b64 s[0:1], 0
	s_branch .LBB142_126
.LBB142_124:
	s_mov_b64 s[0:1], -1
                                        ; implicit-def: $vgpr0_vgpr1
	s_branch .LBB142_129
.LBB142_125:
	s_mov_b64 s[0:1], -1
                                        ; implicit-def: $vgpr0_vgpr1
.LBB142_126:
	s_andn2_b64 vcc, exec, s[0:1]
	s_cbranch_vccnz .LBB142_128
; %bb.127:
	global_load_dword v0, v[2:3], off
	s_waitcnt vmcnt(0)
	v_cvt_f64_f32_e32 v[0:1], v0
.LBB142_128:
	s_mov_b64 s[0:1], 0
.LBB142_129:
	s_andn2_b64 vcc, exec, s[0:1]
	s_cbranch_vccnz .LBB142_131
; %bb.130:
	global_load_ushort v0, v[2:3], off
	s_waitcnt vmcnt(0)
	v_cvt_f32_f16_e32 v0, v0
	v_cvt_f64_f32_e32 v[0:1], v0
.LBB142_131:
	s_cbranch_execnz .LBB142_151
.LBB142_132:
	s_cmp_lt_i32 s20, 2
	s_cbranch_scc1 .LBB142_136
; %bb.133:
	s_cmp_lt_i32 s20, 3
	s_cbranch_scc1 .LBB142_137
; %bb.134:
	s_cmp_gt_i32 s20, 3
	s_cbranch_scc0 .LBB142_138
; %bb.135:
	global_load_dwordx2 v[0:1], v[2:3], off
	s_mov_b64 s[0:1], 0
	s_waitcnt vmcnt(0)
	v_cvt_f64_i32_e32 v[4:5], v1
	v_cvt_f64_u32_e32 v[0:1], v0
	v_ldexp_f64 v[4:5], v[4:5], 32
	v_add_f64 v[0:1], v[4:5], v[0:1]
	s_branch .LBB142_139
.LBB142_136:
	s_mov_b64 s[0:1], -1
                                        ; implicit-def: $vgpr0_vgpr1
	s_branch .LBB142_145
.LBB142_137:
	s_mov_b64 s[0:1], -1
                                        ; implicit-def: $vgpr0_vgpr1
	s_branch .LBB142_142
.LBB142_138:
	s_mov_b64 s[0:1], -1
                                        ; implicit-def: $vgpr0_vgpr1
.LBB142_139:
	s_andn2_b64 vcc, exec, s[0:1]
	s_cbranch_vccnz .LBB142_141
; %bb.140:
	global_load_dword v0, v[2:3], off
	s_waitcnt vmcnt(0)
	v_cvt_f64_i32_e32 v[0:1], v0
.LBB142_141:
	s_mov_b64 s[0:1], 0
.LBB142_142:
	s_andn2_b64 vcc, exec, s[0:1]
	s_cbranch_vccnz .LBB142_144
; %bb.143:
	global_load_sshort v0, v[2:3], off
	s_waitcnt vmcnt(0)
	v_cvt_f64_i32_e32 v[0:1], v0
.LBB142_144:
	s_mov_b64 s[0:1], 0
.LBB142_145:
	s_andn2_b64 vcc, exec, s[0:1]
	s_cbranch_vccnz .LBB142_151
; %bb.146:
	s_cmp_gt_i32 s20, 0
	s_cbranch_scc0 .LBB142_148
; %bb.147:
	global_load_sbyte v0, v[2:3], off
	s_mov_b64 s[0:1], 0
	s_waitcnt vmcnt(0)
	v_cvt_f64_i32_e32 v[0:1], v0
	s_branch .LBB142_149
.LBB142_148:
	s_mov_b64 s[0:1], -1
                                        ; implicit-def: $vgpr0_vgpr1
.LBB142_149:
	s_andn2_b64 vcc, exec, s[0:1]
	s_cbranch_vccnz .LBB142_151
; %bb.150:
	global_load_ubyte v0, v[2:3], off
	s_waitcnt vmcnt(0)
	v_cvt_f64_u32_e32 v[0:1], v0
.LBB142_151:
	s_branch .LBB142_11
.LBB142_152:
	s_mov_b64 s[0:1], 0
	s_mov_b64 s[22:23], 0
	s_branch .LBB142_381
.LBB142_153:
	s_mov_b64 s[22:23], -1
.LBB142_154:
	s_mov_b64 s[0:1], 0
                                        ; implicit-def: $vgpr4_vgpr5
.LBB142_155:
	s_and_b64 vcc, exec, s[20:21]
	s_cbranch_vccz .LBB142_271
; %bb.156:
	s_cmp_eq_u32 s35, 44
	s_cbranch_scc0 .LBB142_270
; %bb.157:
	global_load_ubyte v6, v[2:3], off
	s_movk_i32 s20, 0xff
	v_bfrev_b32_e32 v7, 4
	v_mov_b32_e32 v8, 0x7ff80000
	v_bfrev_b32_e32 v9, 28
	s_mov_b64 s[0:1], -1
	s_mov_b64 s[22:23], 0
	s_waitcnt vmcnt(0)
	v_lshlrev_b32_e32 v4, 23, v6
	v_cvt_f64_f32_e32 v[4:5], v4
	v_cmp_ne_u32_e32 vcc, s20, v6
	v_cndmask_b32_e32 v4, v7, v4, vcc
	v_cndmask_b32_e32 v5, v8, v5, vcc
	v_cmp_ne_u32_e32 vcc, 0, v6
	v_cndmask_b32_e32 v5, v9, v5, vcc
	v_cndmask_b32_e32 v4, 0, v4, vcc
	s_branch .LBB142_271
.LBB142_158:
	s_mov_b64 s[28:29], -1
	s_mov_b64 s[0:1], 0
	s_mov_b64 s[20:21], 0
.LBB142_159:
	s_and_b64 vcc, exec, s[28:29]
	s_cbranch_vccz .LBB142_164
; %bb.160:
	s_cmp_eq_u32 s37, 44
	s_mov_b64 s[0:1], -1
	s_cbranch_scc0 .LBB142_164
; %bb.161:
	v_cvt_f32_f64_e32 v2, v[0:1]
	s_movk_i32 s0, 0xff
	v_mov_b32_e32 v6, 0xff
	v_bfe_u32 v3, v2, 23, 8
	v_cmp_ne_u32_e32 vcc, s0, v3
	s_and_saveexec_b64 s[20:21], vcc
; %bb.162:
	s_mov_b32 s0, 0x3fffff
	v_lshrrev_b32_e32 v6, 23, v2
	v_and_b32_e32 v7, 0x400000, v2
	v_and_or_b32 v2, v2, s0, v3
	v_cmp_ne_u32_e32 vcc, 0, v7
	v_cmp_ne_u32_e64 s[0:1], 0, v2
	s_and_b64 s[0:1], vcc, s[0:1]
	v_cndmask_b32_e64 v2, 0, 1, s[0:1]
	v_add_u32_e32 v6, v6, v2
; %bb.163:
	s_or_b64 exec, exec, s[20:21]
	s_mov_b64 s[20:21], -1
	s_mov_b64 s[0:1], 0
	global_store_byte v[4:5], v6, off
.LBB142_164:
	s_mov_b64 s[28:29], 0
.LBB142_165:
	s_and_b64 vcc, exec, s[28:29]
	s_cbranch_vccz .LBB142_168
; %bb.166:
	s_cmp_eq_u32 s37, 29
	s_mov_b64 s[0:1], -1
	s_cbranch_scc0 .LBB142_168
; %bb.167:
	v_trunc_f64_e32 v[2:3], v[0:1]
	s_movk_i32 s0, 0xffe0
	s_mov_b64 s[20:21], -1
	s_mov_b64 s[28:29], 0
	v_ldexp_f64 v[6:7], v[2:3], s0
	s_mov_b32 s0, 0
	s_mov_b32 s1, 0xc1f00000
	v_floor_f64_e32 v[6:7], v[6:7]
	v_fma_f64 v[2:3], v[6:7], s[0:1], v[2:3]
	v_cvt_u32_f64_e32 v7, v[6:7]
	s_mov_b64 s[0:1], 0
	v_cvt_u32_f64_e32 v6, v[2:3]
	global_store_dwordx2 v[4:5], v[6:7], off
	s_branch .LBB142_169
.LBB142_168:
	s_mov_b64 s[28:29], 0
.LBB142_169:
	s_and_b64 vcc, exec, s[28:29]
	s_cbranch_vccz .LBB142_185
; %bb.170:
	s_cmp_lt_i32 s37, 27
	s_mov_b64 s[20:21], -1
	s_cbranch_scc1 .LBB142_176
; %bb.171:
	v_cvt_u32_f64_e32 v2, v[0:1]
	s_cmp_gt_i32 s37, 27
	s_cbranch_scc0 .LBB142_173
; %bb.172:
	s_mov_b64 s[20:21], 0
	global_store_dword v[4:5], v2, off
.LBB142_173:
	s_andn2_b64 vcc, exec, s[20:21]
	s_cbranch_vccnz .LBB142_175
; %bb.174:
	global_store_short v[4:5], v2, off
.LBB142_175:
	s_mov_b64 s[20:21], 0
.LBB142_176:
	s_andn2_b64 vcc, exec, s[20:21]
	s_cbranch_vccnz .LBB142_184
; %bb.177:
	v_cvt_f32_f64_e32 v2, v[0:1]
	s_mov_b32 s20, 0x43800000
	v_mov_b32_e32 v6, 0x80
	v_and_b32_e32 v3, 0x7fffffff, v2
	v_cmp_gt_u32_e32 vcc, s20, v3
	s_and_saveexec_b64 s[20:21], vcc
	s_cbranch_execz .LBB142_183
; %bb.178:
	s_mov_b32 s28, 0x3bffffff
	v_cmp_lt_u32_e32 vcc, s28, v3
	s_mov_b64 s[28:29], 0
                                        ; implicit-def: $vgpr3
	s_and_saveexec_b64 s[34:35], vcc
	s_xor_b64 s[34:35], exec, s[34:35]
	s_cbranch_execz .LBB142_412
; %bb.179:
	v_bfe_u32 v3, v2, 20, 1
	s_mov_b32 s38, 0x487ffff
	v_add3_u32 v3, v2, v3, s38
	s_mov_b64 s[28:29], exec
	v_lshrrev_b32_e32 v3, 20, v3
	s_andn2_saveexec_b64 s[34:35], s[34:35]
	s_cbranch_execnz .LBB142_413
.LBB142_180:
	s_or_b64 exec, exec, s[34:35]
	v_mov_b32_e32 v6, 0
	s_and_saveexec_b64 s[34:35], s[28:29]
.LBB142_181:
	v_lshrrev_b32_e32 v2, 24, v2
	s_movk_i32 s28, 0x80
	v_and_or_b32 v6, v2, s28, v3
.LBB142_182:
	s_or_b64 exec, exec, s[34:35]
.LBB142_183:
	s_or_b64 exec, exec, s[20:21]
	global_store_byte v[4:5], v6, off
.LBB142_184:
	s_mov_b64 s[20:21], -1
.LBB142_185:
	s_mov_b64 s[28:29], 0
.LBB142_186:
	s_and_b64 vcc, exec, s[28:29]
	s_cbranch_vccz .LBB142_227
; %bb.187:
	s_cmp_gt_i32 s37, 22
	s_mov_b64 s[28:29], -1
	s_cbranch_scc0 .LBB142_219
; %bb.188:
	s_cmp_lt_i32 s37, 24
	s_mov_b64 s[20:21], -1
	s_cbranch_scc1 .LBB142_208
; %bb.189:
	s_cmp_gt_i32 s37, 24
	s_cbranch_scc0 .LBB142_197
; %bb.190:
	v_cvt_f32_f64_e32 v2, v[0:1]
	s_mov_b32 s20, 0x47800000
	v_mov_b32_e32 v6, 0x80
	v_and_b32_e32 v3, 0x7fffffff, v2
	v_cmp_gt_u32_e32 vcc, s20, v3
	s_and_saveexec_b64 s[20:21], vcc
	s_cbranch_execz .LBB142_196
; %bb.191:
	s_mov_b32 s28, 0x37ffffff
	v_cmp_lt_u32_e32 vcc, s28, v3
	s_mov_b64 s[28:29], 0
                                        ; implicit-def: $vgpr3
	s_and_saveexec_b64 s[34:35], vcc
	s_xor_b64 s[34:35], exec, s[34:35]
	s_cbranch_execz .LBB142_531
; %bb.192:
	v_bfe_u32 v3, v2, 21, 1
	s_mov_b32 s38, 0x88fffff
	v_add3_u32 v3, v2, v3, s38
	s_mov_b64 s[28:29], exec
	v_lshrrev_b32_e32 v3, 21, v3
	s_andn2_saveexec_b64 s[34:35], s[34:35]
	s_cbranch_execnz .LBB142_532
.LBB142_193:
	s_or_b64 exec, exec, s[34:35]
	v_mov_b32_e32 v6, 0
	s_and_saveexec_b64 s[34:35], s[28:29]
.LBB142_194:
	v_lshrrev_b32_e32 v2, 24, v2
	s_movk_i32 s28, 0x80
	v_and_or_b32 v6, v2, s28, v3
.LBB142_195:
	s_or_b64 exec, exec, s[34:35]
.LBB142_196:
	s_or_b64 exec, exec, s[20:21]
	s_mov_b64 s[20:21], 0
	global_store_byte v[4:5], v6, off
.LBB142_197:
	s_and_b64 vcc, exec, s[20:21]
	s_cbranch_vccz .LBB142_207
; %bb.198:
	v_cvt_f32_f64_e32 v2, v[0:1]
	s_mov_b32 s20, 0x43f00000
                                        ; implicit-def: $vgpr3
	v_and_b32_e32 v6, 0x7fffffff, v2
	v_cmp_gt_u32_e32 vcc, s20, v6
	s_and_saveexec_b64 s[20:21], vcc
	s_xor_b64 s[20:21], exec, s[20:21]
	s_cbranch_execz .LBB142_204
; %bb.199:
	s_mov_b32 s28, 0x3c7fffff
	v_cmp_lt_u32_e32 vcc, s28, v6
                                        ; implicit-def: $vgpr3
	s_and_saveexec_b64 s[28:29], vcc
	s_xor_b64 s[28:29], exec, s[28:29]
; %bb.200:
	v_bfe_u32 v3, v2, 20, 1
	s_mov_b32 s34, 0x407ffff
	v_add3_u32 v3, v2, v3, s34
	v_lshrrev_b32_e32 v6, 20, v3
	v_and_b32_e32 v3, 0xff00000, v3
	s_mov_b32 s34, 0x7f00000
	v_mov_b32_e32 v7, 0x7e
	v_cmp_ne_u32_e32 vcc, s34, v3
	v_cndmask_b32_e32 v3, v7, v6, vcc
; %bb.201:
	s_andn2_saveexec_b64 s[28:29], s[28:29]
; %bb.202:
	s_mov_b32 s34, 0x46800000
	v_add_f32_e64 v3, |v2|, s34
; %bb.203:
	s_or_b64 exec, exec, s[28:29]
                                        ; implicit-def: $vgpr6
.LBB142_204:
	s_andn2_saveexec_b64 s[20:21], s[20:21]
; %bb.205:
	s_mov_b32 s28, 0x7f800000
	v_mov_b32_e32 v3, 0x7e
	v_mov_b32_e32 v7, 0x7f
	v_cmp_lt_u32_e32 vcc, s28, v6
	v_cndmask_b32_e32 v3, v3, v7, vcc
; %bb.206:
	s_or_b64 exec, exec, s[20:21]
	v_lshrrev_b32_e32 v2, 24, v2
	s_movk_i32 s20, 0x80
	v_and_or_b32 v2, v2, s20, v3
	global_store_byte v[4:5], v2, off
.LBB142_207:
	s_mov_b64 s[20:21], 0
.LBB142_208:
	s_andn2_b64 vcc, exec, s[20:21]
	s_cbranch_vccnz .LBB142_218
; %bb.209:
	v_cvt_f32_f64_e32 v2, v[0:1]
	s_mov_b32 s20, 0x47800000
                                        ; implicit-def: $vgpr3
	v_and_b32_e32 v6, 0x7fffffff, v2
	v_cmp_gt_u32_e32 vcc, s20, v6
	s_and_saveexec_b64 s[20:21], vcc
	s_xor_b64 s[20:21], exec, s[20:21]
	s_cbranch_execz .LBB142_215
; %bb.210:
	s_mov_b32 s28, 0x387fffff
	v_cmp_lt_u32_e32 vcc, s28, v6
                                        ; implicit-def: $vgpr3
	s_and_saveexec_b64 s[28:29], vcc
	s_xor_b64 s[28:29], exec, s[28:29]
; %bb.211:
	v_bfe_u32 v3, v2, 21, 1
	s_mov_b32 s34, 0x80fffff
	v_add3_u32 v3, v2, v3, s34
	v_lshrrev_b32_e32 v3, 21, v3
; %bb.212:
	s_andn2_saveexec_b64 s[28:29], s[28:29]
; %bb.213:
	s_mov_b32 s34, 0x43000000
	v_add_f32_e64 v3, |v2|, s34
; %bb.214:
	s_or_b64 exec, exec, s[28:29]
                                        ; implicit-def: $vgpr6
.LBB142_215:
	s_andn2_saveexec_b64 s[20:21], s[20:21]
; %bb.216:
	s_mov_b32 s28, 0x7f800000
	v_mov_b32_e32 v3, 0x7c
	v_mov_b32_e32 v7, 0x7f
	v_cmp_lt_u32_e32 vcc, s28, v6
	v_cndmask_b32_e32 v3, v3, v7, vcc
; %bb.217:
	s_or_b64 exec, exec, s[20:21]
	v_lshrrev_b32_e32 v2, 24, v2
	s_movk_i32 s20, 0x80
	v_and_or_b32 v2, v2, s20, v3
	global_store_byte v[4:5], v2, off
.LBB142_218:
	s_mov_b64 s[28:29], 0
	s_mov_b64 s[20:21], -1
.LBB142_219:
	s_andn2_b64 vcc, exec, s[28:29]
	s_cbranch_vccnz .LBB142_227
; %bb.220:
	s_cmp_gt_i32 s37, 14
	s_mov_b64 s[28:29], -1
	s_cbranch_scc0 .LBB142_224
; %bb.221:
	s_cmp_eq_u32 s37, 15
	s_mov_b64 s[0:1], -1
	s_cbranch_scc0 .LBB142_223
; %bb.222:
	v_cvt_f32_f64_e32 v2, v[0:1]
	s_movk_i32 s0, 0x7fff
	v_mov_b32_e32 v3, 0x7fc0
	s_mov_b64 s[20:21], -1
	v_bfe_u32 v6, v2, 16, 1
	v_cmp_o_f32_e32 vcc, v2, v2
	v_add3_u32 v2, v2, v6, s0
	v_cndmask_b32_sdwa v2, v3, v2, vcc dst_sel:DWORD dst_unused:UNUSED_PAD src0_sel:DWORD src1_sel:WORD_1
	global_store_short v[4:5], v2, off
	s_mov_b64 s[0:1], 0
.LBB142_223:
	s_mov_b64 s[28:29], 0
.LBB142_224:
	s_and_b64 vcc, exec, s[28:29]
	s_cbranch_vccz .LBB142_227
; %bb.225:
	s_cmp_eq_u32 s37, 11
	s_mov_b64 s[0:1], -1
	s_cbranch_scc0 .LBB142_227
; %bb.226:
	v_cmp_neq_f64_e32 vcc, 0, v[0:1]
	s_mov_b64 s[0:1], 0
	s_mov_b64 s[20:21], -1
	v_cndmask_b32_e64 v2, 0, 1, vcc
	global_store_byte v[4:5], v2, off
.LBB142_227:
	s_mov_b64 s[28:29], 0
.LBB142_228:
	s_and_b64 vcc, exec, s[28:29]
	s_cbranch_vccz .LBB142_267
; %bb.229:
	s_and_b32 s28, 0xffff, s36
	s_cmp_lt_i32 s28, 5
	s_mov_b64 s[20:21], -1
	s_cbranch_scc1 .LBB142_250
; %bb.230:
	s_cmp_lt_i32 s28, 8
	s_cbranch_scc1 .LBB142_240
; %bb.231:
	s_cmp_lt_i32 s28, 9
	s_cbranch_scc1 .LBB142_237
; %bb.232:
	s_cmp_gt_i32 s28, 9
	s_cbranch_scc0 .LBB142_234
; %bb.233:
	v_mov_b32_e32 v2, 0
	v_mov_b32_e32 v3, v2
	global_store_dwordx4 v[4:5], v[0:3], off
	s_mov_b64 s[20:21], 0
.LBB142_234:
	s_andn2_b64 vcc, exec, s[20:21]
	s_cbranch_vccnz .LBB142_236
; %bb.235:
	v_cvt_f32_f64_e32 v2, v[0:1]
	v_mov_b32_e32 v3, 0
	global_store_dwordx2 v[4:5], v[2:3], off
.LBB142_236:
	s_mov_b64 s[20:21], 0
.LBB142_237:
	s_andn2_b64 vcc, exec, s[20:21]
	s_cbranch_vccnz .LBB142_239
; %bb.238:
	s_movk_i32 s20, 0x1ff
	v_and_or_b32 v2, v1, s20, v0
	v_cmp_ne_u32_e32 vcc, 0, v2
	v_cndmask_b32_e64 v2, 0, 1, vcc
	v_lshrrev_b32_e32 v3, 8, v1
	s_movk_i32 s20, 0xffe
	v_bfe_u32 v6, v1, 20, 11
	v_and_or_b32 v2, v3, s20, v2
	v_sub_u32_e32 v7, 0x3f1, v6
	v_or_b32_e32 v3, 0x1000, v2
	v_med3_i32 v7, v7, 0, 13
	v_lshrrev_b32_e32 v8, v7, v3
	v_lshlrev_b32_e32 v7, v7, v8
	v_cmp_ne_u32_e32 vcc, v7, v3
	v_cndmask_b32_e64 v3, 0, 1, vcc
	v_add_u32_e32 v6, 0xfffffc10, v6
	v_or_b32_e32 v3, v8, v3
	v_lshl_or_b32 v7, v6, 12, v2
	v_cmp_gt_i32_e32 vcc, 1, v6
	v_cndmask_b32_e32 v3, v7, v3, vcc
	v_and_b32_e32 v7, 7, v3
	v_cmp_lt_i32_e32 vcc, 5, v7
	v_cndmask_b32_e64 v8, 0, 1, vcc
	v_cmp_eq_u32_e32 vcc, 3, v7
	v_cndmask_b32_e64 v7, 0, 1, vcc
	v_or_b32_e32 v7, v7, v8
	v_lshrrev_b32_e32 v3, 2, v3
	v_add_u32_e32 v3, v3, v7
	v_mov_b32_e32 v7, 0x7c00
	v_cmp_gt_i32_e32 vcc, 31, v6
	v_cndmask_b32_e32 v3, v7, v3, vcc
	v_mov_b32_e32 v8, 0x7e00
	v_cmp_ne_u32_e32 vcc, 0, v2
	s_movk_i32 s20, 0x40f
	v_cndmask_b32_e32 v2, v7, v8, vcc
	v_cmp_eq_u32_e32 vcc, s20, v6
	v_cndmask_b32_e32 v2, v3, v2, vcc
	v_lshrrev_b32_e32 v3, 16, v1
	s_mov_b32 s20, 0x8000
	v_and_or_b32 v2, v3, s20, v2
	v_and_b32_e32 v2, 0xffff, v2
	global_store_dword v[4:5], v2, off
.LBB142_239:
	s_mov_b64 s[20:21], 0
.LBB142_240:
	s_andn2_b64 vcc, exec, s[20:21]
	s_cbranch_vccnz .LBB142_249
; %bb.241:
	s_cmp_lt_i32 s28, 6
	s_mov_b64 s[20:21], -1
	s_cbranch_scc1 .LBB142_247
; %bb.242:
	s_cmp_gt_i32 s28, 6
	s_cbranch_scc0 .LBB142_244
; %bb.243:
	global_store_dwordx2 v[4:5], v[0:1], off
	s_mov_b64 s[20:21], 0
.LBB142_244:
	s_andn2_b64 vcc, exec, s[20:21]
	s_cbranch_vccnz .LBB142_246
; %bb.245:
	v_cvt_f32_f64_e32 v2, v[0:1]
	global_store_dword v[4:5], v2, off
.LBB142_246:
	s_mov_b64 s[20:21], 0
.LBB142_247:
	s_andn2_b64 vcc, exec, s[20:21]
	s_cbranch_vccnz .LBB142_249
; %bb.248:
	s_movk_i32 s20, 0x1ff
	v_and_or_b32 v2, v1, s20, v0
	v_cmp_ne_u32_e32 vcc, 0, v2
	v_cndmask_b32_e64 v2, 0, 1, vcc
	v_lshrrev_b32_e32 v3, 8, v1
	s_movk_i32 s20, 0xffe
	v_bfe_u32 v6, v1, 20, 11
	v_and_or_b32 v2, v3, s20, v2
	v_sub_u32_e32 v7, 0x3f1, v6
	v_or_b32_e32 v3, 0x1000, v2
	v_med3_i32 v7, v7, 0, 13
	v_lshrrev_b32_e32 v8, v7, v3
	v_lshlrev_b32_e32 v7, v7, v8
	v_cmp_ne_u32_e32 vcc, v7, v3
	v_cndmask_b32_e64 v3, 0, 1, vcc
	v_add_u32_e32 v6, 0xfffffc10, v6
	v_or_b32_e32 v3, v8, v3
	v_lshl_or_b32 v7, v6, 12, v2
	v_cmp_gt_i32_e32 vcc, 1, v6
	v_cndmask_b32_e32 v3, v7, v3, vcc
	v_and_b32_e32 v7, 7, v3
	v_cmp_lt_i32_e32 vcc, 5, v7
	v_cndmask_b32_e64 v8, 0, 1, vcc
	v_cmp_eq_u32_e32 vcc, 3, v7
	v_cndmask_b32_e64 v7, 0, 1, vcc
	v_or_b32_e32 v7, v7, v8
	v_lshrrev_b32_e32 v3, 2, v3
	v_add_u32_e32 v3, v3, v7
	v_mov_b32_e32 v7, 0x7c00
	v_cmp_gt_i32_e32 vcc, 31, v6
	v_cndmask_b32_e32 v3, v7, v3, vcc
	v_mov_b32_e32 v8, 0x7e00
	v_cmp_ne_u32_e32 vcc, 0, v2
	s_movk_i32 s20, 0x40f
	v_cndmask_b32_e32 v2, v7, v8, vcc
	v_cmp_eq_u32_e32 vcc, s20, v6
	v_cndmask_b32_e32 v2, v3, v2, vcc
	v_lshrrev_b32_e32 v3, 16, v1
	s_mov_b32 s20, 0x8000
	v_and_or_b32 v2, v3, s20, v2
	global_store_short v[4:5], v2, off
.LBB142_249:
	s_mov_b64 s[20:21], 0
.LBB142_250:
	s_andn2_b64 vcc, exec, s[20:21]
	s_cbranch_vccnz .LBB142_266
; %bb.251:
	s_cmp_lt_i32 s28, 2
	s_mov_b64 s[20:21], -1
	s_cbranch_scc1 .LBB142_261
; %bb.252:
	s_cmp_lt_i32 s28, 3
	s_cbranch_scc1 .LBB142_258
; %bb.253:
	s_cmp_gt_i32 s28, 3
	s_cbranch_scc0 .LBB142_255
; %bb.254:
	v_trunc_f64_e32 v[2:3], v[0:1]
	s_movk_i32 s20, 0xffe0
	v_ldexp_f64 v[6:7], v[2:3], s20
	s_mov_b32 s20, 0
	s_mov_b32 s21, 0xc1f00000
	v_floor_f64_e32 v[6:7], v[6:7]
	v_fma_f64 v[2:3], v[6:7], s[20:21], v[2:3]
	v_cvt_i32_f64_e32 v7, v[6:7]
	s_mov_b64 s[20:21], 0
	v_cvt_u32_f64_e32 v6, v[2:3]
	global_store_dwordx2 v[4:5], v[6:7], off
.LBB142_255:
	s_andn2_b64 vcc, exec, s[20:21]
	s_cbranch_vccnz .LBB142_257
; %bb.256:
	v_cvt_i32_f64_e32 v2, v[0:1]
	global_store_dword v[4:5], v2, off
.LBB142_257:
	s_mov_b64 s[20:21], 0
.LBB142_258:
	s_andn2_b64 vcc, exec, s[20:21]
	s_cbranch_vccnz .LBB142_260
; %bb.259:
	v_cvt_i32_f64_e32 v2, v[0:1]
	global_store_short v[4:5], v2, off
.LBB142_260:
	s_mov_b64 s[20:21], 0
.LBB142_261:
	s_andn2_b64 vcc, exec, s[20:21]
	s_cbranch_vccnz .LBB142_266
; %bb.262:
	s_cmp_gt_i32 s28, 0
	s_mov_b64 s[20:21], -1
	s_cbranch_scc0 .LBB142_264
; %bb.263:
	v_cvt_i32_f64_e32 v2, v[0:1]
	s_mov_b64 s[20:21], 0
	global_store_byte v[4:5], v2, off
.LBB142_264:
	s_andn2_b64 vcc, exec, s[20:21]
	s_cbranch_vccnz .LBB142_266
; %bb.265:
	v_trunc_f64_e32 v[0:1], v[0:1]
	s_movk_i32 s20, 0xffe0
	v_ldexp_f64 v[2:3], v[0:1], s20
	s_mov_b32 s20, 0
	s_mov_b32 s21, 0xc1f00000
	v_floor_f64_e32 v[2:3], v[2:3]
	v_fma_f64 v[0:1], v[2:3], s[20:21], v[0:1]
	v_cvt_u32_f64_e32 v0, v[0:1]
	global_store_byte v[4:5], v0, off
.LBB142_266:
	s_mov_b64 s[20:21], -1
.LBB142_267:
	s_andn2_b64 vcc, exec, s[20:21]
	s_cbranch_vccnz .LBB142_269
; %bb.268:
	v_add_u32_e32 v18, 0x80, v18
	s_mov_b64 s[28:29], -1
	s_branch .LBB142_382
.LBB142_269:
	s_mov_b64 s[28:29], 0
                                        ; implicit-def: $vgpr18
	s_branch .LBB142_382
.LBB142_270:
	s_mov_b64 s[22:23], -1
                                        ; implicit-def: $vgpr4_vgpr5
.LBB142_271:
	s_mov_b64 s[20:21], 0
.LBB142_272:
	s_and_b64 vcc, exec, s[20:21]
	s_cbranch_vccz .LBB142_276
; %bb.273:
	s_cmp_eq_u32 s35, 29
	s_cbranch_scc0 .LBB142_275
; %bb.274:
	global_load_dwordx2 v[4:5], v[2:3], off
	s_mov_b64 s[0:1], -1
	s_mov_b64 s[22:23], 0
	s_mov_b64 s[20:21], 0
	s_waitcnt vmcnt(0)
	v_cvt_f64_u32_e32 v[5:6], v5
	v_cvt_f64_u32_e32 v[7:8], v4
	v_ldexp_f64 v[5:6], v[5:6], 32
	v_add_f64 v[4:5], v[5:6], v[7:8]
	s_branch .LBB142_277
.LBB142_275:
	s_mov_b64 s[22:23], -1
                                        ; implicit-def: $vgpr4_vgpr5
.LBB142_276:
	s_mov_b64 s[20:21], 0
.LBB142_277:
	s_and_b64 vcc, exec, s[20:21]
	s_cbranch_vccz .LBB142_297
; %bb.278:
	s_cmp_lt_i32 s35, 27
	s_cbranch_scc1 .LBB142_281
; %bb.279:
	s_cmp_gt_i32 s35, 27
	s_cbranch_scc0 .LBB142_282
; %bb.280:
	global_load_dword v4, v[2:3], off
	s_mov_b64 s[0:1], 0
	s_waitcnt vmcnt(0)
	v_cvt_f64_u32_e32 v[4:5], v4
	s_branch .LBB142_283
.LBB142_281:
	s_mov_b64 s[0:1], -1
                                        ; implicit-def: $vgpr4_vgpr5
	s_branch .LBB142_286
.LBB142_282:
	s_mov_b64 s[0:1], -1
                                        ; implicit-def: $vgpr4_vgpr5
.LBB142_283:
	s_andn2_b64 vcc, exec, s[0:1]
	s_cbranch_vccnz .LBB142_285
; %bb.284:
	global_load_ushort v4, v[2:3], off
	s_waitcnt vmcnt(0)
	v_cvt_f64_u32_e32 v[4:5], v4
.LBB142_285:
	s_mov_b64 s[0:1], 0
.LBB142_286:
	s_andn2_b64 vcc, exec, s[0:1]
	s_cbranch_vccnz .LBB142_296
; %bb.287:
	global_load_ubyte v6, v[2:3], off
	s_movk_i32 s0, 0x7f
	s_waitcnt vmcnt(0)
	v_cmp_lt_i16_e32 vcc, s0, v6
	s_mov_b64 s[0:1], 0
	s_and_saveexec_b64 s[20:21], vcc
	s_xor_b64 s[20:21], exec, s[20:21]
	s_cbranch_execz .LBB142_291
; %bb.288:
	s_movk_i32 s0, 0x80
	v_cmp_eq_u16_e32 vcc, s0, v6
	s_mov_b64 s[0:1], -1
	s_and_saveexec_b64 s[28:29], vcc
; %bb.289:
	s_xor_b64 s[0:1], exec, -1
; %bb.290:
	s_or_b64 exec, exec, s[28:29]
	s_and_b64 s[0:1], s[0:1], exec
.LBB142_291:
	s_or_saveexec_b64 s[20:21], s[20:21]
	v_bfrev_b32_e32 v4, 4
	v_mov_b32_e32 v5, 0x7ff80000
	s_xor_b64 exec, exec, s[20:21]
; %bb.292:
	v_cmp_ne_u16_e32 vcc, 0, v6
	v_mov_b32_e32 v4, 0
	s_andn2_b64 s[0:1], s[0:1], exec
	s_and_b64 s[28:29], vcc, exec
	v_mov_b32_e32 v5, 0
	s_or_b64 s[0:1], s[0:1], s[28:29]
; %bb.293:
	s_or_b64 exec, exec, s[20:21]
	s_and_saveexec_b64 s[20:21], s[0:1]
	s_cbranch_execz .LBB142_295
; %bb.294:
	v_and_b32_e32 v5, 0xffff, v6
	v_lshlrev_b32_e32 v4, 24, v6
	v_and_b32_e32 v6, 7, v5
	v_ffbh_u32_e32 v8, v6
	v_min_u32_e32 v8, 32, v8
	v_subrev_u32_e32 v9, 28, v8
	v_bfe_u32 v7, v5, 3, 4
	v_lshlrev_b32_e32 v5, v9, v5
	v_sub_u32_e32 v8, 29, v8
	v_and_b32_e32 v5, 7, v5
	v_cmp_eq_u32_e32 vcc, 0, v7
	v_cndmask_b32_e32 v7, v7, v8, vcc
	v_cndmask_b32_e32 v5, v6, v5, vcc
	v_mov_b32_e32 v6, 0x3b800000
	v_lshlrev_b32_e32 v5, 20, v5
	v_and_b32_e32 v4, 0x80000000, v4
	v_lshl_add_u32 v6, v7, 23, v6
	v_or3_b32 v4, v4, v6, v5
	v_cvt_f64_f32_e32 v[4:5], v4
.LBB142_295:
	s_or_b64 exec, exec, s[20:21]
.LBB142_296:
	s_mov_b64 s[0:1], -1
.LBB142_297:
	s_mov_b64 s[20:21], 0
.LBB142_298:
	s_and_b64 vcc, exec, s[20:21]
	s_cbranch_vccz .LBB142_331
; %bb.299:
	s_cmp_gt_i32 s35, 22
	s_cbranch_scc0 .LBB142_311
; %bb.300:
	s_cmp_lt_i32 s35, 24
	s_cbranch_scc1 .LBB142_312
; %bb.301:
	s_cmp_gt_i32 s35, 24
	s_cbranch_scc0 .LBB142_313
; %bb.302:
	global_load_ubyte v6, v[2:3], off
	s_movk_i32 s0, 0x7f
	s_waitcnt vmcnt(0)
	v_cmp_lt_i16_e32 vcc, s0, v6
	s_mov_b64 s[0:1], 0
	s_and_saveexec_b64 s[20:21], vcc
	s_xor_b64 s[20:21], exec, s[20:21]
	s_cbranch_execz .LBB142_306
; %bb.303:
	s_movk_i32 s0, 0x80
	v_cmp_eq_u16_e32 vcc, s0, v6
	s_mov_b64 s[0:1], -1
	s_and_saveexec_b64 s[28:29], vcc
; %bb.304:
	s_xor_b64 s[0:1], exec, -1
; %bb.305:
	s_or_b64 exec, exec, s[28:29]
	s_and_b64 s[0:1], s[0:1], exec
.LBB142_306:
	s_or_saveexec_b64 s[20:21], s[20:21]
	v_bfrev_b32_e32 v4, 4
	v_mov_b32_e32 v5, 0x7ff80000
	s_xor_b64 exec, exec, s[20:21]
; %bb.307:
	v_cmp_ne_u16_e32 vcc, 0, v6
	v_mov_b32_e32 v4, 0
	s_andn2_b64 s[0:1], s[0:1], exec
	s_and_b64 s[28:29], vcc, exec
	v_mov_b32_e32 v5, 0
	s_or_b64 s[0:1], s[0:1], s[28:29]
; %bb.308:
	s_or_b64 exec, exec, s[20:21]
	s_and_saveexec_b64 s[20:21], s[0:1]
	s_cbranch_execz .LBB142_310
; %bb.309:
	v_and_b32_e32 v5, 0xffff, v6
	v_lshlrev_b32_e32 v4, 24, v6
	v_and_b32_e32 v6, 3, v5
	v_ffbh_u32_e32 v8, v6
	v_min_u32_e32 v8, 32, v8
	v_subrev_u32_e32 v9, 29, v8
	v_bfe_u32 v7, v5, 2, 5
	v_lshlrev_b32_e32 v5, v9, v5
	v_sub_u32_e32 v8, 30, v8
	v_and_b32_e32 v5, 3, v5
	v_cmp_eq_u32_e32 vcc, 0, v7
	v_cndmask_b32_e32 v7, v7, v8, vcc
	v_cndmask_b32_e32 v5, v6, v5, vcc
	v_mov_b32_e32 v6, 0x37800000
	v_lshlrev_b32_e32 v5, 21, v5
	v_and_b32_e32 v4, 0x80000000, v4
	v_lshl_add_u32 v6, v7, 23, v6
	v_or3_b32 v4, v4, v6, v5
	v_cvt_f64_f32_e32 v[4:5], v4
.LBB142_310:
	s_or_b64 exec, exec, s[20:21]
	s_mov_b64 s[0:1], 0
	s_branch .LBB142_314
.LBB142_311:
	s_mov_b64 s[20:21], -1
                                        ; implicit-def: $vgpr4_vgpr5
	s_branch .LBB142_320
.LBB142_312:
	s_mov_b64 s[0:1], -1
                                        ; implicit-def: $vgpr4_vgpr5
	s_branch .LBB142_317
.LBB142_313:
	s_mov_b64 s[0:1], -1
                                        ; implicit-def: $vgpr4_vgpr5
.LBB142_314:
	s_and_b64 vcc, exec, s[0:1]
	s_cbranch_vccz .LBB142_316
; %bb.315:
	global_load_ubyte v4, v[2:3], off
	s_mov_b32 s0, 0x7f800000
	s_waitcnt vmcnt(0)
	v_lshlrev_b32_e32 v4, 24, v4
	v_and_b32_e32 v5, 0x7f000000, v4
	v_ffbh_u32_e32 v6, v5
	v_min_u32_e32 v6, 32, v6
	v_sub_u32_e64 v6, v6, 4 clamp
	v_lshlrev_b32_e32 v8, v6, v5
	v_lshlrev_b32_e32 v6, 23, v6
	v_lshrrev_b32_e32 v8, 4, v8
	v_add_u32_e32 v7, 0x1000000, v5
	v_sub_u32_e32 v6, v8, v6
	v_ashrrev_i32_e32 v7, 8, v7
	v_add_u32_e32 v6, 0x3c000000, v6
	v_and_or_b32 v6, v7, s0, v6
	v_cmp_ne_u32_e32 vcc, 0, v5
	v_cndmask_b32_e32 v5, 0, v6, vcc
	s_brev_b32 s0, 1
	v_and_or_b32 v4, v4, s0, v5
	v_cvt_f64_f32_e32 v[4:5], v4
.LBB142_316:
	s_mov_b64 s[0:1], 0
.LBB142_317:
	s_andn2_b64 vcc, exec, s[0:1]
	s_cbranch_vccnz .LBB142_319
; %bb.318:
	global_load_ubyte v4, v[2:3], off
	s_movk_i32 s0, 0x7f00
	s_brev_b32 s1, 16
	s_waitcnt vmcnt(0)
	v_lshlrev_b16_e32 v5, 8, v4
	v_lshlrev_b32_e32 v4, 25, v4
	v_lshrrev_b32_e32 v6, 4, v4
	v_and_or_b32 v7, v5, s0, 0.5
	v_or_b32_e32 v6, 0x70000000, v6
	v_add_f32_e32 v7, -0.5, v7
	v_mul_f32_e32 v6, 0x7800000, v6
	v_cmp_gt_u32_e32 vcc, s1, v4
	v_bfe_i32 v5, v5, 0, 16
	v_cndmask_b32_e32 v4, v6, v7, vcc
	s_brev_b32 s0, 1
	v_and_or_b32 v4, v5, s0, v4
	v_cvt_f64_f32_e32 v[4:5], v4
.LBB142_319:
	s_mov_b64 s[20:21], 0
	s_mov_b64 s[0:1], -1
.LBB142_320:
	s_andn2_b64 vcc, exec, s[20:21]
	s_cbranch_vccnz .LBB142_331
; %bb.321:
	s_cmp_gt_i32 s35, 14
	s_cbranch_scc0 .LBB142_324
; %bb.322:
	s_cmp_eq_u32 s35, 15
	s_cbranch_scc0 .LBB142_325
; %bb.323:
	global_load_ushort v4, v[2:3], off
	s_mov_b64 s[0:1], -1
	s_mov_b64 s[22:23], 0
	s_waitcnt vmcnt(0)
	v_lshlrev_b32_e32 v4, 16, v4
	v_cvt_f64_f32_e32 v[4:5], v4
	s_branch .LBB142_326
.LBB142_324:
	s_mov_b64 s[20:21], -1
                                        ; implicit-def: $vgpr4_vgpr5
	s_branch .LBB142_327
.LBB142_325:
	s_mov_b64 s[22:23], -1
                                        ; implicit-def: $vgpr4_vgpr5
.LBB142_326:
	s_mov_b64 s[20:21], 0
.LBB142_327:
	s_and_b64 vcc, exec, s[20:21]
	s_cbranch_vccz .LBB142_331
; %bb.328:
	s_cmp_eq_u32 s35, 11
	s_cbranch_scc0 .LBB142_330
; %bb.329:
	global_load_ubyte v5, v[2:3], off
	v_mov_b32_e32 v6, 0x3ff00000
	v_mov_b32_e32 v4, 0
	s_mov_b64 s[0:1], -1
	s_mov_b64 s[22:23], 0
	s_waitcnt vmcnt(0)
	v_cmp_ne_u16_e32 vcc, 0, v5
	v_cndmask_b32_e32 v5, 0, v6, vcc
	s_branch .LBB142_331
.LBB142_330:
	s_mov_b64 s[22:23], -1
                                        ; implicit-def: $vgpr4_vgpr5
.LBB142_331:
	s_branch .LBB142_20
.LBB142_332:
	s_and_b32 s20, 0xffff, s34
	s_cmp_lt_i32 s20, 5
	s_cbranch_scc1 .LBB142_337
; %bb.333:
	s_cmp_lt_i32 s20, 8
	s_cbranch_scc1 .LBB142_338
; %bb.334:
	;; [unrolled: 3-line block ×3, first 2 shown]
	s_cmp_gt_i32 s20, 9
	s_cbranch_scc0 .LBB142_340
; %bb.336:
	global_load_dwordx2 v[4:5], v[2:3], off
	s_mov_b64 s[0:1], 0
	s_branch .LBB142_341
.LBB142_337:
	s_mov_b64 s[0:1], -1
                                        ; implicit-def: $vgpr4_vgpr5
	s_branch .LBB142_359
.LBB142_338:
	s_mov_b64 s[0:1], -1
                                        ; implicit-def: $vgpr4_vgpr5
	s_branch .LBB142_347
.LBB142_339:
	s_mov_b64 s[0:1], -1
                                        ; implicit-def: $vgpr4_vgpr5
	s_branch .LBB142_344
.LBB142_340:
	s_mov_b64 s[0:1], -1
                                        ; implicit-def: $vgpr4_vgpr5
.LBB142_341:
	s_andn2_b64 vcc, exec, s[0:1]
	s_cbranch_vccnz .LBB142_343
; %bb.342:
	global_load_dword v4, v[2:3], off
	s_waitcnt vmcnt(0)
	v_cvt_f64_f32_e32 v[4:5], v4
.LBB142_343:
	s_mov_b64 s[0:1], 0
.LBB142_344:
	s_andn2_b64 vcc, exec, s[0:1]
	s_cbranch_vccnz .LBB142_346
; %bb.345:
	global_load_dword v4, v[2:3], off
	s_waitcnt vmcnt(0)
	v_cvt_f32_f16_e32 v4, v4
	v_cvt_f64_f32_e32 v[4:5], v4
.LBB142_346:
	s_mov_b64 s[0:1], 0
.LBB142_347:
	s_andn2_b64 vcc, exec, s[0:1]
	s_cbranch_vccnz .LBB142_358
; %bb.348:
	s_cmp_lt_i32 s20, 6
	s_cbranch_scc1 .LBB142_351
; %bb.349:
	s_cmp_gt_i32 s20, 6
	s_cbranch_scc0 .LBB142_352
; %bb.350:
	global_load_dwordx2 v[4:5], v[2:3], off
	s_mov_b64 s[0:1], 0
	s_branch .LBB142_353
.LBB142_351:
	s_mov_b64 s[0:1], -1
                                        ; implicit-def: $vgpr4_vgpr5
	s_branch .LBB142_356
.LBB142_352:
	s_mov_b64 s[0:1], -1
                                        ; implicit-def: $vgpr4_vgpr5
.LBB142_353:
	s_andn2_b64 vcc, exec, s[0:1]
	s_cbranch_vccnz .LBB142_355
; %bb.354:
	global_load_dword v4, v[2:3], off
	s_waitcnt vmcnt(0)
	v_cvt_f64_f32_e32 v[4:5], v4
.LBB142_355:
	s_mov_b64 s[0:1], 0
.LBB142_356:
	s_andn2_b64 vcc, exec, s[0:1]
	s_cbranch_vccnz .LBB142_358
; %bb.357:
	global_load_ushort v4, v[2:3], off
	s_waitcnt vmcnt(0)
	v_cvt_f32_f16_e32 v4, v4
	v_cvt_f64_f32_e32 v[4:5], v4
.LBB142_358:
	s_mov_b64 s[0:1], 0
.LBB142_359:
	s_andn2_b64 vcc, exec, s[0:1]
	s_cbranch_vccnz .LBB142_379
; %bb.360:
	s_cmp_lt_i32 s20, 2
	s_cbranch_scc1 .LBB142_364
; %bb.361:
	s_cmp_lt_i32 s20, 3
	s_cbranch_scc1 .LBB142_365
; %bb.362:
	s_cmp_gt_i32 s20, 3
	s_cbranch_scc0 .LBB142_366
; %bb.363:
	global_load_dwordx2 v[4:5], v[2:3], off
	s_mov_b64 s[0:1], 0
	s_waitcnt vmcnt(0)
	v_cvt_f64_i32_e32 v[5:6], v5
	v_cvt_f64_u32_e32 v[7:8], v4
	v_ldexp_f64 v[5:6], v[5:6], 32
	v_add_f64 v[4:5], v[5:6], v[7:8]
	s_branch .LBB142_367
.LBB142_364:
	s_mov_b64 s[0:1], -1
                                        ; implicit-def: $vgpr4_vgpr5
	s_branch .LBB142_373
.LBB142_365:
	s_mov_b64 s[0:1], -1
                                        ; implicit-def: $vgpr4_vgpr5
	s_branch .LBB142_370
.LBB142_366:
	s_mov_b64 s[0:1], -1
                                        ; implicit-def: $vgpr4_vgpr5
.LBB142_367:
	s_andn2_b64 vcc, exec, s[0:1]
	s_cbranch_vccnz .LBB142_369
; %bb.368:
	global_load_dword v4, v[2:3], off
	s_waitcnt vmcnt(0)
	v_cvt_f64_i32_e32 v[4:5], v4
.LBB142_369:
	s_mov_b64 s[0:1], 0
.LBB142_370:
	s_andn2_b64 vcc, exec, s[0:1]
	s_cbranch_vccnz .LBB142_372
; %bb.371:
	global_load_sshort v4, v[2:3], off
	s_waitcnt vmcnt(0)
	v_cvt_f64_i32_e32 v[4:5], v4
.LBB142_372:
	s_mov_b64 s[0:1], 0
.LBB142_373:
	s_andn2_b64 vcc, exec, s[0:1]
	s_cbranch_vccnz .LBB142_379
; %bb.374:
	s_cmp_gt_i32 s20, 0
	s_cbranch_scc0 .LBB142_376
; %bb.375:
	global_load_sbyte v4, v[2:3], off
	s_mov_b64 s[0:1], 0
	s_waitcnt vmcnt(0)
	v_cvt_f64_i32_e32 v[4:5], v4
	s_branch .LBB142_377
.LBB142_376:
	s_mov_b64 s[0:1], -1
                                        ; implicit-def: $vgpr4_vgpr5
.LBB142_377:
	s_andn2_b64 vcc, exec, s[0:1]
	s_cbranch_vccnz .LBB142_379
; %bb.378:
	global_load_ubyte v2, v[2:3], off
	s_waitcnt vmcnt(0)
	v_cvt_f64_u32_e32 v[4:5], v2
.LBB142_379:
	s_branch .LBB142_21
.LBB142_380:
	s_mov_b64 s[0:1], 0
.LBB142_381:
                                        ; implicit-def: $vgpr18
	s_mov_b64 s[28:29], 0
.LBB142_382:
	s_and_b64 s[20:21], s[0:1], exec
	s_and_b64 s[22:23], s[22:23], exec
	;; [unrolled: 1-line block ×3, first 2 shown]
	s_orn2_b64 s[0:1], s[28:29], exec
.LBB142_383:
	s_or_b64 exec, exec, s[26:27]
	s_mov_b64 s[36:37], 0
	s_mov_b64 s[34:35], 0
                                        ; implicit-def: $sgpr59
                                        ; implicit-def: $vgpr0_vgpr1
                                        ; implicit-def: $vgpr2_vgpr3
	s_and_saveexec_b64 s[26:27], s[0:1]
	s_cbranch_execz .LBB142_392
; %bb.384:
	v_cmp_gt_i32_e32 vcc, s52, v18
	s_mov_b64 s[0:1], -1
	s_mov_b64 s[28:29], s[24:25]
	s_mov_b64 s[30:31], s[22:23]
	;; [unrolled: 1-line block ×3, first 2 shown]
	s_and_saveexec_b64 s[36:37], vcc
	s_cbranch_execz .LBB142_773
; %bb.385:
	s_waitcnt vmcnt(0)
	v_mul_lo_u32 v0, v18, s9
	v_mov_b32_e32 v1, s19
	s_and_b32 s38, s58, 0xff
	s_cmp_lt_i32 s38, 11
	v_ashrrev_i32_e32 v3, 31, v0
	v_add_co_u32_e32 v2, vcc, s18, v0
	v_addc_co_u32_e32 v3, vcc, v1, v3, vcc
	s_cbranch_scc1 .LBB142_395
; %bb.386:
	s_and_b32 s39, 0xffff, s38
	s_cmp_gt_i32 s39, 25
	s_cbranch_scc0 .LBB142_404
; %bb.387:
	s_cmp_gt_i32 s39, 28
	s_cbranch_scc0 .LBB142_406
; %bb.388:
	;; [unrolled: 3-line block ×4, first 2 shown]
	s_cmp_eq_u32 s39, 46
	s_mov_b64 s[30:31], 0
	s_cbranch_scc0 .LBB142_414
; %bb.391:
	global_load_dword v0, v[2:3], off
	s_mov_b64 s[28:29], 0
	s_waitcnt vmcnt(0)
	v_lshlrev_b32_e32 v0, 16, v0
	v_cvt_f64_f32_e32 v[0:1], v0
	s_branch .LBB142_415
.LBB142_392:
	s_or_b64 exec, exec, s[26:27]
	s_mov_b64 s[26:27], 0
	s_and_saveexec_b64 s[0:1], s[24:25]
	s_cbranch_execnz .LBB142_1248
.LBB142_393:
	s_or_b64 exec, exec, s[0:1]
	s_and_saveexec_b64 s[0:1], s[30:31]
	s_xor_b64 s[0:1], exec, s[0:1]
	s_cbranch_execz .LBB142_1249
.LBB142_394:
	s_waitcnt vmcnt(0)
	global_load_ubyte v3, v[0:1], off
	v_mov_b32_e32 v4, 0x3ff00000
	v_mov_b32_e32 v2, 0
	s_or_b64 s[34:35], s[34:35], exec
	s_waitcnt vmcnt(0)
	v_cmp_ne_u16_e32 vcc, 0, v3
	v_cndmask_b32_e32 v3, 0, v4, vcc
	s_or_b64 exec, exec, s[0:1]
	s_and_saveexec_b64 s[0:1], s[36:37]
	s_cbranch_execz .LBB142_1295
	s_branch .LBB142_1250
.LBB142_395:
	s_mov_b64 s[0:1], 0
                                        ; implicit-def: $vgpr0_vgpr1
	s_mov_b64 s[28:29], s[24:25]
	s_cbranch_execnz .LBB142_481
.LBB142_396:
	s_andn2_b64 vcc, exec, s[0:1]
	s_cbranch_vccnz .LBB142_529
.LBB142_397:
	v_mul_lo_u32 v2, v18, s10
	v_mov_b32_e32 v3, s3
	s_and_b32 s40, s11, 0xff
	s_cmp_lt_i32 s40, 11
	v_ashrrev_i32_e32 v4, 31, v2
	v_add_co_u32_e32 v2, vcc, s2, v2
	v_addc_co_u32_e32 v3, vcc, v3, v4, vcc
	s_cbranch_scc1 .LBB142_405
; %bb.398:
	s_and_b32 s41, 0xffff, s40
	s_cmp_gt_i32 s41, 25
	s_cbranch_scc0 .LBB142_407
; %bb.399:
	s_cmp_gt_i32 s41, 28
	s_cbranch_scc0 .LBB142_409
; %bb.400:
	;; [unrolled: 3-line block ×4, first 2 shown]
	s_cmp_eq_u32 s41, 46
	s_mov_b64 s[34:35], 0
	s_cbranch_scc0 .LBB142_533
; %bb.403:
	global_load_dword v4, v[2:3], off
	s_mov_b64 s[0:1], -1
	s_mov_b64 s[30:31], 0
	s_waitcnt vmcnt(0)
	v_lshlrev_b32_e32 v4, 16, v4
	v_cvt_f64_f32_e32 v[4:5], v4
	s_branch .LBB142_534
.LBB142_404:
	s_mov_b64 s[30:31], -1
	s_mov_b64 s[0:1], 0
	s_mov_b64 s[28:29], s[24:25]
                                        ; implicit-def: $vgpr0_vgpr1
	s_branch .LBB142_447
.LBB142_405:
	s_mov_b64 s[34:35], -1
	s_mov_b64 s[0:1], 0
                                        ; implicit-def: $vgpr4_vgpr5
	s_mov_b64 s[30:31], s[22:23]
	s_branch .LBB142_599
.LBB142_406:
	s_mov_b64 s[30:31], -1
	s_mov_b64 s[0:1], 0
	s_mov_b64 s[28:29], s[24:25]
                                        ; implicit-def: $vgpr0_vgpr1
	s_branch .LBB142_426
.LBB142_407:
	s_mov_b64 s[34:35], -1
	s_mov_b64 s[0:1], 0
	s_mov_b64 s[30:31], s[22:23]
                                        ; implicit-def: $vgpr4_vgpr5
	s_branch .LBB142_565
.LBB142_408:
	s_mov_b64 s[30:31], -1
	s_mov_b64 s[0:1], 0
	s_mov_b64 s[28:29], s[24:25]
                                        ; implicit-def: $vgpr0_vgpr1
	s_branch .LBB142_421
.LBB142_409:
	s_mov_b64 s[34:35], -1
	s_mov_b64 s[0:1], 0
	s_mov_b64 s[30:31], s[22:23]
                                        ; implicit-def: $vgpr4_vgpr5
	s_branch .LBB142_544
.LBB142_410:
	s_mov_b64 s[30:31], -1
	s_mov_b64 s[0:1], 0
	s_mov_b64 s[28:29], s[24:25]
                                        ; implicit-def: $vgpr0_vgpr1
	s_branch .LBB142_415
.LBB142_411:
	s_mov_b64 s[34:35], -1
	s_mov_b64 s[0:1], 0
	s_mov_b64 s[30:31], s[22:23]
                                        ; implicit-def: $vgpr4_vgpr5
	s_branch .LBB142_539
.LBB142_412:
	s_andn2_saveexec_b64 s[34:35], s[34:35]
	s_cbranch_execz .LBB142_180
.LBB142_413:
	s_mov_b32 s38, 0x46000000
	v_add_f32_e64 v3, |v2|, s38
	v_and_b32_e32 v3, 0xff, v3
	v_cmp_ne_u32_e32 vcc, 0, v3
	s_andn2_b64 s[28:29], s[28:29], exec
	s_and_b64 s[38:39], vcc, exec
	s_or_b64 s[28:29], s[28:29], s[38:39]
	s_or_b64 exec, exec, s[34:35]
	v_mov_b32_e32 v6, 0
	s_and_saveexec_b64 s[34:35], s[28:29]
	s_cbranch_execnz .LBB142_181
	s_branch .LBB142_182
.LBB142_414:
	s_mov_b64 s[28:29], -1
                                        ; implicit-def: $vgpr0_vgpr1
	s_mov_b64 s[0:1], 0
.LBB142_415:
	s_and_b64 vcc, exec, s[30:31]
	s_cbranch_vccz .LBB142_420
; %bb.416:
	s_cmp_eq_u32 s39, 44
	s_cbranch_scc0 .LBB142_419
; %bb.417:
	global_load_ubyte v4, v[2:3], off
	s_movk_i32 s28, 0xff
	v_bfrev_b32_e32 v5, 4
	v_mov_b32_e32 v6, 0x7ff80000
	v_bfrev_b32_e32 v7, 28
	s_mov_b64 s[0:1], -1
	s_waitcnt vmcnt(0)
	v_lshlrev_b32_e32 v0, 23, v4
	v_cvt_f64_f32_e32 v[0:1], v0
	v_cmp_ne_u32_e32 vcc, s28, v4
	s_mov_b64 s[28:29], 0
	v_cndmask_b32_e32 v0, v5, v0, vcc
	v_cndmask_b32_e32 v1, v6, v1, vcc
	v_cmp_ne_u32_e32 vcc, 0, v4
	v_cndmask_b32_e32 v1, v7, v1, vcc
	v_cndmask_b32_e32 v0, 0, v0, vcc
	s_branch .LBB142_420
.LBB142_418:
	s_mov_b64 s[34:35], -1
	s_mov_b64 s[0:1], 0
	s_mov_b64 s[30:31], s[22:23]
                                        ; implicit-def: $vgpr4_vgpr5
	s_branch .LBB142_534
.LBB142_419:
	s_mov_b64 s[28:29], -1
                                        ; implicit-def: $vgpr0_vgpr1
.LBB142_420:
	s_mov_b64 s[30:31], 0
.LBB142_421:
	s_and_b64 vcc, exec, s[30:31]
	s_cbranch_vccz .LBB142_425
; %bb.422:
	s_cmp_eq_u32 s39, 29
	s_cbranch_scc0 .LBB142_424
; %bb.423:
	global_load_dwordx2 v[0:1], v[2:3], off
	s_mov_b64 s[0:1], -1
	s_mov_b64 s[28:29], 0
	s_mov_b64 s[30:31], 0
	s_waitcnt vmcnt(0)
	v_cvt_f64_u32_e32 v[4:5], v1
	v_cvt_f64_u32_e32 v[0:1], v0
	v_ldexp_f64 v[4:5], v[4:5], 32
	v_add_f64 v[0:1], v[4:5], v[0:1]
	s_branch .LBB142_426
.LBB142_424:
	s_mov_b64 s[28:29], -1
                                        ; implicit-def: $vgpr0_vgpr1
.LBB142_425:
	s_mov_b64 s[30:31], 0
.LBB142_426:
	s_and_b64 vcc, exec, s[30:31]
	s_cbranch_vccz .LBB142_446
; %bb.427:
	s_cmp_lt_i32 s39, 27
	s_cbranch_scc1 .LBB142_430
; %bb.428:
	s_cmp_gt_i32 s39, 27
	s_cbranch_scc0 .LBB142_431
; %bb.429:
	global_load_dword v0, v[2:3], off
	s_mov_b64 s[0:1], 0
	s_waitcnt vmcnt(0)
	v_cvt_f64_u32_e32 v[0:1], v0
	s_branch .LBB142_432
.LBB142_430:
	s_mov_b64 s[0:1], -1
                                        ; implicit-def: $vgpr0_vgpr1
	s_branch .LBB142_435
.LBB142_431:
	s_mov_b64 s[0:1], -1
                                        ; implicit-def: $vgpr0_vgpr1
.LBB142_432:
	s_andn2_b64 vcc, exec, s[0:1]
	s_cbranch_vccnz .LBB142_434
; %bb.433:
	global_load_ushort v0, v[2:3], off
	s_waitcnt vmcnt(0)
	v_cvt_f64_u32_e32 v[0:1], v0
.LBB142_434:
	s_mov_b64 s[0:1], 0
.LBB142_435:
	s_andn2_b64 vcc, exec, s[0:1]
	s_cbranch_vccnz .LBB142_445
; %bb.436:
	global_load_ubyte v4, v[2:3], off
	s_movk_i32 s0, 0x7f
	s_waitcnt vmcnt(0)
	v_cmp_lt_i16_e32 vcc, s0, v4
	s_mov_b64 s[0:1], 0
	s_and_saveexec_b64 s[30:31], vcc
	s_xor_b64 s[30:31], exec, s[30:31]
	s_cbranch_execz .LBB142_440
; %bb.437:
	s_movk_i32 s0, 0x80
	v_cmp_eq_u16_e32 vcc, s0, v4
	s_mov_b64 s[0:1], -1
	s_and_saveexec_b64 s[34:35], vcc
; %bb.438:
	s_xor_b64 s[0:1], exec, -1
; %bb.439:
	s_or_b64 exec, exec, s[34:35]
	s_and_b64 s[0:1], s[0:1], exec
.LBB142_440:
	s_or_saveexec_b64 s[30:31], s[30:31]
	v_bfrev_b32_e32 v0, 4
	v_mov_b32_e32 v1, 0x7ff80000
	s_xor_b64 exec, exec, s[30:31]
; %bb.441:
	v_cmp_ne_u16_e32 vcc, 0, v4
	v_mov_b32_e32 v0, 0
	s_andn2_b64 s[0:1], s[0:1], exec
	s_and_b64 s[34:35], vcc, exec
	v_mov_b32_e32 v1, 0
	s_or_b64 s[0:1], s[0:1], s[34:35]
; %bb.442:
	s_or_b64 exec, exec, s[30:31]
	s_and_saveexec_b64 s[30:31], s[0:1]
	s_cbranch_execz .LBB142_444
; %bb.443:
	v_and_b32_e32 v1, 0xffff, v4
	v_lshlrev_b32_e32 v0, 24, v4
	v_and_b32_e32 v4, 7, v1
	v_ffbh_u32_e32 v6, v4
	v_min_u32_e32 v6, 32, v6
	v_subrev_u32_e32 v7, 28, v6
	v_bfe_u32 v5, v1, 3, 4
	v_lshlrev_b32_e32 v1, v7, v1
	v_sub_u32_e32 v6, 29, v6
	v_and_b32_e32 v1, 7, v1
	v_cmp_eq_u32_e32 vcc, 0, v5
	v_cndmask_b32_e32 v5, v5, v6, vcc
	v_cndmask_b32_e32 v1, v4, v1, vcc
	v_mov_b32_e32 v4, 0x3b800000
	v_lshlrev_b32_e32 v1, 20, v1
	v_and_b32_e32 v0, 0x80000000, v0
	v_lshl_add_u32 v4, v5, 23, v4
	v_or3_b32 v0, v0, v4, v1
	v_cvt_f64_f32_e32 v[0:1], v0
.LBB142_444:
	s_or_b64 exec, exec, s[30:31]
.LBB142_445:
	s_mov_b64 s[0:1], -1
.LBB142_446:
	s_mov_b64 s[30:31], 0
.LBB142_447:
	s_and_b64 vcc, exec, s[30:31]
	s_cbranch_vccz .LBB142_480
; %bb.448:
	s_cmp_gt_i32 s39, 22
	s_cbranch_scc0 .LBB142_460
; %bb.449:
	s_cmp_lt_i32 s39, 24
	s_cbranch_scc1 .LBB142_461
; %bb.450:
	s_cmp_gt_i32 s39, 24
	s_cbranch_scc0 .LBB142_462
; %bb.451:
	global_load_ubyte v4, v[2:3], off
	s_movk_i32 s0, 0x7f
	s_waitcnt vmcnt(0)
	v_cmp_lt_i16_e32 vcc, s0, v4
	s_mov_b64 s[0:1], 0
	s_and_saveexec_b64 s[30:31], vcc
	s_xor_b64 s[30:31], exec, s[30:31]
	s_cbranch_execz .LBB142_455
; %bb.452:
	s_movk_i32 s0, 0x80
	v_cmp_eq_u16_e32 vcc, s0, v4
	s_mov_b64 s[0:1], -1
	s_and_saveexec_b64 s[34:35], vcc
; %bb.453:
	s_xor_b64 s[0:1], exec, -1
; %bb.454:
	s_or_b64 exec, exec, s[34:35]
	s_and_b64 s[0:1], s[0:1], exec
.LBB142_455:
	s_or_saveexec_b64 s[30:31], s[30:31]
	v_bfrev_b32_e32 v0, 4
	v_mov_b32_e32 v1, 0x7ff80000
	s_xor_b64 exec, exec, s[30:31]
; %bb.456:
	v_cmp_ne_u16_e32 vcc, 0, v4
	v_mov_b32_e32 v0, 0
	s_andn2_b64 s[0:1], s[0:1], exec
	s_and_b64 s[34:35], vcc, exec
	v_mov_b32_e32 v1, 0
	s_or_b64 s[0:1], s[0:1], s[34:35]
; %bb.457:
	s_or_b64 exec, exec, s[30:31]
	s_and_saveexec_b64 s[30:31], s[0:1]
	s_cbranch_execz .LBB142_459
; %bb.458:
	v_and_b32_e32 v1, 0xffff, v4
	v_lshlrev_b32_e32 v0, 24, v4
	v_and_b32_e32 v4, 3, v1
	v_ffbh_u32_e32 v6, v4
	v_min_u32_e32 v6, 32, v6
	v_subrev_u32_e32 v7, 29, v6
	v_bfe_u32 v5, v1, 2, 5
	v_lshlrev_b32_e32 v1, v7, v1
	v_sub_u32_e32 v6, 30, v6
	v_and_b32_e32 v1, 3, v1
	v_cmp_eq_u32_e32 vcc, 0, v5
	v_cndmask_b32_e32 v5, v5, v6, vcc
	v_cndmask_b32_e32 v1, v4, v1, vcc
	v_mov_b32_e32 v4, 0x37800000
	v_lshlrev_b32_e32 v1, 21, v1
	v_and_b32_e32 v0, 0x80000000, v0
	v_lshl_add_u32 v4, v5, 23, v4
	v_or3_b32 v0, v0, v4, v1
	v_cvt_f64_f32_e32 v[0:1], v0
.LBB142_459:
	s_or_b64 exec, exec, s[30:31]
	s_mov_b64 s[0:1], 0
	s_branch .LBB142_463
.LBB142_460:
	s_mov_b64 s[30:31], -1
                                        ; implicit-def: $vgpr0_vgpr1
	s_branch .LBB142_469
.LBB142_461:
	s_mov_b64 s[0:1], -1
                                        ; implicit-def: $vgpr0_vgpr1
	s_branch .LBB142_466
.LBB142_462:
	s_mov_b64 s[0:1], -1
                                        ; implicit-def: $vgpr0_vgpr1
.LBB142_463:
	s_and_b64 vcc, exec, s[0:1]
	s_cbranch_vccz .LBB142_465
; %bb.464:
	global_load_ubyte v0, v[2:3], off
	s_mov_b32 s0, 0x7f800000
	s_waitcnt vmcnt(0)
	v_lshlrev_b32_e32 v0, 24, v0
	v_and_b32_e32 v1, 0x7f000000, v0
	v_ffbh_u32_e32 v4, v1
	v_min_u32_e32 v4, 32, v4
	v_sub_u32_e64 v4, v4, 4 clamp
	v_lshlrev_b32_e32 v6, v4, v1
	v_lshlrev_b32_e32 v4, 23, v4
	v_lshrrev_b32_e32 v6, 4, v6
	v_add_u32_e32 v5, 0x1000000, v1
	v_sub_u32_e32 v4, v6, v4
	v_ashrrev_i32_e32 v5, 8, v5
	v_add_u32_e32 v4, 0x3c000000, v4
	v_and_or_b32 v4, v5, s0, v4
	v_cmp_ne_u32_e32 vcc, 0, v1
	v_cndmask_b32_e32 v1, 0, v4, vcc
	s_brev_b32 s0, 1
	v_and_or_b32 v0, v0, s0, v1
	v_cvt_f64_f32_e32 v[0:1], v0
.LBB142_465:
	s_mov_b64 s[0:1], 0
.LBB142_466:
	s_andn2_b64 vcc, exec, s[0:1]
	s_cbranch_vccnz .LBB142_468
; %bb.467:
	global_load_ubyte v0, v[2:3], off
	s_movk_i32 s0, 0x7f00
	s_brev_b32 s1, 16
	s_waitcnt vmcnt(0)
	v_lshlrev_b16_e32 v1, 8, v0
	v_lshlrev_b32_e32 v0, 25, v0
	v_lshrrev_b32_e32 v4, 4, v0
	v_and_or_b32 v5, v1, s0, 0.5
	v_or_b32_e32 v4, 0x70000000, v4
	v_add_f32_e32 v5, -0.5, v5
	v_mul_f32_e32 v4, 0x7800000, v4
	v_cmp_gt_u32_e32 vcc, s1, v0
	v_bfe_i32 v1, v1, 0, 16
	v_cndmask_b32_e32 v0, v4, v5, vcc
	s_brev_b32 s0, 1
	v_and_or_b32 v0, v1, s0, v0
	v_cvt_f64_f32_e32 v[0:1], v0
.LBB142_468:
	s_mov_b64 s[30:31], 0
	s_mov_b64 s[0:1], -1
.LBB142_469:
	s_andn2_b64 vcc, exec, s[30:31]
	s_cbranch_vccnz .LBB142_480
; %bb.470:
	s_cmp_gt_i32 s39, 14
	s_cbranch_scc0 .LBB142_473
; %bb.471:
	s_cmp_eq_u32 s39, 15
	s_cbranch_scc0 .LBB142_474
; %bb.472:
	global_load_ushort v0, v[2:3], off
	s_mov_b64 s[0:1], -1
	s_mov_b64 s[28:29], 0
	s_waitcnt vmcnt(0)
	v_lshlrev_b32_e32 v0, 16, v0
	v_cvt_f64_f32_e32 v[0:1], v0
	s_branch .LBB142_475
.LBB142_473:
	s_mov_b64 s[30:31], -1
                                        ; implicit-def: $vgpr0_vgpr1
	s_branch .LBB142_476
.LBB142_474:
	s_mov_b64 s[28:29], -1
                                        ; implicit-def: $vgpr0_vgpr1
.LBB142_475:
	s_mov_b64 s[30:31], 0
.LBB142_476:
	s_and_b64 vcc, exec, s[30:31]
	s_cbranch_vccz .LBB142_480
; %bb.477:
	s_cmp_eq_u32 s39, 11
	s_cbranch_scc0 .LBB142_479
; %bb.478:
	global_load_ubyte v1, v[2:3], off
	v_mov_b32_e32 v4, 0x3ff00000
	v_mov_b32_e32 v0, 0
	s_mov_b64 s[0:1], -1
	s_mov_b64 s[28:29], 0
	s_waitcnt vmcnt(0)
	v_cmp_ne_u16_e32 vcc, 0, v1
	v_cndmask_b32_e32 v1, 0, v4, vcc
	s_branch .LBB142_480
.LBB142_479:
	s_mov_b64 s[28:29], -1
                                        ; implicit-def: $vgpr0_vgpr1
.LBB142_480:
	s_branch .LBB142_396
.LBB142_481:
	s_and_b32 s30, 0xffff, s38
	s_cmp_lt_i32 s30, 5
	s_cbranch_scc1 .LBB142_486
; %bb.482:
	s_cmp_lt_i32 s30, 8
	s_cbranch_scc1 .LBB142_487
; %bb.483:
	;; [unrolled: 3-line block ×3, first 2 shown]
	s_cmp_gt_i32 s30, 9
	s_cbranch_scc0 .LBB142_489
; %bb.485:
	global_load_dwordx2 v[0:1], v[2:3], off
	s_mov_b64 s[0:1], 0
	s_branch .LBB142_490
.LBB142_486:
	s_mov_b64 s[0:1], -1
                                        ; implicit-def: $vgpr0_vgpr1
	s_branch .LBB142_508
.LBB142_487:
	s_mov_b64 s[0:1], -1
                                        ; implicit-def: $vgpr0_vgpr1
	s_branch .LBB142_496
.LBB142_488:
	s_mov_b64 s[0:1], -1
                                        ; implicit-def: $vgpr0_vgpr1
	s_branch .LBB142_493
.LBB142_489:
	s_mov_b64 s[0:1], -1
                                        ; implicit-def: $vgpr0_vgpr1
.LBB142_490:
	s_andn2_b64 vcc, exec, s[0:1]
	s_cbranch_vccnz .LBB142_492
; %bb.491:
	global_load_dword v0, v[2:3], off
	s_waitcnt vmcnt(0)
	v_cvt_f64_f32_e32 v[0:1], v0
.LBB142_492:
	s_mov_b64 s[0:1], 0
.LBB142_493:
	s_andn2_b64 vcc, exec, s[0:1]
	s_cbranch_vccnz .LBB142_495
; %bb.494:
	global_load_dword v0, v[2:3], off
	s_waitcnt vmcnt(0)
	v_cvt_f32_f16_e32 v0, v0
	v_cvt_f64_f32_e32 v[0:1], v0
.LBB142_495:
	s_mov_b64 s[0:1], 0
.LBB142_496:
	s_andn2_b64 vcc, exec, s[0:1]
	s_cbranch_vccnz .LBB142_507
; %bb.497:
	s_cmp_lt_i32 s30, 6
	s_cbranch_scc1 .LBB142_500
; %bb.498:
	s_cmp_gt_i32 s30, 6
	s_cbranch_scc0 .LBB142_501
; %bb.499:
	global_load_dwordx2 v[0:1], v[2:3], off
	s_mov_b64 s[0:1], 0
	s_branch .LBB142_502
.LBB142_500:
	s_mov_b64 s[0:1], -1
                                        ; implicit-def: $vgpr0_vgpr1
	s_branch .LBB142_505
.LBB142_501:
	s_mov_b64 s[0:1], -1
                                        ; implicit-def: $vgpr0_vgpr1
.LBB142_502:
	s_andn2_b64 vcc, exec, s[0:1]
	s_cbranch_vccnz .LBB142_504
; %bb.503:
	global_load_dword v0, v[2:3], off
	s_waitcnt vmcnt(0)
	v_cvt_f64_f32_e32 v[0:1], v0
.LBB142_504:
	s_mov_b64 s[0:1], 0
.LBB142_505:
	s_andn2_b64 vcc, exec, s[0:1]
	s_cbranch_vccnz .LBB142_507
; %bb.506:
	global_load_ushort v0, v[2:3], off
	s_waitcnt vmcnt(0)
	v_cvt_f32_f16_e32 v0, v0
	v_cvt_f64_f32_e32 v[0:1], v0
.LBB142_507:
	s_mov_b64 s[0:1], 0
.LBB142_508:
	s_andn2_b64 vcc, exec, s[0:1]
	s_cbranch_vccnz .LBB142_528
; %bb.509:
	s_cmp_lt_i32 s30, 2
	s_cbranch_scc1 .LBB142_513
; %bb.510:
	s_cmp_lt_i32 s30, 3
	s_cbranch_scc1 .LBB142_514
; %bb.511:
	s_cmp_gt_i32 s30, 3
	s_cbranch_scc0 .LBB142_515
; %bb.512:
	global_load_dwordx2 v[0:1], v[2:3], off
	s_mov_b64 s[0:1], 0
	s_waitcnt vmcnt(0)
	v_cvt_f64_i32_e32 v[4:5], v1
	v_cvt_f64_u32_e32 v[0:1], v0
	v_ldexp_f64 v[4:5], v[4:5], 32
	v_add_f64 v[0:1], v[4:5], v[0:1]
	s_branch .LBB142_516
.LBB142_513:
	s_mov_b64 s[0:1], -1
                                        ; implicit-def: $vgpr0_vgpr1
	s_branch .LBB142_522
.LBB142_514:
	s_mov_b64 s[0:1], -1
                                        ; implicit-def: $vgpr0_vgpr1
	s_branch .LBB142_519
.LBB142_515:
	s_mov_b64 s[0:1], -1
                                        ; implicit-def: $vgpr0_vgpr1
.LBB142_516:
	s_andn2_b64 vcc, exec, s[0:1]
	s_cbranch_vccnz .LBB142_518
; %bb.517:
	global_load_dword v0, v[2:3], off
	s_waitcnt vmcnt(0)
	v_cvt_f64_i32_e32 v[0:1], v0
.LBB142_518:
	s_mov_b64 s[0:1], 0
.LBB142_519:
	s_andn2_b64 vcc, exec, s[0:1]
	s_cbranch_vccnz .LBB142_521
; %bb.520:
	global_load_sshort v0, v[2:3], off
	s_waitcnt vmcnt(0)
	v_cvt_f64_i32_e32 v[0:1], v0
.LBB142_521:
	s_mov_b64 s[0:1], 0
.LBB142_522:
	s_andn2_b64 vcc, exec, s[0:1]
	s_cbranch_vccnz .LBB142_528
; %bb.523:
	s_cmp_gt_i32 s30, 0
	s_cbranch_scc0 .LBB142_525
; %bb.524:
	global_load_sbyte v0, v[2:3], off
	s_mov_b64 s[0:1], 0
	s_waitcnt vmcnt(0)
	v_cvt_f64_i32_e32 v[0:1], v0
	s_branch .LBB142_526
.LBB142_525:
	s_mov_b64 s[0:1], -1
                                        ; implicit-def: $vgpr0_vgpr1
.LBB142_526:
	s_andn2_b64 vcc, exec, s[0:1]
	s_cbranch_vccnz .LBB142_528
; %bb.527:
	global_load_ubyte v0, v[2:3], off
	s_waitcnt vmcnt(0)
	v_cvt_f64_u32_e32 v[0:1], v0
.LBB142_528:
	s_branch .LBB142_397
.LBB142_529:
	s_mov_b64 s[38:39], 0
	s_mov_b64 s[0:1], s[20:21]
	;; [unrolled: 1-line block ×3, first 2 shown]
.LBB142_530:
                                        ; implicit-def: $vgpr18
	s_branch .LBB142_772
.LBB142_531:
	s_andn2_saveexec_b64 s[34:35], s[34:35]
	s_cbranch_execz .LBB142_193
.LBB142_532:
	s_mov_b32 s38, 0x42800000
	v_add_f32_e64 v3, |v2|, s38
	v_and_b32_e32 v3, 0xff, v3
	v_cmp_ne_u32_e32 vcc, 0, v3
	s_andn2_b64 s[28:29], s[28:29], exec
	s_and_b64 s[38:39], vcc, exec
	s_or_b64 s[28:29], s[28:29], s[38:39]
	s_or_b64 exec, exec, s[34:35]
	v_mov_b32_e32 v6, 0
	s_and_saveexec_b64 s[34:35], s[28:29]
	s_cbranch_execnz .LBB142_194
	s_branch .LBB142_195
.LBB142_533:
	s_mov_b64 s[30:31], -1
                                        ; implicit-def: $vgpr4_vgpr5
	s_mov_b64 s[0:1], 0
.LBB142_534:
	s_and_b64 vcc, exec, s[34:35]
	s_cbranch_vccz .LBB142_538
; %bb.535:
	s_cmp_eq_u32 s41, 44
	s_cbranch_scc0 .LBB142_537
; %bb.536:
	global_load_ubyte v6, v[2:3], off
	s_movk_i32 s30, 0xff
	v_bfrev_b32_e32 v7, 4
	v_mov_b32_e32 v8, 0x7ff80000
	v_bfrev_b32_e32 v9, 28
	s_mov_b64 s[0:1], -1
	s_waitcnt vmcnt(0)
	v_lshlrev_b32_e32 v4, 23, v6
	v_cvt_f64_f32_e32 v[4:5], v4
	v_cmp_ne_u32_e32 vcc, s30, v6
	s_mov_b64 s[30:31], 0
	v_cndmask_b32_e32 v4, v7, v4, vcc
	v_cndmask_b32_e32 v5, v8, v5, vcc
	v_cmp_ne_u32_e32 vcc, 0, v6
	v_cndmask_b32_e32 v5, v9, v5, vcc
	v_cndmask_b32_e32 v4, 0, v4, vcc
	s_branch .LBB142_538
.LBB142_537:
	s_mov_b64 s[30:31], -1
                                        ; implicit-def: $vgpr4_vgpr5
.LBB142_538:
	s_mov_b64 s[34:35], 0
.LBB142_539:
	s_and_b64 vcc, exec, s[34:35]
	s_cbranch_vccz .LBB142_543
; %bb.540:
	s_cmp_eq_u32 s41, 29
	s_cbranch_scc0 .LBB142_542
; %bb.541:
	global_load_dwordx2 v[4:5], v[2:3], off
	s_mov_b64 s[0:1], -1
	s_mov_b64 s[30:31], 0
	s_mov_b64 s[34:35], 0
	s_waitcnt vmcnt(0)
	v_cvt_f64_u32_e32 v[5:6], v5
	v_cvt_f64_u32_e32 v[7:8], v4
	v_ldexp_f64 v[5:6], v[5:6], 32
	v_add_f64 v[4:5], v[5:6], v[7:8]
	s_branch .LBB142_544
.LBB142_542:
	s_mov_b64 s[30:31], -1
                                        ; implicit-def: $vgpr4_vgpr5
.LBB142_543:
	s_mov_b64 s[34:35], 0
.LBB142_544:
	s_and_b64 vcc, exec, s[34:35]
	s_cbranch_vccz .LBB142_564
; %bb.545:
	s_cmp_lt_i32 s41, 27
	s_cbranch_scc1 .LBB142_548
; %bb.546:
	s_cmp_gt_i32 s41, 27
	s_cbranch_scc0 .LBB142_549
; %bb.547:
	global_load_dword v4, v[2:3], off
	s_mov_b64 s[0:1], 0
	s_waitcnt vmcnt(0)
	v_cvt_f64_u32_e32 v[4:5], v4
	s_branch .LBB142_550
.LBB142_548:
	s_mov_b64 s[0:1], -1
                                        ; implicit-def: $vgpr4_vgpr5
	s_branch .LBB142_553
.LBB142_549:
	s_mov_b64 s[0:1], -1
                                        ; implicit-def: $vgpr4_vgpr5
.LBB142_550:
	s_andn2_b64 vcc, exec, s[0:1]
	s_cbranch_vccnz .LBB142_552
; %bb.551:
	global_load_ushort v4, v[2:3], off
	s_waitcnt vmcnt(0)
	v_cvt_f64_u32_e32 v[4:5], v4
.LBB142_552:
	s_mov_b64 s[0:1], 0
.LBB142_553:
	s_andn2_b64 vcc, exec, s[0:1]
	s_cbranch_vccnz .LBB142_563
; %bb.554:
	global_load_ubyte v6, v[2:3], off
	s_movk_i32 s0, 0x7f
	s_waitcnt vmcnt(0)
	v_cmp_lt_i16_e32 vcc, s0, v6
	s_mov_b64 s[0:1], 0
	s_and_saveexec_b64 s[34:35], vcc
	s_xor_b64 s[34:35], exec, s[34:35]
	s_cbranch_execz .LBB142_558
; %bb.555:
	s_movk_i32 s0, 0x80
	v_cmp_eq_u16_e32 vcc, s0, v6
	s_mov_b64 s[0:1], -1
	s_and_saveexec_b64 s[38:39], vcc
; %bb.556:
	s_xor_b64 s[0:1], exec, -1
; %bb.557:
	s_or_b64 exec, exec, s[38:39]
	s_and_b64 s[0:1], s[0:1], exec
.LBB142_558:
	s_or_saveexec_b64 s[34:35], s[34:35]
	v_bfrev_b32_e32 v4, 4
	v_mov_b32_e32 v5, 0x7ff80000
	s_xor_b64 exec, exec, s[34:35]
; %bb.559:
	v_cmp_ne_u16_e32 vcc, 0, v6
	v_mov_b32_e32 v4, 0
	s_andn2_b64 s[0:1], s[0:1], exec
	s_and_b64 s[38:39], vcc, exec
	v_mov_b32_e32 v5, 0
	s_or_b64 s[0:1], s[0:1], s[38:39]
; %bb.560:
	s_or_b64 exec, exec, s[34:35]
	s_and_saveexec_b64 s[34:35], s[0:1]
	s_cbranch_execz .LBB142_562
; %bb.561:
	v_and_b32_e32 v5, 0xffff, v6
	v_lshlrev_b32_e32 v4, 24, v6
	v_and_b32_e32 v6, 7, v5
	v_ffbh_u32_e32 v8, v6
	v_min_u32_e32 v8, 32, v8
	v_subrev_u32_e32 v9, 28, v8
	v_bfe_u32 v7, v5, 3, 4
	v_lshlrev_b32_e32 v5, v9, v5
	v_sub_u32_e32 v8, 29, v8
	v_and_b32_e32 v5, 7, v5
	v_cmp_eq_u32_e32 vcc, 0, v7
	v_cndmask_b32_e32 v7, v7, v8, vcc
	v_cndmask_b32_e32 v5, v6, v5, vcc
	v_mov_b32_e32 v6, 0x3b800000
	v_lshlrev_b32_e32 v5, 20, v5
	v_and_b32_e32 v4, 0x80000000, v4
	v_lshl_add_u32 v6, v7, 23, v6
	v_or3_b32 v4, v4, v6, v5
	v_cvt_f64_f32_e32 v[4:5], v4
.LBB142_562:
	s_or_b64 exec, exec, s[34:35]
.LBB142_563:
	s_mov_b64 s[0:1], -1
.LBB142_564:
	s_mov_b64 s[34:35], 0
.LBB142_565:
	s_and_b64 vcc, exec, s[34:35]
	s_cbranch_vccz .LBB142_598
; %bb.566:
	s_cmp_gt_i32 s41, 22
	s_cbranch_scc0 .LBB142_578
; %bb.567:
	s_cmp_lt_i32 s41, 24
	s_cbranch_scc1 .LBB142_579
; %bb.568:
	s_cmp_gt_i32 s41, 24
	s_cbranch_scc0 .LBB142_580
; %bb.569:
	global_load_ubyte v6, v[2:3], off
	s_movk_i32 s0, 0x7f
	s_waitcnt vmcnt(0)
	v_cmp_lt_i16_e32 vcc, s0, v6
	s_mov_b64 s[0:1], 0
	s_and_saveexec_b64 s[34:35], vcc
	s_xor_b64 s[34:35], exec, s[34:35]
	s_cbranch_execz .LBB142_573
; %bb.570:
	s_movk_i32 s0, 0x80
	v_cmp_eq_u16_e32 vcc, s0, v6
	s_mov_b64 s[0:1], -1
	s_and_saveexec_b64 s[38:39], vcc
; %bb.571:
	s_xor_b64 s[0:1], exec, -1
; %bb.572:
	s_or_b64 exec, exec, s[38:39]
	s_and_b64 s[0:1], s[0:1], exec
.LBB142_573:
	s_or_saveexec_b64 s[34:35], s[34:35]
	v_bfrev_b32_e32 v4, 4
	v_mov_b32_e32 v5, 0x7ff80000
	s_xor_b64 exec, exec, s[34:35]
; %bb.574:
	v_cmp_ne_u16_e32 vcc, 0, v6
	v_mov_b32_e32 v4, 0
	s_andn2_b64 s[0:1], s[0:1], exec
	s_and_b64 s[38:39], vcc, exec
	v_mov_b32_e32 v5, 0
	s_or_b64 s[0:1], s[0:1], s[38:39]
; %bb.575:
	s_or_b64 exec, exec, s[34:35]
	s_and_saveexec_b64 s[34:35], s[0:1]
	s_cbranch_execz .LBB142_577
; %bb.576:
	v_and_b32_e32 v5, 0xffff, v6
	v_lshlrev_b32_e32 v4, 24, v6
	v_and_b32_e32 v6, 3, v5
	v_ffbh_u32_e32 v8, v6
	v_min_u32_e32 v8, 32, v8
	v_subrev_u32_e32 v9, 29, v8
	v_bfe_u32 v7, v5, 2, 5
	v_lshlrev_b32_e32 v5, v9, v5
	v_sub_u32_e32 v8, 30, v8
	v_and_b32_e32 v5, 3, v5
	v_cmp_eq_u32_e32 vcc, 0, v7
	v_cndmask_b32_e32 v7, v7, v8, vcc
	v_cndmask_b32_e32 v5, v6, v5, vcc
	v_mov_b32_e32 v6, 0x37800000
	v_lshlrev_b32_e32 v5, 21, v5
	v_and_b32_e32 v4, 0x80000000, v4
	v_lshl_add_u32 v6, v7, 23, v6
	v_or3_b32 v4, v4, v6, v5
	v_cvt_f64_f32_e32 v[4:5], v4
.LBB142_577:
	s_or_b64 exec, exec, s[34:35]
	s_mov_b64 s[0:1], 0
	s_branch .LBB142_581
.LBB142_578:
	s_mov_b64 s[34:35], -1
                                        ; implicit-def: $vgpr4_vgpr5
	s_branch .LBB142_587
.LBB142_579:
	s_mov_b64 s[0:1], -1
                                        ; implicit-def: $vgpr4_vgpr5
	s_branch .LBB142_584
.LBB142_580:
	s_mov_b64 s[0:1], -1
                                        ; implicit-def: $vgpr4_vgpr5
.LBB142_581:
	s_and_b64 vcc, exec, s[0:1]
	s_cbranch_vccz .LBB142_583
; %bb.582:
	global_load_ubyte v4, v[2:3], off
	s_mov_b32 s0, 0x7f800000
	s_waitcnt vmcnt(0)
	v_lshlrev_b32_e32 v4, 24, v4
	v_and_b32_e32 v5, 0x7f000000, v4
	v_ffbh_u32_e32 v6, v5
	v_min_u32_e32 v6, 32, v6
	v_sub_u32_e64 v6, v6, 4 clamp
	v_lshlrev_b32_e32 v8, v6, v5
	v_lshlrev_b32_e32 v6, 23, v6
	v_lshrrev_b32_e32 v8, 4, v8
	v_add_u32_e32 v7, 0x1000000, v5
	v_sub_u32_e32 v6, v8, v6
	v_ashrrev_i32_e32 v7, 8, v7
	v_add_u32_e32 v6, 0x3c000000, v6
	v_and_or_b32 v6, v7, s0, v6
	v_cmp_ne_u32_e32 vcc, 0, v5
	v_cndmask_b32_e32 v5, 0, v6, vcc
	s_brev_b32 s0, 1
	v_and_or_b32 v4, v4, s0, v5
	v_cvt_f64_f32_e32 v[4:5], v4
.LBB142_583:
	s_mov_b64 s[0:1], 0
.LBB142_584:
	s_andn2_b64 vcc, exec, s[0:1]
	s_cbranch_vccnz .LBB142_586
; %bb.585:
	global_load_ubyte v4, v[2:3], off
	s_movk_i32 s0, 0x7f00
	s_brev_b32 s1, 16
	s_waitcnt vmcnt(0)
	v_lshlrev_b16_e32 v5, 8, v4
	v_lshlrev_b32_e32 v4, 25, v4
	v_lshrrev_b32_e32 v6, 4, v4
	v_and_or_b32 v7, v5, s0, 0.5
	v_or_b32_e32 v6, 0x70000000, v6
	v_add_f32_e32 v7, -0.5, v7
	v_mul_f32_e32 v6, 0x7800000, v6
	v_cmp_gt_u32_e32 vcc, s1, v4
	v_bfe_i32 v5, v5, 0, 16
	v_cndmask_b32_e32 v4, v6, v7, vcc
	s_brev_b32 s0, 1
	v_and_or_b32 v4, v5, s0, v4
	v_cvt_f64_f32_e32 v[4:5], v4
.LBB142_586:
	s_mov_b64 s[34:35], 0
	s_mov_b64 s[0:1], -1
.LBB142_587:
	s_andn2_b64 vcc, exec, s[34:35]
	s_cbranch_vccnz .LBB142_598
; %bb.588:
	s_cmp_gt_i32 s41, 14
	s_cbranch_scc0 .LBB142_591
; %bb.589:
	s_cmp_eq_u32 s41, 15
	s_cbranch_scc0 .LBB142_592
; %bb.590:
	global_load_ushort v4, v[2:3], off
	s_mov_b64 s[0:1], -1
	s_mov_b64 s[30:31], 0
	s_waitcnt vmcnt(0)
	v_lshlrev_b32_e32 v4, 16, v4
	v_cvt_f64_f32_e32 v[4:5], v4
	s_branch .LBB142_593
.LBB142_591:
	s_mov_b64 s[34:35], -1
                                        ; implicit-def: $vgpr4_vgpr5
	s_branch .LBB142_594
.LBB142_592:
	s_mov_b64 s[30:31], -1
                                        ; implicit-def: $vgpr4_vgpr5
.LBB142_593:
	s_mov_b64 s[34:35], 0
.LBB142_594:
	s_and_b64 vcc, exec, s[34:35]
	s_cbranch_vccz .LBB142_598
; %bb.595:
	s_cmp_eq_u32 s41, 11
	s_cbranch_scc0 .LBB142_597
; %bb.596:
	global_load_ubyte v5, v[2:3], off
	v_mov_b32_e32 v6, 0x3ff00000
	v_mov_b32_e32 v4, 0
	s_mov_b64 s[0:1], -1
	s_mov_b64 s[30:31], 0
	s_waitcnt vmcnt(0)
	v_cmp_ne_u16_e32 vcc, 0, v5
	v_cndmask_b32_e32 v5, 0, v6, vcc
	s_branch .LBB142_598
.LBB142_597:
	s_mov_b64 s[30:31], -1
                                        ; implicit-def: $vgpr4_vgpr5
.LBB142_598:
	s_mov_b64 s[34:35], 0
.LBB142_599:
	s_and_b64 vcc, exec, s[34:35]
	s_cbranch_vccz .LBB142_648
; %bb.600:
	s_and_b32 s34, 0xffff, s40
	s_cmp_lt_i32 s34, 5
	s_cbranch_scc1 .LBB142_605
; %bb.601:
	s_cmp_lt_i32 s34, 8
	s_cbranch_scc1 .LBB142_606
; %bb.602:
	;; [unrolled: 3-line block ×3, first 2 shown]
	s_cmp_gt_i32 s34, 9
	s_cbranch_scc0 .LBB142_608
; %bb.604:
	global_load_dwordx2 v[4:5], v[2:3], off
	s_mov_b64 s[0:1], 0
	s_branch .LBB142_609
.LBB142_605:
	s_mov_b64 s[0:1], -1
                                        ; implicit-def: $vgpr4_vgpr5
	s_branch .LBB142_627
.LBB142_606:
	s_mov_b64 s[0:1], -1
                                        ; implicit-def: $vgpr4_vgpr5
	s_branch .LBB142_615
.LBB142_607:
	s_mov_b64 s[0:1], -1
                                        ; implicit-def: $vgpr4_vgpr5
	s_branch .LBB142_612
.LBB142_608:
	s_mov_b64 s[0:1], -1
                                        ; implicit-def: $vgpr4_vgpr5
.LBB142_609:
	s_andn2_b64 vcc, exec, s[0:1]
	s_cbranch_vccnz .LBB142_611
; %bb.610:
	global_load_dword v4, v[2:3], off
	s_waitcnt vmcnt(0)
	v_cvt_f64_f32_e32 v[4:5], v4
.LBB142_611:
	s_mov_b64 s[0:1], 0
.LBB142_612:
	s_andn2_b64 vcc, exec, s[0:1]
	s_cbranch_vccnz .LBB142_614
; %bb.613:
	global_load_dword v4, v[2:3], off
	s_waitcnt vmcnt(0)
	v_cvt_f32_f16_e32 v4, v4
	v_cvt_f64_f32_e32 v[4:5], v4
.LBB142_614:
	s_mov_b64 s[0:1], 0
.LBB142_615:
	s_andn2_b64 vcc, exec, s[0:1]
	s_cbranch_vccnz .LBB142_626
; %bb.616:
	s_cmp_lt_i32 s34, 6
	s_cbranch_scc1 .LBB142_619
; %bb.617:
	s_cmp_gt_i32 s34, 6
	s_cbranch_scc0 .LBB142_620
; %bb.618:
	global_load_dwordx2 v[4:5], v[2:3], off
	s_mov_b64 s[0:1], 0
	s_branch .LBB142_621
.LBB142_619:
	s_mov_b64 s[0:1], -1
                                        ; implicit-def: $vgpr4_vgpr5
	s_branch .LBB142_624
.LBB142_620:
	s_mov_b64 s[0:1], -1
                                        ; implicit-def: $vgpr4_vgpr5
.LBB142_621:
	s_andn2_b64 vcc, exec, s[0:1]
	s_cbranch_vccnz .LBB142_623
; %bb.622:
	global_load_dword v4, v[2:3], off
	s_waitcnt vmcnt(0)
	v_cvt_f64_f32_e32 v[4:5], v4
.LBB142_623:
	s_mov_b64 s[0:1], 0
.LBB142_624:
	s_andn2_b64 vcc, exec, s[0:1]
	s_cbranch_vccnz .LBB142_626
; %bb.625:
	global_load_ushort v4, v[2:3], off
	s_waitcnt vmcnt(0)
	v_cvt_f32_f16_e32 v4, v4
	v_cvt_f64_f32_e32 v[4:5], v4
.LBB142_626:
	s_mov_b64 s[0:1], 0
.LBB142_627:
	s_andn2_b64 vcc, exec, s[0:1]
	s_cbranch_vccnz .LBB142_647
; %bb.628:
	s_cmp_lt_i32 s34, 2
	s_cbranch_scc1 .LBB142_632
; %bb.629:
	s_cmp_lt_i32 s34, 3
	s_cbranch_scc1 .LBB142_633
; %bb.630:
	s_cmp_gt_i32 s34, 3
	s_cbranch_scc0 .LBB142_634
; %bb.631:
	global_load_dwordx2 v[4:5], v[2:3], off
	s_mov_b64 s[0:1], 0
	s_waitcnt vmcnt(0)
	v_cvt_f64_i32_e32 v[5:6], v5
	v_cvt_f64_u32_e32 v[7:8], v4
	v_ldexp_f64 v[5:6], v[5:6], 32
	v_add_f64 v[4:5], v[5:6], v[7:8]
	s_branch .LBB142_635
.LBB142_632:
	s_mov_b64 s[0:1], -1
                                        ; implicit-def: $vgpr4_vgpr5
	s_branch .LBB142_641
.LBB142_633:
	s_mov_b64 s[0:1], -1
                                        ; implicit-def: $vgpr4_vgpr5
	s_branch .LBB142_638
.LBB142_634:
	s_mov_b64 s[0:1], -1
                                        ; implicit-def: $vgpr4_vgpr5
.LBB142_635:
	s_andn2_b64 vcc, exec, s[0:1]
	s_cbranch_vccnz .LBB142_637
; %bb.636:
	global_load_dword v4, v[2:3], off
	s_waitcnt vmcnt(0)
	v_cvt_f64_i32_e32 v[4:5], v4
.LBB142_637:
	s_mov_b64 s[0:1], 0
.LBB142_638:
	s_andn2_b64 vcc, exec, s[0:1]
	s_cbranch_vccnz .LBB142_640
; %bb.639:
	global_load_sshort v4, v[2:3], off
	s_waitcnt vmcnt(0)
	v_cvt_f64_i32_e32 v[4:5], v4
.LBB142_640:
	s_mov_b64 s[0:1], 0
.LBB142_641:
	s_andn2_b64 vcc, exec, s[0:1]
	s_cbranch_vccnz .LBB142_647
; %bb.642:
	s_cmp_gt_i32 s34, 0
	s_cbranch_scc0 .LBB142_644
; %bb.643:
	global_load_sbyte v4, v[2:3], off
	s_mov_b64 s[0:1], 0
	s_waitcnt vmcnt(0)
	v_cvt_f64_i32_e32 v[4:5], v4
	s_branch .LBB142_645
.LBB142_644:
	s_mov_b64 s[0:1], -1
                                        ; implicit-def: $vgpr4_vgpr5
.LBB142_645:
	s_andn2_b64 vcc, exec, s[0:1]
	s_cbranch_vccnz .LBB142_647
; %bb.646:
	global_load_ubyte v2, v[2:3], off
	s_waitcnt vmcnt(0)
	v_cvt_f64_u32_e32 v[4:5], v2
.LBB142_647:
	s_mov_b64 s[0:1], -1
.LBB142_648:
	s_andn2_b64 vcc, exec, s[0:1]
	s_cbranch_vccnz .LBB142_656
; %bb.649:
	s_waitcnt vmcnt(0)
	v_cmp_nge_f64_e32 vcc, s[12:13], v[0:1]
	v_mul_lo_u32 v3, v18, s8
	v_mov_b32_e32 v2, s15
	v_mov_b32_e32 v0, s14
	;; [unrolled: 1-line block ×3, first 2 shown]
	s_and_b32 s42, s33, 0xff
	s_cmp_lt_i32 s42, 11
	v_cndmask_b32_e32 v1, v2, v5, vcc
	v_ashrrev_i32_e32 v2, 31, v3
	v_cndmask_b32_e32 v0, v0, v4, vcc
	v_add_co_u32_e32 v4, vcc, s16, v3
	v_addc_co_u32_e32 v5, vcc, v6, v2, vcc
	s_cbranch_scc1 .LBB142_657
; %bb.650:
	s_and_b32 s43, 0xffff, s42
	s_cmp_gt_i32 s43, 25
	s_cbranch_scc0 .LBB142_658
; %bb.651:
	s_cmp_gt_i32 s43, 28
	s_cbranch_scc0 .LBB142_659
; %bb.652:
	;; [unrolled: 3-line block ×4, first 2 shown]
	s_mov_b64 s[38:39], 0
	s_mov_b64 s[0:1], -1
	s_cmp_eq_u32 s43, 46
	s_mov_b64 s[34:35], 0
	s_cbranch_scc0 .LBB142_662
; %bb.655:
	v_cvt_f32_f64_e32 v2, v[0:1]
	s_movk_i32 s0, 0x7fff
	v_mov_b32_e32 v3, 0x7fc0
	s_mov_b64 s[34:35], -1
	v_bfe_u32 v6, v2, 16, 1
	v_cmp_o_f32_e32 vcc, v2, v2
	v_add3_u32 v2, v2, v6, s0
	v_cndmask_b32_sdwa v2, v3, v2, vcc dst_sel:DWORD dst_unused:UNUSED_PAD src0_sel:DWORD src1_sel:WORD_1
	global_store_dword v[4:5], v2, off
	s_mov_b64 s[0:1], 0
	s_branch .LBB142_662
.LBB142_656:
	s_mov_b64 s[38:39], 0
                                        ; implicit-def: $vgpr18
	s_mov_b64 s[0:1], s[20:21]
	s_branch .LBB142_772
.LBB142_657:
	s_mov_b64 s[38:39], -1
	s_mov_b64 s[34:35], 0
	s_mov_b64 s[0:1], s[20:21]
	s_branch .LBB142_731
.LBB142_658:
	s_mov_b64 s[38:39], -1
	s_mov_b64 s[34:35], 0
	s_mov_b64 s[0:1], s[20:21]
	s_branch .LBB142_689
.LBB142_659:
	s_mov_b64 s[38:39], -1
	s_mov_b64 s[34:35], 0
	s_mov_b64 s[0:1], s[20:21]
	s_branch .LBB142_672
.LBB142_660:
	s_mov_b64 s[38:39], -1
	s_mov_b64 s[34:35], 0
	s_mov_b64 s[0:1], s[20:21]
	s_branch .LBB142_668
.LBB142_661:
	s_mov_b64 s[38:39], -1
	s_mov_b64 s[34:35], 0
	s_mov_b64 s[0:1], s[20:21]
.LBB142_662:
	s_and_b64 vcc, exec, s[38:39]
	s_cbranch_vccz .LBB142_667
; %bb.663:
	s_cmp_eq_u32 s43, 44
	s_mov_b64 s[0:1], -1
	s_cbranch_scc0 .LBB142_667
; %bb.664:
	v_cvt_f32_f64_e32 v2, v[0:1]
	s_movk_i32 s0, 0xff
	v_mov_b32_e32 v6, 0xff
	v_bfe_u32 v3, v2, 23, 8
	v_cmp_ne_u32_e32 vcc, s0, v3
	s_and_saveexec_b64 s[34:35], vcc
; %bb.665:
	s_mov_b32 s0, 0x3fffff
	v_lshrrev_b32_e32 v6, 23, v2
	v_and_b32_e32 v7, 0x400000, v2
	v_and_or_b32 v2, v2, s0, v3
	v_cmp_ne_u32_e32 vcc, 0, v7
	v_cmp_ne_u32_e64 s[0:1], 0, v2
	s_and_b64 s[0:1], vcc, s[0:1]
	v_cndmask_b32_e64 v2, 0, 1, s[0:1]
	v_add_u32_e32 v6, v6, v2
; %bb.666:
	s_or_b64 exec, exec, s[34:35]
	s_mov_b64 s[34:35], -1
	s_mov_b64 s[0:1], 0
	global_store_byte v[4:5], v6, off
.LBB142_667:
	s_mov_b64 s[38:39], 0
.LBB142_668:
	s_and_b64 vcc, exec, s[38:39]
	s_cbranch_vccz .LBB142_671
; %bb.669:
	s_cmp_eq_u32 s43, 29
	s_mov_b64 s[0:1], -1
	s_cbranch_scc0 .LBB142_671
; %bb.670:
	v_trunc_f64_e32 v[2:3], v[0:1]
	s_movk_i32 s0, 0xffe0
	s_mov_b64 s[34:35], -1
	s_mov_b64 s[38:39], 0
	v_ldexp_f64 v[6:7], v[2:3], s0
	s_mov_b32 s0, 0
	s_mov_b32 s1, 0xc1f00000
	v_floor_f64_e32 v[6:7], v[6:7]
	v_fma_f64 v[2:3], v[6:7], s[0:1], v[2:3]
	v_cvt_u32_f64_e32 v7, v[6:7]
	s_mov_b64 s[0:1], 0
	v_cvt_u32_f64_e32 v6, v[2:3]
	global_store_dwordx2 v[4:5], v[6:7], off
	s_branch .LBB142_672
.LBB142_671:
	s_mov_b64 s[38:39], 0
.LBB142_672:
	s_and_b64 vcc, exec, s[38:39]
	s_cbranch_vccz .LBB142_688
; %bb.673:
	s_cmp_lt_i32 s43, 27
	s_mov_b64 s[34:35], -1
	s_cbranch_scc1 .LBB142_679
; %bb.674:
	v_cvt_u32_f64_e32 v2, v[0:1]
	s_cmp_gt_i32 s43, 27
	s_cbranch_scc0 .LBB142_676
; %bb.675:
	s_mov_b64 s[34:35], 0
	global_store_dword v[4:5], v2, off
.LBB142_676:
	s_andn2_b64 vcc, exec, s[34:35]
	s_cbranch_vccnz .LBB142_678
; %bb.677:
	global_store_short v[4:5], v2, off
.LBB142_678:
	s_mov_b64 s[34:35], 0
.LBB142_679:
	s_andn2_b64 vcc, exec, s[34:35]
	s_cbranch_vccnz .LBB142_687
; %bb.680:
	v_cvt_f32_f64_e32 v2, v[0:1]
	s_mov_b32 s34, 0x43800000
	v_mov_b32_e32 v6, 0x80
	v_and_b32_e32 v3, 0x7fffffff, v2
	v_cmp_gt_u32_e32 vcc, s34, v3
	s_and_saveexec_b64 s[34:35], vcc
	s_cbranch_execz .LBB142_686
; %bb.681:
	s_mov_b32 s38, 0x3bffffff
	v_cmp_lt_u32_e32 vcc, s38, v3
	s_mov_b64 s[38:39], 0
                                        ; implicit-def: $vgpr3
	s_and_saveexec_b64 s[40:41], vcc
	s_xor_b64 s[40:41], exec, s[40:41]
	s_cbranch_execz .LBB142_788
; %bb.682:
	v_bfe_u32 v3, v2, 20, 1
	s_mov_b32 s44, 0x487ffff
	v_add3_u32 v3, v2, v3, s44
	s_mov_b64 s[38:39], exec
	v_lshrrev_b32_e32 v3, 20, v3
	s_andn2_saveexec_b64 s[40:41], s[40:41]
	s_cbranch_execnz .LBB142_789
.LBB142_683:
	s_or_b64 exec, exec, s[40:41]
	v_mov_b32_e32 v6, 0
	s_and_saveexec_b64 s[40:41], s[38:39]
.LBB142_684:
	v_lshrrev_b32_e32 v2, 24, v2
	s_movk_i32 s38, 0x80
	v_and_or_b32 v6, v2, s38, v3
.LBB142_685:
	s_or_b64 exec, exec, s[40:41]
.LBB142_686:
	s_or_b64 exec, exec, s[34:35]
	global_store_byte v[4:5], v6, off
.LBB142_687:
	s_mov_b64 s[34:35], -1
.LBB142_688:
	s_mov_b64 s[38:39], 0
.LBB142_689:
	s_and_b64 vcc, exec, s[38:39]
	s_cbranch_vccz .LBB142_730
; %bb.690:
	s_cmp_gt_i32 s43, 22
	s_mov_b64 s[38:39], -1
	s_cbranch_scc0 .LBB142_722
; %bb.691:
	s_cmp_lt_i32 s43, 24
	s_mov_b64 s[34:35], -1
	s_cbranch_scc1 .LBB142_711
; %bb.692:
	s_cmp_gt_i32 s43, 24
	s_cbranch_scc0 .LBB142_700
; %bb.693:
	v_cvt_f32_f64_e32 v2, v[0:1]
	s_mov_b32 s34, 0x47800000
	v_mov_b32_e32 v6, 0x80
	v_and_b32_e32 v3, 0x7fffffff, v2
	v_cmp_gt_u32_e32 vcc, s34, v3
	s_and_saveexec_b64 s[34:35], vcc
	s_cbranch_execz .LBB142_699
; %bb.694:
	s_mov_b32 s38, 0x37ffffff
	v_cmp_lt_u32_e32 vcc, s38, v3
	s_mov_b64 s[38:39], 0
                                        ; implicit-def: $vgpr3
	s_and_saveexec_b64 s[40:41], vcc
	s_xor_b64 s[40:41], exec, s[40:41]
	s_cbranch_execz .LBB142_920
; %bb.695:
	v_bfe_u32 v3, v2, 21, 1
	s_mov_b32 s44, 0x88fffff
	v_add3_u32 v3, v2, v3, s44
	s_mov_b64 s[38:39], exec
	v_lshrrev_b32_e32 v3, 21, v3
	s_andn2_saveexec_b64 s[40:41], s[40:41]
	s_cbranch_execnz .LBB142_921
.LBB142_696:
	s_or_b64 exec, exec, s[40:41]
	v_mov_b32_e32 v6, 0
	s_and_saveexec_b64 s[40:41], s[38:39]
.LBB142_697:
	v_lshrrev_b32_e32 v2, 24, v2
	s_movk_i32 s38, 0x80
	v_and_or_b32 v6, v2, s38, v3
.LBB142_698:
	s_or_b64 exec, exec, s[40:41]
.LBB142_699:
	s_or_b64 exec, exec, s[34:35]
	s_mov_b64 s[34:35], 0
	global_store_byte v[4:5], v6, off
.LBB142_700:
	s_and_b64 vcc, exec, s[34:35]
	s_cbranch_vccz .LBB142_710
; %bb.701:
	v_cvt_f32_f64_e32 v2, v[0:1]
	s_mov_b32 s34, 0x43f00000
                                        ; implicit-def: $vgpr3
	v_and_b32_e32 v6, 0x7fffffff, v2
	v_cmp_gt_u32_e32 vcc, s34, v6
	s_and_saveexec_b64 s[34:35], vcc
	s_xor_b64 s[34:35], exec, s[34:35]
	s_cbranch_execz .LBB142_707
; %bb.702:
	s_mov_b32 s38, 0x3c7fffff
	v_cmp_lt_u32_e32 vcc, s38, v6
                                        ; implicit-def: $vgpr3
	s_and_saveexec_b64 s[38:39], vcc
	s_xor_b64 s[38:39], exec, s[38:39]
; %bb.703:
	v_bfe_u32 v3, v2, 20, 1
	s_mov_b32 s40, 0x407ffff
	v_add3_u32 v3, v2, v3, s40
	v_lshrrev_b32_e32 v6, 20, v3
	v_and_b32_e32 v3, 0xff00000, v3
	s_mov_b32 s40, 0x7f00000
	v_mov_b32_e32 v7, 0x7e
	v_cmp_ne_u32_e32 vcc, s40, v3
	v_cndmask_b32_e32 v3, v7, v6, vcc
; %bb.704:
	s_andn2_saveexec_b64 s[38:39], s[38:39]
; %bb.705:
	s_mov_b32 s40, 0x46800000
	v_add_f32_e64 v3, |v2|, s40
; %bb.706:
	s_or_b64 exec, exec, s[38:39]
                                        ; implicit-def: $vgpr6
.LBB142_707:
	s_andn2_saveexec_b64 s[34:35], s[34:35]
; %bb.708:
	s_mov_b32 s38, 0x7f800000
	v_mov_b32_e32 v3, 0x7e
	v_mov_b32_e32 v7, 0x7f
	v_cmp_lt_u32_e32 vcc, s38, v6
	v_cndmask_b32_e32 v3, v3, v7, vcc
; %bb.709:
	s_or_b64 exec, exec, s[34:35]
	v_lshrrev_b32_e32 v2, 24, v2
	s_movk_i32 s34, 0x80
	v_and_or_b32 v2, v2, s34, v3
	global_store_byte v[4:5], v2, off
.LBB142_710:
	s_mov_b64 s[34:35], 0
.LBB142_711:
	s_andn2_b64 vcc, exec, s[34:35]
	s_cbranch_vccnz .LBB142_721
; %bb.712:
	v_cvt_f32_f64_e32 v2, v[0:1]
	s_mov_b32 s34, 0x47800000
                                        ; implicit-def: $vgpr3
	v_and_b32_e32 v6, 0x7fffffff, v2
	v_cmp_gt_u32_e32 vcc, s34, v6
	s_and_saveexec_b64 s[34:35], vcc
	s_xor_b64 s[34:35], exec, s[34:35]
	s_cbranch_execz .LBB142_718
; %bb.713:
	s_mov_b32 s38, 0x387fffff
	v_cmp_lt_u32_e32 vcc, s38, v6
                                        ; implicit-def: $vgpr3
	s_and_saveexec_b64 s[38:39], vcc
	s_xor_b64 s[38:39], exec, s[38:39]
; %bb.714:
	v_bfe_u32 v3, v2, 21, 1
	s_mov_b32 s40, 0x80fffff
	v_add3_u32 v3, v2, v3, s40
	v_lshrrev_b32_e32 v3, 21, v3
; %bb.715:
	s_andn2_saveexec_b64 s[38:39], s[38:39]
; %bb.716:
	s_mov_b32 s40, 0x43000000
	v_add_f32_e64 v3, |v2|, s40
; %bb.717:
	s_or_b64 exec, exec, s[38:39]
                                        ; implicit-def: $vgpr6
.LBB142_718:
	s_andn2_saveexec_b64 s[34:35], s[34:35]
; %bb.719:
	s_mov_b32 s38, 0x7f800000
	v_mov_b32_e32 v3, 0x7c
	v_mov_b32_e32 v7, 0x7f
	v_cmp_lt_u32_e32 vcc, s38, v6
	v_cndmask_b32_e32 v3, v3, v7, vcc
; %bb.720:
	s_or_b64 exec, exec, s[34:35]
	v_lshrrev_b32_e32 v2, 24, v2
	s_movk_i32 s34, 0x80
	v_and_or_b32 v2, v2, s34, v3
	global_store_byte v[4:5], v2, off
.LBB142_721:
	s_mov_b64 s[38:39], 0
	s_mov_b64 s[34:35], -1
.LBB142_722:
	s_andn2_b64 vcc, exec, s[38:39]
	s_cbranch_vccnz .LBB142_730
; %bb.723:
	s_cmp_gt_i32 s43, 14
	s_mov_b64 s[38:39], -1
	s_cbranch_scc0 .LBB142_727
; %bb.724:
	s_cmp_eq_u32 s43, 15
	s_mov_b64 s[0:1], -1
	s_cbranch_scc0 .LBB142_726
; %bb.725:
	v_cvt_f32_f64_e32 v2, v[0:1]
	s_movk_i32 s0, 0x7fff
	v_mov_b32_e32 v3, 0x7fc0
	s_mov_b64 s[34:35], -1
	v_bfe_u32 v6, v2, 16, 1
	v_cmp_o_f32_e32 vcc, v2, v2
	v_add3_u32 v2, v2, v6, s0
	v_cndmask_b32_sdwa v2, v3, v2, vcc dst_sel:DWORD dst_unused:UNUSED_PAD src0_sel:DWORD src1_sel:WORD_1
	global_store_short v[4:5], v2, off
	s_mov_b64 s[0:1], 0
.LBB142_726:
	s_mov_b64 s[38:39], 0
.LBB142_727:
	s_and_b64 vcc, exec, s[38:39]
	s_cbranch_vccz .LBB142_730
; %bb.728:
	s_cmp_eq_u32 s43, 11
	s_mov_b64 s[0:1], -1
	s_cbranch_scc0 .LBB142_730
; %bb.729:
	v_cmp_neq_f64_e32 vcc, 0, v[0:1]
	s_mov_b64 s[0:1], 0
	s_mov_b64 s[34:35], -1
	v_cndmask_b32_e64 v2, 0, 1, vcc
	global_store_byte v[4:5], v2, off
.LBB142_730:
	s_mov_b64 s[38:39], 0
.LBB142_731:
	s_and_b64 vcc, exec, s[38:39]
	s_cbranch_vccz .LBB142_770
; %bb.732:
	s_and_b32 s38, 0xffff, s42
	s_cmp_lt_i32 s38, 5
	s_mov_b64 s[34:35], -1
	s_cbranch_scc1 .LBB142_753
; %bb.733:
	s_cmp_lt_i32 s38, 8
	s_cbranch_scc1 .LBB142_743
; %bb.734:
	s_cmp_lt_i32 s38, 9
	s_cbranch_scc1 .LBB142_740
; %bb.735:
	s_cmp_gt_i32 s38, 9
	s_cbranch_scc0 .LBB142_737
; %bb.736:
	v_mov_b32_e32 v2, 0
	v_mov_b32_e32 v3, v2
	s_mov_b64 s[34:35], 0
	global_store_dwordx4 v[4:5], v[0:3], off
.LBB142_737:
	s_andn2_b64 vcc, exec, s[34:35]
	s_cbranch_vccnz .LBB142_739
; %bb.738:
	v_cvt_f32_f64_e32 v2, v[0:1]
	v_mov_b32_e32 v3, 0
	global_store_dwordx2 v[4:5], v[2:3], off
.LBB142_739:
	s_mov_b64 s[34:35], 0
.LBB142_740:
	s_andn2_b64 vcc, exec, s[34:35]
	s_cbranch_vccnz .LBB142_742
; %bb.741:
	s_movk_i32 s34, 0x1ff
	v_and_or_b32 v2, v1, s34, v0
	v_cmp_ne_u32_e32 vcc, 0, v2
	v_cndmask_b32_e64 v2, 0, 1, vcc
	v_lshrrev_b32_e32 v3, 8, v1
	s_movk_i32 s34, 0xffe
	v_bfe_u32 v6, v1, 20, 11
	v_and_or_b32 v2, v3, s34, v2
	v_sub_u32_e32 v7, 0x3f1, v6
	v_or_b32_e32 v3, 0x1000, v2
	v_med3_i32 v7, v7, 0, 13
	v_lshrrev_b32_e32 v8, v7, v3
	v_lshlrev_b32_e32 v7, v7, v8
	v_cmp_ne_u32_e32 vcc, v7, v3
	v_cndmask_b32_e64 v3, 0, 1, vcc
	v_add_u32_e32 v6, 0xfffffc10, v6
	v_or_b32_e32 v3, v8, v3
	v_lshl_or_b32 v7, v6, 12, v2
	v_cmp_gt_i32_e32 vcc, 1, v6
	v_cndmask_b32_e32 v3, v7, v3, vcc
	v_and_b32_e32 v7, 7, v3
	v_cmp_lt_i32_e32 vcc, 5, v7
	v_cndmask_b32_e64 v8, 0, 1, vcc
	v_cmp_eq_u32_e32 vcc, 3, v7
	v_cndmask_b32_e64 v7, 0, 1, vcc
	v_or_b32_e32 v7, v7, v8
	v_lshrrev_b32_e32 v3, 2, v3
	v_add_u32_e32 v3, v3, v7
	v_mov_b32_e32 v7, 0x7c00
	v_cmp_gt_i32_e32 vcc, 31, v6
	v_cndmask_b32_e32 v3, v7, v3, vcc
	v_mov_b32_e32 v8, 0x7e00
	v_cmp_ne_u32_e32 vcc, 0, v2
	s_movk_i32 s34, 0x40f
	v_cndmask_b32_e32 v2, v7, v8, vcc
	v_cmp_eq_u32_e32 vcc, s34, v6
	v_cndmask_b32_e32 v2, v3, v2, vcc
	v_lshrrev_b32_e32 v3, 16, v1
	s_mov_b32 s34, 0x8000
	v_and_or_b32 v2, v3, s34, v2
	v_and_b32_e32 v2, 0xffff, v2
	global_store_dword v[4:5], v2, off
.LBB142_742:
	s_mov_b64 s[34:35], 0
.LBB142_743:
	s_andn2_b64 vcc, exec, s[34:35]
	s_cbranch_vccnz .LBB142_752
; %bb.744:
	s_cmp_lt_i32 s38, 6
	s_mov_b64 s[34:35], -1
	s_cbranch_scc1 .LBB142_750
; %bb.745:
	s_cmp_gt_i32 s38, 6
	s_cbranch_scc0 .LBB142_747
; %bb.746:
	s_mov_b64 s[34:35], 0
	global_store_dwordx2 v[4:5], v[0:1], off
.LBB142_747:
	s_andn2_b64 vcc, exec, s[34:35]
	s_cbranch_vccnz .LBB142_749
; %bb.748:
	v_cvt_f32_f64_e32 v2, v[0:1]
	global_store_dword v[4:5], v2, off
.LBB142_749:
	s_mov_b64 s[34:35], 0
.LBB142_750:
	s_andn2_b64 vcc, exec, s[34:35]
	s_cbranch_vccnz .LBB142_752
; %bb.751:
	s_movk_i32 s34, 0x1ff
	v_and_or_b32 v2, v1, s34, v0
	v_cmp_ne_u32_e32 vcc, 0, v2
	v_cndmask_b32_e64 v2, 0, 1, vcc
	v_lshrrev_b32_e32 v3, 8, v1
	s_movk_i32 s34, 0xffe
	v_bfe_u32 v6, v1, 20, 11
	v_and_or_b32 v2, v3, s34, v2
	v_sub_u32_e32 v7, 0x3f1, v6
	v_or_b32_e32 v3, 0x1000, v2
	v_med3_i32 v7, v7, 0, 13
	v_lshrrev_b32_e32 v8, v7, v3
	v_lshlrev_b32_e32 v7, v7, v8
	v_cmp_ne_u32_e32 vcc, v7, v3
	v_cndmask_b32_e64 v3, 0, 1, vcc
	v_add_u32_e32 v6, 0xfffffc10, v6
	v_or_b32_e32 v3, v8, v3
	v_lshl_or_b32 v7, v6, 12, v2
	v_cmp_gt_i32_e32 vcc, 1, v6
	v_cndmask_b32_e32 v3, v7, v3, vcc
	v_and_b32_e32 v7, 7, v3
	v_cmp_lt_i32_e32 vcc, 5, v7
	v_cndmask_b32_e64 v8, 0, 1, vcc
	v_cmp_eq_u32_e32 vcc, 3, v7
	v_cndmask_b32_e64 v7, 0, 1, vcc
	v_or_b32_e32 v7, v7, v8
	v_lshrrev_b32_e32 v3, 2, v3
	v_add_u32_e32 v3, v3, v7
	v_mov_b32_e32 v7, 0x7c00
	v_cmp_gt_i32_e32 vcc, 31, v6
	v_cndmask_b32_e32 v3, v7, v3, vcc
	v_mov_b32_e32 v8, 0x7e00
	v_cmp_ne_u32_e32 vcc, 0, v2
	s_movk_i32 s34, 0x40f
	v_cndmask_b32_e32 v2, v7, v8, vcc
	v_cmp_eq_u32_e32 vcc, s34, v6
	v_cndmask_b32_e32 v2, v3, v2, vcc
	v_lshrrev_b32_e32 v3, 16, v1
	s_mov_b32 s34, 0x8000
	v_and_or_b32 v2, v3, s34, v2
	global_store_short v[4:5], v2, off
.LBB142_752:
	s_mov_b64 s[34:35], 0
.LBB142_753:
	s_andn2_b64 vcc, exec, s[34:35]
	s_cbranch_vccnz .LBB142_769
; %bb.754:
	s_cmp_lt_i32 s38, 2
	s_mov_b64 s[34:35], -1
	s_cbranch_scc1 .LBB142_764
; %bb.755:
	s_cmp_lt_i32 s38, 3
	s_cbranch_scc1 .LBB142_761
; %bb.756:
	s_cmp_gt_i32 s38, 3
	s_cbranch_scc0 .LBB142_758
; %bb.757:
	v_trunc_f64_e32 v[2:3], v[0:1]
	s_movk_i32 s34, 0xffe0
	v_ldexp_f64 v[6:7], v[2:3], s34
	s_mov_b32 s34, 0
	s_mov_b32 s35, 0xc1f00000
	v_floor_f64_e32 v[6:7], v[6:7]
	v_fma_f64 v[2:3], v[6:7], s[34:35], v[2:3]
	v_cvt_i32_f64_e32 v7, v[6:7]
	s_mov_b64 s[34:35], 0
	v_cvt_u32_f64_e32 v6, v[2:3]
	global_store_dwordx2 v[4:5], v[6:7], off
.LBB142_758:
	s_andn2_b64 vcc, exec, s[34:35]
	s_cbranch_vccnz .LBB142_760
; %bb.759:
	v_cvt_i32_f64_e32 v2, v[0:1]
	global_store_dword v[4:5], v2, off
.LBB142_760:
	s_mov_b64 s[34:35], 0
.LBB142_761:
	s_andn2_b64 vcc, exec, s[34:35]
	s_cbranch_vccnz .LBB142_763
; %bb.762:
	v_cvt_i32_f64_e32 v2, v[0:1]
	global_store_short v[4:5], v2, off
.LBB142_763:
	s_mov_b64 s[34:35], 0
.LBB142_764:
	s_andn2_b64 vcc, exec, s[34:35]
	s_cbranch_vccnz .LBB142_769
; %bb.765:
	s_cmp_gt_i32 s38, 0
	s_mov_b64 s[34:35], -1
	s_cbranch_scc0 .LBB142_767
; %bb.766:
	v_cvt_i32_f64_e32 v2, v[0:1]
	s_mov_b64 s[34:35], 0
	global_store_byte v[4:5], v2, off
.LBB142_767:
	s_andn2_b64 vcc, exec, s[34:35]
	s_cbranch_vccnz .LBB142_769
; %bb.768:
	v_trunc_f64_e32 v[0:1], v[0:1]
	s_movk_i32 s34, 0xffe0
	v_ldexp_f64 v[2:3], v[0:1], s34
	s_mov_b32 s34, 0
	s_mov_b32 s35, 0xc1f00000
	v_floor_f64_e32 v[2:3], v[2:3]
	v_fma_f64 v[0:1], v[2:3], s[34:35], v[0:1]
	v_cvt_u32_f64_e32 v0, v[0:1]
	global_store_byte v[4:5], v0, off
.LBB142_769:
	s_mov_b64 s[34:35], -1
.LBB142_770:
	s_andn2_b64 vcc, exec, s[34:35]
	s_cbranch_vccnz .LBB142_783
; %bb.771:
	v_add_u32_e32 v18, 0x80, v18
	s_mov_b64 s[38:39], -1
.LBB142_772:
	s_andn2_b64 s[34:35], s[20:21], exec
	s_and_b64 s[0:1], s[0:1], exec
	s_or_b64 s[34:35], s[34:35], s[0:1]
	s_andn2_b64 s[0:1], s[22:23], exec
	s_and_b64 s[30:31], s[30:31], exec
	s_or_b64 s[30:31], s[0:1], s[30:31]
	;; [unrolled: 3-line block ×3, first 2 shown]
	s_orn2_b64 s[0:1], s[38:39], exec
.LBB142_773:
	s_or_b64 exec, exec, s[36:37]
	s_mov_b64 s[38:39], 0
	s_mov_b64 s[40:41], 0
	;; [unrolled: 1-line block ×3, first 2 shown]
                                        ; implicit-def: $sgpr59
                                        ; implicit-def: $vgpr0_vgpr1
                                        ; implicit-def: $vgpr2_vgpr3
	s_and_saveexec_b64 s[36:37], s[0:1]
	s_cbranch_execz .LBB142_1247
; %bb.774:
	v_cmp_gt_i32_e32 vcc, s52, v18
	s_mov_b64 s[50:51], -1
	s_mov_b64 s[0:1], s[28:29]
	s_mov_b64 s[42:43], s[30:31]
	;; [unrolled: 1-line block ×3, first 2 shown]
	s_and_saveexec_b64 s[38:39], vcc
	s_cbranch_execz .LBB142_1162
; %bb.775:
	s_waitcnt vmcnt(0)
	v_mul_lo_u32 v0, v18, s9
	v_mov_b32_e32 v1, s19
	s_and_b32 s46, s58, 0xff
	s_cmp_lt_i32 s46, 11
	v_ashrrev_i32_e32 v3, 31, v0
	v_add_co_u32_e32 v2, vcc, s18, v0
	v_addc_co_u32_e32 v3, vcc, v1, v3, vcc
	s_cbranch_scc1 .LBB142_782
; %bb.776:
	s_and_b32 s47, 0xffff, s46
	s_cmp_gt_i32 s47, 25
	s_cbranch_scc0 .LBB142_784
; %bb.777:
	s_cmp_gt_i32 s47, 28
	s_cbranch_scc0 .LBB142_785
; %bb.778:
	s_cmp_gt_i32 s47, 43
	s_cbranch_scc0 .LBB142_786
; %bb.779:
	s_cmp_gt_i32 s47, 45
	s_cbranch_scc0 .LBB142_787
; %bb.780:
	s_cmp_eq_u32 s47, 46
	s_mov_b64 s[42:43], 0
	s_cbranch_scc0 .LBB142_790
; %bb.781:
	global_load_dword v0, v[2:3], off
	s_mov_b64 s[0:1], -1
	s_waitcnt vmcnt(0)
	v_lshlrev_b32_e32 v0, 16, v0
	v_cvt_f64_f32_e32 v[0:1], v0
	s_branch .LBB142_791
.LBB142_782:
	s_mov_b64 s[42:43], -1
	s_mov_b64 s[0:1], 0
                                        ; implicit-def: $vgpr0_vgpr1
	s_mov_b64 s[40:41], s[28:29]
	s_branch .LBB142_856
.LBB142_783:
	s_mov_b64 s[38:39], 0
	s_branch .LBB142_530
.LBB142_784:
	s_mov_b64 s[42:43], -1
	s_mov_b64 s[0:1], 0
	s_mov_b64 s[40:41], s[28:29]
                                        ; implicit-def: $vgpr0_vgpr1
	s_branch .LBB142_822
.LBB142_785:
	s_mov_b64 s[42:43], -1
	s_mov_b64 s[0:1], 0
	s_mov_b64 s[40:41], s[28:29]
                                        ; implicit-def: $vgpr0_vgpr1
	s_branch .LBB142_801
.LBB142_786:
	s_mov_b64 s[42:43], -1
	s_mov_b64 s[0:1], 0
	s_mov_b64 s[40:41], s[28:29]
                                        ; implicit-def: $vgpr0_vgpr1
	s_branch .LBB142_796
.LBB142_787:
	s_mov_b64 s[42:43], -1
	s_mov_b64 s[0:1], 0
	s_mov_b64 s[40:41], s[28:29]
                                        ; implicit-def: $vgpr0_vgpr1
	s_branch .LBB142_791
.LBB142_788:
	s_andn2_saveexec_b64 s[40:41], s[40:41]
	s_cbranch_execz .LBB142_683
.LBB142_789:
	s_mov_b32 s44, 0x46000000
	v_add_f32_e64 v3, |v2|, s44
	v_and_b32_e32 v3, 0xff, v3
	v_cmp_ne_u32_e32 vcc, 0, v3
	s_andn2_b64 s[38:39], s[38:39], exec
	s_and_b64 s[44:45], vcc, exec
	s_or_b64 s[38:39], s[38:39], s[44:45]
	s_or_b64 exec, exec, s[40:41]
	v_mov_b32_e32 v6, 0
	s_and_saveexec_b64 s[40:41], s[38:39]
	s_cbranch_execnz .LBB142_684
	s_branch .LBB142_685
.LBB142_790:
	s_mov_b64 s[40:41], -1
                                        ; implicit-def: $vgpr0_vgpr1
	s_mov_b64 s[0:1], 0
.LBB142_791:
	s_and_b64 vcc, exec, s[42:43]
	s_cbranch_vccz .LBB142_795
; %bb.792:
	s_cmp_eq_u32 s47, 44
	s_cbranch_scc0 .LBB142_794
; %bb.793:
	global_load_ubyte v4, v[2:3], off
	s_movk_i32 s40, 0xff
	v_bfrev_b32_e32 v5, 4
	v_mov_b32_e32 v6, 0x7ff80000
	v_bfrev_b32_e32 v7, 28
	s_mov_b64 s[0:1], -1
	s_waitcnt vmcnt(0)
	v_lshlrev_b32_e32 v0, 23, v4
	v_cvt_f64_f32_e32 v[0:1], v0
	v_cmp_ne_u32_e32 vcc, s40, v4
	s_mov_b64 s[40:41], 0
	v_cndmask_b32_e32 v0, v5, v0, vcc
	v_cndmask_b32_e32 v1, v6, v1, vcc
	v_cmp_ne_u32_e32 vcc, 0, v4
	v_cndmask_b32_e32 v1, v7, v1, vcc
	v_cndmask_b32_e32 v0, 0, v0, vcc
	s_branch .LBB142_795
.LBB142_794:
	s_mov_b64 s[40:41], -1
                                        ; implicit-def: $vgpr0_vgpr1
.LBB142_795:
	s_mov_b64 s[42:43], 0
.LBB142_796:
	s_and_b64 vcc, exec, s[42:43]
	s_cbranch_vccz .LBB142_800
; %bb.797:
	s_cmp_eq_u32 s47, 29
	s_cbranch_scc0 .LBB142_799
; %bb.798:
	global_load_dwordx2 v[0:1], v[2:3], off
	s_mov_b64 s[0:1], -1
	s_mov_b64 s[40:41], 0
	s_mov_b64 s[42:43], 0
	s_waitcnt vmcnt(0)
	v_cvt_f64_u32_e32 v[4:5], v1
	v_cvt_f64_u32_e32 v[0:1], v0
	v_ldexp_f64 v[4:5], v[4:5], 32
	v_add_f64 v[0:1], v[4:5], v[0:1]
	s_branch .LBB142_801
.LBB142_799:
	s_mov_b64 s[40:41], -1
                                        ; implicit-def: $vgpr0_vgpr1
.LBB142_800:
	s_mov_b64 s[42:43], 0
.LBB142_801:
	s_and_b64 vcc, exec, s[42:43]
	s_cbranch_vccz .LBB142_821
; %bb.802:
	s_cmp_lt_i32 s47, 27
	s_cbranch_scc1 .LBB142_805
; %bb.803:
	s_cmp_gt_i32 s47, 27
	s_cbranch_scc0 .LBB142_806
; %bb.804:
	global_load_dword v0, v[2:3], off
	s_mov_b64 s[0:1], 0
	s_waitcnt vmcnt(0)
	v_cvt_f64_u32_e32 v[0:1], v0
	s_branch .LBB142_807
.LBB142_805:
	s_mov_b64 s[0:1], -1
                                        ; implicit-def: $vgpr0_vgpr1
	s_branch .LBB142_810
.LBB142_806:
	s_mov_b64 s[0:1], -1
                                        ; implicit-def: $vgpr0_vgpr1
.LBB142_807:
	s_andn2_b64 vcc, exec, s[0:1]
	s_cbranch_vccnz .LBB142_809
; %bb.808:
	global_load_ushort v0, v[2:3], off
	s_waitcnt vmcnt(0)
	v_cvt_f64_u32_e32 v[0:1], v0
.LBB142_809:
	s_mov_b64 s[0:1], 0
.LBB142_810:
	s_andn2_b64 vcc, exec, s[0:1]
	s_cbranch_vccnz .LBB142_820
; %bb.811:
	global_load_ubyte v4, v[2:3], off
	s_movk_i32 s0, 0x7f
	s_waitcnt vmcnt(0)
	v_cmp_lt_i16_e32 vcc, s0, v4
	s_mov_b64 s[0:1], 0
	s_and_saveexec_b64 s[42:43], vcc
	s_xor_b64 s[42:43], exec, s[42:43]
	s_cbranch_execz .LBB142_815
; %bb.812:
	s_movk_i32 s0, 0x80
	v_cmp_eq_u16_e32 vcc, s0, v4
	s_mov_b64 s[0:1], -1
	s_and_saveexec_b64 s[44:45], vcc
; %bb.813:
	s_xor_b64 s[0:1], exec, -1
; %bb.814:
	s_or_b64 exec, exec, s[44:45]
	s_and_b64 s[0:1], s[0:1], exec
.LBB142_815:
	s_or_saveexec_b64 s[42:43], s[42:43]
	v_bfrev_b32_e32 v0, 4
	v_mov_b32_e32 v1, 0x7ff80000
	s_xor_b64 exec, exec, s[42:43]
; %bb.816:
	v_cmp_ne_u16_e32 vcc, 0, v4
	v_mov_b32_e32 v0, 0
	s_andn2_b64 s[0:1], s[0:1], exec
	s_and_b64 s[44:45], vcc, exec
	v_mov_b32_e32 v1, 0
	s_or_b64 s[0:1], s[0:1], s[44:45]
; %bb.817:
	s_or_b64 exec, exec, s[42:43]
	s_and_saveexec_b64 s[42:43], s[0:1]
	s_cbranch_execz .LBB142_819
; %bb.818:
	v_and_b32_e32 v1, 0xffff, v4
	v_lshlrev_b32_e32 v0, 24, v4
	v_and_b32_e32 v4, 7, v1
	v_ffbh_u32_e32 v6, v4
	v_min_u32_e32 v6, 32, v6
	v_subrev_u32_e32 v7, 28, v6
	v_bfe_u32 v5, v1, 3, 4
	v_lshlrev_b32_e32 v1, v7, v1
	v_sub_u32_e32 v6, 29, v6
	v_and_b32_e32 v1, 7, v1
	v_cmp_eq_u32_e32 vcc, 0, v5
	v_cndmask_b32_e32 v5, v5, v6, vcc
	v_cndmask_b32_e32 v1, v4, v1, vcc
	v_mov_b32_e32 v4, 0x3b800000
	v_lshlrev_b32_e32 v1, 20, v1
	v_and_b32_e32 v0, 0x80000000, v0
	v_lshl_add_u32 v4, v5, 23, v4
	v_or3_b32 v0, v0, v4, v1
	v_cvt_f64_f32_e32 v[0:1], v0
.LBB142_819:
	s_or_b64 exec, exec, s[42:43]
.LBB142_820:
	s_mov_b64 s[0:1], -1
.LBB142_821:
	s_mov_b64 s[42:43], 0
.LBB142_822:
	s_and_b64 vcc, exec, s[42:43]
	s_cbranch_vccz .LBB142_855
; %bb.823:
	s_cmp_gt_i32 s47, 22
	s_cbranch_scc0 .LBB142_835
; %bb.824:
	s_cmp_lt_i32 s47, 24
	s_cbranch_scc1 .LBB142_836
; %bb.825:
	s_cmp_gt_i32 s47, 24
	s_cbranch_scc0 .LBB142_837
; %bb.826:
	global_load_ubyte v4, v[2:3], off
	s_movk_i32 s0, 0x7f
	s_waitcnt vmcnt(0)
	v_cmp_lt_i16_e32 vcc, s0, v4
	s_mov_b64 s[0:1], 0
	s_and_saveexec_b64 s[42:43], vcc
	s_xor_b64 s[42:43], exec, s[42:43]
	s_cbranch_execz .LBB142_830
; %bb.827:
	s_movk_i32 s0, 0x80
	v_cmp_eq_u16_e32 vcc, s0, v4
	s_mov_b64 s[0:1], -1
	s_and_saveexec_b64 s[44:45], vcc
; %bb.828:
	s_xor_b64 s[0:1], exec, -1
; %bb.829:
	s_or_b64 exec, exec, s[44:45]
	s_and_b64 s[0:1], s[0:1], exec
.LBB142_830:
	s_or_saveexec_b64 s[42:43], s[42:43]
	v_bfrev_b32_e32 v0, 4
	v_mov_b32_e32 v1, 0x7ff80000
	s_xor_b64 exec, exec, s[42:43]
; %bb.831:
	v_cmp_ne_u16_e32 vcc, 0, v4
	v_mov_b32_e32 v0, 0
	s_andn2_b64 s[0:1], s[0:1], exec
	s_and_b64 s[44:45], vcc, exec
	v_mov_b32_e32 v1, 0
	s_or_b64 s[0:1], s[0:1], s[44:45]
; %bb.832:
	s_or_b64 exec, exec, s[42:43]
	s_and_saveexec_b64 s[42:43], s[0:1]
	s_cbranch_execz .LBB142_834
; %bb.833:
	v_and_b32_e32 v1, 0xffff, v4
	v_lshlrev_b32_e32 v0, 24, v4
	v_and_b32_e32 v4, 3, v1
	v_ffbh_u32_e32 v6, v4
	v_min_u32_e32 v6, 32, v6
	v_subrev_u32_e32 v7, 29, v6
	v_bfe_u32 v5, v1, 2, 5
	v_lshlrev_b32_e32 v1, v7, v1
	v_sub_u32_e32 v6, 30, v6
	v_and_b32_e32 v1, 3, v1
	v_cmp_eq_u32_e32 vcc, 0, v5
	v_cndmask_b32_e32 v5, v5, v6, vcc
	v_cndmask_b32_e32 v1, v4, v1, vcc
	v_mov_b32_e32 v4, 0x37800000
	v_lshlrev_b32_e32 v1, 21, v1
	v_and_b32_e32 v0, 0x80000000, v0
	v_lshl_add_u32 v4, v5, 23, v4
	v_or3_b32 v0, v0, v4, v1
	v_cvt_f64_f32_e32 v[0:1], v0
.LBB142_834:
	s_or_b64 exec, exec, s[42:43]
	s_mov_b64 s[0:1], 0
	s_branch .LBB142_838
.LBB142_835:
	s_mov_b64 s[42:43], -1
                                        ; implicit-def: $vgpr0_vgpr1
	s_branch .LBB142_844
.LBB142_836:
	s_mov_b64 s[0:1], -1
                                        ; implicit-def: $vgpr0_vgpr1
	s_branch .LBB142_841
.LBB142_837:
	s_mov_b64 s[0:1], -1
                                        ; implicit-def: $vgpr0_vgpr1
.LBB142_838:
	s_and_b64 vcc, exec, s[0:1]
	s_cbranch_vccz .LBB142_840
; %bb.839:
	global_load_ubyte v0, v[2:3], off
	s_mov_b32 s0, 0x7f800000
	s_waitcnt vmcnt(0)
	v_lshlrev_b32_e32 v0, 24, v0
	v_and_b32_e32 v1, 0x7f000000, v0
	v_ffbh_u32_e32 v4, v1
	v_min_u32_e32 v4, 32, v4
	v_sub_u32_e64 v4, v4, 4 clamp
	v_lshlrev_b32_e32 v6, v4, v1
	v_lshlrev_b32_e32 v4, 23, v4
	v_lshrrev_b32_e32 v6, 4, v6
	v_add_u32_e32 v5, 0x1000000, v1
	v_sub_u32_e32 v4, v6, v4
	v_ashrrev_i32_e32 v5, 8, v5
	v_add_u32_e32 v4, 0x3c000000, v4
	v_and_or_b32 v4, v5, s0, v4
	v_cmp_ne_u32_e32 vcc, 0, v1
	v_cndmask_b32_e32 v1, 0, v4, vcc
	s_brev_b32 s0, 1
	v_and_or_b32 v0, v0, s0, v1
	v_cvt_f64_f32_e32 v[0:1], v0
.LBB142_840:
	s_mov_b64 s[0:1], 0
.LBB142_841:
	s_andn2_b64 vcc, exec, s[0:1]
	s_cbranch_vccnz .LBB142_843
; %bb.842:
	global_load_ubyte v0, v[2:3], off
	s_movk_i32 s0, 0x7f00
	s_brev_b32 s1, 16
	s_waitcnt vmcnt(0)
	v_lshlrev_b16_e32 v1, 8, v0
	v_lshlrev_b32_e32 v0, 25, v0
	v_lshrrev_b32_e32 v4, 4, v0
	v_and_or_b32 v5, v1, s0, 0.5
	v_or_b32_e32 v4, 0x70000000, v4
	v_add_f32_e32 v5, -0.5, v5
	v_mul_f32_e32 v4, 0x7800000, v4
	v_cmp_gt_u32_e32 vcc, s1, v0
	v_bfe_i32 v1, v1, 0, 16
	v_cndmask_b32_e32 v0, v4, v5, vcc
	s_brev_b32 s0, 1
	v_and_or_b32 v0, v1, s0, v0
	v_cvt_f64_f32_e32 v[0:1], v0
.LBB142_843:
	s_mov_b64 s[42:43], 0
	s_mov_b64 s[0:1], -1
.LBB142_844:
	s_andn2_b64 vcc, exec, s[42:43]
	s_cbranch_vccnz .LBB142_855
; %bb.845:
	s_cmp_gt_i32 s47, 14
	s_cbranch_scc0 .LBB142_848
; %bb.846:
	s_cmp_eq_u32 s47, 15
	s_cbranch_scc0 .LBB142_849
; %bb.847:
	global_load_ushort v0, v[2:3], off
	s_mov_b64 s[0:1], -1
	s_mov_b64 s[40:41], 0
	s_waitcnt vmcnt(0)
	v_lshlrev_b32_e32 v0, 16, v0
	v_cvt_f64_f32_e32 v[0:1], v0
	s_branch .LBB142_850
.LBB142_848:
	s_mov_b64 s[42:43], -1
                                        ; implicit-def: $vgpr0_vgpr1
	s_branch .LBB142_851
.LBB142_849:
	s_mov_b64 s[40:41], -1
                                        ; implicit-def: $vgpr0_vgpr1
.LBB142_850:
	s_mov_b64 s[42:43], 0
.LBB142_851:
	s_and_b64 vcc, exec, s[42:43]
	s_cbranch_vccz .LBB142_855
; %bb.852:
	s_cmp_eq_u32 s47, 11
	s_cbranch_scc0 .LBB142_854
; %bb.853:
	global_load_ubyte v1, v[2:3], off
	v_mov_b32_e32 v4, 0x3ff00000
	v_mov_b32_e32 v0, 0
	s_mov_b64 s[0:1], -1
	s_mov_b64 s[40:41], 0
	s_waitcnt vmcnt(0)
	v_cmp_ne_u16_e32 vcc, 0, v1
	v_cndmask_b32_e32 v1, 0, v4, vcc
	s_branch .LBB142_855
.LBB142_854:
	s_mov_b64 s[40:41], -1
                                        ; implicit-def: $vgpr0_vgpr1
.LBB142_855:
	s_mov_b64 s[42:43], 0
.LBB142_856:
	s_and_b64 vcc, exec, s[42:43]
	s_cbranch_vccz .LBB142_905
; %bb.857:
	s_and_b32 s42, 0xffff, s46
	s_cmp_lt_i32 s42, 5
	s_cbranch_scc1 .LBB142_862
; %bb.858:
	s_cmp_lt_i32 s42, 8
	s_cbranch_scc1 .LBB142_863
; %bb.859:
	;; [unrolled: 3-line block ×3, first 2 shown]
	s_cmp_gt_i32 s42, 9
	s_cbranch_scc0 .LBB142_865
; %bb.861:
	global_load_dwordx2 v[0:1], v[2:3], off
	s_mov_b64 s[0:1], 0
	s_branch .LBB142_866
.LBB142_862:
	s_mov_b64 s[0:1], -1
                                        ; implicit-def: $vgpr0_vgpr1
	s_branch .LBB142_884
.LBB142_863:
	s_mov_b64 s[0:1], -1
                                        ; implicit-def: $vgpr0_vgpr1
	s_branch .LBB142_872
.LBB142_864:
	s_mov_b64 s[0:1], -1
                                        ; implicit-def: $vgpr0_vgpr1
	s_branch .LBB142_869
.LBB142_865:
	s_mov_b64 s[0:1], -1
                                        ; implicit-def: $vgpr0_vgpr1
.LBB142_866:
	s_andn2_b64 vcc, exec, s[0:1]
	s_cbranch_vccnz .LBB142_868
; %bb.867:
	global_load_dword v0, v[2:3], off
	s_waitcnt vmcnt(0)
	v_cvt_f64_f32_e32 v[0:1], v0
.LBB142_868:
	s_mov_b64 s[0:1], 0
.LBB142_869:
	s_andn2_b64 vcc, exec, s[0:1]
	s_cbranch_vccnz .LBB142_871
; %bb.870:
	global_load_dword v0, v[2:3], off
	s_waitcnt vmcnt(0)
	v_cvt_f32_f16_e32 v0, v0
	v_cvt_f64_f32_e32 v[0:1], v0
.LBB142_871:
	s_mov_b64 s[0:1], 0
.LBB142_872:
	s_andn2_b64 vcc, exec, s[0:1]
	s_cbranch_vccnz .LBB142_883
; %bb.873:
	s_cmp_lt_i32 s42, 6
	s_cbranch_scc1 .LBB142_876
; %bb.874:
	s_cmp_gt_i32 s42, 6
	s_cbranch_scc0 .LBB142_877
; %bb.875:
	global_load_dwordx2 v[0:1], v[2:3], off
	s_mov_b64 s[0:1], 0
	s_branch .LBB142_878
.LBB142_876:
	s_mov_b64 s[0:1], -1
                                        ; implicit-def: $vgpr0_vgpr1
	s_branch .LBB142_881
.LBB142_877:
	s_mov_b64 s[0:1], -1
                                        ; implicit-def: $vgpr0_vgpr1
.LBB142_878:
	s_andn2_b64 vcc, exec, s[0:1]
	s_cbranch_vccnz .LBB142_880
; %bb.879:
	global_load_dword v0, v[2:3], off
	s_waitcnt vmcnt(0)
	v_cvt_f64_f32_e32 v[0:1], v0
.LBB142_880:
	s_mov_b64 s[0:1], 0
.LBB142_881:
	s_andn2_b64 vcc, exec, s[0:1]
	s_cbranch_vccnz .LBB142_883
; %bb.882:
	global_load_ushort v0, v[2:3], off
	s_waitcnt vmcnt(0)
	v_cvt_f32_f16_e32 v0, v0
	v_cvt_f64_f32_e32 v[0:1], v0
.LBB142_883:
	s_mov_b64 s[0:1], 0
.LBB142_884:
	s_andn2_b64 vcc, exec, s[0:1]
	s_cbranch_vccnz .LBB142_904
; %bb.885:
	s_cmp_lt_i32 s42, 2
	s_cbranch_scc1 .LBB142_889
; %bb.886:
	s_cmp_lt_i32 s42, 3
	s_cbranch_scc1 .LBB142_890
; %bb.887:
	s_cmp_gt_i32 s42, 3
	s_cbranch_scc0 .LBB142_891
; %bb.888:
	global_load_dwordx2 v[0:1], v[2:3], off
	s_mov_b64 s[0:1], 0
	s_waitcnt vmcnt(0)
	v_cvt_f64_i32_e32 v[4:5], v1
	v_cvt_f64_u32_e32 v[0:1], v0
	v_ldexp_f64 v[4:5], v[4:5], 32
	v_add_f64 v[0:1], v[4:5], v[0:1]
	s_branch .LBB142_892
.LBB142_889:
	s_mov_b64 s[0:1], -1
                                        ; implicit-def: $vgpr0_vgpr1
	s_branch .LBB142_898
.LBB142_890:
	s_mov_b64 s[0:1], -1
                                        ; implicit-def: $vgpr0_vgpr1
	s_branch .LBB142_895
.LBB142_891:
	s_mov_b64 s[0:1], -1
                                        ; implicit-def: $vgpr0_vgpr1
.LBB142_892:
	s_andn2_b64 vcc, exec, s[0:1]
	s_cbranch_vccnz .LBB142_894
; %bb.893:
	global_load_dword v0, v[2:3], off
	s_waitcnt vmcnt(0)
	v_cvt_f64_i32_e32 v[0:1], v0
.LBB142_894:
	s_mov_b64 s[0:1], 0
.LBB142_895:
	s_andn2_b64 vcc, exec, s[0:1]
	s_cbranch_vccnz .LBB142_897
; %bb.896:
	global_load_sshort v0, v[2:3], off
	s_waitcnt vmcnt(0)
	v_cvt_f64_i32_e32 v[0:1], v0
.LBB142_897:
	s_mov_b64 s[0:1], 0
.LBB142_898:
	s_andn2_b64 vcc, exec, s[0:1]
	s_cbranch_vccnz .LBB142_904
; %bb.899:
	s_cmp_gt_i32 s42, 0
	s_cbranch_scc0 .LBB142_901
; %bb.900:
	global_load_sbyte v0, v[2:3], off
	s_mov_b64 s[0:1], 0
	s_waitcnt vmcnt(0)
	v_cvt_f64_i32_e32 v[0:1], v0
	s_branch .LBB142_902
.LBB142_901:
	s_mov_b64 s[0:1], -1
                                        ; implicit-def: $vgpr0_vgpr1
.LBB142_902:
	s_andn2_b64 vcc, exec, s[0:1]
	s_cbranch_vccnz .LBB142_904
; %bb.903:
	global_load_ubyte v0, v[2:3], off
	s_waitcnt vmcnt(0)
	v_cvt_f64_u32_e32 v[0:1], v0
.LBB142_904:
	s_mov_b64 s[0:1], -1
.LBB142_905:
	s_andn2_b64 vcc, exec, s[0:1]
	s_cbranch_vccnz .LBB142_913
; %bb.906:
	v_mul_lo_u32 v2, v18, s10
	v_mov_b32_e32 v3, s3
	s_and_b32 s48, s11, 0xff
	s_cmp_lt_i32 s48, 11
	v_ashrrev_i32_e32 v4, 31, v2
	v_add_co_u32_e32 v2, vcc, s2, v2
	v_addc_co_u32_e32 v3, vcc, v3, v4, vcc
	s_cbranch_scc1 .LBB142_915
; %bb.907:
	s_and_b32 s49, 0xffff, s48
	s_cmp_gt_i32 s49, 25
	s_cbranch_scc0 .LBB142_916
; %bb.908:
	s_cmp_gt_i32 s49, 28
	s_cbranch_scc0 .LBB142_917
; %bb.909:
	;; [unrolled: 3-line block ×4, first 2 shown]
	s_cmp_eq_u32 s49, 46
	s_mov_b64 s[44:45], 0
	s_cbranch_scc0 .LBB142_922
; %bb.912:
	global_load_dword v4, v[2:3], off
	s_mov_b64 s[0:1], -1
	s_mov_b64 s[42:43], 0
	s_waitcnt vmcnt(0)
	v_lshlrev_b32_e32 v4, 16, v4
	v_cvt_f64_f32_e32 v[4:5], v4
	s_branch .LBB142_923
.LBB142_913:
	s_mov_b64 s[46:47], 0
	s_mov_b64 s[0:1], s[34:35]
	;; [unrolled: 1-line block ×3, first 2 shown]
.LBB142_914:
                                        ; implicit-def: $vgpr18
	s_branch .LBB142_1161
.LBB142_915:
	s_mov_b64 s[44:45], -1
	s_mov_b64 s[0:1], 0
                                        ; implicit-def: $vgpr4_vgpr5
	s_mov_b64 s[42:43], s[30:31]
	s_branch .LBB142_988
.LBB142_916:
	s_mov_b64 s[44:45], -1
	s_mov_b64 s[0:1], 0
	s_mov_b64 s[42:43], s[30:31]
                                        ; implicit-def: $vgpr4_vgpr5
	s_branch .LBB142_954
.LBB142_917:
	s_mov_b64 s[44:45], -1
	s_mov_b64 s[0:1], 0
	s_mov_b64 s[42:43], s[30:31]
                                        ; implicit-def: $vgpr4_vgpr5
	s_branch .LBB142_933
.LBB142_918:
	s_mov_b64 s[44:45], -1
	s_mov_b64 s[0:1], 0
	s_mov_b64 s[42:43], s[30:31]
                                        ; implicit-def: $vgpr4_vgpr5
	s_branch .LBB142_928
.LBB142_919:
	s_mov_b64 s[44:45], -1
	s_mov_b64 s[0:1], 0
	s_mov_b64 s[42:43], s[30:31]
                                        ; implicit-def: $vgpr4_vgpr5
	s_branch .LBB142_923
.LBB142_920:
	s_andn2_saveexec_b64 s[40:41], s[40:41]
	s_cbranch_execz .LBB142_696
.LBB142_921:
	s_mov_b32 s44, 0x42800000
	v_add_f32_e64 v3, |v2|, s44
	v_and_b32_e32 v3, 0xff, v3
	v_cmp_ne_u32_e32 vcc, 0, v3
	s_andn2_b64 s[38:39], s[38:39], exec
	s_and_b64 s[44:45], vcc, exec
	s_or_b64 s[38:39], s[38:39], s[44:45]
	s_or_b64 exec, exec, s[40:41]
	v_mov_b32_e32 v6, 0
	s_and_saveexec_b64 s[40:41], s[38:39]
	s_cbranch_execnz .LBB142_697
	s_branch .LBB142_698
.LBB142_922:
	s_mov_b64 s[42:43], -1
                                        ; implicit-def: $vgpr4_vgpr5
	s_mov_b64 s[0:1], 0
.LBB142_923:
	s_and_b64 vcc, exec, s[44:45]
	s_cbranch_vccz .LBB142_927
; %bb.924:
	s_cmp_eq_u32 s49, 44
	s_cbranch_scc0 .LBB142_926
; %bb.925:
	global_load_ubyte v6, v[2:3], off
	s_movk_i32 s42, 0xff
	v_bfrev_b32_e32 v7, 4
	v_mov_b32_e32 v8, 0x7ff80000
	v_bfrev_b32_e32 v9, 28
	s_mov_b64 s[0:1], -1
	s_waitcnt vmcnt(0)
	v_lshlrev_b32_e32 v4, 23, v6
	v_cvt_f64_f32_e32 v[4:5], v4
	v_cmp_ne_u32_e32 vcc, s42, v6
	s_mov_b64 s[42:43], 0
	v_cndmask_b32_e32 v4, v7, v4, vcc
	v_cndmask_b32_e32 v5, v8, v5, vcc
	v_cmp_ne_u32_e32 vcc, 0, v6
	v_cndmask_b32_e32 v5, v9, v5, vcc
	v_cndmask_b32_e32 v4, 0, v4, vcc
	s_branch .LBB142_927
.LBB142_926:
	s_mov_b64 s[42:43], -1
                                        ; implicit-def: $vgpr4_vgpr5
.LBB142_927:
	s_mov_b64 s[44:45], 0
.LBB142_928:
	s_and_b64 vcc, exec, s[44:45]
	s_cbranch_vccz .LBB142_932
; %bb.929:
	s_cmp_eq_u32 s49, 29
	s_cbranch_scc0 .LBB142_931
; %bb.930:
	global_load_dwordx2 v[4:5], v[2:3], off
	s_mov_b64 s[0:1], -1
	s_mov_b64 s[42:43], 0
	s_mov_b64 s[44:45], 0
	s_waitcnt vmcnt(0)
	v_cvt_f64_u32_e32 v[5:6], v5
	v_cvt_f64_u32_e32 v[7:8], v4
	v_ldexp_f64 v[5:6], v[5:6], 32
	v_add_f64 v[4:5], v[5:6], v[7:8]
	s_branch .LBB142_933
.LBB142_931:
	s_mov_b64 s[42:43], -1
                                        ; implicit-def: $vgpr4_vgpr5
.LBB142_932:
	s_mov_b64 s[44:45], 0
.LBB142_933:
	s_and_b64 vcc, exec, s[44:45]
	s_cbranch_vccz .LBB142_953
; %bb.934:
	s_cmp_lt_i32 s49, 27
	s_cbranch_scc1 .LBB142_937
; %bb.935:
	s_cmp_gt_i32 s49, 27
	s_cbranch_scc0 .LBB142_938
; %bb.936:
	global_load_dword v4, v[2:3], off
	s_mov_b64 s[0:1], 0
	s_waitcnt vmcnt(0)
	v_cvt_f64_u32_e32 v[4:5], v4
	s_branch .LBB142_939
.LBB142_937:
	s_mov_b64 s[0:1], -1
                                        ; implicit-def: $vgpr4_vgpr5
	s_branch .LBB142_942
.LBB142_938:
	s_mov_b64 s[0:1], -1
                                        ; implicit-def: $vgpr4_vgpr5
.LBB142_939:
	s_andn2_b64 vcc, exec, s[0:1]
	s_cbranch_vccnz .LBB142_941
; %bb.940:
	global_load_ushort v4, v[2:3], off
	s_waitcnt vmcnt(0)
	v_cvt_f64_u32_e32 v[4:5], v4
.LBB142_941:
	s_mov_b64 s[0:1], 0
.LBB142_942:
	s_andn2_b64 vcc, exec, s[0:1]
	s_cbranch_vccnz .LBB142_952
; %bb.943:
	global_load_ubyte v6, v[2:3], off
	s_movk_i32 s0, 0x7f
	s_waitcnt vmcnt(0)
	v_cmp_lt_i16_e32 vcc, s0, v6
	s_mov_b64 s[0:1], 0
	s_and_saveexec_b64 s[44:45], vcc
	s_xor_b64 s[44:45], exec, s[44:45]
	s_cbranch_execz .LBB142_947
; %bb.944:
	s_movk_i32 s0, 0x80
	v_cmp_eq_u16_e32 vcc, s0, v6
	s_mov_b64 s[0:1], -1
	s_and_saveexec_b64 s[46:47], vcc
; %bb.945:
	s_xor_b64 s[0:1], exec, -1
; %bb.946:
	s_or_b64 exec, exec, s[46:47]
	s_and_b64 s[0:1], s[0:1], exec
.LBB142_947:
	s_or_saveexec_b64 s[44:45], s[44:45]
	v_bfrev_b32_e32 v4, 4
	v_mov_b32_e32 v5, 0x7ff80000
	s_xor_b64 exec, exec, s[44:45]
; %bb.948:
	v_cmp_ne_u16_e32 vcc, 0, v6
	v_mov_b32_e32 v4, 0
	s_andn2_b64 s[0:1], s[0:1], exec
	s_and_b64 s[46:47], vcc, exec
	v_mov_b32_e32 v5, 0
	s_or_b64 s[0:1], s[0:1], s[46:47]
; %bb.949:
	s_or_b64 exec, exec, s[44:45]
	s_and_saveexec_b64 s[44:45], s[0:1]
	s_cbranch_execz .LBB142_951
; %bb.950:
	v_and_b32_e32 v5, 0xffff, v6
	v_lshlrev_b32_e32 v4, 24, v6
	v_and_b32_e32 v6, 7, v5
	v_ffbh_u32_e32 v8, v6
	v_min_u32_e32 v8, 32, v8
	v_subrev_u32_e32 v9, 28, v8
	v_bfe_u32 v7, v5, 3, 4
	v_lshlrev_b32_e32 v5, v9, v5
	v_sub_u32_e32 v8, 29, v8
	v_and_b32_e32 v5, 7, v5
	v_cmp_eq_u32_e32 vcc, 0, v7
	v_cndmask_b32_e32 v7, v7, v8, vcc
	v_cndmask_b32_e32 v5, v6, v5, vcc
	v_mov_b32_e32 v6, 0x3b800000
	v_lshlrev_b32_e32 v5, 20, v5
	v_and_b32_e32 v4, 0x80000000, v4
	v_lshl_add_u32 v6, v7, 23, v6
	v_or3_b32 v4, v4, v6, v5
	v_cvt_f64_f32_e32 v[4:5], v4
.LBB142_951:
	s_or_b64 exec, exec, s[44:45]
.LBB142_952:
	s_mov_b64 s[0:1], -1
.LBB142_953:
	s_mov_b64 s[44:45], 0
.LBB142_954:
	s_and_b64 vcc, exec, s[44:45]
	s_cbranch_vccz .LBB142_987
; %bb.955:
	s_cmp_gt_i32 s49, 22
	s_cbranch_scc0 .LBB142_967
; %bb.956:
	s_cmp_lt_i32 s49, 24
	s_cbranch_scc1 .LBB142_968
; %bb.957:
	s_cmp_gt_i32 s49, 24
	s_cbranch_scc0 .LBB142_969
; %bb.958:
	global_load_ubyte v6, v[2:3], off
	s_movk_i32 s0, 0x7f
	s_waitcnt vmcnt(0)
	v_cmp_lt_i16_e32 vcc, s0, v6
	s_mov_b64 s[0:1], 0
	s_and_saveexec_b64 s[44:45], vcc
	s_xor_b64 s[44:45], exec, s[44:45]
	s_cbranch_execz .LBB142_962
; %bb.959:
	s_movk_i32 s0, 0x80
	v_cmp_eq_u16_e32 vcc, s0, v6
	s_mov_b64 s[0:1], -1
	s_and_saveexec_b64 s[46:47], vcc
; %bb.960:
	s_xor_b64 s[0:1], exec, -1
; %bb.961:
	s_or_b64 exec, exec, s[46:47]
	s_and_b64 s[0:1], s[0:1], exec
.LBB142_962:
	s_or_saveexec_b64 s[44:45], s[44:45]
	v_bfrev_b32_e32 v4, 4
	v_mov_b32_e32 v5, 0x7ff80000
	s_xor_b64 exec, exec, s[44:45]
; %bb.963:
	v_cmp_ne_u16_e32 vcc, 0, v6
	v_mov_b32_e32 v4, 0
	s_andn2_b64 s[0:1], s[0:1], exec
	s_and_b64 s[46:47], vcc, exec
	v_mov_b32_e32 v5, 0
	s_or_b64 s[0:1], s[0:1], s[46:47]
; %bb.964:
	s_or_b64 exec, exec, s[44:45]
	s_and_saveexec_b64 s[44:45], s[0:1]
	s_cbranch_execz .LBB142_966
; %bb.965:
	v_and_b32_e32 v5, 0xffff, v6
	v_lshlrev_b32_e32 v4, 24, v6
	v_and_b32_e32 v6, 3, v5
	v_ffbh_u32_e32 v8, v6
	v_min_u32_e32 v8, 32, v8
	v_subrev_u32_e32 v9, 29, v8
	v_bfe_u32 v7, v5, 2, 5
	v_lshlrev_b32_e32 v5, v9, v5
	v_sub_u32_e32 v8, 30, v8
	v_and_b32_e32 v5, 3, v5
	v_cmp_eq_u32_e32 vcc, 0, v7
	v_cndmask_b32_e32 v7, v7, v8, vcc
	v_cndmask_b32_e32 v5, v6, v5, vcc
	v_mov_b32_e32 v6, 0x37800000
	v_lshlrev_b32_e32 v5, 21, v5
	v_and_b32_e32 v4, 0x80000000, v4
	v_lshl_add_u32 v6, v7, 23, v6
	v_or3_b32 v4, v4, v6, v5
	v_cvt_f64_f32_e32 v[4:5], v4
.LBB142_966:
	s_or_b64 exec, exec, s[44:45]
	s_mov_b64 s[0:1], 0
	s_branch .LBB142_970
.LBB142_967:
	s_mov_b64 s[44:45], -1
                                        ; implicit-def: $vgpr4_vgpr5
	s_branch .LBB142_976
.LBB142_968:
	s_mov_b64 s[0:1], -1
                                        ; implicit-def: $vgpr4_vgpr5
	s_branch .LBB142_973
.LBB142_969:
	s_mov_b64 s[0:1], -1
                                        ; implicit-def: $vgpr4_vgpr5
.LBB142_970:
	s_and_b64 vcc, exec, s[0:1]
	s_cbranch_vccz .LBB142_972
; %bb.971:
	global_load_ubyte v4, v[2:3], off
	s_mov_b32 s0, 0x7f800000
	s_waitcnt vmcnt(0)
	v_lshlrev_b32_e32 v4, 24, v4
	v_and_b32_e32 v5, 0x7f000000, v4
	v_ffbh_u32_e32 v6, v5
	v_min_u32_e32 v6, 32, v6
	v_sub_u32_e64 v6, v6, 4 clamp
	v_lshlrev_b32_e32 v8, v6, v5
	v_lshlrev_b32_e32 v6, 23, v6
	v_lshrrev_b32_e32 v8, 4, v8
	v_add_u32_e32 v7, 0x1000000, v5
	v_sub_u32_e32 v6, v8, v6
	v_ashrrev_i32_e32 v7, 8, v7
	v_add_u32_e32 v6, 0x3c000000, v6
	v_and_or_b32 v6, v7, s0, v6
	v_cmp_ne_u32_e32 vcc, 0, v5
	v_cndmask_b32_e32 v5, 0, v6, vcc
	s_brev_b32 s0, 1
	v_and_or_b32 v4, v4, s0, v5
	v_cvt_f64_f32_e32 v[4:5], v4
.LBB142_972:
	s_mov_b64 s[0:1], 0
.LBB142_973:
	s_andn2_b64 vcc, exec, s[0:1]
	s_cbranch_vccnz .LBB142_975
; %bb.974:
	global_load_ubyte v4, v[2:3], off
	s_movk_i32 s0, 0x7f00
	s_brev_b32 s1, 16
	s_waitcnt vmcnt(0)
	v_lshlrev_b16_e32 v5, 8, v4
	v_lshlrev_b32_e32 v4, 25, v4
	v_lshrrev_b32_e32 v6, 4, v4
	v_and_or_b32 v7, v5, s0, 0.5
	v_or_b32_e32 v6, 0x70000000, v6
	v_add_f32_e32 v7, -0.5, v7
	v_mul_f32_e32 v6, 0x7800000, v6
	v_cmp_gt_u32_e32 vcc, s1, v4
	v_bfe_i32 v5, v5, 0, 16
	v_cndmask_b32_e32 v4, v6, v7, vcc
	s_brev_b32 s0, 1
	v_and_or_b32 v4, v5, s0, v4
	v_cvt_f64_f32_e32 v[4:5], v4
.LBB142_975:
	s_mov_b64 s[44:45], 0
	s_mov_b64 s[0:1], -1
.LBB142_976:
	s_andn2_b64 vcc, exec, s[44:45]
	s_cbranch_vccnz .LBB142_987
; %bb.977:
	s_cmp_gt_i32 s49, 14
	s_cbranch_scc0 .LBB142_980
; %bb.978:
	s_cmp_eq_u32 s49, 15
	s_cbranch_scc0 .LBB142_981
; %bb.979:
	global_load_ushort v4, v[2:3], off
	s_mov_b64 s[0:1], -1
	s_mov_b64 s[42:43], 0
	s_waitcnt vmcnt(0)
	v_lshlrev_b32_e32 v4, 16, v4
	v_cvt_f64_f32_e32 v[4:5], v4
	s_branch .LBB142_982
.LBB142_980:
	s_mov_b64 s[44:45], -1
                                        ; implicit-def: $vgpr4_vgpr5
	s_branch .LBB142_983
.LBB142_981:
	s_mov_b64 s[42:43], -1
                                        ; implicit-def: $vgpr4_vgpr5
.LBB142_982:
	s_mov_b64 s[44:45], 0
.LBB142_983:
	s_and_b64 vcc, exec, s[44:45]
	s_cbranch_vccz .LBB142_987
; %bb.984:
	s_cmp_eq_u32 s49, 11
	s_cbranch_scc0 .LBB142_986
; %bb.985:
	global_load_ubyte v5, v[2:3], off
	v_mov_b32_e32 v6, 0x3ff00000
	v_mov_b32_e32 v4, 0
	s_mov_b64 s[0:1], -1
	s_mov_b64 s[42:43], 0
	s_waitcnt vmcnt(0)
	v_cmp_ne_u16_e32 vcc, 0, v5
	v_cndmask_b32_e32 v5, 0, v6, vcc
	s_branch .LBB142_987
.LBB142_986:
	s_mov_b64 s[42:43], -1
                                        ; implicit-def: $vgpr4_vgpr5
.LBB142_987:
	s_mov_b64 s[44:45], 0
.LBB142_988:
	s_and_b64 vcc, exec, s[44:45]
	s_cbranch_vccz .LBB142_1037
; %bb.989:
	s_and_b32 s44, 0xffff, s48
	s_cmp_lt_i32 s44, 5
	s_cbranch_scc1 .LBB142_994
; %bb.990:
	s_cmp_lt_i32 s44, 8
	s_cbranch_scc1 .LBB142_995
; %bb.991:
	;; [unrolled: 3-line block ×3, first 2 shown]
	s_cmp_gt_i32 s44, 9
	s_cbranch_scc0 .LBB142_997
; %bb.993:
	global_load_dwordx2 v[4:5], v[2:3], off
	s_mov_b64 s[0:1], 0
	s_branch .LBB142_998
.LBB142_994:
	s_mov_b64 s[0:1], -1
                                        ; implicit-def: $vgpr4_vgpr5
	s_branch .LBB142_1016
.LBB142_995:
	s_mov_b64 s[0:1], -1
                                        ; implicit-def: $vgpr4_vgpr5
	s_branch .LBB142_1004
.LBB142_996:
	s_mov_b64 s[0:1], -1
                                        ; implicit-def: $vgpr4_vgpr5
	s_branch .LBB142_1001
.LBB142_997:
	s_mov_b64 s[0:1], -1
                                        ; implicit-def: $vgpr4_vgpr5
.LBB142_998:
	s_andn2_b64 vcc, exec, s[0:1]
	s_cbranch_vccnz .LBB142_1000
; %bb.999:
	global_load_dword v4, v[2:3], off
	s_waitcnt vmcnt(0)
	v_cvt_f64_f32_e32 v[4:5], v4
.LBB142_1000:
	s_mov_b64 s[0:1], 0
.LBB142_1001:
	s_andn2_b64 vcc, exec, s[0:1]
	s_cbranch_vccnz .LBB142_1003
; %bb.1002:
	global_load_dword v4, v[2:3], off
	s_waitcnt vmcnt(0)
	v_cvt_f32_f16_e32 v4, v4
	v_cvt_f64_f32_e32 v[4:5], v4
.LBB142_1003:
	s_mov_b64 s[0:1], 0
.LBB142_1004:
	s_andn2_b64 vcc, exec, s[0:1]
	s_cbranch_vccnz .LBB142_1015
; %bb.1005:
	s_cmp_lt_i32 s44, 6
	s_cbranch_scc1 .LBB142_1008
; %bb.1006:
	s_cmp_gt_i32 s44, 6
	s_cbranch_scc0 .LBB142_1009
; %bb.1007:
	global_load_dwordx2 v[4:5], v[2:3], off
	s_mov_b64 s[0:1], 0
	s_branch .LBB142_1010
.LBB142_1008:
	s_mov_b64 s[0:1], -1
                                        ; implicit-def: $vgpr4_vgpr5
	s_branch .LBB142_1013
.LBB142_1009:
	s_mov_b64 s[0:1], -1
                                        ; implicit-def: $vgpr4_vgpr5
.LBB142_1010:
	s_andn2_b64 vcc, exec, s[0:1]
	s_cbranch_vccnz .LBB142_1012
; %bb.1011:
	global_load_dword v4, v[2:3], off
	s_waitcnt vmcnt(0)
	v_cvt_f64_f32_e32 v[4:5], v4
.LBB142_1012:
	s_mov_b64 s[0:1], 0
.LBB142_1013:
	s_andn2_b64 vcc, exec, s[0:1]
	s_cbranch_vccnz .LBB142_1015
; %bb.1014:
	global_load_ushort v4, v[2:3], off
	s_waitcnt vmcnt(0)
	v_cvt_f32_f16_e32 v4, v4
	v_cvt_f64_f32_e32 v[4:5], v4
.LBB142_1015:
	s_mov_b64 s[0:1], 0
.LBB142_1016:
	s_andn2_b64 vcc, exec, s[0:1]
	s_cbranch_vccnz .LBB142_1036
; %bb.1017:
	s_cmp_lt_i32 s44, 2
	s_cbranch_scc1 .LBB142_1021
; %bb.1018:
	s_cmp_lt_i32 s44, 3
	s_cbranch_scc1 .LBB142_1022
; %bb.1019:
	s_cmp_gt_i32 s44, 3
	s_cbranch_scc0 .LBB142_1023
; %bb.1020:
	global_load_dwordx2 v[4:5], v[2:3], off
	s_mov_b64 s[0:1], 0
	s_waitcnt vmcnt(0)
	v_cvt_f64_i32_e32 v[5:6], v5
	v_cvt_f64_u32_e32 v[7:8], v4
	v_ldexp_f64 v[5:6], v[5:6], 32
	v_add_f64 v[4:5], v[5:6], v[7:8]
	s_branch .LBB142_1024
.LBB142_1021:
	s_mov_b64 s[0:1], -1
                                        ; implicit-def: $vgpr4_vgpr5
	s_branch .LBB142_1030
.LBB142_1022:
	s_mov_b64 s[0:1], -1
                                        ; implicit-def: $vgpr4_vgpr5
	s_branch .LBB142_1027
.LBB142_1023:
	s_mov_b64 s[0:1], -1
                                        ; implicit-def: $vgpr4_vgpr5
.LBB142_1024:
	s_andn2_b64 vcc, exec, s[0:1]
	s_cbranch_vccnz .LBB142_1026
; %bb.1025:
	global_load_dword v4, v[2:3], off
	s_waitcnt vmcnt(0)
	v_cvt_f64_i32_e32 v[4:5], v4
.LBB142_1026:
	s_mov_b64 s[0:1], 0
.LBB142_1027:
	s_andn2_b64 vcc, exec, s[0:1]
	s_cbranch_vccnz .LBB142_1029
; %bb.1028:
	global_load_sshort v4, v[2:3], off
	s_waitcnt vmcnt(0)
	v_cvt_f64_i32_e32 v[4:5], v4
.LBB142_1029:
	s_mov_b64 s[0:1], 0
.LBB142_1030:
	s_andn2_b64 vcc, exec, s[0:1]
	s_cbranch_vccnz .LBB142_1036
; %bb.1031:
	s_cmp_gt_i32 s44, 0
	s_cbranch_scc0 .LBB142_1033
; %bb.1032:
	global_load_sbyte v4, v[2:3], off
	s_mov_b64 s[0:1], 0
	s_waitcnt vmcnt(0)
	v_cvt_f64_i32_e32 v[4:5], v4
	s_branch .LBB142_1034
.LBB142_1033:
	s_mov_b64 s[0:1], -1
                                        ; implicit-def: $vgpr4_vgpr5
.LBB142_1034:
	s_andn2_b64 vcc, exec, s[0:1]
	s_cbranch_vccnz .LBB142_1036
; %bb.1035:
	global_load_ubyte v2, v[2:3], off
	s_waitcnt vmcnt(0)
	v_cvt_f64_u32_e32 v[4:5], v2
.LBB142_1036:
	s_mov_b64 s[0:1], -1
.LBB142_1037:
	s_andn2_b64 vcc, exec, s[0:1]
	s_cbranch_vccnz .LBB142_1045
; %bb.1038:
	s_waitcnt vmcnt(0)
	v_cmp_nge_f64_e32 vcc, s[12:13], v[0:1]
	v_mul_lo_u32 v3, v18, s8
	v_mov_b32_e32 v2, s15
	v_mov_b32_e32 v0, s14
	;; [unrolled: 1-line block ×3, first 2 shown]
	s_and_b32 s50, s33, 0xff
	s_cmp_lt_i32 s50, 11
	v_cndmask_b32_e32 v1, v2, v5, vcc
	v_ashrrev_i32_e32 v2, 31, v3
	v_cndmask_b32_e32 v0, v0, v4, vcc
	v_add_co_u32_e32 v4, vcc, s16, v3
	v_addc_co_u32_e32 v5, vcc, v6, v2, vcc
	s_cbranch_scc1 .LBB142_1046
; %bb.1039:
	s_and_b32 s51, 0xffff, s50
	s_cmp_gt_i32 s51, 25
	s_cbranch_scc0 .LBB142_1047
; %bb.1040:
	s_cmp_gt_i32 s51, 28
	s_cbranch_scc0 .LBB142_1048
; %bb.1041:
	;; [unrolled: 3-line block ×4, first 2 shown]
	s_mov_b64 s[46:47], 0
	s_mov_b64 s[0:1], -1
	s_cmp_eq_u32 s51, 46
	s_mov_b64 s[44:45], 0
	s_cbranch_scc0 .LBB142_1051
; %bb.1044:
	v_cvt_f32_f64_e32 v2, v[0:1]
	s_movk_i32 s0, 0x7fff
	v_mov_b32_e32 v3, 0x7fc0
	s_mov_b64 s[44:45], -1
	v_bfe_u32 v6, v2, 16, 1
	v_cmp_o_f32_e32 vcc, v2, v2
	v_add3_u32 v2, v2, v6, s0
	v_cndmask_b32_sdwa v2, v3, v2, vcc dst_sel:DWORD dst_unused:UNUSED_PAD src0_sel:DWORD src1_sel:WORD_1
	global_store_dword v[4:5], v2, off
	s_mov_b64 s[0:1], 0
	s_branch .LBB142_1051
.LBB142_1045:
	s_mov_b64 s[46:47], 0
                                        ; implicit-def: $vgpr18
	s_mov_b64 s[0:1], s[34:35]
	s_branch .LBB142_1161
.LBB142_1046:
	s_mov_b64 s[46:47], -1
	s_mov_b64 s[44:45], 0
	s_mov_b64 s[0:1], s[34:35]
	s_branch .LBB142_1120
.LBB142_1047:
	s_mov_b64 s[46:47], -1
	s_mov_b64 s[44:45], 0
	s_mov_b64 s[0:1], s[34:35]
	s_branch .LBB142_1078
.LBB142_1048:
	s_mov_b64 s[46:47], -1
	s_mov_b64 s[44:45], 0
	s_mov_b64 s[0:1], s[34:35]
	s_branch .LBB142_1061
.LBB142_1049:
	s_mov_b64 s[46:47], -1
	s_mov_b64 s[44:45], 0
	s_mov_b64 s[0:1], s[34:35]
	s_branch .LBB142_1057
.LBB142_1050:
	s_mov_b64 s[46:47], -1
	s_mov_b64 s[44:45], 0
	s_mov_b64 s[0:1], s[34:35]
.LBB142_1051:
	s_and_b64 vcc, exec, s[46:47]
	s_cbranch_vccz .LBB142_1056
; %bb.1052:
	s_cmp_eq_u32 s51, 44
	s_mov_b64 s[0:1], -1
	s_cbranch_scc0 .LBB142_1056
; %bb.1053:
	v_cvt_f32_f64_e32 v2, v[0:1]
	s_movk_i32 s0, 0xff
	v_mov_b32_e32 v6, 0xff
	v_bfe_u32 v3, v2, 23, 8
	v_cmp_ne_u32_e32 vcc, s0, v3
	s_and_saveexec_b64 s[44:45], vcc
; %bb.1054:
	s_mov_b32 s0, 0x3fffff
	v_lshrrev_b32_e32 v6, 23, v2
	v_and_b32_e32 v7, 0x400000, v2
	v_and_or_b32 v2, v2, s0, v3
	v_cmp_ne_u32_e32 vcc, 0, v7
	v_cmp_ne_u32_e64 s[0:1], 0, v2
	s_and_b64 s[0:1], vcc, s[0:1]
	v_cndmask_b32_e64 v2, 0, 1, s[0:1]
	v_add_u32_e32 v6, v6, v2
; %bb.1055:
	s_or_b64 exec, exec, s[44:45]
	s_mov_b64 s[44:45], -1
	s_mov_b64 s[0:1], 0
	global_store_byte v[4:5], v6, off
.LBB142_1056:
	s_mov_b64 s[46:47], 0
.LBB142_1057:
	s_and_b64 vcc, exec, s[46:47]
	s_cbranch_vccz .LBB142_1060
; %bb.1058:
	s_cmp_eq_u32 s51, 29
	s_mov_b64 s[0:1], -1
	s_cbranch_scc0 .LBB142_1060
; %bb.1059:
	v_trunc_f64_e32 v[2:3], v[0:1]
	s_movk_i32 s0, 0xffe0
	s_mov_b64 s[44:45], -1
	s_mov_b64 s[46:47], 0
	v_ldexp_f64 v[6:7], v[2:3], s0
	s_mov_b32 s0, 0
	s_mov_b32 s1, 0xc1f00000
	v_floor_f64_e32 v[6:7], v[6:7]
	v_fma_f64 v[2:3], v[6:7], s[0:1], v[2:3]
	v_cvt_u32_f64_e32 v7, v[6:7]
	s_mov_b64 s[0:1], 0
	v_cvt_u32_f64_e32 v6, v[2:3]
	global_store_dwordx2 v[4:5], v[6:7], off
	s_branch .LBB142_1061
.LBB142_1060:
	s_mov_b64 s[46:47], 0
.LBB142_1061:
	s_and_b64 vcc, exec, s[46:47]
	s_cbranch_vccz .LBB142_1077
; %bb.1062:
	s_cmp_lt_i32 s51, 27
	s_mov_b64 s[44:45], -1
	s_cbranch_scc1 .LBB142_1068
; %bb.1063:
	v_cvt_u32_f64_e32 v2, v[0:1]
	s_cmp_gt_i32 s51, 27
	s_cbranch_scc0 .LBB142_1065
; %bb.1064:
	s_mov_b64 s[44:45], 0
	global_store_dword v[4:5], v2, off
.LBB142_1065:
	s_andn2_b64 vcc, exec, s[44:45]
	s_cbranch_vccnz .LBB142_1067
; %bb.1066:
	global_store_short v[4:5], v2, off
.LBB142_1067:
	s_mov_b64 s[44:45], 0
.LBB142_1068:
	s_andn2_b64 vcc, exec, s[44:45]
	s_cbranch_vccnz .LBB142_1076
; %bb.1069:
	v_cvt_f32_f64_e32 v2, v[0:1]
	s_mov_b32 s44, 0x43800000
	v_mov_b32_e32 v6, 0x80
	v_and_b32_e32 v3, 0x7fffffff, v2
	v_cmp_gt_u32_e32 vcc, s44, v3
	s_and_saveexec_b64 s[44:45], vcc
	s_cbranch_execz .LBB142_1075
; %bb.1070:
	s_mov_b32 s46, 0x3bffffff
	v_cmp_lt_u32_e32 vcc, s46, v3
	s_mov_b64 s[46:47], 0
                                        ; implicit-def: $vgpr3
	s_and_saveexec_b64 s[48:49], vcc
	s_xor_b64 s[48:49], exec, s[48:49]
	s_cbranch_execz .LBB142_1177
; %bb.1071:
	v_bfe_u32 v3, v2, 20, 1
	s_mov_b32 s53, 0x487ffff
	v_add3_u32 v3, v2, v3, s53
	s_mov_b64 s[46:47], exec
	v_lshrrev_b32_e32 v3, 20, v3
	s_andn2_saveexec_b64 s[48:49], s[48:49]
	s_cbranch_execnz .LBB142_1178
.LBB142_1072:
	s_or_b64 exec, exec, s[48:49]
	v_mov_b32_e32 v6, 0
	s_and_saveexec_b64 s[48:49], s[46:47]
.LBB142_1073:
	v_lshrrev_b32_e32 v2, 24, v2
	s_movk_i32 s46, 0x80
	v_and_or_b32 v6, v2, s46, v3
.LBB142_1074:
	s_or_b64 exec, exec, s[48:49]
.LBB142_1075:
	s_or_b64 exec, exec, s[44:45]
	global_store_byte v[4:5], v6, off
.LBB142_1076:
	s_mov_b64 s[44:45], -1
.LBB142_1077:
	s_mov_b64 s[46:47], 0
.LBB142_1078:
	s_and_b64 vcc, exec, s[46:47]
	s_cbranch_vccz .LBB142_1119
; %bb.1079:
	s_cmp_gt_i32 s51, 22
	s_mov_b64 s[46:47], -1
	s_cbranch_scc0 .LBB142_1111
; %bb.1080:
	s_cmp_lt_i32 s51, 24
	s_mov_b64 s[44:45], -1
	s_cbranch_scc1 .LBB142_1100
; %bb.1081:
	s_cmp_gt_i32 s51, 24
	s_cbranch_scc0 .LBB142_1089
; %bb.1082:
	v_cvt_f32_f64_e32 v2, v[0:1]
	s_mov_b32 s44, 0x47800000
	v_mov_b32_e32 v6, 0x80
	v_and_b32_e32 v3, 0x7fffffff, v2
	v_cmp_gt_u32_e32 vcc, s44, v3
	s_and_saveexec_b64 s[44:45], vcc
	s_cbranch_execz .LBB142_1088
; %bb.1083:
	s_mov_b32 s46, 0x37ffffff
	v_cmp_lt_u32_e32 vcc, s46, v3
	s_mov_b64 s[46:47], 0
                                        ; implicit-def: $vgpr3
	s_and_saveexec_b64 s[48:49], vcc
	s_xor_b64 s[48:49], exec, s[48:49]
	s_cbranch_execz .LBB142_2200
; %bb.1084:
	v_bfe_u32 v3, v2, 21, 1
	s_mov_b32 s53, 0x88fffff
	v_add3_u32 v3, v2, v3, s53
	s_mov_b64 s[46:47], exec
	v_lshrrev_b32_e32 v3, 21, v3
	s_andn2_saveexec_b64 s[48:49], s[48:49]
	s_cbranch_execnz .LBB142_2201
.LBB142_1085:
	s_or_b64 exec, exec, s[48:49]
	v_mov_b32_e32 v6, 0
	s_and_saveexec_b64 s[48:49], s[46:47]
.LBB142_1086:
	v_lshrrev_b32_e32 v2, 24, v2
	s_movk_i32 s46, 0x80
	v_and_or_b32 v6, v2, s46, v3
.LBB142_1087:
	s_or_b64 exec, exec, s[48:49]
.LBB142_1088:
	s_or_b64 exec, exec, s[44:45]
	s_mov_b64 s[44:45], 0
	global_store_byte v[4:5], v6, off
.LBB142_1089:
	s_and_b64 vcc, exec, s[44:45]
	s_cbranch_vccz .LBB142_1099
; %bb.1090:
	v_cvt_f32_f64_e32 v2, v[0:1]
	s_mov_b32 s44, 0x43f00000
                                        ; implicit-def: $vgpr3
	v_and_b32_e32 v6, 0x7fffffff, v2
	v_cmp_gt_u32_e32 vcc, s44, v6
	s_and_saveexec_b64 s[44:45], vcc
	s_xor_b64 s[44:45], exec, s[44:45]
	s_cbranch_execz .LBB142_1096
; %bb.1091:
	s_mov_b32 s46, 0x3c7fffff
	v_cmp_lt_u32_e32 vcc, s46, v6
                                        ; implicit-def: $vgpr3
	s_and_saveexec_b64 s[46:47], vcc
	s_xor_b64 s[46:47], exec, s[46:47]
; %bb.1092:
	v_bfe_u32 v3, v2, 20, 1
	s_mov_b32 s48, 0x407ffff
	v_add3_u32 v3, v2, v3, s48
	v_lshrrev_b32_e32 v6, 20, v3
	v_and_b32_e32 v3, 0xff00000, v3
	s_mov_b32 s48, 0x7f00000
	v_mov_b32_e32 v7, 0x7e
	v_cmp_ne_u32_e32 vcc, s48, v3
	v_cndmask_b32_e32 v3, v7, v6, vcc
; %bb.1093:
	s_andn2_saveexec_b64 s[46:47], s[46:47]
; %bb.1094:
	s_mov_b32 s48, 0x46800000
	v_add_f32_e64 v3, |v2|, s48
; %bb.1095:
	s_or_b64 exec, exec, s[46:47]
                                        ; implicit-def: $vgpr6
.LBB142_1096:
	s_andn2_saveexec_b64 s[44:45], s[44:45]
; %bb.1097:
	s_mov_b32 s46, 0x7f800000
	v_mov_b32_e32 v3, 0x7e
	v_mov_b32_e32 v7, 0x7f
	v_cmp_lt_u32_e32 vcc, s46, v6
	v_cndmask_b32_e32 v3, v3, v7, vcc
; %bb.1098:
	s_or_b64 exec, exec, s[44:45]
	v_lshrrev_b32_e32 v2, 24, v2
	s_movk_i32 s44, 0x80
	v_and_or_b32 v2, v2, s44, v3
	global_store_byte v[4:5], v2, off
.LBB142_1099:
	s_mov_b64 s[44:45], 0
.LBB142_1100:
	s_andn2_b64 vcc, exec, s[44:45]
	s_cbranch_vccnz .LBB142_1110
; %bb.1101:
	v_cvt_f32_f64_e32 v2, v[0:1]
	s_mov_b32 s44, 0x47800000
                                        ; implicit-def: $vgpr3
	v_and_b32_e32 v6, 0x7fffffff, v2
	v_cmp_gt_u32_e32 vcc, s44, v6
	s_and_saveexec_b64 s[44:45], vcc
	s_xor_b64 s[44:45], exec, s[44:45]
	s_cbranch_execz .LBB142_1107
; %bb.1102:
	s_mov_b32 s46, 0x387fffff
	v_cmp_lt_u32_e32 vcc, s46, v6
                                        ; implicit-def: $vgpr3
	s_and_saveexec_b64 s[46:47], vcc
	s_xor_b64 s[46:47], exec, s[46:47]
; %bb.1103:
	v_bfe_u32 v3, v2, 21, 1
	s_mov_b32 s48, 0x80fffff
	v_add3_u32 v3, v2, v3, s48
	v_lshrrev_b32_e32 v3, 21, v3
; %bb.1104:
	s_andn2_saveexec_b64 s[46:47], s[46:47]
; %bb.1105:
	s_mov_b32 s48, 0x43000000
	v_add_f32_e64 v3, |v2|, s48
; %bb.1106:
	s_or_b64 exec, exec, s[46:47]
                                        ; implicit-def: $vgpr6
.LBB142_1107:
	s_andn2_saveexec_b64 s[44:45], s[44:45]
; %bb.1108:
	s_mov_b32 s46, 0x7f800000
	v_mov_b32_e32 v3, 0x7c
	v_mov_b32_e32 v7, 0x7f
	v_cmp_lt_u32_e32 vcc, s46, v6
	v_cndmask_b32_e32 v3, v3, v7, vcc
; %bb.1109:
	s_or_b64 exec, exec, s[44:45]
	v_lshrrev_b32_e32 v2, 24, v2
	s_movk_i32 s44, 0x80
	v_and_or_b32 v2, v2, s44, v3
	global_store_byte v[4:5], v2, off
.LBB142_1110:
	s_mov_b64 s[46:47], 0
	s_mov_b64 s[44:45], -1
.LBB142_1111:
	s_andn2_b64 vcc, exec, s[46:47]
	s_cbranch_vccnz .LBB142_1119
; %bb.1112:
	s_cmp_gt_i32 s51, 14
	s_mov_b64 s[46:47], -1
	s_cbranch_scc0 .LBB142_1116
; %bb.1113:
	s_cmp_eq_u32 s51, 15
	s_mov_b64 s[0:1], -1
	s_cbranch_scc0 .LBB142_1115
; %bb.1114:
	v_cvt_f32_f64_e32 v2, v[0:1]
	s_movk_i32 s0, 0x7fff
	v_mov_b32_e32 v3, 0x7fc0
	s_mov_b64 s[44:45], -1
	v_bfe_u32 v6, v2, 16, 1
	v_cmp_o_f32_e32 vcc, v2, v2
	v_add3_u32 v2, v2, v6, s0
	v_cndmask_b32_sdwa v2, v3, v2, vcc dst_sel:DWORD dst_unused:UNUSED_PAD src0_sel:DWORD src1_sel:WORD_1
	global_store_short v[4:5], v2, off
	s_mov_b64 s[0:1], 0
.LBB142_1115:
	s_mov_b64 s[46:47], 0
.LBB142_1116:
	s_and_b64 vcc, exec, s[46:47]
	s_cbranch_vccz .LBB142_1119
; %bb.1117:
	s_cmp_eq_u32 s51, 11
	s_mov_b64 s[0:1], -1
	s_cbranch_scc0 .LBB142_1119
; %bb.1118:
	v_cmp_neq_f64_e32 vcc, 0, v[0:1]
	s_mov_b64 s[0:1], 0
	s_mov_b64 s[44:45], -1
	v_cndmask_b32_e64 v2, 0, 1, vcc
	global_store_byte v[4:5], v2, off
.LBB142_1119:
	s_mov_b64 s[46:47], 0
.LBB142_1120:
	s_and_b64 vcc, exec, s[46:47]
	s_cbranch_vccz .LBB142_1159
; %bb.1121:
	s_and_b32 s46, 0xffff, s50
	s_cmp_lt_i32 s46, 5
	s_mov_b64 s[44:45], -1
	s_cbranch_scc1 .LBB142_1142
; %bb.1122:
	s_cmp_lt_i32 s46, 8
	s_cbranch_scc1 .LBB142_1132
; %bb.1123:
	s_cmp_lt_i32 s46, 9
	s_cbranch_scc1 .LBB142_1129
; %bb.1124:
	s_cmp_gt_i32 s46, 9
	s_cbranch_scc0 .LBB142_1126
; %bb.1125:
	v_mov_b32_e32 v2, 0
	v_mov_b32_e32 v3, v2
	s_mov_b64 s[44:45], 0
	global_store_dwordx4 v[4:5], v[0:3], off
.LBB142_1126:
	s_andn2_b64 vcc, exec, s[44:45]
	s_cbranch_vccnz .LBB142_1128
; %bb.1127:
	v_cvt_f32_f64_e32 v2, v[0:1]
	v_mov_b32_e32 v3, 0
	global_store_dwordx2 v[4:5], v[2:3], off
.LBB142_1128:
	s_mov_b64 s[44:45], 0
.LBB142_1129:
	s_andn2_b64 vcc, exec, s[44:45]
	s_cbranch_vccnz .LBB142_1131
; %bb.1130:
	s_movk_i32 s44, 0x1ff
	v_and_or_b32 v2, v1, s44, v0
	v_cmp_ne_u32_e32 vcc, 0, v2
	v_cndmask_b32_e64 v2, 0, 1, vcc
	v_lshrrev_b32_e32 v3, 8, v1
	s_movk_i32 s44, 0xffe
	v_bfe_u32 v6, v1, 20, 11
	v_and_or_b32 v2, v3, s44, v2
	v_sub_u32_e32 v7, 0x3f1, v6
	v_or_b32_e32 v3, 0x1000, v2
	v_med3_i32 v7, v7, 0, 13
	v_lshrrev_b32_e32 v8, v7, v3
	v_lshlrev_b32_e32 v7, v7, v8
	v_cmp_ne_u32_e32 vcc, v7, v3
	v_cndmask_b32_e64 v3, 0, 1, vcc
	v_add_u32_e32 v6, 0xfffffc10, v6
	v_or_b32_e32 v3, v8, v3
	v_lshl_or_b32 v7, v6, 12, v2
	v_cmp_gt_i32_e32 vcc, 1, v6
	v_cndmask_b32_e32 v3, v7, v3, vcc
	v_and_b32_e32 v7, 7, v3
	v_cmp_lt_i32_e32 vcc, 5, v7
	v_cndmask_b32_e64 v8, 0, 1, vcc
	v_cmp_eq_u32_e32 vcc, 3, v7
	v_cndmask_b32_e64 v7, 0, 1, vcc
	v_or_b32_e32 v7, v7, v8
	v_lshrrev_b32_e32 v3, 2, v3
	v_add_u32_e32 v3, v3, v7
	v_mov_b32_e32 v7, 0x7c00
	v_cmp_gt_i32_e32 vcc, 31, v6
	v_cndmask_b32_e32 v3, v7, v3, vcc
	v_mov_b32_e32 v8, 0x7e00
	v_cmp_ne_u32_e32 vcc, 0, v2
	s_movk_i32 s44, 0x40f
	v_cndmask_b32_e32 v2, v7, v8, vcc
	v_cmp_eq_u32_e32 vcc, s44, v6
	v_cndmask_b32_e32 v2, v3, v2, vcc
	v_lshrrev_b32_e32 v3, 16, v1
	s_mov_b32 s44, 0x8000
	v_and_or_b32 v2, v3, s44, v2
	v_and_b32_e32 v2, 0xffff, v2
	global_store_dword v[4:5], v2, off
.LBB142_1131:
	s_mov_b64 s[44:45], 0
.LBB142_1132:
	s_andn2_b64 vcc, exec, s[44:45]
	s_cbranch_vccnz .LBB142_1141
; %bb.1133:
	s_cmp_lt_i32 s46, 6
	s_mov_b64 s[44:45], -1
	s_cbranch_scc1 .LBB142_1139
; %bb.1134:
	s_cmp_gt_i32 s46, 6
	s_cbranch_scc0 .LBB142_1136
; %bb.1135:
	s_mov_b64 s[44:45], 0
	global_store_dwordx2 v[4:5], v[0:1], off
.LBB142_1136:
	s_andn2_b64 vcc, exec, s[44:45]
	s_cbranch_vccnz .LBB142_1138
; %bb.1137:
	v_cvt_f32_f64_e32 v2, v[0:1]
	global_store_dword v[4:5], v2, off
.LBB142_1138:
	s_mov_b64 s[44:45], 0
.LBB142_1139:
	s_andn2_b64 vcc, exec, s[44:45]
	s_cbranch_vccnz .LBB142_1141
; %bb.1140:
	s_movk_i32 s44, 0x1ff
	v_and_or_b32 v2, v1, s44, v0
	v_cmp_ne_u32_e32 vcc, 0, v2
	v_cndmask_b32_e64 v2, 0, 1, vcc
	v_lshrrev_b32_e32 v3, 8, v1
	s_movk_i32 s44, 0xffe
	v_bfe_u32 v6, v1, 20, 11
	v_and_or_b32 v2, v3, s44, v2
	v_sub_u32_e32 v7, 0x3f1, v6
	v_or_b32_e32 v3, 0x1000, v2
	v_med3_i32 v7, v7, 0, 13
	v_lshrrev_b32_e32 v8, v7, v3
	v_lshlrev_b32_e32 v7, v7, v8
	v_cmp_ne_u32_e32 vcc, v7, v3
	v_cndmask_b32_e64 v3, 0, 1, vcc
	v_add_u32_e32 v6, 0xfffffc10, v6
	v_or_b32_e32 v3, v8, v3
	v_lshl_or_b32 v7, v6, 12, v2
	v_cmp_gt_i32_e32 vcc, 1, v6
	v_cndmask_b32_e32 v3, v7, v3, vcc
	v_and_b32_e32 v7, 7, v3
	v_cmp_lt_i32_e32 vcc, 5, v7
	v_cndmask_b32_e64 v8, 0, 1, vcc
	v_cmp_eq_u32_e32 vcc, 3, v7
	v_cndmask_b32_e64 v7, 0, 1, vcc
	v_or_b32_e32 v7, v7, v8
	v_lshrrev_b32_e32 v3, 2, v3
	v_add_u32_e32 v3, v3, v7
	v_mov_b32_e32 v7, 0x7c00
	v_cmp_gt_i32_e32 vcc, 31, v6
	v_cndmask_b32_e32 v3, v7, v3, vcc
	v_mov_b32_e32 v8, 0x7e00
	v_cmp_ne_u32_e32 vcc, 0, v2
	s_movk_i32 s44, 0x40f
	v_cndmask_b32_e32 v2, v7, v8, vcc
	v_cmp_eq_u32_e32 vcc, s44, v6
	v_cndmask_b32_e32 v2, v3, v2, vcc
	v_lshrrev_b32_e32 v3, 16, v1
	s_mov_b32 s44, 0x8000
	v_and_or_b32 v2, v3, s44, v2
	global_store_short v[4:5], v2, off
.LBB142_1141:
	s_mov_b64 s[44:45], 0
.LBB142_1142:
	s_andn2_b64 vcc, exec, s[44:45]
	s_cbranch_vccnz .LBB142_1158
; %bb.1143:
	s_cmp_lt_i32 s46, 2
	s_mov_b64 s[44:45], -1
	s_cbranch_scc1 .LBB142_1153
; %bb.1144:
	s_cmp_lt_i32 s46, 3
	s_cbranch_scc1 .LBB142_1150
; %bb.1145:
	s_cmp_gt_i32 s46, 3
	s_cbranch_scc0 .LBB142_1147
; %bb.1146:
	v_trunc_f64_e32 v[2:3], v[0:1]
	s_movk_i32 s44, 0xffe0
	v_ldexp_f64 v[6:7], v[2:3], s44
	s_mov_b32 s44, 0
	s_mov_b32 s45, 0xc1f00000
	v_floor_f64_e32 v[6:7], v[6:7]
	v_fma_f64 v[2:3], v[6:7], s[44:45], v[2:3]
	v_cvt_i32_f64_e32 v7, v[6:7]
	s_mov_b64 s[44:45], 0
	v_cvt_u32_f64_e32 v6, v[2:3]
	global_store_dwordx2 v[4:5], v[6:7], off
.LBB142_1147:
	s_andn2_b64 vcc, exec, s[44:45]
	s_cbranch_vccnz .LBB142_1149
; %bb.1148:
	v_cvt_i32_f64_e32 v2, v[0:1]
	global_store_dword v[4:5], v2, off
.LBB142_1149:
	s_mov_b64 s[44:45], 0
.LBB142_1150:
	s_andn2_b64 vcc, exec, s[44:45]
	s_cbranch_vccnz .LBB142_1152
; %bb.1151:
	v_cvt_i32_f64_e32 v2, v[0:1]
	global_store_short v[4:5], v2, off
.LBB142_1152:
	s_mov_b64 s[44:45], 0
.LBB142_1153:
	s_andn2_b64 vcc, exec, s[44:45]
	s_cbranch_vccnz .LBB142_1158
; %bb.1154:
	s_cmp_gt_i32 s46, 0
	s_mov_b64 s[44:45], -1
	s_cbranch_scc0 .LBB142_1156
; %bb.1155:
	v_cvt_i32_f64_e32 v2, v[0:1]
	s_mov_b64 s[44:45], 0
	global_store_byte v[4:5], v2, off
.LBB142_1156:
	s_andn2_b64 vcc, exec, s[44:45]
	s_cbranch_vccnz .LBB142_1158
; %bb.1157:
	v_trunc_f64_e32 v[0:1], v[0:1]
	s_movk_i32 s44, 0xffe0
	v_ldexp_f64 v[2:3], v[0:1], s44
	s_mov_b32 s44, 0
	s_mov_b32 s45, 0xc1f00000
	v_floor_f64_e32 v[2:3], v[2:3]
	v_fma_f64 v[0:1], v[2:3], s[44:45], v[0:1]
	v_cvt_u32_f64_e32 v0, v[0:1]
	global_store_byte v[4:5], v0, off
.LBB142_1158:
	s_mov_b64 s[44:45], -1
.LBB142_1159:
	s_andn2_b64 vcc, exec, s[44:45]
	s_cbranch_vccnz .LBB142_1172
; %bb.1160:
	v_add_u32_e32 v18, 0x80, v18
	s_mov_b64 s[46:47], -1
.LBB142_1161:
	s_andn2_b64 s[44:45], s[34:35], exec
	s_and_b64 s[0:1], s[0:1], exec
	s_or_b64 s[44:45], s[44:45], s[0:1]
	s_andn2_b64 s[0:1], s[30:31], exec
	s_and_b64 s[42:43], s[42:43], exec
	s_or_b64 s[42:43], s[0:1], s[42:43]
	;; [unrolled: 3-line block ×3, first 2 shown]
	s_orn2_b64 s[50:51], s[46:47], exec
.LBB142_1162:
	s_or_b64 exec, exec, s[38:39]
	s_mov_b64 s[46:47], 0
	s_mov_b64 s[40:41], 0
	;; [unrolled: 1-line block ×3, first 2 shown]
                                        ; implicit-def: $sgpr59
                                        ; implicit-def: $vgpr0_vgpr1
                                        ; implicit-def: $vgpr2_vgpr3
	s_and_saveexec_b64 s[38:39], s[50:51]
	s_cbranch_execz .LBB142_1246
; %bb.1163:
	v_cmp_gt_i32_e32 vcc, s52, v18
	s_mov_b64 s[50:51], 0
	s_mov_b64 s[52:53], s[0:1]
	;; [unrolled: 1-line block ×4, first 2 shown]
                                        ; implicit-def: $sgpr59
                                        ; implicit-def: $vgpr0_vgpr1
                                        ; implicit-def: $vgpr2_vgpr3
	s_and_saveexec_b64 s[40:41], vcc
	s_cbranch_execz .LBB142_1245
; %bb.1164:
	s_waitcnt vmcnt(0)
	v_mul_lo_u32 v0, v18, s9
	v_mov_b32_e32 v1, s19
	s_and_b32 s59, s58, 0xff
	s_cmp_lt_i32 s59, 11
	v_ashrrev_i32_e32 v2, 31, v0
	v_add_co_u32_e32 v0, vcc, s18, v0
	v_addc_co_u32_e32 v1, vcc, v1, v2, vcc
	s_cbranch_scc1 .LBB142_1171
; %bb.1165:
	s_and_b32 s56, 0xffff, s59
	s_cmp_gt_i32 s56, 25
	s_cbranch_scc0 .LBB142_1173
; %bb.1166:
	s_cmp_gt_i32 s56, 28
	s_cbranch_scc0 .LBB142_1174
; %bb.1167:
	;; [unrolled: 3-line block ×4, first 2 shown]
	s_cmp_eq_u32 s56, 46
	s_mov_b64 s[52:53], 0
	s_cbranch_scc0 .LBB142_1179
; %bb.1170:
	global_load_dword v2, v[0:1], off
	s_mov_b64 s[50:51], -1
	s_waitcnt vmcnt(0)
	v_lshlrev_b32_e32 v2, 16, v2
	v_cvt_f64_f32_e32 v[2:3], v2
	s_branch .LBB142_1181
.LBB142_1171:
	s_mov_b64 s[52:53], -1
                                        ; implicit-def: $vgpr2_vgpr3
	s_mov_b64 s[46:47], s[0:1]
	s_branch .LBB142_1244
.LBB142_1172:
	s_mov_b64 s[46:47], 0
	s_branch .LBB142_914
.LBB142_1173:
	s_mov_b64 s[52:53], -1
	s_mov_b64 s[46:47], s[0:1]
                                        ; implicit-def: $vgpr2_vgpr3
	s_branch .LBB142_1212
.LBB142_1174:
	s_mov_b64 s[52:53], -1
	s_mov_b64 s[46:47], s[0:1]
                                        ; implicit-def: $vgpr2_vgpr3
	s_branch .LBB142_1191
.LBB142_1175:
	s_mov_b64 s[52:53], -1
	s_mov_b64 s[46:47], s[0:1]
                                        ; implicit-def: $vgpr2_vgpr3
	s_branch .LBB142_1186
.LBB142_1176:
	s_mov_b64 s[52:53], -1
	s_mov_b64 s[46:47], s[0:1]
	s_branch .LBB142_1180
.LBB142_1177:
	s_andn2_saveexec_b64 s[48:49], s[48:49]
	s_cbranch_execz .LBB142_1072
.LBB142_1178:
	s_mov_b32 s53, 0x46000000
	v_add_f32_e64 v3, |v2|, s53
	v_and_b32_e32 v3, 0xff, v3
	v_cmp_ne_u32_e32 vcc, 0, v3
	s_andn2_b64 s[46:47], s[46:47], exec
	s_and_b64 s[54:55], vcc, exec
	s_or_b64 s[46:47], s[46:47], s[54:55]
	s_or_b64 exec, exec, s[48:49]
	v_mov_b32_e32 v6, 0
	s_and_saveexec_b64 s[48:49], s[46:47]
	s_cbranch_execnz .LBB142_1073
	s_branch .LBB142_1074
.LBB142_1179:
	s_mov_b64 s[46:47], -1
.LBB142_1180:
                                        ; implicit-def: $vgpr2_vgpr3
.LBB142_1181:
	s_and_b64 vcc, exec, s[52:53]
	s_cbranch_vccz .LBB142_1185
; %bb.1182:
	s_cmp_eq_u32 s56, 44
	s_cbranch_scc0 .LBB142_1184
; %bb.1183:
	global_load_ubyte v4, v[0:1], off
	s_movk_i32 s50, 0xff
	v_bfrev_b32_e32 v5, 4
	v_mov_b32_e32 v6, 0x7ff80000
	v_bfrev_b32_e32 v7, 28
	s_mov_b64 s[46:47], 0
	s_waitcnt vmcnt(0)
	v_lshlrev_b32_e32 v2, 23, v4
	v_cvt_f64_f32_e32 v[2:3], v2
	v_cmp_ne_u32_e32 vcc, s50, v4
	s_mov_b64 s[50:51], -1
	v_cndmask_b32_e32 v2, v5, v2, vcc
	v_cndmask_b32_e32 v3, v6, v3, vcc
	v_cmp_ne_u32_e32 vcc, 0, v4
	v_cndmask_b32_e32 v3, v7, v3, vcc
	v_cndmask_b32_e32 v2, 0, v2, vcc
	s_branch .LBB142_1185
.LBB142_1184:
	s_mov_b64 s[46:47], -1
                                        ; implicit-def: $vgpr2_vgpr3
.LBB142_1185:
	s_mov_b64 s[52:53], 0
.LBB142_1186:
	s_and_b64 vcc, exec, s[52:53]
	s_cbranch_vccz .LBB142_1190
; %bb.1187:
	s_cmp_eq_u32 s56, 29
	s_cbranch_scc0 .LBB142_1189
; %bb.1188:
	global_load_dwordx2 v[2:3], v[0:1], off
	s_mov_b64 s[46:47], 0
	s_mov_b64 s[50:51], -1
	s_mov_b64 s[52:53], 0
	s_waitcnt vmcnt(0)
	v_cvt_f64_u32_e32 v[3:4], v3
	v_cvt_f64_u32_e32 v[5:6], v2
	v_ldexp_f64 v[3:4], v[3:4], 32
	v_add_f64 v[2:3], v[3:4], v[5:6]
	s_branch .LBB142_1191
.LBB142_1189:
	s_mov_b64 s[46:47], -1
                                        ; implicit-def: $vgpr2_vgpr3
.LBB142_1190:
	s_mov_b64 s[52:53], 0
.LBB142_1191:
	s_and_b64 vcc, exec, s[52:53]
	s_cbranch_vccz .LBB142_1211
; %bb.1192:
	s_cmp_lt_i32 s56, 27
	s_cbranch_scc1 .LBB142_1195
; %bb.1193:
	s_cmp_gt_i32 s56, 27
	s_cbranch_scc0 .LBB142_1196
; %bb.1194:
	global_load_dword v2, v[0:1], off
	s_mov_b64 s[50:51], 0
	s_waitcnt vmcnt(0)
	v_cvt_f64_u32_e32 v[2:3], v2
	s_branch .LBB142_1197
.LBB142_1195:
	s_mov_b64 s[50:51], -1
                                        ; implicit-def: $vgpr2_vgpr3
	s_branch .LBB142_1200
.LBB142_1196:
	s_mov_b64 s[50:51], -1
                                        ; implicit-def: $vgpr2_vgpr3
.LBB142_1197:
	s_andn2_b64 vcc, exec, s[50:51]
	s_cbranch_vccnz .LBB142_1199
; %bb.1198:
	global_load_ushort v2, v[0:1], off
	s_waitcnt vmcnt(0)
	v_cvt_f64_u32_e32 v[2:3], v2
.LBB142_1199:
	s_mov_b64 s[50:51], 0
.LBB142_1200:
	s_andn2_b64 vcc, exec, s[50:51]
	s_cbranch_vccnz .LBB142_1210
; %bb.1201:
	global_load_ubyte v4, v[0:1], off
	s_movk_i32 s50, 0x7f
	s_waitcnt vmcnt(0)
	v_cmp_lt_i16_e32 vcc, s50, v4
	s_mov_b64 s[50:51], 0
	s_and_saveexec_b64 s[52:53], vcc
	s_xor_b64 s[52:53], exec, s[52:53]
	s_cbranch_execz .LBB142_1205
; %bb.1202:
	s_movk_i32 s50, 0x80
	v_cmp_eq_u16_e32 vcc, s50, v4
	s_mov_b64 s[50:51], -1
	s_and_saveexec_b64 s[54:55], vcc
; %bb.1203:
	s_xor_b64 s[50:51], exec, -1
; %bb.1204:
	s_or_b64 exec, exec, s[54:55]
	s_and_b64 s[50:51], s[50:51], exec
.LBB142_1205:
	s_or_saveexec_b64 s[52:53], s[52:53]
	v_bfrev_b32_e32 v2, 4
	v_mov_b32_e32 v3, 0x7ff80000
	s_xor_b64 exec, exec, s[52:53]
; %bb.1206:
	v_cmp_ne_u16_e32 vcc, 0, v4
	v_mov_b32_e32 v2, 0
	s_andn2_b64 s[50:51], s[50:51], exec
	s_and_b64 s[54:55], vcc, exec
	v_mov_b32_e32 v3, 0
	s_or_b64 s[50:51], s[50:51], s[54:55]
; %bb.1207:
	s_or_b64 exec, exec, s[52:53]
	s_and_saveexec_b64 s[52:53], s[50:51]
	s_cbranch_execz .LBB142_1209
; %bb.1208:
	v_and_b32_e32 v3, 0xffff, v4
	v_lshlrev_b32_e32 v2, 24, v4
	v_and_b32_e32 v4, 7, v3
	v_ffbh_u32_e32 v6, v4
	v_min_u32_e32 v6, 32, v6
	v_subrev_u32_e32 v7, 28, v6
	v_bfe_u32 v5, v3, 3, 4
	v_lshlrev_b32_e32 v3, v7, v3
	v_sub_u32_e32 v6, 29, v6
	v_and_b32_e32 v3, 7, v3
	v_cmp_eq_u32_e32 vcc, 0, v5
	v_cndmask_b32_e32 v5, v5, v6, vcc
	v_cndmask_b32_e32 v3, v4, v3, vcc
	v_mov_b32_e32 v4, 0x3b800000
	v_lshlrev_b32_e32 v3, 20, v3
	v_and_b32_e32 v2, 0x80000000, v2
	v_lshl_add_u32 v4, v5, 23, v4
	v_or3_b32 v2, v2, v4, v3
	v_cvt_f64_f32_e32 v[2:3], v2
.LBB142_1209:
	s_or_b64 exec, exec, s[52:53]
.LBB142_1210:
	s_mov_b64 s[50:51], -1
.LBB142_1211:
	s_mov_b64 s[52:53], 0
.LBB142_1212:
	s_and_b64 vcc, exec, s[52:53]
	s_cbranch_vccz .LBB142_1243
; %bb.1213:
	s_cmp_gt_i32 s56, 22
	s_cbranch_scc0 .LBB142_1225
; %bb.1214:
	s_cmp_lt_i32 s56, 24
	s_cbranch_scc1 .LBB142_1226
; %bb.1215:
	s_cmp_gt_i32 s56, 24
	s_cbranch_scc0 .LBB142_1227
; %bb.1216:
	global_load_ubyte v4, v[0:1], off
	s_movk_i32 s48, 0x7f
	s_waitcnt vmcnt(0)
	v_cmp_lt_i16_e32 vcc, s48, v4
	s_mov_b64 s[48:49], 0
	s_and_saveexec_b64 s[50:51], vcc
	s_xor_b64 s[50:51], exec, s[50:51]
	s_cbranch_execz .LBB142_1220
; %bb.1217:
	s_movk_i32 s48, 0x80
	v_cmp_eq_u16_e32 vcc, s48, v4
	s_mov_b64 s[48:49], -1
	s_and_saveexec_b64 s[52:53], vcc
; %bb.1218:
	s_xor_b64 s[48:49], exec, -1
; %bb.1219:
	s_or_b64 exec, exec, s[52:53]
	s_and_b64 s[48:49], s[48:49], exec
.LBB142_1220:
	s_or_saveexec_b64 s[50:51], s[50:51]
	v_bfrev_b32_e32 v2, 4
	v_mov_b32_e32 v3, 0x7ff80000
	s_xor_b64 exec, exec, s[50:51]
; %bb.1221:
	v_cmp_ne_u16_e32 vcc, 0, v4
	v_mov_b32_e32 v2, 0
	s_andn2_b64 s[48:49], s[48:49], exec
	s_and_b64 s[52:53], vcc, exec
	v_mov_b32_e32 v3, 0
	s_or_b64 s[48:49], s[48:49], s[52:53]
; %bb.1222:
	s_or_b64 exec, exec, s[50:51]
	s_and_saveexec_b64 s[50:51], s[48:49]
	s_cbranch_execz .LBB142_1224
; %bb.1223:
	v_and_b32_e32 v3, 0xffff, v4
	v_lshlrev_b32_e32 v2, 24, v4
	v_and_b32_e32 v4, 3, v3
	v_ffbh_u32_e32 v6, v4
	v_min_u32_e32 v6, 32, v6
	v_subrev_u32_e32 v7, 29, v6
	v_bfe_u32 v5, v3, 2, 5
	v_lshlrev_b32_e32 v3, v7, v3
	v_sub_u32_e32 v6, 30, v6
	v_and_b32_e32 v3, 3, v3
	v_cmp_eq_u32_e32 vcc, 0, v5
	v_cndmask_b32_e32 v5, v5, v6, vcc
	v_cndmask_b32_e32 v3, v4, v3, vcc
	v_mov_b32_e32 v4, 0x37800000
	v_lshlrev_b32_e32 v3, 21, v3
	v_and_b32_e32 v2, 0x80000000, v2
	v_lshl_add_u32 v4, v5, 23, v4
	v_or3_b32 v2, v2, v4, v3
	v_cvt_f64_f32_e32 v[2:3], v2
.LBB142_1224:
	s_or_b64 exec, exec, s[50:51]
	s_mov_b64 s[48:49], 0
	s_branch .LBB142_1228
.LBB142_1225:
	s_mov_b64 s[48:49], -1
                                        ; implicit-def: $vgpr2_vgpr3
	s_branch .LBB142_1234
.LBB142_1226:
	s_mov_b64 s[48:49], -1
                                        ; implicit-def: $vgpr2_vgpr3
	s_branch .LBB142_1231
.LBB142_1227:
	s_mov_b64 s[48:49], -1
                                        ; implicit-def: $vgpr2_vgpr3
.LBB142_1228:
	s_and_b64 vcc, exec, s[48:49]
	s_cbranch_vccz .LBB142_1230
; %bb.1229:
	global_load_ubyte v2, v[0:1], off
	s_mov_b32 s48, 0x7f800000
	s_waitcnt vmcnt(0)
	v_lshlrev_b32_e32 v2, 24, v2
	v_and_b32_e32 v3, 0x7f000000, v2
	v_ffbh_u32_e32 v4, v3
	v_min_u32_e32 v4, 32, v4
	v_sub_u32_e64 v4, v4, 4 clamp
	v_lshlrev_b32_e32 v6, v4, v3
	v_lshlrev_b32_e32 v4, 23, v4
	v_lshrrev_b32_e32 v6, 4, v6
	v_add_u32_e32 v5, 0x1000000, v3
	v_sub_u32_e32 v4, v6, v4
	v_ashrrev_i32_e32 v5, 8, v5
	v_add_u32_e32 v4, 0x3c000000, v4
	v_and_or_b32 v4, v5, s48, v4
	v_cmp_ne_u32_e32 vcc, 0, v3
	v_cndmask_b32_e32 v3, 0, v4, vcc
	s_brev_b32 s48, 1
	v_and_or_b32 v2, v2, s48, v3
	v_cvt_f64_f32_e32 v[2:3], v2
.LBB142_1230:
	s_mov_b64 s[48:49], 0
.LBB142_1231:
	s_andn2_b64 vcc, exec, s[48:49]
	s_cbranch_vccnz .LBB142_1233
; %bb.1232:
	global_load_ubyte v2, v[0:1], off
	s_movk_i32 s48, 0x7f00
	s_brev_b32 s49, 16
	s_waitcnt vmcnt(0)
	v_lshlrev_b16_e32 v3, 8, v2
	v_lshlrev_b32_e32 v2, 25, v2
	v_lshrrev_b32_e32 v4, 4, v2
	v_and_or_b32 v5, v3, s48, 0.5
	v_or_b32_e32 v4, 0x70000000, v4
	v_add_f32_e32 v5, -0.5, v5
	v_mul_f32_e32 v4, 0x7800000, v4
	v_cmp_gt_u32_e32 vcc, s49, v2
	v_bfe_i32 v3, v3, 0, 16
	v_cndmask_b32_e32 v2, v4, v5, vcc
	s_brev_b32 s48, 1
	v_and_or_b32 v2, v3, s48, v2
	v_cvt_f64_f32_e32 v[2:3], v2
.LBB142_1233:
	s_mov_b64 s[48:49], 0
	s_mov_b64 s[50:51], -1
.LBB142_1234:
	s_andn2_b64 vcc, exec, s[48:49]
	s_mov_b64 s[48:49], 0
	s_cbranch_vccnz .LBB142_1243
; %bb.1235:
	s_cmp_gt_i32 s56, 14
	s_cbranch_scc0 .LBB142_1238
; %bb.1236:
	s_cmp_eq_u32 s56, 15
	s_cbranch_scc0 .LBB142_1239
; %bb.1237:
	global_load_ushort v2, v[0:1], off
	s_mov_b64 s[46:47], 0
	s_mov_b64 s[50:51], -1
	s_waitcnt vmcnt(0)
	v_lshlrev_b32_e32 v2, 16, v2
	v_cvt_f64_f32_e32 v[2:3], v2
	s_branch .LBB142_1240
.LBB142_1238:
	s_mov_b64 s[52:53], -1
                                        ; implicit-def: $vgpr2_vgpr3
	s_branch .LBB142_1241
.LBB142_1239:
	s_mov_b64 s[46:47], -1
                                        ; implicit-def: $vgpr2_vgpr3
.LBB142_1240:
	s_mov_b64 s[52:53], 0
.LBB142_1241:
	s_and_b64 vcc, exec, s[52:53]
	s_cbranch_vccz .LBB142_1243
; %bb.1242:
	s_cmp_lg_u32 s56, 11
	s_cselect_b64 s[52:53], -1, 0
	s_andn2_b64 s[46:47], s[46:47], exec
	s_and_b64 s[52:53], s[52:53], exec
	s_mov_b64 s[48:49], -1
	s_or_b64 s[46:47], s[46:47], s[52:53]
.LBB142_1243:
	s_mov_b64 s[52:53], 0
.LBB142_1244:
	s_and_b64 s[56:57], s[50:51], exec
	s_and_b64 s[50:51], s[48:49], exec
	s_andn2_b64 s[48:49], s[0:1], exec
	s_and_b64 s[46:47], s[46:47], exec
	s_and_b64 s[54:55], s[52:53], exec
	s_or_b64 s[52:53], s[48:49], s[46:47]
.LBB142_1245:
	s_or_b64 exec, exec, s[40:41]
	s_and_b64 s[46:47], s[50:51], exec
	s_andn2_b64 s[0:1], s[0:1], exec
	s_and_b64 s[50:51], s[52:53], exec
	s_and_b64 s[48:49], s[56:57], exec
	;; [unrolled: 1-line block ×3, first 2 shown]
	s_or_b64 s[0:1], s[0:1], s[50:51]
.LBB142_1246:
	s_or_b64 exec, exec, s[38:39]
	s_andn2_b64 s[34:35], s[34:35], exec
	s_and_b64 s[38:39], s[44:45], exec
	s_or_b64 s[34:35], s[34:35], s[38:39]
	s_andn2_b64 s[30:31], s[30:31], exec
	s_and_b64 s[38:39], s[42:43], exec
	s_andn2_b64 s[28:29], s[28:29], exec
	s_and_b64 s[0:1], s[0:1], exec
	s_or_b64 s[30:31], s[30:31], s[38:39]
	s_and_b64 s[42:43], s[48:49], exec
	s_and_b64 s[40:41], s[40:41], exec
	;; [unrolled: 1-line block ×3, first 2 shown]
	s_or_b64 s[28:29], s[28:29], s[0:1]
.LBB142_1247:
	s_or_b64 exec, exec, s[36:37]
	s_andn2_b64 s[0:1], s[20:21], exec
	s_and_b64 s[20:21], s[34:35], exec
	s_or_b64 s[20:21], s[0:1], s[20:21]
	s_andn2_b64 s[0:1], s[22:23], exec
	s_and_b64 s[22:23], s[30:31], exec
	s_or_b64 s[22:23], s[0:1], s[22:23]
	s_andn2_b64 s[0:1], s[24:25], exec
	s_and_b64 s[24:25], s[28:29], exec
	s_and_b64 s[34:35], s[42:43], exec
	;; [unrolled: 1-line block ×4, first 2 shown]
	s_or_b64 s[24:25], s[0:1], s[24:25]
	s_or_b64 exec, exec, s[26:27]
	s_mov_b64 s[26:27], 0
	s_and_saveexec_b64 s[0:1], s[24:25]
	s_cbranch_execz .LBB142_393
.LBB142_1248:
	s_mov_b64 s[26:27], exec
	s_andn2_b64 s[30:31], s[30:31], exec
	s_trap 2
	s_or_b64 exec, exec, s[0:1]
	s_and_saveexec_b64 s[0:1], s[30:31]
	s_xor_b64 s[0:1], exec, s[0:1]
	s_cbranch_execnz .LBB142_394
.LBB142_1249:
	s_or_b64 exec, exec, s[0:1]
	s_and_saveexec_b64 s[0:1], s[36:37]
	s_cbranch_execz .LBB142_1295
.LBB142_1250:
	s_sext_i32_i16 s24, s59
	s_cmp_lt_i32 s24, 5
	s_cbranch_scc1 .LBB142_1255
; %bb.1251:
	s_cmp_lt_i32 s24, 8
	s_cbranch_scc1 .LBB142_1256
; %bb.1252:
	;; [unrolled: 3-line block ×3, first 2 shown]
	s_cmp_gt_i32 s24, 9
	s_cbranch_scc0 .LBB142_1258
; %bb.1254:
	s_waitcnt vmcnt(0)
	global_load_dwordx2 v[2:3], v[0:1], off
	s_mov_b64 s[24:25], 0
	s_branch .LBB142_1259
.LBB142_1255:
                                        ; implicit-def: $vgpr2_vgpr3
	s_branch .LBB142_1276
.LBB142_1256:
                                        ; implicit-def: $vgpr2_vgpr3
	s_branch .LBB142_1265
.LBB142_1257:
	s_mov_b64 s[24:25], -1
                                        ; implicit-def: $vgpr2_vgpr3
	s_branch .LBB142_1262
.LBB142_1258:
	s_mov_b64 s[24:25], -1
                                        ; implicit-def: $vgpr2_vgpr3
.LBB142_1259:
	s_andn2_b64 vcc, exec, s[24:25]
	s_cbranch_vccnz .LBB142_1261
; %bb.1260:
	s_waitcnt vmcnt(0)
	global_load_dword v2, v[0:1], off
	s_waitcnt vmcnt(0)
	v_cvt_f64_f32_e32 v[2:3], v2
.LBB142_1261:
	s_mov_b64 s[24:25], 0
.LBB142_1262:
	s_andn2_b64 vcc, exec, s[24:25]
	s_cbranch_vccnz .LBB142_1264
; %bb.1263:
	s_waitcnt vmcnt(0)
	global_load_dword v2, v[0:1], off
	s_waitcnt vmcnt(0)
	v_cvt_f32_f16_e32 v2, v2
	v_cvt_f64_f32_e32 v[2:3], v2
.LBB142_1264:
	s_cbranch_execnz .LBB142_1275
.LBB142_1265:
	s_sext_i32_i16 s24, s59
	s_cmp_lt_i32 s24, 6
	s_cbranch_scc1 .LBB142_1268
; %bb.1266:
	s_cmp_gt_i32 s24, 6
	s_cbranch_scc0 .LBB142_1269
; %bb.1267:
	s_waitcnt vmcnt(0)
	global_load_dwordx2 v[2:3], v[0:1], off
	s_mov_b64 s[24:25], 0
	s_branch .LBB142_1270
.LBB142_1268:
	s_mov_b64 s[24:25], -1
                                        ; implicit-def: $vgpr2_vgpr3
	s_branch .LBB142_1273
.LBB142_1269:
	s_mov_b64 s[24:25], -1
                                        ; implicit-def: $vgpr2_vgpr3
.LBB142_1270:
	s_andn2_b64 vcc, exec, s[24:25]
	s_cbranch_vccnz .LBB142_1272
; %bb.1271:
	s_waitcnt vmcnt(0)
	global_load_dword v2, v[0:1], off
	s_waitcnt vmcnt(0)
	v_cvt_f64_f32_e32 v[2:3], v2
.LBB142_1272:
	s_mov_b64 s[24:25], 0
.LBB142_1273:
	s_andn2_b64 vcc, exec, s[24:25]
	s_cbranch_vccnz .LBB142_1275
; %bb.1274:
	s_waitcnt vmcnt(0)
	global_load_ushort v2, v[0:1], off
	s_waitcnt vmcnt(0)
	v_cvt_f32_f16_e32 v2, v2
	v_cvt_f64_f32_e32 v[2:3], v2
.LBB142_1275:
	s_cbranch_execnz .LBB142_1294
.LBB142_1276:
	s_sext_i32_i16 s24, s59
	s_cmp_lt_i32 s24, 2
	s_cbranch_scc1 .LBB142_1280
; %bb.1277:
	s_cmp_lt_i32 s24, 3
	s_cbranch_scc1 .LBB142_1281
; %bb.1278:
	s_cmp_gt_i32 s24, 3
	s_cbranch_scc0 .LBB142_1282
; %bb.1279:
	s_waitcnt vmcnt(0)
	global_load_dwordx2 v[2:3], v[0:1], off
	s_mov_b64 s[24:25], 0
	s_waitcnt vmcnt(0)
	v_cvt_f64_i32_e32 v[3:4], v3
	v_cvt_f64_u32_e32 v[5:6], v2
	v_ldexp_f64 v[3:4], v[3:4], 32
	v_add_f64 v[2:3], v[3:4], v[5:6]
	s_branch .LBB142_1283
.LBB142_1280:
                                        ; implicit-def: $vgpr2_vgpr3
	s_branch .LBB142_1289
.LBB142_1281:
	s_mov_b64 s[24:25], -1
                                        ; implicit-def: $vgpr2_vgpr3
	s_branch .LBB142_1286
.LBB142_1282:
	s_mov_b64 s[24:25], -1
                                        ; implicit-def: $vgpr2_vgpr3
.LBB142_1283:
	s_andn2_b64 vcc, exec, s[24:25]
	s_cbranch_vccnz .LBB142_1285
; %bb.1284:
	s_waitcnt vmcnt(0)
	global_load_dword v2, v[0:1], off
	s_waitcnt vmcnt(0)
	v_cvt_f64_i32_e32 v[2:3], v2
.LBB142_1285:
	s_mov_b64 s[24:25], 0
.LBB142_1286:
	s_andn2_b64 vcc, exec, s[24:25]
	s_cbranch_vccnz .LBB142_1288
; %bb.1287:
	s_waitcnt vmcnt(0)
	global_load_sshort v2, v[0:1], off
	s_waitcnt vmcnt(0)
	v_cvt_f64_i32_e32 v[2:3], v2
.LBB142_1288:
	s_cbranch_execnz .LBB142_1294
.LBB142_1289:
	s_sext_i32_i16 s24, s59
	s_cmp_gt_i32 s24, 0
	s_cbranch_scc0 .LBB142_1291
; %bb.1290:
	s_waitcnt vmcnt(0)
	global_load_sbyte v2, v[0:1], off
	s_mov_b64 s[24:25], 0
	s_waitcnt vmcnt(0)
	v_cvt_f64_i32_e32 v[2:3], v2
	s_branch .LBB142_1292
.LBB142_1291:
	s_mov_b64 s[24:25], -1
                                        ; implicit-def: $vgpr2_vgpr3
.LBB142_1292:
	s_andn2_b64 vcc, exec, s[24:25]
	s_cbranch_vccnz .LBB142_1294
; %bb.1293:
	s_waitcnt vmcnt(0)
	global_load_ubyte v0, v[0:1], off
	s_waitcnt vmcnt(0)
	v_cvt_f64_u32_e32 v[2:3], v0
.LBB142_1294:
	s_or_b64 s[34:35], s[34:35], exec
.LBB142_1295:
	s_or_b64 exec, exec, s[0:1]
	s_mov_b64 s[28:29], 0
	s_mov_b64 s[36:37], 0
	;; [unrolled: 1-line block ×3, first 2 shown]
                                        ; implicit-def: $sgpr38
                                        ; implicit-def: $vgpr0_vgpr1
                                        ; implicit-def: $vgpr6_vgpr7
	s_and_saveexec_b64 s[0:1], s[34:35]
	s_cbranch_execz .LBB142_1303
; %bb.1296:
	s_waitcnt vmcnt(0)
	v_mul_lo_u32 v0, v18, s10
	v_mov_b32_e32 v1, s3
	s_and_b32 s38, s11, 0xff
	s_cmp_lt_i32 s38, 11
	v_ashrrev_i32_e32 v4, 31, v0
	v_add_co_u32_e32 v0, vcc, s2, v0
	v_addc_co_u32_e32 v1, vcc, v1, v4, vcc
	s_cbranch_scc1 .LBB142_1306
; %bb.1297:
	s_and_b32 s39, 0xffff, s38
	s_cmp_gt_i32 s39, 25
	s_cbranch_scc0 .LBB142_1307
; %bb.1298:
	s_cmp_gt_i32 s39, 28
	s_cbranch_scc0 .LBB142_1308
; %bb.1299:
	;; [unrolled: 3-line block ×4, first 2 shown]
	s_cmp_eq_u32 s39, 46
	s_mov_b64 s[34:35], 0
	s_cbranch_scc0 .LBB142_1311
; %bb.1302:
	global_load_dword v4, v[0:1], off
	s_mov_b64 s[24:25], 0
	s_mov_b64 s[30:31], -1
	s_waitcnt vmcnt(0)
	v_lshlrev_b32_e32 v4, 16, v4
	v_cvt_f64_f32_e32 v[6:7], v4
	s_branch .LBB142_1313
.LBB142_1303:
	s_or_b64 exec, exec, s[0:1]
	s_and_saveexec_b64 s[0:1], s[22:23]
	s_cbranch_execnz .LBB142_1376
.LBB142_1304:
	s_or_b64 exec, exec, s[0:1]
	s_and_saveexec_b64 s[0:1], s[28:29]
	s_xor_b64 s[0:1], exec, s[0:1]
	s_cbranch_execz .LBB142_1377
.LBB142_1305:
	s_waitcnt vmcnt(0)
	global_load_ubyte v4, v[0:1], off
	v_mov_b32_e32 v5, 0x3ff00000
	v_mov_b32_e32 v6, 0
	s_or_b64 s[30:31], s[30:31], exec
	s_waitcnt vmcnt(0)
	v_cmp_ne_u16_e32 vcc, 0, v4
	v_cndmask_b32_e32 v7, 0, v5, vcc
	s_or_b64 exec, exec, s[0:1]
	s_and_saveexec_b64 s[0:1], s[36:37]
	s_cbranch_execz .LBB142_1423
	s_branch .LBB142_1378
.LBB142_1306:
	s_mov_b64 s[34:35], -1
                                        ; implicit-def: $vgpr6_vgpr7
	s_mov_b64 s[24:25], s[22:23]
	s_branch .LBB142_1375
.LBB142_1307:
	s_mov_b64 s[24:25], s[22:23]
                                        ; implicit-def: $vgpr6_vgpr7
	s_cbranch_execnz .LBB142_1344
	s_branch .LBB142_1374
.LBB142_1308:
	s_mov_b64 s[34:35], -1
	s_mov_b64 s[24:25], s[22:23]
                                        ; implicit-def: $vgpr6_vgpr7
	s_branch .LBB142_1323
.LBB142_1309:
	s_mov_b64 s[34:35], -1
	s_mov_b64 s[24:25], s[22:23]
                                        ; implicit-def: $vgpr6_vgpr7
	s_branch .LBB142_1318
.LBB142_1310:
	s_mov_b64 s[34:35], -1
	s_mov_b64 s[24:25], s[22:23]
	s_branch .LBB142_1312
.LBB142_1311:
	s_mov_b64 s[24:25], -1
.LBB142_1312:
                                        ; implicit-def: $vgpr6_vgpr7
.LBB142_1313:
	s_and_b64 vcc, exec, s[34:35]
	s_cbranch_vccz .LBB142_1317
; %bb.1314:
	s_cmp_eq_u32 s39, 44
	s_cbranch_scc0 .LBB142_1316
; %bb.1315:
	global_load_ubyte v6, v[0:1], off
	s_movk_i32 s30, 0xff
	v_bfrev_b32_e32 v7, 4
	v_mov_b32_e32 v8, 0x7ff80000
	v_bfrev_b32_e32 v9, 28
	s_mov_b64 s[24:25], 0
	s_waitcnt vmcnt(0)
	v_lshlrev_b32_e32 v4, 23, v6
	v_cvt_f64_f32_e32 v[4:5], v4
	v_cmp_ne_u32_e32 vcc, s30, v6
	s_mov_b64 s[30:31], -1
	v_cndmask_b32_e32 v4, v7, v4, vcc
	v_cndmask_b32_e32 v5, v8, v5, vcc
	v_cmp_ne_u32_e32 vcc, 0, v6
	v_cndmask_b32_e32 v7, v9, v5, vcc
	v_cndmask_b32_e32 v6, 0, v4, vcc
	s_branch .LBB142_1317
.LBB142_1316:
	s_mov_b64 s[24:25], -1
                                        ; implicit-def: $vgpr6_vgpr7
.LBB142_1317:
	s_mov_b64 s[34:35], 0
.LBB142_1318:
	s_and_b64 vcc, exec, s[34:35]
	s_cbranch_vccz .LBB142_1322
; %bb.1319:
	s_cmp_eq_u32 s39, 29
	s_cbranch_scc0 .LBB142_1321
; %bb.1320:
	global_load_dwordx2 v[4:5], v[0:1], off
	s_mov_b64 s[24:25], 0
	s_mov_b64 s[30:31], -1
	s_mov_b64 s[34:35], 0
	s_waitcnt vmcnt(0)
	v_cvt_f64_u32_e32 v[5:6], v5
	v_cvt_f64_u32_e32 v[7:8], v4
	v_ldexp_f64 v[5:6], v[5:6], 32
	v_add_f64 v[6:7], v[5:6], v[7:8]
	s_branch .LBB142_1323
.LBB142_1321:
	s_mov_b64 s[24:25], -1
                                        ; implicit-def: $vgpr6_vgpr7
.LBB142_1322:
	s_mov_b64 s[34:35], 0
.LBB142_1323:
	s_and_b64 vcc, exec, s[34:35]
	s_cbranch_vccz .LBB142_1343
; %bb.1324:
	s_cmp_lt_i32 s39, 27
	s_cbranch_scc1 .LBB142_1327
; %bb.1325:
	s_cmp_gt_i32 s39, 27
	s_cbranch_scc0 .LBB142_1328
; %bb.1326:
	global_load_dword v4, v[0:1], off
	s_mov_b64 s[30:31], 0
	s_waitcnt vmcnt(0)
	v_cvt_f64_u32_e32 v[6:7], v4
	s_branch .LBB142_1329
.LBB142_1327:
	s_mov_b64 s[30:31], -1
                                        ; implicit-def: $vgpr6_vgpr7
	s_branch .LBB142_1332
.LBB142_1328:
	s_mov_b64 s[30:31], -1
                                        ; implicit-def: $vgpr6_vgpr7
.LBB142_1329:
	s_andn2_b64 vcc, exec, s[30:31]
	s_cbranch_vccnz .LBB142_1331
; %bb.1330:
	global_load_ushort v4, v[0:1], off
	s_waitcnt vmcnt(0)
	v_cvt_f64_u32_e32 v[6:7], v4
.LBB142_1331:
	s_mov_b64 s[30:31], 0
.LBB142_1332:
	s_andn2_b64 vcc, exec, s[30:31]
	s_cbranch_vccnz .LBB142_1342
; %bb.1333:
	global_load_ubyte v4, v[0:1], off
	s_movk_i32 s30, 0x7f
	s_waitcnt vmcnt(0)
	v_cmp_lt_i16_e32 vcc, s30, v4
	s_mov_b64 s[30:31], 0
	s_and_saveexec_b64 s[34:35], vcc
	s_xor_b64 s[34:35], exec, s[34:35]
	s_cbranch_execz .LBB142_1337
; %bb.1334:
	s_movk_i32 s30, 0x80
	v_cmp_eq_u16_e32 vcc, s30, v4
	s_mov_b64 s[30:31], -1
	s_and_saveexec_b64 s[36:37], vcc
; %bb.1335:
	s_xor_b64 s[30:31], exec, -1
; %bb.1336:
	s_or_b64 exec, exec, s[36:37]
	s_and_b64 s[30:31], s[30:31], exec
.LBB142_1337:
	s_or_saveexec_b64 s[34:35], s[34:35]
	v_bfrev_b32_e32 v6, 4
	v_mov_b32_e32 v7, 0x7ff80000
	s_xor_b64 exec, exec, s[34:35]
; %bb.1338:
	v_cmp_ne_u16_e32 vcc, 0, v4
	v_mov_b32_e32 v6, 0
	s_andn2_b64 s[30:31], s[30:31], exec
	s_and_b64 s[36:37], vcc, exec
	v_mov_b32_e32 v7, 0
	s_or_b64 s[30:31], s[30:31], s[36:37]
; %bb.1339:
	s_or_b64 exec, exec, s[34:35]
	s_and_saveexec_b64 s[34:35], s[30:31]
	s_cbranch_execz .LBB142_1341
; %bb.1340:
	v_lshlrev_b32_e32 v5, 24, v4
	v_and_b32_e32 v4, 0xffff, v4
	v_and_b32_e32 v6, 7, v4
	v_ffbh_u32_e32 v8, v6
	v_min_u32_e32 v8, 32, v8
	v_subrev_u32_e32 v9, 28, v8
	v_bfe_u32 v7, v4, 3, 4
	v_lshlrev_b32_e32 v4, v9, v4
	v_sub_u32_e32 v8, 29, v8
	v_and_b32_e32 v4, 7, v4
	v_cmp_eq_u32_e32 vcc, 0, v7
	v_cndmask_b32_e32 v7, v7, v8, vcc
	v_cndmask_b32_e32 v4, v6, v4, vcc
	v_mov_b32_e32 v6, 0x3b800000
	v_lshlrev_b32_e32 v4, 20, v4
	v_and_b32_e32 v5, 0x80000000, v5
	v_lshl_add_u32 v6, v7, 23, v6
	v_or3_b32 v4, v5, v6, v4
	v_cvt_f64_f32_e32 v[6:7], v4
.LBB142_1341:
	s_or_b64 exec, exec, s[34:35]
.LBB142_1342:
	s_mov_b64 s[30:31], -1
.LBB142_1343:
	s_branch .LBB142_1374
.LBB142_1344:
	s_cmp_gt_i32 s39, 22
	s_cbranch_scc0 .LBB142_1356
; %bb.1345:
	s_cmp_lt_i32 s39, 24
	s_cbranch_scc1 .LBB142_1357
; %bb.1346:
	s_cmp_gt_i32 s39, 24
	s_cbranch_scc0 .LBB142_1358
; %bb.1347:
	global_load_ubyte v4, v[0:1], off
	s_movk_i32 s28, 0x7f
	s_waitcnt vmcnt(0)
	v_cmp_lt_i16_e32 vcc, s28, v4
	s_mov_b64 s[28:29], 0
	s_and_saveexec_b64 s[30:31], vcc
	s_xor_b64 s[30:31], exec, s[30:31]
	s_cbranch_execz .LBB142_1351
; %bb.1348:
	s_movk_i32 s28, 0x80
	v_cmp_eq_u16_e32 vcc, s28, v4
	s_mov_b64 s[28:29], -1
	s_and_saveexec_b64 s[34:35], vcc
; %bb.1349:
	s_xor_b64 s[28:29], exec, -1
; %bb.1350:
	s_or_b64 exec, exec, s[34:35]
	s_and_b64 s[28:29], s[28:29], exec
.LBB142_1351:
	s_or_saveexec_b64 s[30:31], s[30:31]
	v_bfrev_b32_e32 v6, 4
	v_mov_b32_e32 v7, 0x7ff80000
	s_xor_b64 exec, exec, s[30:31]
; %bb.1352:
	v_cmp_ne_u16_e32 vcc, 0, v4
	v_mov_b32_e32 v6, 0
	s_andn2_b64 s[28:29], s[28:29], exec
	s_and_b64 s[34:35], vcc, exec
	v_mov_b32_e32 v7, 0
	s_or_b64 s[28:29], s[28:29], s[34:35]
; %bb.1353:
	s_or_b64 exec, exec, s[30:31]
	s_and_saveexec_b64 s[30:31], s[28:29]
	s_cbranch_execz .LBB142_1355
; %bb.1354:
	v_lshlrev_b32_e32 v5, 24, v4
	v_and_b32_e32 v4, 0xffff, v4
	v_and_b32_e32 v6, 3, v4
	v_ffbh_u32_e32 v8, v6
	v_min_u32_e32 v8, 32, v8
	v_subrev_u32_e32 v9, 29, v8
	v_bfe_u32 v7, v4, 2, 5
	v_lshlrev_b32_e32 v4, v9, v4
	v_sub_u32_e32 v8, 30, v8
	v_and_b32_e32 v4, 3, v4
	v_cmp_eq_u32_e32 vcc, 0, v7
	v_cndmask_b32_e32 v7, v7, v8, vcc
	v_cndmask_b32_e32 v4, v6, v4, vcc
	v_mov_b32_e32 v6, 0x37800000
	v_lshlrev_b32_e32 v4, 21, v4
	v_and_b32_e32 v5, 0x80000000, v5
	v_lshl_add_u32 v6, v7, 23, v6
	v_or3_b32 v4, v5, v6, v4
	v_cvt_f64_f32_e32 v[6:7], v4
.LBB142_1355:
	s_or_b64 exec, exec, s[30:31]
	s_mov_b64 s[28:29], 0
	s_branch .LBB142_1359
.LBB142_1356:
	s_mov_b64 s[28:29], -1
                                        ; implicit-def: $vgpr6_vgpr7
	s_branch .LBB142_1365
.LBB142_1357:
	s_mov_b64 s[28:29], -1
                                        ; implicit-def: $vgpr6_vgpr7
	s_branch .LBB142_1362
.LBB142_1358:
	s_mov_b64 s[28:29], -1
                                        ; implicit-def: $vgpr6_vgpr7
.LBB142_1359:
	s_and_b64 vcc, exec, s[28:29]
	s_cbranch_vccz .LBB142_1361
; %bb.1360:
	global_load_ubyte v4, v[0:1], off
	s_mov_b32 s28, 0x7f800000
	s_waitcnt vmcnt(0)
	v_lshlrev_b32_e32 v4, 24, v4
	v_and_b32_e32 v5, 0x7f000000, v4
	v_ffbh_u32_e32 v6, v5
	v_min_u32_e32 v6, 32, v6
	v_sub_u32_e64 v6, v6, 4 clamp
	v_lshlrev_b32_e32 v8, v6, v5
	v_lshlrev_b32_e32 v6, 23, v6
	v_lshrrev_b32_e32 v8, 4, v8
	v_add_u32_e32 v7, 0x1000000, v5
	v_sub_u32_e32 v6, v8, v6
	v_ashrrev_i32_e32 v7, 8, v7
	v_add_u32_e32 v6, 0x3c000000, v6
	v_and_or_b32 v6, v7, s28, v6
	v_cmp_ne_u32_e32 vcc, 0, v5
	v_cndmask_b32_e32 v5, 0, v6, vcc
	s_brev_b32 s28, 1
	v_and_or_b32 v4, v4, s28, v5
	v_cvt_f64_f32_e32 v[6:7], v4
.LBB142_1361:
	s_mov_b64 s[28:29], 0
.LBB142_1362:
	s_andn2_b64 vcc, exec, s[28:29]
	s_cbranch_vccnz .LBB142_1364
; %bb.1363:
	global_load_ubyte v4, v[0:1], off
	s_movk_i32 s28, 0x7f00
	s_brev_b32 s29, 16
	s_waitcnt vmcnt(0)
	v_lshlrev_b16_e32 v5, 8, v4
	v_lshlrev_b32_e32 v4, 25, v4
	v_lshrrev_b32_e32 v6, 4, v4
	v_and_or_b32 v7, v5, s28, 0.5
	v_or_b32_e32 v6, 0x70000000, v6
	v_add_f32_e32 v7, -0.5, v7
	v_mul_f32_e32 v6, 0x7800000, v6
	v_cmp_gt_u32_e32 vcc, s29, v4
	v_bfe_i32 v5, v5, 0, 16
	v_cndmask_b32_e32 v4, v6, v7, vcc
	s_brev_b32 s28, 1
	v_and_or_b32 v4, v5, s28, v4
	v_cvt_f64_f32_e32 v[6:7], v4
.LBB142_1364:
	s_mov_b64 s[28:29], 0
	s_mov_b64 s[30:31], -1
.LBB142_1365:
	s_andn2_b64 vcc, exec, s[28:29]
	s_mov_b64 s[28:29], 0
	s_cbranch_vccnz .LBB142_1374
; %bb.1366:
	s_cmp_gt_i32 s39, 14
	s_cbranch_scc0 .LBB142_1369
; %bb.1367:
	s_cmp_eq_u32 s39, 15
	s_cbranch_scc0 .LBB142_1370
; %bb.1368:
	global_load_ushort v4, v[0:1], off
	s_mov_b64 s[24:25], 0
	s_mov_b64 s[30:31], -1
	s_waitcnt vmcnt(0)
	v_lshlrev_b32_e32 v4, 16, v4
	v_cvt_f64_f32_e32 v[6:7], v4
	s_branch .LBB142_1371
.LBB142_1369:
	s_mov_b64 s[34:35], -1
                                        ; implicit-def: $vgpr6_vgpr7
	s_branch .LBB142_1372
.LBB142_1370:
	s_mov_b64 s[24:25], -1
                                        ; implicit-def: $vgpr6_vgpr7
.LBB142_1371:
	s_mov_b64 s[34:35], 0
.LBB142_1372:
	s_and_b64 vcc, exec, s[34:35]
	s_cbranch_vccz .LBB142_1374
; %bb.1373:
	s_cmp_lg_u32 s39, 11
	s_cselect_b64 s[34:35], -1, 0
	s_andn2_b64 s[24:25], s[24:25], exec
	s_and_b64 s[34:35], s[34:35], exec
	s_mov_b64 s[28:29], -1
	s_or_b64 s[24:25], s[24:25], s[34:35]
.LBB142_1374:
	s_mov_b64 s[34:35], 0
.LBB142_1375:
	s_andn2_b64 s[22:23], s[22:23], exec
	s_and_b64 s[24:25], s[24:25], exec
	s_and_b64 s[30:31], s[30:31], exec
	;; [unrolled: 1-line block ×4, first 2 shown]
	s_or_b64 s[22:23], s[22:23], s[24:25]
	s_or_b64 exec, exec, s[0:1]
	s_and_saveexec_b64 s[0:1], s[22:23]
	s_cbranch_execz .LBB142_1304
.LBB142_1376:
	s_or_b64 s[26:27], s[26:27], exec
	s_andn2_b64 s[28:29], s[28:29], exec
	s_trap 2
	s_or_b64 exec, exec, s[0:1]
	s_and_saveexec_b64 s[0:1], s[28:29]
	s_xor_b64 s[0:1], exec, s[0:1]
	s_cbranch_execnz .LBB142_1305
.LBB142_1377:
	s_or_b64 exec, exec, s[0:1]
	s_and_saveexec_b64 s[0:1], s[36:37]
	s_cbranch_execz .LBB142_1423
.LBB142_1378:
	s_sext_i32_i16 s22, s38
	s_cmp_lt_i32 s22, 5
	s_cbranch_scc1 .LBB142_1383
; %bb.1379:
	s_cmp_lt_i32 s22, 8
	s_cbranch_scc1 .LBB142_1384
; %bb.1380:
	;; [unrolled: 3-line block ×3, first 2 shown]
	s_cmp_gt_i32 s22, 9
	s_cbranch_scc0 .LBB142_1386
; %bb.1382:
	s_waitcnt vmcnt(0)
	global_load_dwordx2 v[6:7], v[0:1], off
	s_mov_b64 s[22:23], 0
	s_branch .LBB142_1387
.LBB142_1383:
                                        ; implicit-def: $vgpr6_vgpr7
	s_branch .LBB142_1404
.LBB142_1384:
                                        ; implicit-def: $vgpr6_vgpr7
	s_branch .LBB142_1393
.LBB142_1385:
	s_mov_b64 s[22:23], -1
                                        ; implicit-def: $vgpr6_vgpr7
	s_branch .LBB142_1390
.LBB142_1386:
	s_mov_b64 s[22:23], -1
                                        ; implicit-def: $vgpr6_vgpr7
.LBB142_1387:
	s_andn2_b64 vcc, exec, s[22:23]
	s_cbranch_vccnz .LBB142_1389
; %bb.1388:
	s_waitcnt vmcnt(0)
	global_load_dword v4, v[0:1], off
	s_waitcnt vmcnt(0)
	v_cvt_f64_f32_e32 v[6:7], v4
.LBB142_1389:
	s_mov_b64 s[22:23], 0
.LBB142_1390:
	s_andn2_b64 vcc, exec, s[22:23]
	s_cbranch_vccnz .LBB142_1392
; %bb.1391:
	s_waitcnt vmcnt(0)
	global_load_dword v4, v[0:1], off
	s_waitcnt vmcnt(0)
	v_cvt_f32_f16_e32 v4, v4
	v_cvt_f64_f32_e32 v[6:7], v4
.LBB142_1392:
	s_cbranch_execnz .LBB142_1403
.LBB142_1393:
	s_sext_i32_i16 s22, s38
	s_cmp_lt_i32 s22, 6
	s_cbranch_scc1 .LBB142_1396
; %bb.1394:
	s_cmp_gt_i32 s22, 6
	s_cbranch_scc0 .LBB142_1397
; %bb.1395:
	s_waitcnt vmcnt(0)
	global_load_dwordx2 v[6:7], v[0:1], off
	s_mov_b64 s[22:23], 0
	s_branch .LBB142_1398
.LBB142_1396:
	s_mov_b64 s[22:23], -1
                                        ; implicit-def: $vgpr6_vgpr7
	s_branch .LBB142_1401
.LBB142_1397:
	s_mov_b64 s[22:23], -1
                                        ; implicit-def: $vgpr6_vgpr7
.LBB142_1398:
	s_andn2_b64 vcc, exec, s[22:23]
	s_cbranch_vccnz .LBB142_1400
; %bb.1399:
	s_waitcnt vmcnt(0)
	global_load_dword v4, v[0:1], off
	s_waitcnt vmcnt(0)
	v_cvt_f64_f32_e32 v[6:7], v4
.LBB142_1400:
	s_mov_b64 s[22:23], 0
.LBB142_1401:
	s_andn2_b64 vcc, exec, s[22:23]
	s_cbranch_vccnz .LBB142_1403
; %bb.1402:
	s_waitcnt vmcnt(0)
	global_load_ushort v4, v[0:1], off
	s_waitcnt vmcnt(0)
	v_cvt_f32_f16_e32 v4, v4
	v_cvt_f64_f32_e32 v[6:7], v4
.LBB142_1403:
	s_cbranch_execnz .LBB142_1422
.LBB142_1404:
	s_sext_i32_i16 s22, s38
	s_cmp_lt_i32 s22, 2
	s_cbranch_scc1 .LBB142_1408
; %bb.1405:
	s_cmp_lt_i32 s22, 3
	s_cbranch_scc1 .LBB142_1409
; %bb.1406:
	s_cmp_gt_i32 s22, 3
	s_cbranch_scc0 .LBB142_1410
; %bb.1407:
	s_waitcnt vmcnt(0)
	global_load_dwordx2 v[4:5], v[0:1], off
	s_mov_b64 s[22:23], 0
	s_waitcnt vmcnt(0)
	v_cvt_f64_i32_e32 v[5:6], v5
	v_cvt_f64_u32_e32 v[7:8], v4
	v_ldexp_f64 v[5:6], v[5:6], 32
	v_add_f64 v[6:7], v[5:6], v[7:8]
	s_branch .LBB142_1411
.LBB142_1408:
                                        ; implicit-def: $vgpr6_vgpr7
	s_branch .LBB142_1417
.LBB142_1409:
	s_mov_b64 s[22:23], -1
                                        ; implicit-def: $vgpr6_vgpr7
	s_branch .LBB142_1414
.LBB142_1410:
	s_mov_b64 s[22:23], -1
                                        ; implicit-def: $vgpr6_vgpr7
.LBB142_1411:
	s_andn2_b64 vcc, exec, s[22:23]
	s_cbranch_vccnz .LBB142_1413
; %bb.1412:
	s_waitcnt vmcnt(0)
	global_load_dword v4, v[0:1], off
	s_waitcnt vmcnt(0)
	v_cvt_f64_i32_e32 v[6:7], v4
.LBB142_1413:
	s_mov_b64 s[22:23], 0
.LBB142_1414:
	s_andn2_b64 vcc, exec, s[22:23]
	s_cbranch_vccnz .LBB142_1416
; %bb.1415:
	s_waitcnt vmcnt(0)
	global_load_sshort v4, v[0:1], off
	s_waitcnt vmcnt(0)
	v_cvt_f64_i32_e32 v[6:7], v4
.LBB142_1416:
	s_cbranch_execnz .LBB142_1422
.LBB142_1417:
	s_sext_i32_i16 s22, s38
	s_cmp_gt_i32 s22, 0
	s_cbranch_scc0 .LBB142_1419
; %bb.1418:
	s_waitcnt vmcnt(0)
	global_load_sbyte v4, v[0:1], off
	s_mov_b64 s[22:23], 0
	s_waitcnt vmcnt(0)
	v_cvt_f64_i32_e32 v[6:7], v4
	s_branch .LBB142_1420
.LBB142_1419:
	s_mov_b64 s[22:23], -1
                                        ; implicit-def: $vgpr6_vgpr7
.LBB142_1420:
	s_andn2_b64 vcc, exec, s[22:23]
	s_cbranch_vccnz .LBB142_1422
; %bb.1421:
	s_waitcnt vmcnt(0)
	global_load_ubyte v0, v[0:1], off
	s_waitcnt vmcnt(0)
	v_cvt_f64_u32_e32 v[6:7], v0
.LBB142_1422:
	s_or_b64 s[30:31], s[30:31], exec
.LBB142_1423:
	s_or_b64 exec, exec, s[0:1]
	s_mov_b64 s[28:29], 0
	s_mov_b64 s[24:25], 0
                                        ; implicit-def: $sgpr36
                                        ; implicit-def: $vgpr4_vgpr5
                                        ; implicit-def: $vgpr0_vgpr1
	s_and_saveexec_b64 s[22:23], s[30:31]
	s_cbranch_execz .LBB142_1431
; %bb.1424:
	s_waitcnt vmcnt(0)
	v_cmp_nge_f64_e32 vcc, s[12:13], v[2:3]
	v_mul_lo_u32 v3, v18, s8
	v_mov_b32_e32 v0, s15
	v_mov_b32_e32 v2, s14
	;; [unrolled: 1-line block ×3, first 2 shown]
	s_and_b32 s36, s33, 0xff
	s_cmp_lt_i32 s36, 11
	v_cndmask_b32_e32 v1, v0, v7, vcc
	v_ashrrev_i32_e32 v7, 31, v3
	v_cndmask_b32_e32 v0, v2, v6, vcc
	v_add_co_u32_e32 v4, vcc, s16, v3
	v_addc_co_u32_e32 v5, vcc, v5, v7, vcc
	s_cbranch_scc1 .LBB142_1434
; %bb.1425:
	s_and_b32 s37, 0xffff, s36
	s_mov_b64 s[28:29], -1
	s_cmp_gt_i32 s37, 25
	s_mov_b64 s[0:1], s[20:21]
	s_cbranch_scc0 .LBB142_1462
; %bb.1426:
	s_mov_b64 s[24:25], -1
	s_cmp_gt_i32 s37, 28
	s_mov_b64 s[0:1], s[20:21]
	s_cbranch_scc0 .LBB142_1446
; %bb.1427:
	s_cmp_gt_i32 s37, 43
	s_mov_b64 s[0:1], s[20:21]
	s_cbranch_scc0 .LBB142_1442
; %bb.1428:
	s_cmp_gt_i32 s37, 45
	s_mov_b64 s[0:1], s[20:21]
	s_cbranch_scc0 .LBB142_1436
; %bb.1429:
	s_cmp_eq_u32 s37, 46
	s_mov_b64 s[0:1], -1
	s_cbranch_scc0 .LBB142_1435
; %bb.1430:
	v_cvt_f32_f64_e32 v2, v[0:1]
	s_movk_i32 s0, 0x7fff
	v_mov_b32_e32 v3, 0x7fc0
	s_mov_b64 s[24:25], 0
	v_bfe_u32 v6, v2, 16, 1
	v_cmp_o_f32_e32 vcc, v2, v2
	v_add3_u32 v2, v2, v6, s0
	v_cndmask_b32_sdwa v2, v3, v2, vcc dst_sel:DWORD dst_unused:UNUSED_PAD src0_sel:DWORD src1_sel:WORD_1
	global_store_dword v[4:5], v2, off
	s_mov_b64 s[0:1], 0
	s_branch .LBB142_1436
.LBB142_1431:
	s_or_b64 exec, exec, s[22:23]
	s_and_saveexec_b64 s[0:1], s[20:21]
	s_cbranch_execnz .LBB142_1504
.LBB142_1432:
	s_or_b64 exec, exec, s[0:1]
	s_and_saveexec_b64 s[0:1], s[28:29]
	s_xor_b64 s[0:1], exec, s[0:1]
	s_cbranch_execz .LBB142_1505
.LBB142_1433:
	s_waitcnt vmcnt(0)
	v_cmp_neq_f64_e32 vcc, 0, v[0:1]
	v_cndmask_b32_e64 v2, 0, 1, vcc
	global_store_byte v[4:5], v2, off
	s_or_b64 exec, exec, s[0:1]
	s_and_saveexec_b64 s[0:1], s[24:25]
	s_xor_b64 s[0:1], exec, s[0:1]
	s_cbranch_execz .LBB142_1543
	s_branch .LBB142_1506
.LBB142_1434:
	s_mov_b64 s[24:25], -1
	s_mov_b64 s[0:1], s[20:21]
	s_branch .LBB142_1503
.LBB142_1435:
	s_mov_b64 s[24:25], 0
.LBB142_1436:
	s_and_b64 vcc, exec, s[24:25]
	s_cbranch_vccz .LBB142_1441
; %bb.1437:
	s_cmp_eq_u32 s37, 44
	s_mov_b64 s[0:1], -1
	s_cbranch_scc0 .LBB142_1441
; %bb.1438:
	v_cvt_f32_f64_e32 v2, v[0:1]
	s_movk_i32 s0, 0xff
	v_mov_b32_e32 v6, 0xff
	v_bfe_u32 v3, v2, 23, 8
	v_cmp_ne_u32_e32 vcc, s0, v3
	s_and_saveexec_b64 s[24:25], vcc
; %bb.1439:
	s_mov_b32 s0, 0x3fffff
	v_lshrrev_b32_e32 v6, 23, v2
	v_and_b32_e32 v7, 0x400000, v2
	v_and_or_b32 v2, v2, s0, v3
	v_cmp_ne_u32_e32 vcc, 0, v7
	v_cmp_ne_u32_e64 s[0:1], 0, v2
	s_and_b64 s[0:1], vcc, s[0:1]
	v_cndmask_b32_e64 v2, 0, 1, s[0:1]
	v_add_u32_e32 v6, v6, v2
; %bb.1440:
	s_or_b64 exec, exec, s[24:25]
	s_mov_b64 s[0:1], 0
	global_store_byte v[4:5], v6, off
.LBB142_1441:
	s_mov_b64 s[24:25], 0
.LBB142_1442:
	s_and_b64 vcc, exec, s[24:25]
	s_cbranch_vccz .LBB142_1445
; %bb.1443:
	s_cmp_eq_u32 s37, 29
	s_mov_b64 s[0:1], -1
	s_cbranch_scc0 .LBB142_1445
; %bb.1444:
	v_trunc_f64_e32 v[2:3], v[0:1]
	s_movk_i32 s0, 0xffe0
	s_mov_b64 s[24:25], 0
	v_ldexp_f64 v[6:7], v[2:3], s0
	s_mov_b32 s0, 0
	s_mov_b32 s1, 0xc1f00000
	v_floor_f64_e32 v[6:7], v[6:7]
	v_fma_f64 v[2:3], v[6:7], s[0:1], v[2:3]
	v_cvt_u32_f64_e32 v7, v[6:7]
	s_mov_b64 s[0:1], 0
	v_cvt_u32_f64_e32 v6, v[2:3]
	global_store_dwordx2 v[4:5], v[6:7], off
	s_branch .LBB142_1446
.LBB142_1445:
	s_mov_b64 s[24:25], 0
.LBB142_1446:
	s_and_b64 vcc, exec, s[24:25]
	s_cbranch_vccz .LBB142_1461
; %bb.1447:
	s_cmp_lt_i32 s37, 27
	s_mov_b64 s[24:25], -1
	s_cbranch_scc1 .LBB142_1453
; %bb.1448:
	v_cvt_u32_f64_e32 v2, v[0:1]
	s_cmp_gt_i32 s37, 27
	s_cbranch_scc0 .LBB142_1450
; %bb.1449:
	s_mov_b64 s[24:25], 0
	global_store_dword v[4:5], v2, off
.LBB142_1450:
	s_andn2_b64 vcc, exec, s[24:25]
	s_cbranch_vccnz .LBB142_1452
; %bb.1451:
	global_store_short v[4:5], v2, off
.LBB142_1452:
	s_mov_b64 s[24:25], 0
.LBB142_1453:
	s_andn2_b64 vcc, exec, s[24:25]
	s_cbranch_vccnz .LBB142_1461
; %bb.1454:
	v_cvt_f32_f64_e32 v2, v[0:1]
	s_mov_b32 s24, 0x43800000
	v_mov_b32_e32 v6, 0x80
	v_and_b32_e32 v3, 0x7fffffff, v2
	v_cmp_gt_u32_e32 vcc, s24, v3
	s_and_saveexec_b64 s[24:25], vcc
	s_cbranch_execz .LBB142_1460
; %bb.1455:
	s_mov_b32 s28, 0x3bffffff
	v_cmp_lt_u32_e32 vcc, s28, v3
	s_mov_b64 s[28:29], 0
                                        ; implicit-def: $vgpr3
	s_and_saveexec_b64 s[30:31], vcc
	s_xor_b64 s[30:31], exec, s[30:31]
	s_cbranch_execz .LBB142_1558
; %bb.1456:
	v_bfe_u32 v3, v2, 20, 1
	s_mov_b32 s34, 0x487ffff
	v_add3_u32 v3, v2, v3, s34
	s_mov_b64 s[28:29], exec
	v_lshrrev_b32_e32 v3, 20, v3
	s_andn2_saveexec_b64 s[30:31], s[30:31]
	s_cbranch_execnz .LBB142_1559
.LBB142_1457:
	s_or_b64 exec, exec, s[30:31]
	v_mov_b32_e32 v6, 0
	s_and_saveexec_b64 s[30:31], s[28:29]
.LBB142_1458:
	v_lshrrev_b32_e32 v2, 24, v2
	s_movk_i32 s28, 0x80
	v_and_or_b32 v6, v2, s28, v3
.LBB142_1459:
	s_or_b64 exec, exec, s[30:31]
.LBB142_1460:
	s_or_b64 exec, exec, s[24:25]
	global_store_byte v[4:5], v6, off
.LBB142_1461:
	s_mov_b64 s[28:29], 0
.LBB142_1462:
	s_mov_b64 s[24:25], 0
	s_and_b64 vcc, exec, s[28:29]
	s_cbranch_vccz .LBB142_1502
; %bb.1463:
	s_cmp_gt_i32 s37, 22
	s_mov_b64 s[28:29], -1
	s_cbranch_scc0 .LBB142_1495
; %bb.1464:
	s_cmp_lt_i32 s37, 24
	s_cbranch_scc1 .LBB142_1484
; %bb.1465:
	s_cmp_gt_i32 s37, 24
	s_cbranch_scc0 .LBB142_1473
; %bb.1466:
	v_cvt_f32_f64_e32 v2, v[0:1]
	s_mov_b32 s28, 0x47800000
	v_mov_b32_e32 v6, 0x80
	v_and_b32_e32 v3, 0x7fffffff, v2
	v_cmp_gt_u32_e32 vcc, s28, v3
	s_and_saveexec_b64 s[28:29], vcc
	s_cbranch_execz .LBB142_1472
; %bb.1467:
	s_mov_b32 s30, 0x37ffffff
	v_cmp_lt_u32_e32 vcc, s30, v3
	s_mov_b64 s[30:31], 0
                                        ; implicit-def: $vgpr3
	s_and_saveexec_b64 s[34:35], vcc
	s_xor_b64 s[34:35], exec, s[34:35]
	s_cbranch_execz .LBB142_1683
; %bb.1468:
	v_bfe_u32 v3, v2, 21, 1
	s_mov_b32 s38, 0x88fffff
	v_add3_u32 v3, v2, v3, s38
	s_mov_b64 s[30:31], exec
	v_lshrrev_b32_e32 v3, 21, v3
	s_andn2_saveexec_b64 s[34:35], s[34:35]
	s_cbranch_execnz .LBB142_1684
.LBB142_1469:
	s_or_b64 exec, exec, s[34:35]
	v_mov_b32_e32 v6, 0
	s_and_saveexec_b64 s[34:35], s[30:31]
.LBB142_1470:
	v_lshrrev_b32_e32 v2, 24, v2
	s_movk_i32 s30, 0x80
	v_and_or_b32 v6, v2, s30, v3
.LBB142_1471:
	s_or_b64 exec, exec, s[34:35]
.LBB142_1472:
	s_or_b64 exec, exec, s[28:29]
	s_mov_b64 s[28:29], 0
	global_store_byte v[4:5], v6, off
.LBB142_1473:
	s_and_b64 vcc, exec, s[28:29]
	s_cbranch_vccz .LBB142_1483
; %bb.1474:
	v_cvt_f32_f64_e32 v2, v[0:1]
	s_mov_b32 s28, 0x43f00000
                                        ; implicit-def: $vgpr3
	v_and_b32_e32 v6, 0x7fffffff, v2
	v_cmp_gt_u32_e32 vcc, s28, v6
	s_and_saveexec_b64 s[28:29], vcc
	s_xor_b64 s[28:29], exec, s[28:29]
	s_cbranch_execz .LBB142_1480
; %bb.1475:
	s_mov_b32 s30, 0x3c7fffff
	v_cmp_lt_u32_e32 vcc, s30, v6
                                        ; implicit-def: $vgpr3
	s_and_saveexec_b64 s[30:31], vcc
	s_xor_b64 s[30:31], exec, s[30:31]
; %bb.1476:
	v_bfe_u32 v3, v2, 20, 1
	s_mov_b32 s34, 0x407ffff
	v_add3_u32 v3, v2, v3, s34
	v_lshrrev_b32_e32 v6, 20, v3
	v_and_b32_e32 v3, 0xff00000, v3
	s_mov_b32 s34, 0x7f00000
	v_mov_b32_e32 v7, 0x7e
	v_cmp_ne_u32_e32 vcc, s34, v3
	v_cndmask_b32_e32 v3, v7, v6, vcc
; %bb.1477:
	s_andn2_saveexec_b64 s[30:31], s[30:31]
; %bb.1478:
	s_mov_b32 s34, 0x46800000
	v_add_f32_e64 v3, |v2|, s34
; %bb.1479:
	s_or_b64 exec, exec, s[30:31]
                                        ; implicit-def: $vgpr6
.LBB142_1480:
	s_andn2_saveexec_b64 s[28:29], s[28:29]
; %bb.1481:
	s_mov_b32 s30, 0x7f800000
	v_mov_b32_e32 v3, 0x7e
	v_mov_b32_e32 v7, 0x7f
	v_cmp_lt_u32_e32 vcc, s30, v6
	v_cndmask_b32_e32 v3, v3, v7, vcc
; %bb.1482:
	s_or_b64 exec, exec, s[28:29]
	v_lshrrev_b32_e32 v2, 24, v2
	s_movk_i32 s28, 0x80
	v_and_or_b32 v2, v2, s28, v3
	global_store_byte v[4:5], v2, off
.LBB142_1483:
	s_mov_b64 s[28:29], 0
.LBB142_1484:
	s_andn2_b64 vcc, exec, s[28:29]
	s_cbranch_vccnz .LBB142_1494
; %bb.1485:
	v_cvt_f32_f64_e32 v2, v[0:1]
	s_mov_b32 s28, 0x47800000
                                        ; implicit-def: $vgpr3
	v_and_b32_e32 v6, 0x7fffffff, v2
	v_cmp_gt_u32_e32 vcc, s28, v6
	s_and_saveexec_b64 s[28:29], vcc
	s_xor_b64 s[28:29], exec, s[28:29]
	s_cbranch_execz .LBB142_1491
; %bb.1486:
	s_mov_b32 s30, 0x387fffff
	v_cmp_lt_u32_e32 vcc, s30, v6
                                        ; implicit-def: $vgpr3
	s_and_saveexec_b64 s[30:31], vcc
	s_xor_b64 s[30:31], exec, s[30:31]
; %bb.1487:
	v_bfe_u32 v3, v2, 21, 1
	s_mov_b32 s34, 0x80fffff
	v_add3_u32 v3, v2, v3, s34
	v_lshrrev_b32_e32 v3, 21, v3
; %bb.1488:
	s_andn2_saveexec_b64 s[30:31], s[30:31]
; %bb.1489:
	s_mov_b32 s34, 0x43000000
	v_add_f32_e64 v3, |v2|, s34
; %bb.1490:
	s_or_b64 exec, exec, s[30:31]
                                        ; implicit-def: $vgpr6
.LBB142_1491:
	s_andn2_saveexec_b64 s[28:29], s[28:29]
; %bb.1492:
	s_mov_b32 s30, 0x7f800000
	v_mov_b32_e32 v3, 0x7c
	v_mov_b32_e32 v7, 0x7f
	v_cmp_lt_u32_e32 vcc, s30, v6
	v_cndmask_b32_e32 v3, v3, v7, vcc
; %bb.1493:
	s_or_b64 exec, exec, s[28:29]
	v_lshrrev_b32_e32 v2, 24, v2
	s_movk_i32 s28, 0x80
	v_and_or_b32 v2, v2, s28, v3
	global_store_byte v[4:5], v2, off
.LBB142_1494:
	s_mov_b64 s[28:29], 0
.LBB142_1495:
	s_andn2_b64 vcc, exec, s[28:29]
	s_mov_b64 s[28:29], 0
	s_cbranch_vccnz .LBB142_1503
; %bb.1496:
	s_cmp_gt_i32 s37, 14
	s_mov_b64 s[30:31], -1
	s_cbranch_scc0 .LBB142_1500
; %bb.1497:
	s_cmp_eq_u32 s37, 15
	s_mov_b64 s[0:1], -1
	s_cbranch_scc0 .LBB142_1499
; %bb.1498:
	v_cvt_f32_f64_e32 v2, v[0:1]
	s_movk_i32 s0, 0x7fff
	v_mov_b32_e32 v3, 0x7fc0
	v_bfe_u32 v6, v2, 16, 1
	v_cmp_o_f32_e32 vcc, v2, v2
	v_add3_u32 v2, v2, v6, s0
	v_cndmask_b32_sdwa v2, v3, v2, vcc dst_sel:DWORD dst_unused:UNUSED_PAD src0_sel:DWORD src1_sel:WORD_1
	global_store_short v[4:5], v2, off
	s_mov_b64 s[0:1], 0
.LBB142_1499:
	s_mov_b64 s[30:31], 0
.LBB142_1500:
	s_and_b64 vcc, exec, s[30:31]
	s_cbranch_vccz .LBB142_1503
; %bb.1501:
	s_cmp_lg_u32 s37, 11
	s_cselect_b64 s[30:31], -1, 0
	s_andn2_b64 s[0:1], s[0:1], exec
	s_and_b64 s[30:31], s[30:31], exec
	s_mov_b64 s[28:29], -1
	s_or_b64 s[0:1], s[0:1], s[30:31]
	s_branch .LBB142_1503
.LBB142_1502:
	s_mov_b64 s[28:29], 0
.LBB142_1503:
	s_andn2_b64 s[20:21], s[20:21], exec
	s_and_b64 s[0:1], s[0:1], exec
	s_and_b64 s[24:25], s[24:25], exec
	;; [unrolled: 1-line block ×3, first 2 shown]
	s_or_b64 s[20:21], s[20:21], s[0:1]
	s_or_b64 exec, exec, s[22:23]
	s_and_saveexec_b64 s[0:1], s[20:21]
	s_cbranch_execz .LBB142_1432
.LBB142_1504:
	s_or_b64 s[26:27], s[26:27], exec
	s_andn2_b64 s[28:29], s[28:29], exec
	s_trap 2
	s_or_b64 exec, exec, s[0:1]
	s_and_saveexec_b64 s[0:1], s[28:29]
	s_xor_b64 s[0:1], exec, s[0:1]
	s_cbranch_execnz .LBB142_1433
.LBB142_1505:
	s_or_b64 exec, exec, s[0:1]
	s_and_saveexec_b64 s[0:1], s[24:25]
	s_xor_b64 s[0:1], exec, s[0:1]
	s_cbranch_execz .LBB142_1543
.LBB142_1506:
	s_sext_i32_i16 s22, s36
	s_cmp_lt_i32 s22, 5
	s_mov_b64 s[20:21], -1
	s_cbranch_scc1 .LBB142_1527
; %bb.1507:
	s_cmp_lt_i32 s22, 8
	s_cbranch_scc1 .LBB142_1517
; %bb.1508:
	s_cmp_lt_i32 s22, 9
	s_cbranch_scc1 .LBB142_1514
; %bb.1509:
	s_cmp_gt_i32 s22, 9
	s_cbranch_scc0 .LBB142_1511
; %bb.1510:
	s_waitcnt vmcnt(0)
	v_mov_b32_e32 v2, 0
	v_mov_b32_e32 v3, v2
	s_mov_b64 s[20:21], 0
	global_store_dwordx4 v[4:5], v[0:3], off
.LBB142_1511:
	s_andn2_b64 vcc, exec, s[20:21]
	s_cbranch_vccnz .LBB142_1513
; %bb.1512:
	s_waitcnt vmcnt(0)
	v_cvt_f32_f64_e32 v2, v[0:1]
	v_mov_b32_e32 v3, 0
	global_store_dwordx2 v[4:5], v[2:3], off
.LBB142_1513:
	s_mov_b64 s[20:21], 0
.LBB142_1514:
	s_andn2_b64 vcc, exec, s[20:21]
	s_cbranch_vccnz .LBB142_1516
; %bb.1515:
	s_movk_i32 s20, 0x1ff
	s_waitcnt vmcnt(0)
	v_and_or_b32 v2, v1, s20, v0
	v_cmp_ne_u32_e32 vcc, 0, v2
	v_cndmask_b32_e64 v2, 0, 1, vcc
	v_lshrrev_b32_e32 v3, 8, v1
	s_movk_i32 s20, 0xffe
	v_bfe_u32 v6, v1, 20, 11
	v_and_or_b32 v2, v3, s20, v2
	v_sub_u32_e32 v7, 0x3f1, v6
	v_or_b32_e32 v3, 0x1000, v2
	v_med3_i32 v7, v7, 0, 13
	v_lshrrev_b32_e32 v8, v7, v3
	v_lshlrev_b32_e32 v7, v7, v8
	v_cmp_ne_u32_e32 vcc, v7, v3
	v_cndmask_b32_e64 v3, 0, 1, vcc
	v_add_u32_e32 v6, 0xfffffc10, v6
	v_or_b32_e32 v3, v8, v3
	v_lshl_or_b32 v7, v6, 12, v2
	v_cmp_gt_i32_e32 vcc, 1, v6
	v_cndmask_b32_e32 v3, v7, v3, vcc
	v_and_b32_e32 v7, 7, v3
	v_cmp_lt_i32_e32 vcc, 5, v7
	v_cndmask_b32_e64 v8, 0, 1, vcc
	v_cmp_eq_u32_e32 vcc, 3, v7
	v_cndmask_b32_e64 v7, 0, 1, vcc
	v_or_b32_e32 v7, v7, v8
	v_lshrrev_b32_e32 v3, 2, v3
	v_add_u32_e32 v3, v3, v7
	v_mov_b32_e32 v7, 0x7c00
	v_cmp_gt_i32_e32 vcc, 31, v6
	v_cndmask_b32_e32 v3, v7, v3, vcc
	v_mov_b32_e32 v8, 0x7e00
	v_cmp_ne_u32_e32 vcc, 0, v2
	s_movk_i32 s20, 0x40f
	v_cndmask_b32_e32 v2, v7, v8, vcc
	v_cmp_eq_u32_e32 vcc, s20, v6
	v_cndmask_b32_e32 v2, v3, v2, vcc
	v_lshrrev_b32_e32 v3, 16, v1
	s_mov_b32 s20, 0x8000
	v_and_or_b32 v2, v3, s20, v2
	v_and_b32_e32 v2, 0xffff, v2
	global_store_dword v[4:5], v2, off
.LBB142_1516:
	s_mov_b64 s[20:21], 0
.LBB142_1517:
	s_andn2_b64 vcc, exec, s[20:21]
	s_cbranch_vccnz .LBB142_1526
; %bb.1518:
	s_sext_i32_i16 s22, s36
	s_cmp_lt_i32 s22, 6
	s_mov_b64 s[20:21], -1
	s_cbranch_scc1 .LBB142_1524
; %bb.1519:
	s_cmp_gt_i32 s22, 6
	s_cbranch_scc0 .LBB142_1521
; %bb.1520:
	s_mov_b64 s[20:21], 0
	s_waitcnt vmcnt(0)
	global_store_dwordx2 v[4:5], v[0:1], off
.LBB142_1521:
	s_andn2_b64 vcc, exec, s[20:21]
	s_cbranch_vccnz .LBB142_1523
; %bb.1522:
	s_waitcnt vmcnt(0)
	v_cvt_f32_f64_e32 v2, v[0:1]
	global_store_dword v[4:5], v2, off
.LBB142_1523:
	s_mov_b64 s[20:21], 0
.LBB142_1524:
	s_andn2_b64 vcc, exec, s[20:21]
	s_cbranch_vccnz .LBB142_1526
; %bb.1525:
	s_movk_i32 s20, 0x1ff
	s_waitcnt vmcnt(0)
	v_and_or_b32 v2, v1, s20, v0
	v_cmp_ne_u32_e32 vcc, 0, v2
	v_cndmask_b32_e64 v2, 0, 1, vcc
	v_lshrrev_b32_e32 v3, 8, v1
	s_movk_i32 s20, 0xffe
	v_bfe_u32 v6, v1, 20, 11
	v_and_or_b32 v2, v3, s20, v2
	v_sub_u32_e32 v7, 0x3f1, v6
	v_or_b32_e32 v3, 0x1000, v2
	v_med3_i32 v7, v7, 0, 13
	v_lshrrev_b32_e32 v8, v7, v3
	v_lshlrev_b32_e32 v7, v7, v8
	v_cmp_ne_u32_e32 vcc, v7, v3
	v_cndmask_b32_e64 v3, 0, 1, vcc
	v_add_u32_e32 v6, 0xfffffc10, v6
	v_or_b32_e32 v3, v8, v3
	v_lshl_or_b32 v7, v6, 12, v2
	v_cmp_gt_i32_e32 vcc, 1, v6
	v_cndmask_b32_e32 v3, v7, v3, vcc
	v_and_b32_e32 v7, 7, v3
	v_cmp_lt_i32_e32 vcc, 5, v7
	v_cndmask_b32_e64 v8, 0, 1, vcc
	v_cmp_eq_u32_e32 vcc, 3, v7
	v_cndmask_b32_e64 v7, 0, 1, vcc
	v_or_b32_e32 v7, v7, v8
	v_lshrrev_b32_e32 v3, 2, v3
	v_add_u32_e32 v3, v3, v7
	v_mov_b32_e32 v7, 0x7c00
	v_cmp_gt_i32_e32 vcc, 31, v6
	v_cndmask_b32_e32 v3, v7, v3, vcc
	v_mov_b32_e32 v8, 0x7e00
	v_cmp_ne_u32_e32 vcc, 0, v2
	s_movk_i32 s20, 0x40f
	v_cndmask_b32_e32 v2, v7, v8, vcc
	v_cmp_eq_u32_e32 vcc, s20, v6
	v_cndmask_b32_e32 v2, v3, v2, vcc
	v_lshrrev_b32_e32 v3, 16, v1
	s_mov_b32 s20, 0x8000
	v_and_or_b32 v2, v3, s20, v2
	global_store_short v[4:5], v2, off
.LBB142_1526:
	s_mov_b64 s[20:21], 0
.LBB142_1527:
	s_andn2_b64 vcc, exec, s[20:21]
	s_cbranch_vccnz .LBB142_1543
; %bb.1528:
	s_sext_i32_i16 s22, s36
	s_cmp_lt_i32 s22, 2
	s_mov_b64 s[20:21], -1
	s_cbranch_scc1 .LBB142_1538
; %bb.1529:
	s_cmp_lt_i32 s22, 3
	s_cbranch_scc1 .LBB142_1535
; %bb.1530:
	s_cmp_gt_i32 s22, 3
	s_cbranch_scc0 .LBB142_1532
; %bb.1531:
	s_waitcnt vmcnt(0)
	v_trunc_f64_e32 v[2:3], v[0:1]
	s_movk_i32 s20, 0xffe0
	v_ldexp_f64 v[6:7], v[2:3], s20
	s_mov_b32 s20, 0
	s_mov_b32 s21, 0xc1f00000
	v_floor_f64_e32 v[6:7], v[6:7]
	v_fma_f64 v[2:3], v[6:7], s[20:21], v[2:3]
	v_cvt_i32_f64_e32 v7, v[6:7]
	s_mov_b64 s[20:21], 0
	v_cvt_u32_f64_e32 v6, v[2:3]
	global_store_dwordx2 v[4:5], v[6:7], off
.LBB142_1532:
	s_andn2_b64 vcc, exec, s[20:21]
	s_cbranch_vccnz .LBB142_1534
; %bb.1533:
	s_waitcnt vmcnt(0)
	v_cvt_i32_f64_e32 v2, v[0:1]
	global_store_dword v[4:5], v2, off
.LBB142_1534:
	s_mov_b64 s[20:21], 0
.LBB142_1535:
	s_andn2_b64 vcc, exec, s[20:21]
	s_cbranch_vccnz .LBB142_1537
; %bb.1536:
	s_waitcnt vmcnt(0)
	v_cvt_i32_f64_e32 v2, v[0:1]
	global_store_short v[4:5], v2, off
.LBB142_1537:
	s_mov_b64 s[20:21], 0
.LBB142_1538:
	s_andn2_b64 vcc, exec, s[20:21]
	s_cbranch_vccnz .LBB142_1543
; %bb.1539:
	s_sext_i32_i16 s20, s36
	s_cmp_gt_i32 s20, 0
	s_mov_b64 s[20:21], -1
	s_cbranch_scc0 .LBB142_1541
; %bb.1540:
	s_waitcnt vmcnt(0)
	v_cvt_i32_f64_e32 v2, v[0:1]
	s_mov_b64 s[20:21], 0
	global_store_byte v[4:5], v2, off
.LBB142_1541:
	s_andn2_b64 vcc, exec, s[20:21]
	s_cbranch_vccnz .LBB142_1543
; %bb.1542:
	s_waitcnt vmcnt(0)
	v_trunc_f64_e32 v[0:1], v[0:1]
	s_movk_i32 s20, 0xffe0
	v_ldexp_f64 v[2:3], v[0:1], s20
	s_mov_b32 s20, 0
	s_mov_b32 s21, 0xc1f00000
	v_floor_f64_e32 v[2:3], v[2:3]
	v_fma_f64 v[0:1], v[2:3], s[20:21], v[0:1]
	v_cvt_u32_f64_e32 v0, v[0:1]
	global_store_byte v[4:5], v0, off
.LBB142_1543:
	s_or_b64 exec, exec, s[0:1]
	s_and_b64 s[20:21], s[26:27], exec
                                        ; implicit-def: $vgpr18
.LBB142_1544:
	s_or_saveexec_b64 s[6:7], s[6:7]
	s_mov_b64 s[0:1], 0
                                        ; implicit-def: $sgpr24
                                        ; implicit-def: $vgpr4_vgpr5
                                        ; implicit-def: $vgpr0_vgpr1
	s_xor_b64 exec, exec, s[6:7]
	s_cbranch_execz .LBB142_3014
; %bb.1545:
	s_waitcnt vmcnt(0)
	v_mul_lo_u32 v6, s9, v18
	v_mov_b32_e32 v0, s19
	s_and_b32 s30, s58, 0xff
	s_cmp_lt_i32 s30, 11
	v_ashrrev_i32_e32 v1, 31, v6
	v_add_co_u32_e32 v2, vcc, s18, v6
	v_addc_co_u32_e32 v3, vcc, v0, v1, vcc
	s_cbranch_scc1 .LBB142_1552
; %bb.1546:
	s_and_b32 s28, 0xffff, s30
	s_cmp_gt_i32 s28, 25
	s_cbranch_scc0 .LBB142_1554
; %bb.1547:
	s_cmp_gt_i32 s28, 28
	s_cbranch_scc0 .LBB142_1555
; %bb.1548:
	;; [unrolled: 3-line block ×4, first 2 shown]
	s_cmp_eq_u32 s28, 46
	s_mov_b64 s[22:23], 0
	s_cbranch_scc0 .LBB142_1560
; %bb.1551:
	global_load_dword v0, v[2:3], off
	s_mov_b64 s[24:25], -1
	s_waitcnt vmcnt(0)
	v_lshlrev_b32_e32 v0, 16, v0
	v_cvt_f64_f32_e32 v[0:1], v0
	s_branch .LBB142_1561
.LBB142_1552:
	s_mov_b64 s[24:25], 0
                                        ; implicit-def: $vgpr0_vgpr1
	s_mov_b64 s[22:23], s[20:21]
	s_cbranch_execnz .LBB142_1624
.LBB142_1553:
	s_andn2_b64 vcc, exec, s[24:25]
                                        ; implicit-def: $vgpr2_vgpr3
	s_cbranch_vccz .LBB142_1669
	s_branch .LBB142_3012
.LBB142_1554:
	s_mov_b64 s[24:25], 0
                                        ; implicit-def: $vgpr0_vgpr1
	s_cbranch_execnz .LBB142_1591
	s_branch .LBB142_1620
.LBB142_1555:
	s_mov_b64 s[22:23], -1
	s_mov_b64 s[24:25], 0
                                        ; implicit-def: $vgpr0_vgpr1
	s_branch .LBB142_1570
.LBB142_1556:
	s_mov_b64 s[24:25], 0
                                        ; implicit-def: $vgpr0_vgpr1
	s_cbranch_execnz .LBB142_1566
	s_branch .LBB142_1569
.LBB142_1557:
	s_mov_b64 s[22:23], -1
	s_mov_b64 s[24:25], 0
                                        ; implicit-def: $vgpr0_vgpr1
	s_branch .LBB142_1561
.LBB142_1558:
	s_andn2_saveexec_b64 s[30:31], s[30:31]
	s_cbranch_execz .LBB142_1457
.LBB142_1559:
	s_mov_b32 s34, 0x46000000
	v_add_f32_e64 v3, |v2|, s34
	v_and_b32_e32 v3, 0xff, v3
	v_cmp_ne_u32_e32 vcc, 0, v3
	s_andn2_b64 s[28:29], s[28:29], exec
	s_and_b64 s[34:35], vcc, exec
	s_or_b64 s[28:29], s[28:29], s[34:35]
	s_or_b64 exec, exec, s[30:31]
	v_mov_b32_e32 v6, 0
	s_and_saveexec_b64 s[30:31], s[28:29]
	s_cbranch_execnz .LBB142_1458
	s_branch .LBB142_1459
.LBB142_1560:
	s_mov_b64 s[0:1], -1
                                        ; implicit-def: $vgpr0_vgpr1
	s_mov_b64 s[24:25], 0
.LBB142_1561:
	s_and_b64 vcc, exec, s[22:23]
	s_cbranch_vccz .LBB142_1564
; %bb.1562:
	s_cmp_eq_u32 s28, 44
	s_cbranch_scc0 .LBB142_1565
; %bb.1563:
	global_load_ubyte v4, v[2:3], off
	s_movk_i32 s22, 0xff
	v_bfrev_b32_e32 v5, 4
	v_mov_b32_e32 v7, 0x7ff80000
	v_bfrev_b32_e32 v8, 28
	s_mov_b64 s[0:1], 0
	s_mov_b64 s[24:25], -1
	s_waitcnt vmcnt(0)
	v_lshlrev_b32_e32 v0, 23, v4
	v_cvt_f64_f32_e32 v[0:1], v0
	v_cmp_ne_u32_e32 vcc, s22, v4
	v_cndmask_b32_e32 v0, v5, v0, vcc
	v_cndmask_b32_e32 v1, v7, v1, vcc
	v_cmp_ne_u32_e32 vcc, 0, v4
	v_cndmask_b32_e32 v1, v8, v1, vcc
	v_cndmask_b32_e32 v0, 0, v0, vcc
.LBB142_1564:
	s_branch .LBB142_1569
.LBB142_1565:
	s_mov_b64 s[0:1], -1
                                        ; implicit-def: $vgpr0_vgpr1
	s_branch .LBB142_1569
.LBB142_1566:
	s_cmp_eq_u32 s28, 29
	s_cbranch_scc0 .LBB142_1568
; %bb.1567:
	global_load_dwordx2 v[0:1], v[2:3], off
	s_mov_b64 s[0:1], 0
	s_mov_b64 s[24:25], -1
	s_mov_b64 s[22:23], 0
	s_waitcnt vmcnt(0)
	v_cvt_f64_u32_e32 v[4:5], v1
	v_cvt_f64_u32_e32 v[0:1], v0
	v_ldexp_f64 v[4:5], v[4:5], 32
	v_add_f64 v[0:1], v[4:5], v[0:1]
	s_branch .LBB142_1570
.LBB142_1568:
	s_mov_b64 s[0:1], -1
                                        ; implicit-def: $vgpr0_vgpr1
.LBB142_1569:
	s_mov_b64 s[22:23], 0
.LBB142_1570:
	s_and_b64 vcc, exec, s[22:23]
	s_cbranch_vccz .LBB142_1590
; %bb.1571:
	s_cmp_lt_i32 s28, 27
	s_cbranch_scc1 .LBB142_1574
; %bb.1572:
	s_cmp_gt_i32 s28, 27
	s_cbranch_scc0 .LBB142_1575
; %bb.1573:
	global_load_dword v0, v[2:3], off
	s_mov_b64 s[22:23], 0
	s_waitcnt vmcnt(0)
	v_cvt_f64_u32_e32 v[0:1], v0
	s_branch .LBB142_1576
.LBB142_1574:
	s_mov_b64 s[22:23], -1
                                        ; implicit-def: $vgpr0_vgpr1
	s_branch .LBB142_1579
.LBB142_1575:
	s_mov_b64 s[22:23], -1
                                        ; implicit-def: $vgpr0_vgpr1
.LBB142_1576:
	s_andn2_b64 vcc, exec, s[22:23]
	s_cbranch_vccnz .LBB142_1578
; %bb.1577:
	global_load_ushort v0, v[2:3], off
	s_waitcnt vmcnt(0)
	v_cvt_f64_u32_e32 v[0:1], v0
.LBB142_1578:
	s_mov_b64 s[22:23], 0
.LBB142_1579:
	s_andn2_b64 vcc, exec, s[22:23]
	s_cbranch_vccnz .LBB142_1589
; %bb.1580:
	global_load_ubyte v4, v[2:3], off
	s_movk_i32 s22, 0x7f
	s_waitcnt vmcnt(0)
	v_cmp_lt_i16_e32 vcc, s22, v4
	s_mov_b64 s[22:23], 0
	s_and_saveexec_b64 s[24:25], vcc
	s_xor_b64 s[24:25], exec, s[24:25]
	s_cbranch_execz .LBB142_1584
; %bb.1581:
	s_movk_i32 s22, 0x80
	v_cmp_eq_u16_e32 vcc, s22, v4
	s_mov_b64 s[22:23], -1
	s_and_saveexec_b64 s[26:27], vcc
; %bb.1582:
	s_xor_b64 s[22:23], exec, -1
; %bb.1583:
	s_or_b64 exec, exec, s[26:27]
	s_and_b64 s[22:23], s[22:23], exec
.LBB142_1584:
	s_or_saveexec_b64 s[24:25], s[24:25]
	v_bfrev_b32_e32 v0, 4
	v_mov_b32_e32 v1, 0x7ff80000
	s_xor_b64 exec, exec, s[24:25]
; %bb.1585:
	v_cmp_ne_u16_e32 vcc, 0, v4
	v_mov_b32_e32 v0, 0
	s_andn2_b64 s[22:23], s[22:23], exec
	s_and_b64 s[26:27], vcc, exec
	v_mov_b32_e32 v1, 0
	s_or_b64 s[22:23], s[22:23], s[26:27]
; %bb.1586:
	s_or_b64 exec, exec, s[24:25]
	s_and_saveexec_b64 s[24:25], s[22:23]
	s_cbranch_execz .LBB142_1588
; %bb.1587:
	v_and_b32_e32 v1, 0xffff, v4
	v_lshlrev_b32_e32 v0, 24, v4
	v_and_b32_e32 v4, 7, v1
	v_ffbh_u32_e32 v7, v4
	v_min_u32_e32 v7, 32, v7
	v_subrev_u32_e32 v8, 28, v7
	v_bfe_u32 v5, v1, 3, 4
	v_lshlrev_b32_e32 v1, v8, v1
	v_sub_u32_e32 v7, 29, v7
	v_and_b32_e32 v1, 7, v1
	v_cmp_eq_u32_e32 vcc, 0, v5
	v_cndmask_b32_e32 v5, v5, v7, vcc
	v_cndmask_b32_e32 v1, v4, v1, vcc
	v_mov_b32_e32 v4, 0x3b800000
	v_lshlrev_b32_e32 v1, 20, v1
	v_and_b32_e32 v0, 0x80000000, v0
	v_lshl_add_u32 v4, v5, 23, v4
	v_or3_b32 v0, v0, v4, v1
	v_cvt_f64_f32_e32 v[0:1], v0
.LBB142_1588:
	s_or_b64 exec, exec, s[24:25]
.LBB142_1589:
	s_mov_b64 s[24:25], -1
.LBB142_1590:
	s_branch .LBB142_1620
.LBB142_1591:
	s_cmp_gt_i32 s28, 22
	s_cbranch_scc0 .LBB142_1603
; %bb.1592:
	s_cmp_lt_i32 s28, 24
	s_cbranch_scc1 .LBB142_1604
; %bb.1593:
	s_cmp_gt_i32 s28, 24
	s_cbranch_scc0 .LBB142_1605
; %bb.1594:
	global_load_ubyte v4, v[2:3], off
	s_movk_i32 s4, 0x7f
	s_waitcnt vmcnt(0)
	v_cmp_lt_i16_e32 vcc, s4, v4
	s_mov_b64 s[4:5], 0
	s_and_saveexec_b64 s[22:23], vcc
	s_xor_b64 s[22:23], exec, s[22:23]
	s_cbranch_execz .LBB142_1598
; %bb.1595:
	s_movk_i32 s4, 0x80
	v_cmp_eq_u16_e32 vcc, s4, v4
	s_mov_b64 s[4:5], -1
	s_and_saveexec_b64 s[24:25], vcc
; %bb.1596:
	s_xor_b64 s[4:5], exec, -1
; %bb.1597:
	s_or_b64 exec, exec, s[24:25]
	s_and_b64 s[4:5], s[4:5], exec
.LBB142_1598:
	s_or_saveexec_b64 s[22:23], s[22:23]
	v_bfrev_b32_e32 v0, 4
	v_mov_b32_e32 v1, 0x7ff80000
	s_xor_b64 exec, exec, s[22:23]
; %bb.1599:
	v_cmp_ne_u16_e32 vcc, 0, v4
	v_mov_b32_e32 v0, 0
	s_andn2_b64 s[4:5], s[4:5], exec
	s_and_b64 s[24:25], vcc, exec
	v_mov_b32_e32 v1, 0
	s_or_b64 s[4:5], s[4:5], s[24:25]
; %bb.1600:
	s_or_b64 exec, exec, s[22:23]
	s_and_saveexec_b64 s[22:23], s[4:5]
	s_cbranch_execz .LBB142_1602
; %bb.1601:
	v_and_b32_e32 v1, 0xffff, v4
	v_lshlrev_b32_e32 v0, 24, v4
	v_and_b32_e32 v4, 3, v1
	v_ffbh_u32_e32 v7, v4
	v_min_u32_e32 v7, 32, v7
	v_subrev_u32_e32 v8, 29, v7
	v_bfe_u32 v5, v1, 2, 5
	v_lshlrev_b32_e32 v1, v8, v1
	v_sub_u32_e32 v7, 30, v7
	v_and_b32_e32 v1, 3, v1
	v_cmp_eq_u32_e32 vcc, 0, v5
	v_cndmask_b32_e32 v5, v5, v7, vcc
	v_cndmask_b32_e32 v1, v4, v1, vcc
	v_mov_b32_e32 v4, 0x37800000
	v_lshlrev_b32_e32 v1, 21, v1
	v_and_b32_e32 v0, 0x80000000, v0
	v_lshl_add_u32 v4, v5, 23, v4
	v_or3_b32 v0, v0, v4, v1
	v_cvt_f64_f32_e32 v[0:1], v0
.LBB142_1602:
	s_or_b64 exec, exec, s[22:23]
	s_mov_b64 s[4:5], 0
	s_branch .LBB142_1606
.LBB142_1603:
                                        ; implicit-def: $vgpr0_vgpr1
	s_mov_b64 s[4:5], 0
	s_branch .LBB142_1612
.LBB142_1604:
	s_mov_b64 s[4:5], -1
                                        ; implicit-def: $vgpr0_vgpr1
	s_branch .LBB142_1609
.LBB142_1605:
	s_mov_b64 s[4:5], -1
                                        ; implicit-def: $vgpr0_vgpr1
.LBB142_1606:
	s_and_b64 vcc, exec, s[4:5]
	s_cbranch_vccz .LBB142_1608
; %bb.1607:
	global_load_ubyte v0, v[2:3], off
	s_mov_b32 s4, 0x7f800000
	s_waitcnt vmcnt(0)
	v_lshlrev_b32_e32 v0, 24, v0
	v_and_b32_e32 v1, 0x7f000000, v0
	v_ffbh_u32_e32 v4, v1
	v_min_u32_e32 v4, 32, v4
	v_sub_u32_e64 v4, v4, 4 clamp
	v_lshlrev_b32_e32 v7, v4, v1
	v_lshlrev_b32_e32 v4, 23, v4
	v_lshrrev_b32_e32 v7, 4, v7
	v_add_u32_e32 v5, 0x1000000, v1
	v_sub_u32_e32 v4, v7, v4
	v_ashrrev_i32_e32 v5, 8, v5
	v_add_u32_e32 v4, 0x3c000000, v4
	v_and_or_b32 v4, v5, s4, v4
	v_cmp_ne_u32_e32 vcc, 0, v1
	v_cndmask_b32_e32 v1, 0, v4, vcc
	s_brev_b32 s4, 1
	v_and_or_b32 v0, v0, s4, v1
	v_cvt_f64_f32_e32 v[0:1], v0
.LBB142_1608:
	s_mov_b64 s[4:5], 0
.LBB142_1609:
	s_andn2_b64 vcc, exec, s[4:5]
	s_cbranch_vccnz .LBB142_1611
; %bb.1610:
	global_load_ubyte v0, v[2:3], off
	s_movk_i32 s4, 0x7f00
	s_brev_b32 s5, 16
	s_waitcnt vmcnt(0)
	v_lshlrev_b16_e32 v1, 8, v0
	v_lshlrev_b32_e32 v0, 25, v0
	v_lshrrev_b32_e32 v4, 4, v0
	v_and_or_b32 v5, v1, s4, 0.5
	v_or_b32_e32 v4, 0x70000000, v4
	v_add_f32_e32 v5, -0.5, v5
	v_mul_f32_e32 v4, 0x7800000, v4
	v_cmp_gt_u32_e32 vcc, s5, v0
	v_bfe_i32 v1, v1, 0, 16
	v_cndmask_b32_e32 v0, v4, v5, vcc
	s_brev_b32 s4, 1
	v_and_or_b32 v0, v1, s4, v0
	v_cvt_f64_f32_e32 v[0:1], v0
.LBB142_1611:
	s_mov_b64 s[24:25], -1
	s_mov_b64 s[4:5], 0
	s_cbranch_execnz .LBB142_1620
.LBB142_1612:
	s_cmp_gt_i32 s28, 14
	s_cbranch_scc0 .LBB142_1615
; %bb.1613:
	s_cmp_eq_u32 s28, 15
	s_cbranch_scc0 .LBB142_1616
; %bb.1614:
	global_load_ushort v0, v[2:3], off
	s_mov_b64 s[0:1], 0
	s_mov_b64 s[24:25], -1
	s_waitcnt vmcnt(0)
	v_lshlrev_b32_e32 v0, 16, v0
	v_cvt_f64_f32_e32 v[0:1], v0
	s_branch .LBB142_1617
.LBB142_1615:
	s_mov_b64 s[22:23], -1
                                        ; implicit-def: $vgpr0_vgpr1
	s_branch .LBB142_1618
.LBB142_1616:
	s_mov_b64 s[0:1], -1
                                        ; implicit-def: $vgpr0_vgpr1
.LBB142_1617:
	s_mov_b64 s[22:23], 0
.LBB142_1618:
	s_and_b64 vcc, exec, s[22:23]
	s_cbranch_vccz .LBB142_1620
; %bb.1619:
	s_cmp_lg_u32 s28, 11
	s_mov_b64 s[4:5], -1
	s_cselect_b64 s[0:1], -1, 0
.LBB142_1620:
	s_and_b64 vcc, exec, s[0:1]
	s_mov_b64 s[22:23], s[20:21]
	s_cbranch_vccnz .LBB142_1681
; %bb.1621:
	s_andn2_b64 vcc, exec, s[4:5]
	s_cbranch_vccnz .LBB142_1623
.LBB142_1622:
	global_load_ubyte v1, v[2:3], off
	v_mov_b32_e32 v4, 0x3ff00000
	v_mov_b32_e32 v0, 0
	s_mov_b64 s[24:25], -1
	s_waitcnt vmcnt(0)
	v_cmp_ne_u16_e32 vcc, 0, v1
	v_cndmask_b32_e32 v1, 0, v4, vcc
.LBB142_1623:
	s_branch .LBB142_1553
.LBB142_1624:
	s_and_b32 s4, 0xffff, s30
	s_cmp_lt_i32 s4, 5
	s_cbranch_scc1 .LBB142_1629
; %bb.1625:
	s_cmp_lt_i32 s4, 8
	s_cbranch_scc1 .LBB142_1630
; %bb.1626:
	;; [unrolled: 3-line block ×3, first 2 shown]
	s_cmp_gt_i32 s4, 9
	s_cbranch_scc0 .LBB142_1632
; %bb.1628:
	global_load_dwordx2 v[0:1], v[2:3], off
	s_mov_b64 s[0:1], 0
	s_branch .LBB142_1633
.LBB142_1629:
                                        ; implicit-def: $vgpr0_vgpr1
	s_branch .LBB142_1650
.LBB142_1630:
                                        ; implicit-def: $vgpr0_vgpr1
	s_branch .LBB142_1639
.LBB142_1631:
	s_mov_b64 s[0:1], -1
                                        ; implicit-def: $vgpr0_vgpr1
	s_branch .LBB142_1636
.LBB142_1632:
	s_mov_b64 s[0:1], -1
                                        ; implicit-def: $vgpr0_vgpr1
.LBB142_1633:
	s_andn2_b64 vcc, exec, s[0:1]
	s_cbranch_vccnz .LBB142_1635
; %bb.1634:
	global_load_dword v0, v[2:3], off
	s_waitcnt vmcnt(0)
	v_cvt_f64_f32_e32 v[0:1], v0
.LBB142_1635:
	s_mov_b64 s[0:1], 0
.LBB142_1636:
	s_andn2_b64 vcc, exec, s[0:1]
	s_cbranch_vccnz .LBB142_1638
; %bb.1637:
	global_load_dword v0, v[2:3], off
	s_waitcnt vmcnt(0)
	v_cvt_f32_f16_e32 v0, v0
	v_cvt_f64_f32_e32 v[0:1], v0
.LBB142_1638:
	s_cbranch_execnz .LBB142_1649
.LBB142_1639:
	s_cmp_lt_i32 s4, 6
	s_cbranch_scc1 .LBB142_1642
; %bb.1640:
	s_cmp_gt_i32 s4, 6
	s_cbranch_scc0 .LBB142_1643
; %bb.1641:
	global_load_dwordx2 v[0:1], v[2:3], off
	s_mov_b64 s[0:1], 0
	s_branch .LBB142_1644
.LBB142_1642:
	s_mov_b64 s[0:1], -1
                                        ; implicit-def: $vgpr0_vgpr1
	s_branch .LBB142_1647
.LBB142_1643:
	s_mov_b64 s[0:1], -1
                                        ; implicit-def: $vgpr0_vgpr1
.LBB142_1644:
	s_andn2_b64 vcc, exec, s[0:1]
	s_cbranch_vccnz .LBB142_1646
; %bb.1645:
	global_load_dword v0, v[2:3], off
	s_waitcnt vmcnt(0)
	v_cvt_f64_f32_e32 v[0:1], v0
.LBB142_1646:
	s_mov_b64 s[0:1], 0
.LBB142_1647:
	s_andn2_b64 vcc, exec, s[0:1]
	s_cbranch_vccnz .LBB142_1649
; %bb.1648:
	global_load_ushort v0, v[2:3], off
	s_waitcnt vmcnt(0)
	v_cvt_f32_f16_e32 v0, v0
	v_cvt_f64_f32_e32 v[0:1], v0
.LBB142_1649:
	s_cbranch_execnz .LBB142_1668
.LBB142_1650:
	s_cmp_lt_i32 s4, 2
	s_cbranch_scc1 .LBB142_1654
; %bb.1651:
	s_cmp_lt_i32 s4, 3
	s_cbranch_scc1 .LBB142_1655
; %bb.1652:
	s_cmp_gt_i32 s4, 3
	s_cbranch_scc0 .LBB142_1656
; %bb.1653:
	global_load_dwordx2 v[0:1], v[2:3], off
	s_mov_b64 s[0:1], 0
	s_waitcnt vmcnt(0)
	v_cvt_f64_i32_e32 v[4:5], v1
	v_cvt_f64_u32_e32 v[0:1], v0
	v_ldexp_f64 v[4:5], v[4:5], 32
	v_add_f64 v[0:1], v[4:5], v[0:1]
	s_branch .LBB142_1657
.LBB142_1654:
                                        ; implicit-def: $vgpr0_vgpr1
	s_branch .LBB142_1663
.LBB142_1655:
	s_mov_b64 s[0:1], -1
                                        ; implicit-def: $vgpr0_vgpr1
	s_branch .LBB142_1660
.LBB142_1656:
	s_mov_b64 s[0:1], -1
                                        ; implicit-def: $vgpr0_vgpr1
.LBB142_1657:
	s_andn2_b64 vcc, exec, s[0:1]
	s_cbranch_vccnz .LBB142_1659
; %bb.1658:
	global_load_dword v0, v[2:3], off
	s_waitcnt vmcnt(0)
	v_cvt_f64_i32_e32 v[0:1], v0
.LBB142_1659:
	s_mov_b64 s[0:1], 0
.LBB142_1660:
	s_andn2_b64 vcc, exec, s[0:1]
	s_cbranch_vccnz .LBB142_1662
; %bb.1661:
	global_load_sshort v0, v[2:3], off
	s_waitcnt vmcnt(0)
	v_cvt_f64_i32_e32 v[0:1], v0
.LBB142_1662:
	s_cbranch_execnz .LBB142_1668
.LBB142_1663:
	s_cmp_gt_i32 s4, 0
	s_cbranch_scc0 .LBB142_1665
; %bb.1664:
	global_load_sbyte v0, v[2:3], off
	s_mov_b64 s[0:1], 0
	s_waitcnt vmcnt(0)
	v_cvt_f64_i32_e32 v[0:1], v0
	s_branch .LBB142_1666
.LBB142_1665:
	s_mov_b64 s[0:1], -1
                                        ; implicit-def: $vgpr0_vgpr1
.LBB142_1666:
	s_andn2_b64 vcc, exec, s[0:1]
	s_cbranch_vccnz .LBB142_1668
; %bb.1667:
	global_load_ubyte v0, v[2:3], off
	s_waitcnt vmcnt(0)
	v_cvt_f64_u32_e32 v[0:1], v0
.LBB142_1668:
                                        ; implicit-def: $vgpr2_vgpr3
.LBB142_1669:
	v_mul_lo_u32 v8, s10, v18
	v_mov_b32_e32 v2, s3
	s_and_b32 s31, s11, 0xff
	s_cmp_lt_i32 s31, 11
	v_ashrrev_i32_e32 v3, 31, v8
	v_add_co_u32_e32 v4, vcc, s2, v8
	v_addc_co_u32_e32 v5, vcc, v2, v3, vcc
	s_cbranch_scc1 .LBB142_1676
; %bb.1670:
	s_and_b32 s11, 0xffff, s31
	s_cmp_gt_i32 s11, 25
	s_mov_b64 s[4:5], 0
	s_cbranch_scc0 .LBB142_1678
; %bb.1671:
	s_cmp_gt_i32 s11, 28
	s_cbranch_scc0 .LBB142_1679
; %bb.1672:
	s_cmp_gt_i32 s11, 43
	;; [unrolled: 3-line block ×3, first 2 shown]
	s_cbranch_scc0 .LBB142_1682
; %bb.1674:
	s_cmp_eq_u32 s11, 46
	s_mov_b64 s[26:27], 0
	s_cbranch_scc0 .LBB142_1685
; %bb.1675:
	global_load_dword v2, v[4:5], off
	s_mov_b64 s[0:1], 0
	s_mov_b64 s[24:25], -1
	s_waitcnt vmcnt(0)
	v_lshlrev_b32_e32 v2, 16, v2
	v_cvt_f64_f32_e32 v[2:3], v2
	s_branch .LBB142_1686
.LBB142_1676:
	s_mov_b64 s[24:25], 0
                                        ; implicit-def: $vgpr2_vgpr3
	s_cbranch_execnz .LBB142_1751
.LBB142_1677:
	s_andn2_b64 vcc, exec, s[24:25]
	s_cbranch_vccnz .LBB142_3012
	s_branch .LBB142_1798
.LBB142_1678:
	s_mov_b64 s[24:25], 0
	s_mov_b64 s[0:1], 0
                                        ; implicit-def: $vgpr2_vgpr3
	s_cbranch_execnz .LBB142_1717
	s_branch .LBB142_1747
.LBB142_1679:
	s_mov_b64 s[26:27], -1
	s_mov_b64 s[24:25], 0
	s_mov_b64 s[0:1], 0
                                        ; implicit-def: $vgpr2_vgpr3
	s_branch .LBB142_1696
.LBB142_1680:
	s_mov_b64 s[26:27], -1
	s_mov_b64 s[24:25], 0
	s_mov_b64 s[0:1], 0
                                        ; implicit-def: $vgpr2_vgpr3
	s_branch .LBB142_1691
.LBB142_1681:
	s_or_b64 s[22:23], s[20:21], exec
	s_trap 2
	s_cbranch_execz .LBB142_1622
	s_branch .LBB142_1623
.LBB142_1682:
	s_mov_b64 s[26:27], -1
	s_mov_b64 s[24:25], 0
	s_mov_b64 s[0:1], 0
                                        ; implicit-def: $vgpr2_vgpr3
	s_branch .LBB142_1686
.LBB142_1683:
	s_andn2_saveexec_b64 s[34:35], s[34:35]
	s_cbranch_execz .LBB142_1469
.LBB142_1684:
	s_mov_b32 s38, 0x42800000
	v_add_f32_e64 v3, |v2|, s38
	v_and_b32_e32 v3, 0xff, v3
	v_cmp_ne_u32_e32 vcc, 0, v3
	s_andn2_b64 s[30:31], s[30:31], exec
	s_and_b64 s[38:39], vcc, exec
	s_or_b64 s[30:31], s[30:31], s[38:39]
	s_or_b64 exec, exec, s[34:35]
	v_mov_b32_e32 v6, 0
	s_and_saveexec_b64 s[34:35], s[30:31]
	s_cbranch_execnz .LBB142_1470
	s_branch .LBB142_1471
.LBB142_1685:
	s_mov_b64 s[0:1], -1
                                        ; implicit-def: $vgpr2_vgpr3
	s_mov_b64 s[24:25], 0
.LBB142_1686:
	s_and_b64 vcc, exec, s[26:27]
	s_cbranch_vccz .LBB142_1690
; %bb.1687:
	s_cmp_eq_u32 s11, 44
	s_cbranch_scc0 .LBB142_1689
; %bb.1688:
	global_load_ubyte v7, v[4:5], off
	s_movk_i32 s24, 0xff
	v_bfrev_b32_e32 v9, 4
	v_mov_b32_e32 v10, 0x7ff80000
	v_bfrev_b32_e32 v11, 28
	s_mov_b64 s[0:1], 0
	s_waitcnt vmcnt(0)
	v_lshlrev_b32_e32 v2, 23, v7
	v_cvt_f64_f32_e32 v[2:3], v2
	v_cmp_ne_u32_e32 vcc, s24, v7
	s_mov_b64 s[24:25], -1
	v_cndmask_b32_e32 v2, v9, v2, vcc
	v_cndmask_b32_e32 v3, v10, v3, vcc
	v_cmp_ne_u32_e32 vcc, 0, v7
	v_cndmask_b32_e32 v3, v11, v3, vcc
	v_cndmask_b32_e32 v2, 0, v2, vcc
	s_branch .LBB142_1690
.LBB142_1689:
	s_mov_b64 s[0:1], -1
                                        ; implicit-def: $vgpr2_vgpr3
.LBB142_1690:
	s_mov_b64 s[26:27], 0
.LBB142_1691:
	s_and_b64 vcc, exec, s[26:27]
	s_cbranch_vccz .LBB142_1695
; %bb.1692:
	s_cmp_eq_u32 s11, 29
	s_cbranch_scc0 .LBB142_1694
; %bb.1693:
	global_load_dwordx2 v[2:3], v[4:5], off
	s_mov_b64 s[0:1], 0
	s_mov_b64 s[24:25], -1
	s_mov_b64 s[26:27], 0
	s_waitcnt vmcnt(0)
	v_cvt_f64_u32_e32 v[9:10], v3
	v_cvt_f64_u32_e32 v[2:3], v2
	v_ldexp_f64 v[9:10], v[9:10], 32
	v_add_f64 v[2:3], v[9:10], v[2:3]
	s_branch .LBB142_1696
.LBB142_1694:
	s_mov_b64 s[0:1], -1
                                        ; implicit-def: $vgpr2_vgpr3
.LBB142_1695:
	s_mov_b64 s[26:27], 0
.LBB142_1696:
	s_and_b64 vcc, exec, s[26:27]
	s_cbranch_vccz .LBB142_1716
; %bb.1697:
	s_cmp_lt_i32 s11, 27
	s_cbranch_scc1 .LBB142_1700
; %bb.1698:
	s_cmp_gt_i32 s11, 27
	s_cbranch_scc0 .LBB142_1701
; %bb.1699:
	global_load_dword v2, v[4:5], off
	s_mov_b64 s[24:25], 0
	s_waitcnt vmcnt(0)
	v_cvt_f64_u32_e32 v[2:3], v2
	s_branch .LBB142_1702
.LBB142_1700:
	s_mov_b64 s[24:25], -1
                                        ; implicit-def: $vgpr2_vgpr3
	s_branch .LBB142_1705
.LBB142_1701:
	s_mov_b64 s[24:25], -1
                                        ; implicit-def: $vgpr2_vgpr3
.LBB142_1702:
	s_andn2_b64 vcc, exec, s[24:25]
	s_cbranch_vccnz .LBB142_1704
; %bb.1703:
	global_load_ushort v2, v[4:5], off
	s_waitcnt vmcnt(0)
	v_cvt_f64_u32_e32 v[2:3], v2
.LBB142_1704:
	s_mov_b64 s[24:25], 0
.LBB142_1705:
	s_andn2_b64 vcc, exec, s[24:25]
	s_cbranch_vccnz .LBB142_1715
; %bb.1706:
	global_load_ubyte v7, v[4:5], off
	s_movk_i32 s24, 0x7f
	s_waitcnt vmcnt(0)
	v_cmp_lt_i16_e32 vcc, s24, v7
	s_mov_b64 s[24:25], 0
	s_and_saveexec_b64 s[26:27], vcc
	s_xor_b64 s[26:27], exec, s[26:27]
	s_cbranch_execz .LBB142_1710
; %bb.1707:
	s_movk_i32 s24, 0x80
	v_cmp_eq_u16_e32 vcc, s24, v7
	s_mov_b64 s[24:25], -1
	s_and_saveexec_b64 s[28:29], vcc
; %bb.1708:
	s_xor_b64 s[24:25], exec, -1
; %bb.1709:
	s_or_b64 exec, exec, s[28:29]
	s_and_b64 s[24:25], s[24:25], exec
.LBB142_1710:
	s_or_saveexec_b64 s[26:27], s[26:27]
	v_bfrev_b32_e32 v2, 4
	v_mov_b32_e32 v3, 0x7ff80000
	s_xor_b64 exec, exec, s[26:27]
; %bb.1711:
	v_cmp_ne_u16_e32 vcc, 0, v7
	v_mov_b32_e32 v2, 0
	s_andn2_b64 s[24:25], s[24:25], exec
	s_and_b64 s[28:29], vcc, exec
	v_mov_b32_e32 v3, 0
	s_or_b64 s[24:25], s[24:25], s[28:29]
; %bb.1712:
	s_or_b64 exec, exec, s[26:27]
	s_and_saveexec_b64 s[26:27], s[24:25]
	s_cbranch_execz .LBB142_1714
; %bb.1713:
	v_and_b32_e32 v3, 0xffff, v7
	v_lshlrev_b32_e32 v2, 24, v7
	v_and_b32_e32 v7, 7, v3
	v_ffbh_u32_e32 v10, v7
	v_min_u32_e32 v10, 32, v10
	v_subrev_u32_e32 v11, 28, v10
	v_bfe_u32 v9, v3, 3, 4
	v_lshlrev_b32_e32 v3, v11, v3
	v_sub_u32_e32 v10, 29, v10
	v_and_b32_e32 v3, 7, v3
	v_cmp_eq_u32_e32 vcc, 0, v9
	v_cndmask_b32_e32 v9, v9, v10, vcc
	v_cndmask_b32_e32 v3, v7, v3, vcc
	v_mov_b32_e32 v7, 0x3b800000
	v_lshlrev_b32_e32 v3, 20, v3
	v_and_b32_e32 v2, 0x80000000, v2
	v_lshl_add_u32 v7, v9, 23, v7
	v_or3_b32 v2, v2, v7, v3
	v_cvt_f64_f32_e32 v[2:3], v2
.LBB142_1714:
	s_or_b64 exec, exec, s[26:27]
.LBB142_1715:
	s_mov_b64 s[24:25], -1
.LBB142_1716:
	s_branch .LBB142_1747
.LBB142_1717:
	s_cmp_gt_i32 s11, 22
	s_cbranch_scc0 .LBB142_1729
; %bb.1718:
	s_cmp_lt_i32 s11, 24
	s_cbranch_scc1 .LBB142_1730
; %bb.1719:
	s_cmp_gt_i32 s11, 24
	s_cbranch_scc0 .LBB142_1731
; %bb.1720:
	global_load_ubyte v7, v[4:5], off
	s_movk_i32 s4, 0x7f
	s_waitcnt vmcnt(0)
	v_cmp_lt_i16_e32 vcc, s4, v7
	s_mov_b64 s[4:5], 0
	s_and_saveexec_b64 s[24:25], vcc
	s_xor_b64 s[24:25], exec, s[24:25]
	s_cbranch_execz .LBB142_1724
; %bb.1721:
	s_movk_i32 s4, 0x80
	v_cmp_eq_u16_e32 vcc, s4, v7
	s_mov_b64 s[4:5], -1
	s_and_saveexec_b64 s[26:27], vcc
; %bb.1722:
	s_xor_b64 s[4:5], exec, -1
; %bb.1723:
	s_or_b64 exec, exec, s[26:27]
	s_and_b64 s[4:5], s[4:5], exec
.LBB142_1724:
	s_or_saveexec_b64 s[24:25], s[24:25]
	v_bfrev_b32_e32 v2, 4
	v_mov_b32_e32 v3, 0x7ff80000
	s_xor_b64 exec, exec, s[24:25]
; %bb.1725:
	v_cmp_ne_u16_e32 vcc, 0, v7
	v_mov_b32_e32 v2, 0
	s_andn2_b64 s[4:5], s[4:5], exec
	s_and_b64 s[26:27], vcc, exec
	v_mov_b32_e32 v3, 0
	s_or_b64 s[4:5], s[4:5], s[26:27]
; %bb.1726:
	s_or_b64 exec, exec, s[24:25]
	s_and_saveexec_b64 s[24:25], s[4:5]
	s_cbranch_execz .LBB142_1728
; %bb.1727:
	v_and_b32_e32 v3, 0xffff, v7
	v_lshlrev_b32_e32 v2, 24, v7
	v_and_b32_e32 v7, 3, v3
	v_ffbh_u32_e32 v10, v7
	v_min_u32_e32 v10, 32, v10
	v_subrev_u32_e32 v11, 29, v10
	v_bfe_u32 v9, v3, 2, 5
	v_lshlrev_b32_e32 v3, v11, v3
	v_sub_u32_e32 v10, 30, v10
	v_and_b32_e32 v3, 3, v3
	v_cmp_eq_u32_e32 vcc, 0, v9
	v_cndmask_b32_e32 v9, v9, v10, vcc
	v_cndmask_b32_e32 v3, v7, v3, vcc
	v_mov_b32_e32 v7, 0x37800000
	v_lshlrev_b32_e32 v3, 21, v3
	v_and_b32_e32 v2, 0x80000000, v2
	v_lshl_add_u32 v7, v9, 23, v7
	v_or3_b32 v2, v2, v7, v3
	v_cvt_f64_f32_e32 v[2:3], v2
.LBB142_1728:
	s_or_b64 exec, exec, s[24:25]
	s_mov_b64 s[4:5], 0
	s_branch .LBB142_1732
.LBB142_1729:
	s_mov_b64 s[4:5], -1
                                        ; implicit-def: $vgpr2_vgpr3
	s_branch .LBB142_1738
.LBB142_1730:
	s_mov_b64 s[4:5], -1
                                        ; implicit-def: $vgpr2_vgpr3
	s_branch .LBB142_1735
.LBB142_1731:
	s_mov_b64 s[4:5], -1
                                        ; implicit-def: $vgpr2_vgpr3
.LBB142_1732:
	s_and_b64 vcc, exec, s[4:5]
	s_cbranch_vccz .LBB142_1734
; %bb.1733:
	global_load_ubyte v2, v[4:5], off
	s_mov_b32 s4, 0x7f800000
	s_waitcnt vmcnt(0)
	v_lshlrev_b32_e32 v2, 24, v2
	v_and_b32_e32 v3, 0x7f000000, v2
	v_ffbh_u32_e32 v7, v3
	v_min_u32_e32 v7, 32, v7
	v_sub_u32_e64 v7, v7, 4 clamp
	v_lshlrev_b32_e32 v10, v7, v3
	v_lshlrev_b32_e32 v7, 23, v7
	v_lshrrev_b32_e32 v10, 4, v10
	v_add_u32_e32 v9, 0x1000000, v3
	v_sub_u32_e32 v7, v10, v7
	v_ashrrev_i32_e32 v9, 8, v9
	v_add_u32_e32 v7, 0x3c000000, v7
	v_and_or_b32 v7, v9, s4, v7
	v_cmp_ne_u32_e32 vcc, 0, v3
	v_cndmask_b32_e32 v3, 0, v7, vcc
	s_brev_b32 s4, 1
	v_and_or_b32 v2, v2, s4, v3
	v_cvt_f64_f32_e32 v[2:3], v2
.LBB142_1734:
	s_mov_b64 s[4:5], 0
.LBB142_1735:
	s_andn2_b64 vcc, exec, s[4:5]
	s_cbranch_vccnz .LBB142_1737
; %bb.1736:
	global_load_ubyte v2, v[4:5], off
	s_movk_i32 s4, 0x7f00
	s_brev_b32 s5, 16
	s_waitcnt vmcnt(0)
	v_lshlrev_b16_e32 v3, 8, v2
	v_lshlrev_b32_e32 v2, 25, v2
	v_lshrrev_b32_e32 v7, 4, v2
	v_and_or_b32 v9, v3, s4, 0.5
	v_or_b32_e32 v7, 0x70000000, v7
	v_add_f32_e32 v9, -0.5, v9
	v_mul_f32_e32 v7, 0x7800000, v7
	v_cmp_gt_u32_e32 vcc, s5, v2
	v_bfe_i32 v3, v3, 0, 16
	v_cndmask_b32_e32 v2, v7, v9, vcc
	s_brev_b32 s4, 1
	v_and_or_b32 v2, v3, s4, v2
	v_cvt_f64_f32_e32 v[2:3], v2
.LBB142_1737:
	s_mov_b64 s[4:5], 0
	s_mov_b64 s[24:25], -1
.LBB142_1738:
	s_andn2_b64 vcc, exec, s[4:5]
	s_mov_b64 s[4:5], 0
	s_cbranch_vccnz .LBB142_1747
; %bb.1739:
	s_cmp_gt_i32 s11, 14
	s_cbranch_scc0 .LBB142_1742
; %bb.1740:
	s_cmp_eq_u32 s11, 15
	s_cbranch_scc0 .LBB142_1743
; %bb.1741:
	global_load_ushort v2, v[4:5], off
	s_mov_b64 s[0:1], 0
	s_mov_b64 s[24:25], -1
	s_waitcnt vmcnt(0)
	v_lshlrev_b32_e32 v2, 16, v2
	v_cvt_f64_f32_e32 v[2:3], v2
	s_branch .LBB142_1744
.LBB142_1742:
	s_mov_b64 s[26:27], -1
                                        ; implicit-def: $vgpr2_vgpr3
	s_branch .LBB142_1745
.LBB142_1743:
	s_mov_b64 s[0:1], -1
                                        ; implicit-def: $vgpr2_vgpr3
.LBB142_1744:
	s_mov_b64 s[26:27], 0
.LBB142_1745:
	s_and_b64 vcc, exec, s[26:27]
	s_cbranch_vccz .LBB142_1747
; %bb.1746:
	s_cmp_lg_u32 s11, 11
	s_mov_b64 s[4:5], -1
	s_cselect_b64 s[0:1], -1, 0
.LBB142_1747:
	s_and_b64 vcc, exec, s[0:1]
	s_cbranch_vccnz .LBB142_1810
; %bb.1748:
	s_andn2_b64 vcc, exec, s[4:5]
	s_cbranch_vccnz .LBB142_1750
.LBB142_1749:
	global_load_ubyte v3, v[4:5], off
	v_mov_b32_e32 v7, 0x3ff00000
	v_mov_b32_e32 v2, 0
	s_mov_b64 s[24:25], -1
	s_waitcnt vmcnt(0)
	v_cmp_ne_u16_e32 vcc, 0, v3
	v_cndmask_b32_e32 v3, 0, v7, vcc
.LBB142_1750:
	s_branch .LBB142_1677
.LBB142_1751:
	s_and_b32 s4, 0xffff, s31
	s_cmp_lt_i32 s4, 5
	s_cbranch_scc1 .LBB142_1756
; %bb.1752:
	s_cmp_lt_i32 s4, 8
	s_cbranch_scc1 .LBB142_1757
; %bb.1753:
	;; [unrolled: 3-line block ×3, first 2 shown]
	s_cmp_gt_i32 s4, 9
	s_cbranch_scc0 .LBB142_1759
; %bb.1755:
	global_load_dwordx2 v[2:3], v[4:5], off
	s_mov_b64 s[0:1], 0
	s_branch .LBB142_1760
.LBB142_1756:
                                        ; implicit-def: $vgpr2_vgpr3
	s_branch .LBB142_1778
.LBB142_1757:
	s_mov_b64 s[0:1], -1
                                        ; implicit-def: $vgpr2_vgpr3
	s_branch .LBB142_1766
.LBB142_1758:
	s_mov_b64 s[0:1], -1
                                        ; implicit-def: $vgpr2_vgpr3
	s_branch .LBB142_1763
.LBB142_1759:
	s_mov_b64 s[0:1], -1
                                        ; implicit-def: $vgpr2_vgpr3
.LBB142_1760:
	s_andn2_b64 vcc, exec, s[0:1]
	s_cbranch_vccnz .LBB142_1762
; %bb.1761:
	global_load_dword v2, v[4:5], off
	s_waitcnt vmcnt(0)
	v_cvt_f64_f32_e32 v[2:3], v2
.LBB142_1762:
	s_mov_b64 s[0:1], 0
.LBB142_1763:
	s_andn2_b64 vcc, exec, s[0:1]
	s_cbranch_vccnz .LBB142_1765
; %bb.1764:
	global_load_dword v2, v[4:5], off
	s_waitcnt vmcnt(0)
	v_cvt_f32_f16_e32 v2, v2
	v_cvt_f64_f32_e32 v[2:3], v2
.LBB142_1765:
	s_mov_b64 s[0:1], 0
.LBB142_1766:
	s_andn2_b64 vcc, exec, s[0:1]
	s_cbranch_vccnz .LBB142_1777
; %bb.1767:
	s_cmp_lt_i32 s4, 6
	s_cbranch_scc1 .LBB142_1770
; %bb.1768:
	s_cmp_gt_i32 s4, 6
	s_cbranch_scc0 .LBB142_1771
; %bb.1769:
	global_load_dwordx2 v[2:3], v[4:5], off
	s_mov_b64 s[0:1], 0
	s_branch .LBB142_1772
.LBB142_1770:
	s_mov_b64 s[0:1], -1
                                        ; implicit-def: $vgpr2_vgpr3
	s_branch .LBB142_1775
.LBB142_1771:
	s_mov_b64 s[0:1], -1
                                        ; implicit-def: $vgpr2_vgpr3
.LBB142_1772:
	s_andn2_b64 vcc, exec, s[0:1]
	s_cbranch_vccnz .LBB142_1774
; %bb.1773:
	global_load_dword v2, v[4:5], off
	s_waitcnt vmcnt(0)
	v_cvt_f64_f32_e32 v[2:3], v2
.LBB142_1774:
	s_mov_b64 s[0:1], 0
.LBB142_1775:
	s_andn2_b64 vcc, exec, s[0:1]
	s_cbranch_vccnz .LBB142_1777
; %bb.1776:
	global_load_ushort v2, v[4:5], off
	s_waitcnt vmcnt(0)
	v_cvt_f32_f16_e32 v2, v2
	v_cvt_f64_f32_e32 v[2:3], v2
.LBB142_1777:
	s_cbranch_execnz .LBB142_1797
.LBB142_1778:
	s_cmp_lt_i32 s4, 2
	s_cbranch_scc1 .LBB142_1782
; %bb.1779:
	s_cmp_lt_i32 s4, 3
	s_cbranch_scc1 .LBB142_1783
; %bb.1780:
	s_cmp_gt_i32 s4, 3
	s_cbranch_scc0 .LBB142_1784
; %bb.1781:
	global_load_dwordx2 v[2:3], v[4:5], off
	s_mov_b64 s[0:1], 0
	s_waitcnt vmcnt(0)
	v_cvt_f64_i32_e32 v[9:10], v3
	v_cvt_f64_u32_e32 v[2:3], v2
	v_ldexp_f64 v[9:10], v[9:10], 32
	v_add_f64 v[2:3], v[9:10], v[2:3]
	s_branch .LBB142_1785
.LBB142_1782:
	s_mov_b64 s[0:1], -1
                                        ; implicit-def: $vgpr2_vgpr3
	s_branch .LBB142_1791
.LBB142_1783:
	s_mov_b64 s[0:1], -1
                                        ; implicit-def: $vgpr2_vgpr3
	s_branch .LBB142_1788
.LBB142_1784:
	s_mov_b64 s[0:1], -1
                                        ; implicit-def: $vgpr2_vgpr3
.LBB142_1785:
	s_andn2_b64 vcc, exec, s[0:1]
	s_cbranch_vccnz .LBB142_1787
; %bb.1786:
	global_load_dword v2, v[4:5], off
	s_waitcnt vmcnt(0)
	v_cvt_f64_i32_e32 v[2:3], v2
.LBB142_1787:
	s_mov_b64 s[0:1], 0
.LBB142_1788:
	s_andn2_b64 vcc, exec, s[0:1]
	s_cbranch_vccnz .LBB142_1790
; %bb.1789:
	global_load_sshort v2, v[4:5], off
	s_waitcnt vmcnt(0)
	v_cvt_f64_i32_e32 v[2:3], v2
.LBB142_1790:
	s_mov_b64 s[0:1], 0
.LBB142_1791:
	s_andn2_b64 vcc, exec, s[0:1]
	s_cbranch_vccnz .LBB142_1797
; %bb.1792:
	s_cmp_gt_i32 s4, 0
	s_cbranch_scc0 .LBB142_1794
; %bb.1793:
	global_load_sbyte v2, v[4:5], off
	s_mov_b64 s[0:1], 0
	s_waitcnt vmcnt(0)
	v_cvt_f64_i32_e32 v[2:3], v2
	s_branch .LBB142_1795
.LBB142_1794:
	s_mov_b64 s[0:1], -1
                                        ; implicit-def: $vgpr2_vgpr3
.LBB142_1795:
	s_andn2_b64 vcc, exec, s[0:1]
	s_cbranch_vccnz .LBB142_1797
; %bb.1796:
	global_load_ubyte v2, v[4:5], off
	s_waitcnt vmcnt(0)
	v_cvt_f64_u32_e32 v[2:3], v2
.LBB142_1797:
.LBB142_1798:
	s_lshl_b32 s9, s9, 7
	v_add_u32_e32 v10, s9, v6
	v_ashrrev_i32_e32 v4, 31, v10
	v_mov_b32_e32 v5, s19
	v_add_co_u32_e32 v6, vcc, s18, v10
	s_cmp_lt_i32 s30, 11
	v_addc_co_u32_e32 v7, vcc, v5, v4, vcc
	s_cbranch_scc1 .LBB142_1805
; %bb.1799:
	s_and_b32 s11, 0xffff, s30
	s_cmp_gt_i32 s11, 25
	s_mov_b64 s[4:5], 0
	s_cbranch_scc0 .LBB142_1807
; %bb.1800:
	s_cmp_gt_i32 s11, 28
	s_cbranch_scc0 .LBB142_1808
; %bb.1801:
	s_cmp_gt_i32 s11, 43
	;; [unrolled: 3-line block ×3, first 2 shown]
	s_cbranch_scc0 .LBB142_1811
; %bb.1803:
	s_cmp_eq_u32 s11, 46
	s_mov_b64 s[26:27], 0
	s_cbranch_scc0 .LBB142_1812
; %bb.1804:
	global_load_dword v4, v[6:7], off
	s_mov_b64 s[0:1], 0
	s_mov_b64 s[24:25], -1
	s_waitcnt vmcnt(0)
	v_lshlrev_b32_e32 v4, 16, v4
	v_cvt_f64_f32_e32 v[4:5], v4
	s_branch .LBB142_1813
.LBB142_1805:
	s_mov_b64 s[24:25], 0
                                        ; implicit-def: $vgpr4_vgpr5
	s_cbranch_execnz .LBB142_1879
.LBB142_1806:
	s_andn2_b64 vcc, exec, s[24:25]
	s_cbranch_vccnz .LBB142_3012
	s_branch .LBB142_1927
.LBB142_1807:
	s_mov_b64 s[26:27], -1
	s_mov_b64 s[24:25], 0
	s_mov_b64 s[0:1], 0
                                        ; implicit-def: $vgpr4_vgpr5
	s_branch .LBB142_1844
.LBB142_1808:
	s_mov_b64 s[26:27], -1
	s_mov_b64 s[24:25], 0
	s_mov_b64 s[0:1], 0
                                        ; implicit-def: $vgpr4_vgpr5
	s_branch .LBB142_1823
.LBB142_1809:
	s_mov_b64 s[26:27], -1
	s_mov_b64 s[24:25], 0
	s_mov_b64 s[0:1], 0
                                        ; implicit-def: $vgpr4_vgpr5
	s_branch .LBB142_1818
.LBB142_1810:
	s_trap 2
	s_or_b64 s[22:23], s[22:23], exec
	s_cbranch_execz .LBB142_1749
	s_branch .LBB142_1750
.LBB142_1811:
	s_mov_b64 s[26:27], -1
	s_mov_b64 s[24:25], 0
	s_mov_b64 s[0:1], 0
                                        ; implicit-def: $vgpr4_vgpr5
	s_branch .LBB142_1813
.LBB142_1812:
	s_mov_b64 s[0:1], -1
                                        ; implicit-def: $vgpr4_vgpr5
	s_mov_b64 s[24:25], 0
.LBB142_1813:
	s_and_b64 vcc, exec, s[26:27]
	s_cbranch_vccz .LBB142_1817
; %bb.1814:
	s_cmp_eq_u32 s11, 44
	s_cbranch_scc0 .LBB142_1816
; %bb.1815:
	global_load_ubyte v9, v[6:7], off
	s_movk_i32 s24, 0xff
	v_bfrev_b32_e32 v11, 4
	v_mov_b32_e32 v12, 0x7ff80000
	v_bfrev_b32_e32 v13, 28
	s_mov_b64 s[0:1], 0
	s_waitcnt vmcnt(0)
	v_lshlrev_b32_e32 v4, 23, v9
	v_cvt_f64_f32_e32 v[4:5], v4
	v_cmp_ne_u32_e32 vcc, s24, v9
	s_mov_b64 s[24:25], -1
	v_cndmask_b32_e32 v4, v11, v4, vcc
	v_cndmask_b32_e32 v5, v12, v5, vcc
	v_cmp_ne_u32_e32 vcc, 0, v9
	v_cndmask_b32_e32 v5, v13, v5, vcc
	v_cndmask_b32_e32 v4, 0, v4, vcc
	s_branch .LBB142_1817
.LBB142_1816:
	s_mov_b64 s[0:1], -1
                                        ; implicit-def: $vgpr4_vgpr5
.LBB142_1817:
	s_mov_b64 s[26:27], 0
.LBB142_1818:
	s_and_b64 vcc, exec, s[26:27]
	s_cbranch_vccz .LBB142_1822
; %bb.1819:
	s_cmp_eq_u32 s11, 29
	s_cbranch_scc0 .LBB142_1821
; %bb.1820:
	global_load_dwordx2 v[4:5], v[6:7], off
	s_mov_b64 s[0:1], 0
	s_mov_b64 s[24:25], -1
	s_mov_b64 s[26:27], 0
	s_waitcnt vmcnt(0)
	v_cvt_f64_u32_e32 v[11:12], v5
	v_cvt_f64_u32_e32 v[4:5], v4
	v_ldexp_f64 v[11:12], v[11:12], 32
	v_add_f64 v[4:5], v[11:12], v[4:5]
	s_branch .LBB142_1823
.LBB142_1821:
	s_mov_b64 s[0:1], -1
                                        ; implicit-def: $vgpr4_vgpr5
.LBB142_1822:
	s_mov_b64 s[26:27], 0
.LBB142_1823:
	s_and_b64 vcc, exec, s[26:27]
	s_cbranch_vccz .LBB142_1843
; %bb.1824:
	s_cmp_lt_i32 s11, 27
	s_cbranch_scc1 .LBB142_1827
; %bb.1825:
	s_cmp_gt_i32 s11, 27
	s_cbranch_scc0 .LBB142_1828
; %bb.1826:
	global_load_dword v4, v[6:7], off
	s_mov_b64 s[24:25], 0
	s_waitcnt vmcnt(0)
	v_cvt_f64_u32_e32 v[4:5], v4
	s_branch .LBB142_1829
.LBB142_1827:
	s_mov_b64 s[24:25], -1
                                        ; implicit-def: $vgpr4_vgpr5
	s_branch .LBB142_1832
.LBB142_1828:
	s_mov_b64 s[24:25], -1
                                        ; implicit-def: $vgpr4_vgpr5
.LBB142_1829:
	s_andn2_b64 vcc, exec, s[24:25]
	s_cbranch_vccnz .LBB142_1831
; %bb.1830:
	global_load_ushort v4, v[6:7], off
	s_waitcnt vmcnt(0)
	v_cvt_f64_u32_e32 v[4:5], v4
.LBB142_1831:
	s_mov_b64 s[24:25], 0
.LBB142_1832:
	s_andn2_b64 vcc, exec, s[24:25]
	s_cbranch_vccnz .LBB142_1842
; %bb.1833:
	global_load_ubyte v9, v[6:7], off
	s_movk_i32 s24, 0x7f
	s_waitcnt vmcnt(0)
	v_cmp_lt_i16_e32 vcc, s24, v9
	s_mov_b64 s[24:25], 0
	s_and_saveexec_b64 s[26:27], vcc
	s_xor_b64 s[26:27], exec, s[26:27]
	s_cbranch_execz .LBB142_1837
; %bb.1834:
	s_movk_i32 s24, 0x80
	v_cmp_eq_u16_e32 vcc, s24, v9
	s_mov_b64 s[24:25], -1
	s_and_saveexec_b64 s[28:29], vcc
; %bb.1835:
	s_xor_b64 s[24:25], exec, -1
; %bb.1836:
	s_or_b64 exec, exec, s[28:29]
	s_and_b64 s[24:25], s[24:25], exec
.LBB142_1837:
	s_or_saveexec_b64 s[26:27], s[26:27]
	v_bfrev_b32_e32 v4, 4
	v_mov_b32_e32 v5, 0x7ff80000
	s_xor_b64 exec, exec, s[26:27]
; %bb.1838:
	v_cmp_ne_u16_e32 vcc, 0, v9
	v_mov_b32_e32 v4, 0
	s_andn2_b64 s[24:25], s[24:25], exec
	s_and_b64 s[28:29], vcc, exec
	v_mov_b32_e32 v5, 0
	s_or_b64 s[24:25], s[24:25], s[28:29]
; %bb.1839:
	s_or_b64 exec, exec, s[26:27]
	s_and_saveexec_b64 s[26:27], s[24:25]
	s_cbranch_execz .LBB142_1841
; %bb.1840:
	v_and_b32_e32 v5, 0xffff, v9
	v_lshlrev_b32_e32 v4, 24, v9
	v_and_b32_e32 v9, 7, v5
	v_ffbh_u32_e32 v12, v9
	v_min_u32_e32 v12, 32, v12
	v_subrev_u32_e32 v13, 28, v12
	v_bfe_u32 v11, v5, 3, 4
	v_lshlrev_b32_e32 v5, v13, v5
	v_sub_u32_e32 v12, 29, v12
	v_and_b32_e32 v5, 7, v5
	v_cmp_eq_u32_e32 vcc, 0, v11
	v_cndmask_b32_e32 v11, v11, v12, vcc
	v_cndmask_b32_e32 v5, v9, v5, vcc
	v_mov_b32_e32 v9, 0x3b800000
	v_lshlrev_b32_e32 v5, 20, v5
	v_and_b32_e32 v4, 0x80000000, v4
	v_lshl_add_u32 v9, v11, 23, v9
	v_or3_b32 v4, v4, v9, v5
	v_cvt_f64_f32_e32 v[4:5], v4
.LBB142_1841:
	s_or_b64 exec, exec, s[26:27]
.LBB142_1842:
	s_mov_b64 s[24:25], -1
.LBB142_1843:
	s_mov_b64 s[26:27], 0
.LBB142_1844:
	s_and_b64 vcc, exec, s[26:27]
	s_cbranch_vccz .LBB142_1875
; %bb.1845:
	s_cmp_gt_i32 s11, 22
	s_cbranch_scc0 .LBB142_1857
; %bb.1846:
	s_cmp_lt_i32 s11, 24
	s_cbranch_scc1 .LBB142_1858
; %bb.1847:
	s_cmp_gt_i32 s11, 24
	s_cbranch_scc0 .LBB142_1859
; %bb.1848:
	global_load_ubyte v9, v[6:7], off
	s_movk_i32 s4, 0x7f
	s_waitcnt vmcnt(0)
	v_cmp_lt_i16_e32 vcc, s4, v9
	s_mov_b64 s[4:5], 0
	s_and_saveexec_b64 s[24:25], vcc
	s_xor_b64 s[24:25], exec, s[24:25]
	s_cbranch_execz .LBB142_1852
; %bb.1849:
	s_movk_i32 s4, 0x80
	v_cmp_eq_u16_e32 vcc, s4, v9
	s_mov_b64 s[4:5], -1
	s_and_saveexec_b64 s[26:27], vcc
; %bb.1850:
	s_xor_b64 s[4:5], exec, -1
; %bb.1851:
	s_or_b64 exec, exec, s[26:27]
	s_and_b64 s[4:5], s[4:5], exec
.LBB142_1852:
	s_or_saveexec_b64 s[24:25], s[24:25]
	v_bfrev_b32_e32 v4, 4
	v_mov_b32_e32 v5, 0x7ff80000
	s_xor_b64 exec, exec, s[24:25]
; %bb.1853:
	v_cmp_ne_u16_e32 vcc, 0, v9
	v_mov_b32_e32 v4, 0
	s_andn2_b64 s[4:5], s[4:5], exec
	s_and_b64 s[26:27], vcc, exec
	v_mov_b32_e32 v5, 0
	s_or_b64 s[4:5], s[4:5], s[26:27]
; %bb.1854:
	s_or_b64 exec, exec, s[24:25]
	s_and_saveexec_b64 s[24:25], s[4:5]
	s_cbranch_execz .LBB142_1856
; %bb.1855:
	v_and_b32_e32 v5, 0xffff, v9
	v_lshlrev_b32_e32 v4, 24, v9
	v_and_b32_e32 v9, 3, v5
	v_ffbh_u32_e32 v12, v9
	v_min_u32_e32 v12, 32, v12
	v_subrev_u32_e32 v13, 29, v12
	v_bfe_u32 v11, v5, 2, 5
	v_lshlrev_b32_e32 v5, v13, v5
	v_sub_u32_e32 v12, 30, v12
	v_and_b32_e32 v5, 3, v5
	v_cmp_eq_u32_e32 vcc, 0, v11
	v_cndmask_b32_e32 v11, v11, v12, vcc
	v_cndmask_b32_e32 v5, v9, v5, vcc
	v_mov_b32_e32 v9, 0x37800000
	v_lshlrev_b32_e32 v5, 21, v5
	v_and_b32_e32 v4, 0x80000000, v4
	v_lshl_add_u32 v9, v11, 23, v9
	v_or3_b32 v4, v4, v9, v5
	v_cvt_f64_f32_e32 v[4:5], v4
.LBB142_1856:
	s_or_b64 exec, exec, s[24:25]
	s_mov_b64 s[4:5], 0
	s_branch .LBB142_1860
.LBB142_1857:
	s_mov_b64 s[4:5], -1
                                        ; implicit-def: $vgpr4_vgpr5
	s_branch .LBB142_1866
.LBB142_1858:
	s_mov_b64 s[4:5], -1
                                        ; implicit-def: $vgpr4_vgpr5
	s_branch .LBB142_1863
.LBB142_1859:
	s_mov_b64 s[4:5], -1
                                        ; implicit-def: $vgpr4_vgpr5
.LBB142_1860:
	s_and_b64 vcc, exec, s[4:5]
	s_cbranch_vccz .LBB142_1862
; %bb.1861:
	global_load_ubyte v4, v[6:7], off
	s_mov_b32 s4, 0x7f800000
	s_waitcnt vmcnt(0)
	v_lshlrev_b32_e32 v4, 24, v4
	v_and_b32_e32 v5, 0x7f000000, v4
	v_ffbh_u32_e32 v9, v5
	v_min_u32_e32 v9, 32, v9
	v_sub_u32_e64 v9, v9, 4 clamp
	v_lshlrev_b32_e32 v12, v9, v5
	v_lshlrev_b32_e32 v9, 23, v9
	v_lshrrev_b32_e32 v12, 4, v12
	v_add_u32_e32 v11, 0x1000000, v5
	v_sub_u32_e32 v9, v12, v9
	v_ashrrev_i32_e32 v11, 8, v11
	v_add_u32_e32 v9, 0x3c000000, v9
	v_and_or_b32 v9, v11, s4, v9
	v_cmp_ne_u32_e32 vcc, 0, v5
	v_cndmask_b32_e32 v5, 0, v9, vcc
	s_brev_b32 s4, 1
	v_and_or_b32 v4, v4, s4, v5
	v_cvt_f64_f32_e32 v[4:5], v4
.LBB142_1862:
	s_mov_b64 s[4:5], 0
.LBB142_1863:
	s_andn2_b64 vcc, exec, s[4:5]
	s_cbranch_vccnz .LBB142_1865
; %bb.1864:
	global_load_ubyte v4, v[6:7], off
	s_movk_i32 s4, 0x7f00
	s_brev_b32 s5, 16
	s_waitcnt vmcnt(0)
	v_lshlrev_b16_e32 v5, 8, v4
	v_lshlrev_b32_e32 v4, 25, v4
	v_lshrrev_b32_e32 v9, 4, v4
	v_and_or_b32 v11, v5, s4, 0.5
	v_or_b32_e32 v9, 0x70000000, v9
	v_add_f32_e32 v11, -0.5, v11
	v_mul_f32_e32 v9, 0x7800000, v9
	v_cmp_gt_u32_e32 vcc, s5, v4
	v_bfe_i32 v5, v5, 0, 16
	v_cndmask_b32_e32 v4, v9, v11, vcc
	s_brev_b32 s4, 1
	v_and_or_b32 v4, v5, s4, v4
	v_cvt_f64_f32_e32 v[4:5], v4
.LBB142_1865:
	s_mov_b64 s[4:5], 0
	s_mov_b64 s[24:25], -1
.LBB142_1866:
	s_andn2_b64 vcc, exec, s[4:5]
	s_mov_b64 s[4:5], 0
	s_cbranch_vccnz .LBB142_1875
; %bb.1867:
	s_cmp_gt_i32 s11, 14
	s_cbranch_scc0 .LBB142_1870
; %bb.1868:
	s_cmp_eq_u32 s11, 15
	s_cbranch_scc0 .LBB142_1871
; %bb.1869:
	global_load_ushort v4, v[6:7], off
	s_mov_b64 s[0:1], 0
	s_mov_b64 s[24:25], -1
	s_waitcnt vmcnt(0)
	v_lshlrev_b32_e32 v4, 16, v4
	v_cvt_f64_f32_e32 v[4:5], v4
	s_branch .LBB142_1872
.LBB142_1870:
	s_mov_b64 s[26:27], -1
                                        ; implicit-def: $vgpr4_vgpr5
	s_branch .LBB142_1873
.LBB142_1871:
	s_mov_b64 s[0:1], -1
                                        ; implicit-def: $vgpr4_vgpr5
.LBB142_1872:
	s_mov_b64 s[26:27], 0
.LBB142_1873:
	s_and_b64 vcc, exec, s[26:27]
	s_cbranch_vccz .LBB142_1875
; %bb.1874:
	s_cmp_lg_u32 s11, 11
	s_mov_b64 s[4:5], -1
	s_cselect_b64 s[0:1], -1, 0
.LBB142_1875:
	s_and_b64 vcc, exec, s[0:1]
	s_cbranch_vccnz .LBB142_1938
; %bb.1876:
	s_andn2_b64 vcc, exec, s[4:5]
	s_cbranch_vccnz .LBB142_1878
.LBB142_1877:
	global_load_ubyte v5, v[6:7], off
	v_mov_b32_e32 v9, 0x3ff00000
	v_mov_b32_e32 v4, 0
	s_mov_b64 s[24:25], -1
	s_waitcnt vmcnt(0)
	v_cmp_ne_u16_e32 vcc, 0, v5
	v_cndmask_b32_e32 v5, 0, v9, vcc
.LBB142_1878:
	s_branch .LBB142_1806
.LBB142_1879:
	s_and_b32 s4, 0xffff, s30
	s_cmp_lt_i32 s4, 5
	s_cbranch_scc1 .LBB142_1884
; %bb.1880:
	s_cmp_lt_i32 s4, 8
	s_cbranch_scc1 .LBB142_1885
; %bb.1881:
	;; [unrolled: 3-line block ×3, first 2 shown]
	s_cmp_gt_i32 s4, 9
	s_cbranch_scc0 .LBB142_1887
; %bb.1883:
	global_load_dwordx2 v[4:5], v[6:7], off
	s_mov_b64 s[0:1], 0
	s_branch .LBB142_1888
.LBB142_1884:
	s_mov_b64 s[0:1], -1
                                        ; implicit-def: $vgpr4_vgpr5
	s_branch .LBB142_1906
.LBB142_1885:
	s_mov_b64 s[0:1], -1
                                        ; implicit-def: $vgpr4_vgpr5
	s_branch .LBB142_1894
.LBB142_1886:
	s_mov_b64 s[0:1], -1
                                        ; implicit-def: $vgpr4_vgpr5
	s_branch .LBB142_1891
.LBB142_1887:
	s_mov_b64 s[0:1], -1
                                        ; implicit-def: $vgpr4_vgpr5
.LBB142_1888:
	s_andn2_b64 vcc, exec, s[0:1]
	s_cbranch_vccnz .LBB142_1890
; %bb.1889:
	global_load_dword v4, v[6:7], off
	s_waitcnt vmcnt(0)
	v_cvt_f64_f32_e32 v[4:5], v4
.LBB142_1890:
	s_mov_b64 s[0:1], 0
.LBB142_1891:
	s_andn2_b64 vcc, exec, s[0:1]
	s_cbranch_vccnz .LBB142_1893
; %bb.1892:
	global_load_dword v4, v[6:7], off
	s_waitcnt vmcnt(0)
	v_cvt_f32_f16_e32 v4, v4
	v_cvt_f64_f32_e32 v[4:5], v4
.LBB142_1893:
	s_mov_b64 s[0:1], 0
.LBB142_1894:
	s_andn2_b64 vcc, exec, s[0:1]
	s_cbranch_vccnz .LBB142_1905
; %bb.1895:
	s_cmp_lt_i32 s4, 6
	s_cbranch_scc1 .LBB142_1898
; %bb.1896:
	s_cmp_gt_i32 s4, 6
	s_cbranch_scc0 .LBB142_1899
; %bb.1897:
	global_load_dwordx2 v[4:5], v[6:7], off
	s_mov_b64 s[0:1], 0
	s_branch .LBB142_1900
.LBB142_1898:
	s_mov_b64 s[0:1], -1
                                        ; implicit-def: $vgpr4_vgpr5
	s_branch .LBB142_1903
.LBB142_1899:
	s_mov_b64 s[0:1], -1
                                        ; implicit-def: $vgpr4_vgpr5
.LBB142_1900:
	s_andn2_b64 vcc, exec, s[0:1]
	s_cbranch_vccnz .LBB142_1902
; %bb.1901:
	global_load_dword v4, v[6:7], off
	s_waitcnt vmcnt(0)
	v_cvt_f64_f32_e32 v[4:5], v4
.LBB142_1902:
	s_mov_b64 s[0:1], 0
.LBB142_1903:
	s_andn2_b64 vcc, exec, s[0:1]
	s_cbranch_vccnz .LBB142_1905
; %bb.1904:
	global_load_ushort v4, v[6:7], off
	s_waitcnt vmcnt(0)
	v_cvt_f32_f16_e32 v4, v4
	v_cvt_f64_f32_e32 v[4:5], v4
.LBB142_1905:
	s_mov_b64 s[0:1], 0
.LBB142_1906:
	s_andn2_b64 vcc, exec, s[0:1]
	s_cbranch_vccnz .LBB142_1926
; %bb.1907:
	s_cmp_lt_i32 s4, 2
	s_cbranch_scc1 .LBB142_1911
; %bb.1908:
	s_cmp_lt_i32 s4, 3
	s_cbranch_scc1 .LBB142_1912
; %bb.1909:
	s_cmp_gt_i32 s4, 3
	s_cbranch_scc0 .LBB142_1913
; %bb.1910:
	global_load_dwordx2 v[4:5], v[6:7], off
	s_mov_b64 s[0:1], 0
	s_waitcnt vmcnt(0)
	v_cvt_f64_i32_e32 v[11:12], v5
	v_cvt_f64_u32_e32 v[4:5], v4
	v_ldexp_f64 v[11:12], v[11:12], 32
	v_add_f64 v[4:5], v[11:12], v[4:5]
	s_branch .LBB142_1914
.LBB142_1911:
	s_mov_b64 s[0:1], -1
                                        ; implicit-def: $vgpr4_vgpr5
	s_branch .LBB142_1920
.LBB142_1912:
	s_mov_b64 s[0:1], -1
                                        ; implicit-def: $vgpr4_vgpr5
	s_branch .LBB142_1917
.LBB142_1913:
	s_mov_b64 s[0:1], -1
                                        ; implicit-def: $vgpr4_vgpr5
.LBB142_1914:
	s_andn2_b64 vcc, exec, s[0:1]
	s_cbranch_vccnz .LBB142_1916
; %bb.1915:
	global_load_dword v4, v[6:7], off
	s_waitcnt vmcnt(0)
	v_cvt_f64_i32_e32 v[4:5], v4
.LBB142_1916:
	s_mov_b64 s[0:1], 0
.LBB142_1917:
	s_andn2_b64 vcc, exec, s[0:1]
	s_cbranch_vccnz .LBB142_1919
; %bb.1918:
	global_load_sshort v4, v[6:7], off
	s_waitcnt vmcnt(0)
	v_cvt_f64_i32_e32 v[4:5], v4
.LBB142_1919:
	s_mov_b64 s[0:1], 0
.LBB142_1920:
	s_andn2_b64 vcc, exec, s[0:1]
	s_cbranch_vccnz .LBB142_1926
; %bb.1921:
	s_cmp_gt_i32 s4, 0
	s_cbranch_scc0 .LBB142_1923
; %bb.1922:
	global_load_sbyte v4, v[6:7], off
	s_mov_b64 s[0:1], 0
	s_waitcnt vmcnt(0)
	v_cvt_f64_i32_e32 v[4:5], v4
	s_branch .LBB142_1924
.LBB142_1923:
	s_mov_b64 s[0:1], -1
                                        ; implicit-def: $vgpr4_vgpr5
.LBB142_1924:
	s_andn2_b64 vcc, exec, s[0:1]
	s_cbranch_vccnz .LBB142_1926
; %bb.1925:
	global_load_ubyte v4, v[6:7], off
	s_waitcnt vmcnt(0)
	v_cvt_f64_u32_e32 v[4:5], v4
.LBB142_1926:
.LBB142_1927:
	s_lshl_b32 s28, s10, 7
	v_add_u32_e32 v12, s28, v8
	v_ashrrev_i32_e32 v7, 31, v12
	v_mov_b32_e32 v8, s3
	v_add_co_u32_e32 v6, vcc, s2, v12
	s_cmp_lt_i32 s31, 11
	v_addc_co_u32_e32 v7, vcc, v8, v7, vcc
	s_cbranch_scc1 .LBB142_1934
; %bb.1928:
	s_and_b32 s29, 0xffff, s31
	s_cmp_gt_i32 s29, 25
	s_mov_b64 s[4:5], 0
	s_cbranch_scc0 .LBB142_1935
; %bb.1929:
	s_cmp_gt_i32 s29, 28
	s_cbranch_scc0 .LBB142_1936
; %bb.1930:
	s_cmp_gt_i32 s29, 43
	;; [unrolled: 3-line block ×3, first 2 shown]
	s_cbranch_scc0 .LBB142_1939
; %bb.1932:
	s_cmp_eq_u32 s29, 46
	s_mov_b64 s[24:25], 0
	s_cbranch_scc0 .LBB142_1940
; %bb.1933:
	global_load_dword v8, v[6:7], off
	s_mov_b64 s[0:1], 0
	s_mov_b64 s[10:11], -1
	s_waitcnt vmcnt(0)
	v_lshlrev_b32_e32 v8, 16, v8
	v_cvt_f64_f32_e32 v[8:9], v8
	s_branch .LBB142_1941
.LBB142_1934:
	s_mov_b64 s[0:1], -1
	s_mov_b64 s[10:11], 0
                                        ; implicit-def: $vgpr8_vgpr9
	s_branch .LBB142_2007
.LBB142_1935:
	s_mov_b64 s[24:25], -1
	s_mov_b64 s[10:11], 0
	s_mov_b64 s[0:1], 0
                                        ; implicit-def: $vgpr8_vgpr9
	s_branch .LBB142_1972
.LBB142_1936:
	s_mov_b64 s[24:25], -1
	s_mov_b64 s[10:11], 0
	s_mov_b64 s[0:1], 0
                                        ; implicit-def: $vgpr8_vgpr9
	s_branch .LBB142_1951
.LBB142_1937:
	s_mov_b64 s[24:25], -1
	s_mov_b64 s[10:11], 0
	s_mov_b64 s[0:1], 0
                                        ; implicit-def: $vgpr8_vgpr9
	s_branch .LBB142_1946
.LBB142_1938:
	s_trap 2
	s_or_b64 s[22:23], s[22:23], exec
	s_cbranch_execz .LBB142_1877
	s_branch .LBB142_1878
.LBB142_1939:
	s_mov_b64 s[24:25], -1
	s_mov_b64 s[10:11], 0
	s_mov_b64 s[0:1], 0
                                        ; implicit-def: $vgpr8_vgpr9
	s_branch .LBB142_1941
.LBB142_1940:
	s_mov_b64 s[0:1], -1
                                        ; implicit-def: $vgpr8_vgpr9
	s_mov_b64 s[10:11], 0
.LBB142_1941:
	s_and_b64 vcc, exec, s[24:25]
	s_cbranch_vccz .LBB142_1945
; %bb.1942:
	s_cmp_eq_u32 s29, 44
	s_cbranch_scc0 .LBB142_1944
; %bb.1943:
	global_load_ubyte v11, v[6:7], off
	s_movk_i32 s10, 0xff
	v_bfrev_b32_e32 v13, 4
	v_mov_b32_e32 v14, 0x7ff80000
	v_bfrev_b32_e32 v15, 28
	s_mov_b64 s[0:1], 0
	s_waitcnt vmcnt(0)
	v_lshlrev_b32_e32 v8, 23, v11
	v_cvt_f64_f32_e32 v[8:9], v8
	v_cmp_ne_u32_e32 vcc, s10, v11
	s_mov_b64 s[10:11], -1
	v_cndmask_b32_e32 v8, v13, v8, vcc
	v_cndmask_b32_e32 v9, v14, v9, vcc
	v_cmp_ne_u32_e32 vcc, 0, v11
	v_cndmask_b32_e32 v9, v15, v9, vcc
	v_cndmask_b32_e32 v8, 0, v8, vcc
	s_branch .LBB142_1945
.LBB142_1944:
	s_mov_b64 s[0:1], -1
                                        ; implicit-def: $vgpr8_vgpr9
.LBB142_1945:
	s_mov_b64 s[24:25], 0
.LBB142_1946:
	s_and_b64 vcc, exec, s[24:25]
	s_cbranch_vccz .LBB142_1950
; %bb.1947:
	s_cmp_eq_u32 s29, 29
	s_cbranch_scc0 .LBB142_1949
; %bb.1948:
	global_load_dwordx2 v[8:9], v[6:7], off
	s_mov_b64 s[0:1], 0
	s_mov_b64 s[10:11], -1
	s_mov_b64 s[24:25], 0
	s_waitcnt vmcnt(0)
	v_cvt_f64_u32_e32 v[13:14], v9
	v_cvt_f64_u32_e32 v[8:9], v8
	v_ldexp_f64 v[13:14], v[13:14], 32
	v_add_f64 v[8:9], v[13:14], v[8:9]
	s_branch .LBB142_1951
.LBB142_1949:
	s_mov_b64 s[0:1], -1
                                        ; implicit-def: $vgpr8_vgpr9
.LBB142_1950:
	s_mov_b64 s[24:25], 0
.LBB142_1951:
	s_and_b64 vcc, exec, s[24:25]
	s_cbranch_vccz .LBB142_1971
; %bb.1952:
	s_cmp_lt_i32 s29, 27
	s_cbranch_scc1 .LBB142_1955
; %bb.1953:
	s_cmp_gt_i32 s29, 27
	s_cbranch_scc0 .LBB142_1956
; %bb.1954:
	global_load_dword v8, v[6:7], off
	s_mov_b64 s[10:11], 0
	s_waitcnt vmcnt(0)
	v_cvt_f64_u32_e32 v[8:9], v8
	s_branch .LBB142_1957
.LBB142_1955:
	s_mov_b64 s[10:11], -1
                                        ; implicit-def: $vgpr8_vgpr9
	s_branch .LBB142_1960
.LBB142_1956:
	s_mov_b64 s[10:11], -1
                                        ; implicit-def: $vgpr8_vgpr9
.LBB142_1957:
	s_andn2_b64 vcc, exec, s[10:11]
	s_cbranch_vccnz .LBB142_1959
; %bb.1958:
	global_load_ushort v8, v[6:7], off
	s_waitcnt vmcnt(0)
	v_cvt_f64_u32_e32 v[8:9], v8
.LBB142_1959:
	s_mov_b64 s[10:11], 0
.LBB142_1960:
	s_andn2_b64 vcc, exec, s[10:11]
	s_cbranch_vccnz .LBB142_1970
; %bb.1961:
	global_load_ubyte v11, v[6:7], off
	s_movk_i32 s10, 0x7f
	s_waitcnt vmcnt(0)
	v_cmp_lt_i16_e32 vcc, s10, v11
	s_mov_b64 s[10:11], 0
	s_and_saveexec_b64 s[24:25], vcc
	s_xor_b64 s[24:25], exec, s[24:25]
	s_cbranch_execz .LBB142_1965
; %bb.1962:
	s_movk_i32 s10, 0x80
	v_cmp_eq_u16_e32 vcc, s10, v11
	s_mov_b64 s[10:11], -1
	s_and_saveexec_b64 s[26:27], vcc
; %bb.1963:
	s_xor_b64 s[10:11], exec, -1
; %bb.1964:
	s_or_b64 exec, exec, s[26:27]
	s_and_b64 s[10:11], s[10:11], exec
.LBB142_1965:
	s_or_saveexec_b64 s[24:25], s[24:25]
	v_bfrev_b32_e32 v8, 4
	v_mov_b32_e32 v9, 0x7ff80000
	s_xor_b64 exec, exec, s[24:25]
; %bb.1966:
	v_cmp_ne_u16_e32 vcc, 0, v11
	v_mov_b32_e32 v8, 0
	s_andn2_b64 s[10:11], s[10:11], exec
	s_and_b64 s[26:27], vcc, exec
	v_mov_b32_e32 v9, 0
	s_or_b64 s[10:11], s[10:11], s[26:27]
; %bb.1967:
	s_or_b64 exec, exec, s[24:25]
	s_and_saveexec_b64 s[24:25], s[10:11]
	s_cbranch_execz .LBB142_1969
; %bb.1968:
	v_and_b32_e32 v9, 0xffff, v11
	v_lshlrev_b32_e32 v8, 24, v11
	v_and_b32_e32 v11, 7, v9
	v_ffbh_u32_e32 v14, v11
	v_min_u32_e32 v14, 32, v14
	v_subrev_u32_e32 v15, 28, v14
	v_bfe_u32 v13, v9, 3, 4
	v_lshlrev_b32_e32 v9, v15, v9
	v_sub_u32_e32 v14, 29, v14
	v_and_b32_e32 v9, 7, v9
	v_cmp_eq_u32_e32 vcc, 0, v13
	v_cndmask_b32_e32 v13, v13, v14, vcc
	v_cndmask_b32_e32 v9, v11, v9, vcc
	v_mov_b32_e32 v11, 0x3b800000
	v_lshlrev_b32_e32 v9, 20, v9
	v_and_b32_e32 v8, 0x80000000, v8
	v_lshl_add_u32 v11, v13, 23, v11
	v_or3_b32 v8, v8, v11, v9
	v_cvt_f64_f32_e32 v[8:9], v8
.LBB142_1969:
	s_or_b64 exec, exec, s[24:25]
.LBB142_1970:
	s_mov_b64 s[10:11], -1
.LBB142_1971:
	s_mov_b64 s[24:25], 0
.LBB142_1972:
	s_and_b64 vcc, exec, s[24:25]
	s_cbranch_vccz .LBB142_2003
; %bb.1973:
	s_cmp_gt_i32 s29, 22
	s_cbranch_scc0 .LBB142_1985
; %bb.1974:
	s_cmp_lt_i32 s29, 24
	s_cbranch_scc1 .LBB142_1986
; %bb.1975:
	s_cmp_gt_i32 s29, 24
	s_cbranch_scc0 .LBB142_1987
; %bb.1976:
	global_load_ubyte v11, v[6:7], off
	s_movk_i32 s4, 0x7f
	s_waitcnt vmcnt(0)
	v_cmp_lt_i16_e32 vcc, s4, v11
	s_mov_b64 s[4:5], 0
	s_and_saveexec_b64 s[10:11], vcc
	s_xor_b64 s[10:11], exec, s[10:11]
	s_cbranch_execz .LBB142_1980
; %bb.1977:
	s_movk_i32 s4, 0x80
	v_cmp_eq_u16_e32 vcc, s4, v11
	s_mov_b64 s[4:5], -1
	s_and_saveexec_b64 s[24:25], vcc
; %bb.1978:
	s_xor_b64 s[4:5], exec, -1
; %bb.1979:
	s_or_b64 exec, exec, s[24:25]
	s_and_b64 s[4:5], s[4:5], exec
.LBB142_1980:
	s_or_saveexec_b64 s[10:11], s[10:11]
	v_bfrev_b32_e32 v8, 4
	v_mov_b32_e32 v9, 0x7ff80000
	s_xor_b64 exec, exec, s[10:11]
; %bb.1981:
	v_cmp_ne_u16_e32 vcc, 0, v11
	v_mov_b32_e32 v8, 0
	s_andn2_b64 s[4:5], s[4:5], exec
	s_and_b64 s[24:25], vcc, exec
	v_mov_b32_e32 v9, 0
	s_or_b64 s[4:5], s[4:5], s[24:25]
; %bb.1982:
	s_or_b64 exec, exec, s[10:11]
	s_and_saveexec_b64 s[10:11], s[4:5]
	s_cbranch_execz .LBB142_1984
; %bb.1983:
	v_and_b32_e32 v9, 0xffff, v11
	v_lshlrev_b32_e32 v8, 24, v11
	v_and_b32_e32 v11, 3, v9
	v_ffbh_u32_e32 v14, v11
	v_min_u32_e32 v14, 32, v14
	v_subrev_u32_e32 v15, 29, v14
	v_bfe_u32 v13, v9, 2, 5
	v_lshlrev_b32_e32 v9, v15, v9
	v_sub_u32_e32 v14, 30, v14
	v_and_b32_e32 v9, 3, v9
	v_cmp_eq_u32_e32 vcc, 0, v13
	v_cndmask_b32_e32 v13, v13, v14, vcc
	v_cndmask_b32_e32 v9, v11, v9, vcc
	v_mov_b32_e32 v11, 0x37800000
	v_lshlrev_b32_e32 v9, 21, v9
	v_and_b32_e32 v8, 0x80000000, v8
	v_lshl_add_u32 v11, v13, 23, v11
	v_or3_b32 v8, v8, v11, v9
	v_cvt_f64_f32_e32 v[8:9], v8
.LBB142_1984:
	s_or_b64 exec, exec, s[10:11]
	s_mov_b64 s[4:5], 0
	s_branch .LBB142_1988
.LBB142_1985:
	s_mov_b64 s[4:5], -1
                                        ; implicit-def: $vgpr8_vgpr9
	s_branch .LBB142_1994
.LBB142_1986:
	s_mov_b64 s[4:5], -1
                                        ; implicit-def: $vgpr8_vgpr9
	s_branch .LBB142_1991
.LBB142_1987:
	s_mov_b64 s[4:5], -1
                                        ; implicit-def: $vgpr8_vgpr9
.LBB142_1988:
	s_and_b64 vcc, exec, s[4:5]
	s_cbranch_vccz .LBB142_1990
; %bb.1989:
	global_load_ubyte v8, v[6:7], off
	s_mov_b32 s4, 0x7f800000
	s_waitcnt vmcnt(0)
	v_lshlrev_b32_e32 v8, 24, v8
	v_and_b32_e32 v9, 0x7f000000, v8
	v_ffbh_u32_e32 v11, v9
	v_min_u32_e32 v11, 32, v11
	v_sub_u32_e64 v11, v11, 4 clamp
	v_lshlrev_b32_e32 v14, v11, v9
	v_lshlrev_b32_e32 v11, 23, v11
	v_lshrrev_b32_e32 v14, 4, v14
	v_add_u32_e32 v13, 0x1000000, v9
	v_sub_u32_e32 v11, v14, v11
	v_ashrrev_i32_e32 v13, 8, v13
	v_add_u32_e32 v11, 0x3c000000, v11
	v_and_or_b32 v11, v13, s4, v11
	v_cmp_ne_u32_e32 vcc, 0, v9
	v_cndmask_b32_e32 v9, 0, v11, vcc
	s_brev_b32 s4, 1
	v_and_or_b32 v8, v8, s4, v9
	v_cvt_f64_f32_e32 v[8:9], v8
.LBB142_1990:
	s_mov_b64 s[4:5], 0
.LBB142_1991:
	s_andn2_b64 vcc, exec, s[4:5]
	s_cbranch_vccnz .LBB142_1993
; %bb.1992:
	global_load_ubyte v8, v[6:7], off
	s_movk_i32 s4, 0x7f00
	s_brev_b32 s5, 16
	s_waitcnt vmcnt(0)
	v_lshlrev_b16_e32 v9, 8, v8
	v_lshlrev_b32_e32 v8, 25, v8
	v_lshrrev_b32_e32 v11, 4, v8
	v_and_or_b32 v13, v9, s4, 0.5
	v_or_b32_e32 v11, 0x70000000, v11
	v_add_f32_e32 v13, -0.5, v13
	v_mul_f32_e32 v11, 0x7800000, v11
	v_cmp_gt_u32_e32 vcc, s5, v8
	v_bfe_i32 v9, v9, 0, 16
	v_cndmask_b32_e32 v8, v11, v13, vcc
	s_brev_b32 s4, 1
	v_and_or_b32 v8, v9, s4, v8
	v_cvt_f64_f32_e32 v[8:9], v8
.LBB142_1993:
	s_mov_b64 s[4:5], 0
	s_mov_b64 s[10:11], -1
.LBB142_1994:
	s_andn2_b64 vcc, exec, s[4:5]
	s_mov_b64 s[4:5], 0
	s_cbranch_vccnz .LBB142_2003
; %bb.1995:
	s_cmp_gt_i32 s29, 14
	s_cbranch_scc0 .LBB142_1998
; %bb.1996:
	s_cmp_eq_u32 s29, 15
	s_cbranch_scc0 .LBB142_1999
; %bb.1997:
	global_load_ushort v8, v[6:7], off
	s_mov_b64 s[0:1], 0
	s_mov_b64 s[10:11], -1
	s_waitcnt vmcnt(0)
	v_lshlrev_b32_e32 v8, 16, v8
	v_cvt_f64_f32_e32 v[8:9], v8
	s_branch .LBB142_2000
.LBB142_1998:
	s_mov_b64 s[24:25], -1
                                        ; implicit-def: $vgpr8_vgpr9
	s_branch .LBB142_2001
.LBB142_1999:
	s_mov_b64 s[0:1], -1
                                        ; implicit-def: $vgpr8_vgpr9
.LBB142_2000:
	s_mov_b64 s[24:25], 0
.LBB142_2001:
	s_and_b64 vcc, exec, s[24:25]
	s_cbranch_vccz .LBB142_2003
; %bb.2002:
	s_cmp_lg_u32 s29, 11
	s_mov_b64 s[4:5], -1
	s_cselect_b64 s[0:1], -1, 0
.LBB142_2003:
	s_and_b64 vcc, exec, s[0:1]
	s_cbranch_vccnz .LBB142_2068
; %bb.2004:
	s_andn2_b64 vcc, exec, s[4:5]
	s_cbranch_vccnz .LBB142_2006
.LBB142_2005:
	global_load_ubyte v9, v[6:7], off
	v_mov_b32_e32 v11, 0x3ff00000
	v_mov_b32_e32 v8, 0
	s_mov_b64 s[10:11], -1
	s_waitcnt vmcnt(0)
	v_cmp_ne_u16_e32 vcc, 0, v9
	v_cndmask_b32_e32 v9, 0, v11, vcc
.LBB142_2006:
	s_mov_b64 s[0:1], 0
.LBB142_2007:
	s_and_b64 vcc, exec, s[0:1]
	s_cbranch_vccz .LBB142_2056
; %bb.2008:
	s_and_b32 s4, 0xffff, s31
	s_cmp_lt_i32 s4, 5
	s_cbranch_scc1 .LBB142_2013
; %bb.2009:
	s_cmp_lt_i32 s4, 8
	s_cbranch_scc1 .LBB142_2014
; %bb.2010:
	;; [unrolled: 3-line block ×3, first 2 shown]
	s_cmp_gt_i32 s4, 9
	s_cbranch_scc0 .LBB142_2016
; %bb.2012:
	global_load_dwordx2 v[8:9], v[6:7], off
	s_mov_b64 s[0:1], 0
	s_branch .LBB142_2017
.LBB142_2013:
	s_mov_b64 s[0:1], -1
                                        ; implicit-def: $vgpr8_vgpr9
	s_branch .LBB142_2035
.LBB142_2014:
	s_mov_b64 s[0:1], -1
                                        ; implicit-def: $vgpr8_vgpr9
	s_branch .LBB142_2023
.LBB142_2015:
	s_mov_b64 s[0:1], -1
                                        ; implicit-def: $vgpr8_vgpr9
	s_branch .LBB142_2020
.LBB142_2016:
	s_mov_b64 s[0:1], -1
                                        ; implicit-def: $vgpr8_vgpr9
.LBB142_2017:
	s_andn2_b64 vcc, exec, s[0:1]
	s_cbranch_vccnz .LBB142_2019
; %bb.2018:
	global_load_dword v8, v[6:7], off
	s_waitcnt vmcnt(0)
	v_cvt_f64_f32_e32 v[8:9], v8
.LBB142_2019:
	s_mov_b64 s[0:1], 0
.LBB142_2020:
	s_andn2_b64 vcc, exec, s[0:1]
	s_cbranch_vccnz .LBB142_2022
; %bb.2021:
	global_load_dword v8, v[6:7], off
	s_waitcnt vmcnt(0)
	v_cvt_f32_f16_e32 v8, v8
	v_cvt_f64_f32_e32 v[8:9], v8
.LBB142_2022:
	s_mov_b64 s[0:1], 0
.LBB142_2023:
	s_andn2_b64 vcc, exec, s[0:1]
	s_cbranch_vccnz .LBB142_2034
; %bb.2024:
	s_cmp_lt_i32 s4, 6
	s_cbranch_scc1 .LBB142_2027
; %bb.2025:
	s_cmp_gt_i32 s4, 6
	s_cbranch_scc0 .LBB142_2028
; %bb.2026:
	global_load_dwordx2 v[8:9], v[6:7], off
	s_mov_b64 s[0:1], 0
	s_branch .LBB142_2029
.LBB142_2027:
	s_mov_b64 s[0:1], -1
                                        ; implicit-def: $vgpr8_vgpr9
	s_branch .LBB142_2032
.LBB142_2028:
	s_mov_b64 s[0:1], -1
                                        ; implicit-def: $vgpr8_vgpr9
.LBB142_2029:
	s_andn2_b64 vcc, exec, s[0:1]
	s_cbranch_vccnz .LBB142_2031
; %bb.2030:
	global_load_dword v8, v[6:7], off
	s_waitcnt vmcnt(0)
	v_cvt_f64_f32_e32 v[8:9], v8
.LBB142_2031:
	s_mov_b64 s[0:1], 0
.LBB142_2032:
	s_andn2_b64 vcc, exec, s[0:1]
	s_cbranch_vccnz .LBB142_2034
; %bb.2033:
	global_load_ushort v8, v[6:7], off
	s_waitcnt vmcnt(0)
	v_cvt_f32_f16_e32 v8, v8
	v_cvt_f64_f32_e32 v[8:9], v8
.LBB142_2034:
	s_mov_b64 s[0:1], 0
.LBB142_2035:
	s_andn2_b64 vcc, exec, s[0:1]
	s_cbranch_vccnz .LBB142_2055
; %bb.2036:
	s_cmp_lt_i32 s4, 2
	s_cbranch_scc1 .LBB142_2040
; %bb.2037:
	s_cmp_lt_i32 s4, 3
	s_cbranch_scc1 .LBB142_2041
; %bb.2038:
	s_cmp_gt_i32 s4, 3
	s_cbranch_scc0 .LBB142_2042
; %bb.2039:
	global_load_dwordx2 v[8:9], v[6:7], off
	s_mov_b64 s[0:1], 0
	s_waitcnt vmcnt(0)
	v_cvt_f64_i32_e32 v[13:14], v9
	v_cvt_f64_u32_e32 v[8:9], v8
	v_ldexp_f64 v[13:14], v[13:14], 32
	v_add_f64 v[8:9], v[13:14], v[8:9]
	s_branch .LBB142_2043
.LBB142_2040:
	s_mov_b64 s[0:1], -1
                                        ; implicit-def: $vgpr8_vgpr9
	s_branch .LBB142_2049
.LBB142_2041:
	s_mov_b64 s[0:1], -1
                                        ; implicit-def: $vgpr8_vgpr9
	s_branch .LBB142_2046
.LBB142_2042:
	s_mov_b64 s[0:1], -1
                                        ; implicit-def: $vgpr8_vgpr9
.LBB142_2043:
	s_andn2_b64 vcc, exec, s[0:1]
	s_cbranch_vccnz .LBB142_2045
; %bb.2044:
	global_load_dword v8, v[6:7], off
	s_waitcnt vmcnt(0)
	v_cvt_f64_i32_e32 v[8:9], v8
.LBB142_2045:
	s_mov_b64 s[0:1], 0
.LBB142_2046:
	s_andn2_b64 vcc, exec, s[0:1]
	s_cbranch_vccnz .LBB142_2048
; %bb.2047:
	global_load_sshort v8, v[6:7], off
	s_waitcnt vmcnt(0)
	v_cvt_f64_i32_e32 v[8:9], v8
.LBB142_2048:
	s_mov_b64 s[0:1], 0
.LBB142_2049:
	s_andn2_b64 vcc, exec, s[0:1]
	s_cbranch_vccnz .LBB142_2055
; %bb.2050:
	s_cmp_gt_i32 s4, 0
	s_cbranch_scc0 .LBB142_2052
; %bb.2051:
	global_load_sbyte v8, v[6:7], off
	s_mov_b64 s[0:1], 0
	s_waitcnt vmcnt(0)
	v_cvt_f64_i32_e32 v[8:9], v8
	s_branch .LBB142_2053
.LBB142_2052:
	s_mov_b64 s[0:1], -1
                                        ; implicit-def: $vgpr8_vgpr9
.LBB142_2053:
	s_andn2_b64 vcc, exec, s[0:1]
	s_cbranch_vccnz .LBB142_2055
; %bb.2054:
	global_load_ubyte v6, v[6:7], off
	s_waitcnt vmcnt(0)
	v_cvt_f64_u32_e32 v[8:9], v6
.LBB142_2055:
	s_mov_b64 s[10:11], -1
.LBB142_2056:
	s_andn2_b64 vcc, exec, s[10:11]
	s_cbranch_vccnz .LBB142_3012
; %bb.2057:
	v_add_u32_e32 v14, s9, v10
	v_ashrrev_i32_e32 v6, 31, v14
	v_mov_b32_e32 v7, s19
	v_add_co_u32_e32 v10, vcc, s18, v14
	s_cmp_lt_i32 s30, 11
	v_addc_co_u32_e32 v11, vcc, v7, v6, vcc
	s_cbranch_scc1 .LBB142_2064
; %bb.2058:
	s_and_b32 s29, 0xffff, s30
	s_cmp_gt_i32 s29, 25
	s_mov_b64 s[4:5], 0
	s_cbranch_scc0 .LBB142_2065
; %bb.2059:
	s_cmp_gt_i32 s29, 28
	s_cbranch_scc0 .LBB142_2066
; %bb.2060:
	s_cmp_gt_i32 s29, 43
	;; [unrolled: 3-line block ×3, first 2 shown]
	s_cbranch_scc0 .LBB142_2069
; %bb.2062:
	s_cmp_eq_u32 s29, 46
	s_mov_b64 s[24:25], 0
	s_cbranch_scc0 .LBB142_2070
; %bb.2063:
	global_load_dword v6, v[10:11], off
	s_mov_b64 s[0:1], 0
	s_mov_b64 s[10:11], -1
	s_waitcnt vmcnt(0)
	v_lshlrev_b32_e32 v6, 16, v6
	v_cvt_f64_f32_e32 v[6:7], v6
	s_branch .LBB142_2071
.LBB142_2064:
	s_mov_b64 s[0:1], -1
	s_mov_b64 s[10:11], 0
                                        ; implicit-def: $vgpr6_vgpr7
	s_branch .LBB142_2137
.LBB142_2065:
	s_mov_b64 s[24:25], -1
	s_mov_b64 s[10:11], 0
	s_mov_b64 s[0:1], 0
                                        ; implicit-def: $vgpr6_vgpr7
	s_branch .LBB142_2102
.LBB142_2066:
	s_mov_b64 s[24:25], -1
	s_mov_b64 s[10:11], 0
	s_mov_b64 s[0:1], 0
                                        ; implicit-def: $vgpr6_vgpr7
	s_branch .LBB142_2081
.LBB142_2067:
	s_mov_b64 s[24:25], -1
	s_mov_b64 s[10:11], 0
	s_mov_b64 s[0:1], 0
                                        ; implicit-def: $vgpr6_vgpr7
	s_branch .LBB142_2076
.LBB142_2068:
	s_trap 2
	s_or_b64 s[22:23], s[22:23], exec
	s_cbranch_execz .LBB142_2005
	s_branch .LBB142_2006
.LBB142_2069:
	s_mov_b64 s[24:25], -1
	s_mov_b64 s[10:11], 0
	s_mov_b64 s[0:1], 0
                                        ; implicit-def: $vgpr6_vgpr7
	s_branch .LBB142_2071
.LBB142_2070:
	s_mov_b64 s[0:1], -1
                                        ; implicit-def: $vgpr6_vgpr7
	s_mov_b64 s[10:11], 0
.LBB142_2071:
	s_and_b64 vcc, exec, s[24:25]
	s_cbranch_vccz .LBB142_2075
; %bb.2072:
	s_cmp_eq_u32 s29, 44
	s_cbranch_scc0 .LBB142_2074
; %bb.2073:
	global_load_ubyte v13, v[10:11], off
	s_movk_i32 s10, 0xff
	v_bfrev_b32_e32 v15, 4
	v_mov_b32_e32 v16, 0x7ff80000
	v_bfrev_b32_e32 v17, 28
	s_mov_b64 s[0:1], 0
	s_waitcnt vmcnt(0)
	v_lshlrev_b32_e32 v6, 23, v13
	v_cvt_f64_f32_e32 v[6:7], v6
	v_cmp_ne_u32_e32 vcc, s10, v13
	s_mov_b64 s[10:11], -1
	v_cndmask_b32_e32 v6, v15, v6, vcc
	v_cndmask_b32_e32 v7, v16, v7, vcc
	v_cmp_ne_u32_e32 vcc, 0, v13
	v_cndmask_b32_e32 v7, v17, v7, vcc
	v_cndmask_b32_e32 v6, 0, v6, vcc
	s_branch .LBB142_2075
.LBB142_2074:
	s_mov_b64 s[0:1], -1
                                        ; implicit-def: $vgpr6_vgpr7
.LBB142_2075:
	s_mov_b64 s[24:25], 0
.LBB142_2076:
	s_and_b64 vcc, exec, s[24:25]
	s_cbranch_vccz .LBB142_2080
; %bb.2077:
	s_cmp_eq_u32 s29, 29
	s_cbranch_scc0 .LBB142_2079
; %bb.2078:
	global_load_dwordx2 v[6:7], v[10:11], off
	s_mov_b64 s[0:1], 0
	s_mov_b64 s[10:11], -1
	s_mov_b64 s[24:25], 0
	s_waitcnt vmcnt(0)
	v_cvt_f64_u32_e32 v[15:16], v7
	v_cvt_f64_u32_e32 v[6:7], v6
	v_ldexp_f64 v[15:16], v[15:16], 32
	v_add_f64 v[6:7], v[15:16], v[6:7]
	s_branch .LBB142_2081
.LBB142_2079:
	s_mov_b64 s[0:1], -1
                                        ; implicit-def: $vgpr6_vgpr7
.LBB142_2080:
	s_mov_b64 s[24:25], 0
.LBB142_2081:
	s_and_b64 vcc, exec, s[24:25]
	s_cbranch_vccz .LBB142_2101
; %bb.2082:
	s_cmp_lt_i32 s29, 27
	s_cbranch_scc1 .LBB142_2085
; %bb.2083:
	s_cmp_gt_i32 s29, 27
	s_cbranch_scc0 .LBB142_2086
; %bb.2084:
	global_load_dword v6, v[10:11], off
	s_mov_b64 s[10:11], 0
	s_waitcnt vmcnt(0)
	v_cvt_f64_u32_e32 v[6:7], v6
	s_branch .LBB142_2087
.LBB142_2085:
	s_mov_b64 s[10:11], -1
                                        ; implicit-def: $vgpr6_vgpr7
	s_branch .LBB142_2090
.LBB142_2086:
	s_mov_b64 s[10:11], -1
                                        ; implicit-def: $vgpr6_vgpr7
.LBB142_2087:
	s_andn2_b64 vcc, exec, s[10:11]
	s_cbranch_vccnz .LBB142_2089
; %bb.2088:
	global_load_ushort v6, v[10:11], off
	s_waitcnt vmcnt(0)
	v_cvt_f64_u32_e32 v[6:7], v6
.LBB142_2089:
	s_mov_b64 s[10:11], 0
.LBB142_2090:
	s_andn2_b64 vcc, exec, s[10:11]
	s_cbranch_vccnz .LBB142_2100
; %bb.2091:
	global_load_ubyte v13, v[10:11], off
	s_movk_i32 s10, 0x7f
	s_waitcnt vmcnt(0)
	v_cmp_lt_i16_e32 vcc, s10, v13
	s_mov_b64 s[10:11], 0
	s_and_saveexec_b64 s[24:25], vcc
	s_xor_b64 s[24:25], exec, s[24:25]
	s_cbranch_execz .LBB142_2095
; %bb.2092:
	s_movk_i32 s10, 0x80
	v_cmp_eq_u16_e32 vcc, s10, v13
	s_mov_b64 s[10:11], -1
	s_and_saveexec_b64 s[26:27], vcc
; %bb.2093:
	s_xor_b64 s[10:11], exec, -1
; %bb.2094:
	s_or_b64 exec, exec, s[26:27]
	s_and_b64 s[10:11], s[10:11], exec
.LBB142_2095:
	s_or_saveexec_b64 s[24:25], s[24:25]
	v_bfrev_b32_e32 v6, 4
	v_mov_b32_e32 v7, 0x7ff80000
	s_xor_b64 exec, exec, s[24:25]
; %bb.2096:
	v_cmp_ne_u16_e32 vcc, 0, v13
	v_mov_b32_e32 v6, 0
	s_andn2_b64 s[10:11], s[10:11], exec
	s_and_b64 s[26:27], vcc, exec
	v_mov_b32_e32 v7, 0
	s_or_b64 s[10:11], s[10:11], s[26:27]
; %bb.2097:
	s_or_b64 exec, exec, s[24:25]
	s_and_saveexec_b64 s[24:25], s[10:11]
	s_cbranch_execz .LBB142_2099
; %bb.2098:
	v_and_b32_e32 v7, 0xffff, v13
	v_lshlrev_b32_e32 v6, 24, v13
	v_and_b32_e32 v13, 7, v7
	v_ffbh_u32_e32 v16, v13
	v_min_u32_e32 v16, 32, v16
	v_subrev_u32_e32 v17, 28, v16
	v_bfe_u32 v15, v7, 3, 4
	v_lshlrev_b32_e32 v7, v17, v7
	v_sub_u32_e32 v16, 29, v16
	v_and_b32_e32 v7, 7, v7
	v_cmp_eq_u32_e32 vcc, 0, v15
	v_cndmask_b32_e32 v15, v15, v16, vcc
	v_cndmask_b32_e32 v7, v13, v7, vcc
	v_mov_b32_e32 v13, 0x3b800000
	v_lshlrev_b32_e32 v7, 20, v7
	v_and_b32_e32 v6, 0x80000000, v6
	v_lshl_add_u32 v13, v15, 23, v13
	v_or3_b32 v6, v6, v13, v7
	v_cvt_f64_f32_e32 v[6:7], v6
.LBB142_2099:
	s_or_b64 exec, exec, s[24:25]
.LBB142_2100:
	s_mov_b64 s[10:11], -1
.LBB142_2101:
	s_mov_b64 s[24:25], 0
.LBB142_2102:
	s_and_b64 vcc, exec, s[24:25]
	s_cbranch_vccz .LBB142_2133
; %bb.2103:
	s_cmp_gt_i32 s29, 22
	s_cbranch_scc0 .LBB142_2115
; %bb.2104:
	s_cmp_lt_i32 s29, 24
	s_cbranch_scc1 .LBB142_2116
; %bb.2105:
	s_cmp_gt_i32 s29, 24
	s_cbranch_scc0 .LBB142_2117
; %bb.2106:
	global_load_ubyte v13, v[10:11], off
	s_movk_i32 s4, 0x7f
	s_waitcnt vmcnt(0)
	v_cmp_lt_i16_e32 vcc, s4, v13
	s_mov_b64 s[4:5], 0
	s_and_saveexec_b64 s[10:11], vcc
	s_xor_b64 s[10:11], exec, s[10:11]
	s_cbranch_execz .LBB142_2110
; %bb.2107:
	s_movk_i32 s4, 0x80
	v_cmp_eq_u16_e32 vcc, s4, v13
	s_mov_b64 s[4:5], -1
	s_and_saveexec_b64 s[24:25], vcc
; %bb.2108:
	s_xor_b64 s[4:5], exec, -1
; %bb.2109:
	s_or_b64 exec, exec, s[24:25]
	s_and_b64 s[4:5], s[4:5], exec
.LBB142_2110:
	s_or_saveexec_b64 s[10:11], s[10:11]
	v_bfrev_b32_e32 v6, 4
	v_mov_b32_e32 v7, 0x7ff80000
	s_xor_b64 exec, exec, s[10:11]
; %bb.2111:
	v_cmp_ne_u16_e32 vcc, 0, v13
	v_mov_b32_e32 v6, 0
	s_andn2_b64 s[4:5], s[4:5], exec
	s_and_b64 s[24:25], vcc, exec
	v_mov_b32_e32 v7, 0
	s_or_b64 s[4:5], s[4:5], s[24:25]
; %bb.2112:
	s_or_b64 exec, exec, s[10:11]
	s_and_saveexec_b64 s[10:11], s[4:5]
	s_cbranch_execz .LBB142_2114
; %bb.2113:
	v_and_b32_e32 v7, 0xffff, v13
	v_lshlrev_b32_e32 v6, 24, v13
	v_and_b32_e32 v13, 3, v7
	v_ffbh_u32_e32 v16, v13
	v_min_u32_e32 v16, 32, v16
	v_subrev_u32_e32 v17, 29, v16
	v_bfe_u32 v15, v7, 2, 5
	v_lshlrev_b32_e32 v7, v17, v7
	v_sub_u32_e32 v16, 30, v16
	v_and_b32_e32 v7, 3, v7
	v_cmp_eq_u32_e32 vcc, 0, v15
	v_cndmask_b32_e32 v15, v15, v16, vcc
	v_cndmask_b32_e32 v7, v13, v7, vcc
	v_mov_b32_e32 v13, 0x37800000
	v_lshlrev_b32_e32 v7, 21, v7
	v_and_b32_e32 v6, 0x80000000, v6
	v_lshl_add_u32 v13, v15, 23, v13
	v_or3_b32 v6, v6, v13, v7
	v_cvt_f64_f32_e32 v[6:7], v6
.LBB142_2114:
	s_or_b64 exec, exec, s[10:11]
	s_mov_b64 s[4:5], 0
	s_branch .LBB142_2118
.LBB142_2115:
	s_mov_b64 s[4:5], -1
                                        ; implicit-def: $vgpr6_vgpr7
	s_branch .LBB142_2124
.LBB142_2116:
	s_mov_b64 s[4:5], -1
                                        ; implicit-def: $vgpr6_vgpr7
	s_branch .LBB142_2121
.LBB142_2117:
	s_mov_b64 s[4:5], -1
                                        ; implicit-def: $vgpr6_vgpr7
.LBB142_2118:
	s_and_b64 vcc, exec, s[4:5]
	s_cbranch_vccz .LBB142_2120
; %bb.2119:
	global_load_ubyte v6, v[10:11], off
	s_mov_b32 s4, 0x7f800000
	s_waitcnt vmcnt(0)
	v_lshlrev_b32_e32 v6, 24, v6
	v_and_b32_e32 v7, 0x7f000000, v6
	v_ffbh_u32_e32 v13, v7
	v_min_u32_e32 v13, 32, v13
	v_sub_u32_e64 v13, v13, 4 clamp
	v_lshlrev_b32_e32 v16, v13, v7
	v_lshlrev_b32_e32 v13, 23, v13
	v_lshrrev_b32_e32 v16, 4, v16
	v_add_u32_e32 v15, 0x1000000, v7
	v_sub_u32_e32 v13, v16, v13
	v_ashrrev_i32_e32 v15, 8, v15
	v_add_u32_e32 v13, 0x3c000000, v13
	v_and_or_b32 v13, v15, s4, v13
	v_cmp_ne_u32_e32 vcc, 0, v7
	v_cndmask_b32_e32 v7, 0, v13, vcc
	s_brev_b32 s4, 1
	v_and_or_b32 v6, v6, s4, v7
	v_cvt_f64_f32_e32 v[6:7], v6
.LBB142_2120:
	s_mov_b64 s[4:5], 0
.LBB142_2121:
	s_andn2_b64 vcc, exec, s[4:5]
	s_cbranch_vccnz .LBB142_2123
; %bb.2122:
	global_load_ubyte v6, v[10:11], off
	s_movk_i32 s4, 0x7f00
	s_brev_b32 s5, 16
	s_waitcnt vmcnt(0)
	v_lshlrev_b16_e32 v7, 8, v6
	v_lshlrev_b32_e32 v6, 25, v6
	v_lshrrev_b32_e32 v13, 4, v6
	v_and_or_b32 v15, v7, s4, 0.5
	v_or_b32_e32 v13, 0x70000000, v13
	v_add_f32_e32 v15, -0.5, v15
	v_mul_f32_e32 v13, 0x7800000, v13
	v_cmp_gt_u32_e32 vcc, s5, v6
	v_bfe_i32 v7, v7, 0, 16
	v_cndmask_b32_e32 v6, v13, v15, vcc
	s_brev_b32 s4, 1
	v_and_or_b32 v6, v7, s4, v6
	v_cvt_f64_f32_e32 v[6:7], v6
.LBB142_2123:
	s_mov_b64 s[4:5], 0
	s_mov_b64 s[10:11], -1
.LBB142_2124:
	s_andn2_b64 vcc, exec, s[4:5]
	s_mov_b64 s[4:5], 0
	s_cbranch_vccnz .LBB142_2133
; %bb.2125:
	s_cmp_gt_i32 s29, 14
	s_cbranch_scc0 .LBB142_2128
; %bb.2126:
	s_cmp_eq_u32 s29, 15
	s_cbranch_scc0 .LBB142_2129
; %bb.2127:
	global_load_ushort v6, v[10:11], off
	s_mov_b64 s[0:1], 0
	s_mov_b64 s[10:11], -1
	s_waitcnt vmcnt(0)
	v_lshlrev_b32_e32 v6, 16, v6
	v_cvt_f64_f32_e32 v[6:7], v6
	s_branch .LBB142_2130
.LBB142_2128:
	s_mov_b64 s[24:25], -1
                                        ; implicit-def: $vgpr6_vgpr7
	s_branch .LBB142_2131
.LBB142_2129:
	s_mov_b64 s[0:1], -1
                                        ; implicit-def: $vgpr6_vgpr7
.LBB142_2130:
	s_mov_b64 s[24:25], 0
.LBB142_2131:
	s_and_b64 vcc, exec, s[24:25]
	s_cbranch_vccz .LBB142_2133
; %bb.2132:
	s_cmp_lg_u32 s29, 11
	s_mov_b64 s[4:5], -1
	s_cselect_b64 s[0:1], -1, 0
.LBB142_2133:
	s_and_b64 vcc, exec, s[0:1]
	s_cbranch_vccnz .LBB142_2198
; %bb.2134:
	s_andn2_b64 vcc, exec, s[4:5]
	s_cbranch_vccnz .LBB142_2136
.LBB142_2135:
	global_load_ubyte v7, v[10:11], off
	v_mov_b32_e32 v13, 0x3ff00000
	v_mov_b32_e32 v6, 0
	s_mov_b64 s[10:11], -1
	s_waitcnt vmcnt(0)
	v_cmp_ne_u16_e32 vcc, 0, v7
	v_cndmask_b32_e32 v7, 0, v13, vcc
.LBB142_2136:
	s_mov_b64 s[0:1], 0
.LBB142_2137:
	s_and_b64 vcc, exec, s[0:1]
	s_cbranch_vccz .LBB142_2186
; %bb.2138:
	s_and_b32 s4, 0xffff, s30
	s_cmp_lt_i32 s4, 5
	s_cbranch_scc1 .LBB142_2143
; %bb.2139:
	s_cmp_lt_i32 s4, 8
	s_cbranch_scc1 .LBB142_2144
; %bb.2140:
	;; [unrolled: 3-line block ×3, first 2 shown]
	s_cmp_gt_i32 s4, 9
	s_cbranch_scc0 .LBB142_2146
; %bb.2142:
	global_load_dwordx2 v[6:7], v[10:11], off
	s_mov_b64 s[0:1], 0
	s_branch .LBB142_2147
.LBB142_2143:
	s_mov_b64 s[0:1], -1
                                        ; implicit-def: $vgpr6_vgpr7
	s_branch .LBB142_2165
.LBB142_2144:
	s_mov_b64 s[0:1], -1
                                        ; implicit-def: $vgpr6_vgpr7
	s_branch .LBB142_2153
.LBB142_2145:
	s_mov_b64 s[0:1], -1
                                        ; implicit-def: $vgpr6_vgpr7
	s_branch .LBB142_2150
.LBB142_2146:
	s_mov_b64 s[0:1], -1
                                        ; implicit-def: $vgpr6_vgpr7
.LBB142_2147:
	s_andn2_b64 vcc, exec, s[0:1]
	s_cbranch_vccnz .LBB142_2149
; %bb.2148:
	global_load_dword v6, v[10:11], off
	s_waitcnt vmcnt(0)
	v_cvt_f64_f32_e32 v[6:7], v6
.LBB142_2149:
	s_mov_b64 s[0:1], 0
.LBB142_2150:
	s_andn2_b64 vcc, exec, s[0:1]
	s_cbranch_vccnz .LBB142_2152
; %bb.2151:
	global_load_dword v6, v[10:11], off
	s_waitcnt vmcnt(0)
	v_cvt_f32_f16_e32 v6, v6
	v_cvt_f64_f32_e32 v[6:7], v6
.LBB142_2152:
	s_mov_b64 s[0:1], 0
.LBB142_2153:
	s_andn2_b64 vcc, exec, s[0:1]
	s_cbranch_vccnz .LBB142_2164
; %bb.2154:
	s_cmp_lt_i32 s4, 6
	s_cbranch_scc1 .LBB142_2157
; %bb.2155:
	s_cmp_gt_i32 s4, 6
	s_cbranch_scc0 .LBB142_2158
; %bb.2156:
	global_load_dwordx2 v[6:7], v[10:11], off
	s_mov_b64 s[0:1], 0
	s_branch .LBB142_2159
.LBB142_2157:
	s_mov_b64 s[0:1], -1
                                        ; implicit-def: $vgpr6_vgpr7
	s_branch .LBB142_2162
.LBB142_2158:
	s_mov_b64 s[0:1], -1
                                        ; implicit-def: $vgpr6_vgpr7
.LBB142_2159:
	s_andn2_b64 vcc, exec, s[0:1]
	s_cbranch_vccnz .LBB142_2161
; %bb.2160:
	global_load_dword v6, v[10:11], off
	s_waitcnt vmcnt(0)
	v_cvt_f64_f32_e32 v[6:7], v6
.LBB142_2161:
	s_mov_b64 s[0:1], 0
.LBB142_2162:
	s_andn2_b64 vcc, exec, s[0:1]
	s_cbranch_vccnz .LBB142_2164
; %bb.2163:
	global_load_ushort v6, v[10:11], off
	s_waitcnt vmcnt(0)
	v_cvt_f32_f16_e32 v6, v6
	v_cvt_f64_f32_e32 v[6:7], v6
.LBB142_2164:
	s_mov_b64 s[0:1], 0
.LBB142_2165:
	s_andn2_b64 vcc, exec, s[0:1]
	s_cbranch_vccnz .LBB142_2185
; %bb.2166:
	s_cmp_lt_i32 s4, 2
	s_cbranch_scc1 .LBB142_2170
; %bb.2167:
	s_cmp_lt_i32 s4, 3
	s_cbranch_scc1 .LBB142_2171
; %bb.2168:
	s_cmp_gt_i32 s4, 3
	s_cbranch_scc0 .LBB142_2172
; %bb.2169:
	global_load_dwordx2 v[6:7], v[10:11], off
	s_mov_b64 s[0:1], 0
	s_waitcnt vmcnt(0)
	v_cvt_f64_i32_e32 v[15:16], v7
	v_cvt_f64_u32_e32 v[6:7], v6
	v_ldexp_f64 v[15:16], v[15:16], 32
	v_add_f64 v[6:7], v[15:16], v[6:7]
	s_branch .LBB142_2173
.LBB142_2170:
	s_mov_b64 s[0:1], -1
                                        ; implicit-def: $vgpr6_vgpr7
	s_branch .LBB142_2179
.LBB142_2171:
	s_mov_b64 s[0:1], -1
                                        ; implicit-def: $vgpr6_vgpr7
	s_branch .LBB142_2176
.LBB142_2172:
	s_mov_b64 s[0:1], -1
                                        ; implicit-def: $vgpr6_vgpr7
.LBB142_2173:
	s_andn2_b64 vcc, exec, s[0:1]
	s_cbranch_vccnz .LBB142_2175
; %bb.2174:
	global_load_dword v6, v[10:11], off
	s_waitcnt vmcnt(0)
	v_cvt_f64_i32_e32 v[6:7], v6
.LBB142_2175:
	s_mov_b64 s[0:1], 0
.LBB142_2176:
	s_andn2_b64 vcc, exec, s[0:1]
	s_cbranch_vccnz .LBB142_2178
; %bb.2177:
	global_load_sshort v6, v[10:11], off
	s_waitcnt vmcnt(0)
	v_cvt_f64_i32_e32 v[6:7], v6
.LBB142_2178:
	s_mov_b64 s[0:1], 0
.LBB142_2179:
	s_andn2_b64 vcc, exec, s[0:1]
	s_cbranch_vccnz .LBB142_2185
; %bb.2180:
	s_cmp_gt_i32 s4, 0
	s_cbranch_scc0 .LBB142_2182
; %bb.2181:
	global_load_sbyte v6, v[10:11], off
	s_mov_b64 s[0:1], 0
	s_waitcnt vmcnt(0)
	v_cvt_f64_i32_e32 v[6:7], v6
	s_branch .LBB142_2183
.LBB142_2182:
	s_mov_b64 s[0:1], -1
                                        ; implicit-def: $vgpr6_vgpr7
.LBB142_2183:
	s_andn2_b64 vcc, exec, s[0:1]
	s_cbranch_vccnz .LBB142_2185
; %bb.2184:
	global_load_ubyte v6, v[10:11], off
	s_waitcnt vmcnt(0)
	v_cvt_f64_u32_e32 v[6:7], v6
.LBB142_2185:
	s_mov_b64 s[10:11], -1
.LBB142_2186:
	s_andn2_b64 vcc, exec, s[10:11]
	s_cbranch_vccnz .LBB142_3012
; %bb.2187:
	v_add_u32_e32 v16, s28, v12
	v_ashrrev_i32_e32 v11, 31, v16
	v_mov_b32_e32 v12, s3
	v_add_co_u32_e32 v10, vcc, s2, v16
	s_cmp_lt_i32 s31, 11
	v_addc_co_u32_e32 v11, vcc, v12, v11, vcc
	s_cbranch_scc1 .LBB142_2194
; %bb.2188:
	s_and_b32 s29, 0xffff, s31
	s_cmp_gt_i32 s29, 25
	s_mov_b64 s[4:5], 0
	s_cbranch_scc0 .LBB142_2195
; %bb.2189:
	s_cmp_gt_i32 s29, 28
	s_cbranch_scc0 .LBB142_2196
; %bb.2190:
	s_cmp_gt_i32 s29, 43
	;; [unrolled: 3-line block ×3, first 2 shown]
	s_cbranch_scc0 .LBB142_2199
; %bb.2192:
	s_cmp_eq_u32 s29, 46
	s_mov_b64 s[24:25], 0
	s_cbranch_scc0 .LBB142_2202
; %bb.2193:
	global_load_dword v12, v[10:11], off
	s_mov_b64 s[0:1], 0
	s_mov_b64 s[10:11], -1
	s_waitcnt vmcnt(0)
	v_lshlrev_b32_e32 v12, 16, v12
	v_cvt_f64_f32_e32 v[12:13], v12
	s_branch .LBB142_2203
.LBB142_2194:
	s_mov_b64 s[0:1], -1
	s_mov_b64 s[10:11], 0
                                        ; implicit-def: $vgpr12_vgpr13
	s_branch .LBB142_2269
.LBB142_2195:
	s_mov_b64 s[24:25], -1
	s_mov_b64 s[10:11], 0
	s_mov_b64 s[0:1], 0
                                        ; implicit-def: $vgpr12_vgpr13
	s_branch .LBB142_2234
.LBB142_2196:
	s_mov_b64 s[24:25], -1
	s_mov_b64 s[10:11], 0
	s_mov_b64 s[0:1], 0
                                        ; implicit-def: $vgpr12_vgpr13
	s_branch .LBB142_2213
.LBB142_2197:
	s_mov_b64 s[24:25], -1
	s_mov_b64 s[10:11], 0
	s_mov_b64 s[0:1], 0
                                        ; implicit-def: $vgpr12_vgpr13
	s_branch .LBB142_2208
.LBB142_2198:
	s_trap 2
	s_or_b64 s[22:23], s[22:23], exec
	s_cbranch_execz .LBB142_2135
	s_branch .LBB142_2136
.LBB142_2199:
	s_mov_b64 s[24:25], -1
	s_mov_b64 s[10:11], 0
	s_mov_b64 s[0:1], 0
                                        ; implicit-def: $vgpr12_vgpr13
	s_branch .LBB142_2203
.LBB142_2200:
	s_andn2_saveexec_b64 s[48:49], s[48:49]
	s_cbranch_execz .LBB142_1085
.LBB142_2201:
	s_mov_b32 s53, 0x42800000
	v_add_f32_e64 v3, |v2|, s53
	v_and_b32_e32 v3, 0xff, v3
	v_cmp_ne_u32_e32 vcc, 0, v3
	s_andn2_b64 s[46:47], s[46:47], exec
	s_and_b64 s[54:55], vcc, exec
	s_or_b64 s[46:47], s[46:47], s[54:55]
	s_or_b64 exec, exec, s[48:49]
	v_mov_b32_e32 v6, 0
	s_and_saveexec_b64 s[48:49], s[46:47]
	s_cbranch_execnz .LBB142_1086
	s_branch .LBB142_1087
.LBB142_2202:
	s_mov_b64 s[0:1], -1
                                        ; implicit-def: $vgpr12_vgpr13
	s_mov_b64 s[10:11], 0
.LBB142_2203:
	s_and_b64 vcc, exec, s[24:25]
	s_cbranch_vccz .LBB142_2207
; %bb.2204:
	s_cmp_eq_u32 s29, 44
	s_cbranch_scc0 .LBB142_2206
; %bb.2205:
	global_load_ubyte v15, v[10:11], off
	s_movk_i32 s10, 0xff
	v_bfrev_b32_e32 v17, 4
	v_mov_b32_e32 v19, 0x7ff80000
	v_bfrev_b32_e32 v20, 28
	s_mov_b64 s[0:1], 0
	s_waitcnt vmcnt(0)
	v_lshlrev_b32_e32 v12, 23, v15
	v_cvt_f64_f32_e32 v[12:13], v12
	v_cmp_ne_u32_e32 vcc, s10, v15
	s_mov_b64 s[10:11], -1
	v_cndmask_b32_e32 v12, v17, v12, vcc
	v_cndmask_b32_e32 v13, v19, v13, vcc
	v_cmp_ne_u32_e32 vcc, 0, v15
	v_cndmask_b32_e32 v13, v20, v13, vcc
	v_cndmask_b32_e32 v12, 0, v12, vcc
	s_branch .LBB142_2207
.LBB142_2206:
	s_mov_b64 s[0:1], -1
                                        ; implicit-def: $vgpr12_vgpr13
.LBB142_2207:
	s_mov_b64 s[24:25], 0
.LBB142_2208:
	s_and_b64 vcc, exec, s[24:25]
	s_cbranch_vccz .LBB142_2212
; %bb.2209:
	s_cmp_eq_u32 s29, 29
	s_cbranch_scc0 .LBB142_2211
; %bb.2210:
	global_load_dwordx2 v[12:13], v[10:11], off
	s_mov_b64 s[0:1], 0
	s_mov_b64 s[10:11], -1
	s_mov_b64 s[24:25], 0
	s_waitcnt vmcnt(0)
	v_cvt_f64_u32_e32 v[19:20], v13
	v_cvt_f64_u32_e32 v[12:13], v12
	v_ldexp_f64 v[19:20], v[19:20], 32
	v_add_f64 v[12:13], v[19:20], v[12:13]
	s_branch .LBB142_2213
.LBB142_2211:
	s_mov_b64 s[0:1], -1
                                        ; implicit-def: $vgpr12_vgpr13
.LBB142_2212:
	s_mov_b64 s[24:25], 0
.LBB142_2213:
	s_and_b64 vcc, exec, s[24:25]
	s_cbranch_vccz .LBB142_2233
; %bb.2214:
	s_cmp_lt_i32 s29, 27
	s_cbranch_scc1 .LBB142_2217
; %bb.2215:
	s_cmp_gt_i32 s29, 27
	s_cbranch_scc0 .LBB142_2218
; %bb.2216:
	global_load_dword v12, v[10:11], off
	s_mov_b64 s[10:11], 0
	s_waitcnt vmcnt(0)
	v_cvt_f64_u32_e32 v[12:13], v12
	s_branch .LBB142_2219
.LBB142_2217:
	s_mov_b64 s[10:11], -1
                                        ; implicit-def: $vgpr12_vgpr13
	s_branch .LBB142_2222
.LBB142_2218:
	s_mov_b64 s[10:11], -1
                                        ; implicit-def: $vgpr12_vgpr13
.LBB142_2219:
	s_andn2_b64 vcc, exec, s[10:11]
	s_cbranch_vccnz .LBB142_2221
; %bb.2220:
	global_load_ushort v12, v[10:11], off
	s_waitcnt vmcnt(0)
	v_cvt_f64_u32_e32 v[12:13], v12
.LBB142_2221:
	s_mov_b64 s[10:11], 0
.LBB142_2222:
	s_andn2_b64 vcc, exec, s[10:11]
	s_cbranch_vccnz .LBB142_2232
; %bb.2223:
	global_load_ubyte v15, v[10:11], off
	s_movk_i32 s10, 0x7f
	s_waitcnt vmcnt(0)
	v_cmp_lt_i16_e32 vcc, s10, v15
	s_mov_b64 s[10:11], 0
	s_and_saveexec_b64 s[24:25], vcc
	s_xor_b64 s[24:25], exec, s[24:25]
	s_cbranch_execz .LBB142_2227
; %bb.2224:
	s_movk_i32 s10, 0x80
	v_cmp_eq_u16_e32 vcc, s10, v15
	s_mov_b64 s[10:11], -1
	s_and_saveexec_b64 s[26:27], vcc
; %bb.2225:
	s_xor_b64 s[10:11], exec, -1
; %bb.2226:
	s_or_b64 exec, exec, s[26:27]
	s_and_b64 s[10:11], s[10:11], exec
.LBB142_2227:
	s_or_saveexec_b64 s[24:25], s[24:25]
	v_bfrev_b32_e32 v12, 4
	v_mov_b32_e32 v13, 0x7ff80000
	s_xor_b64 exec, exec, s[24:25]
; %bb.2228:
	v_cmp_ne_u16_e32 vcc, 0, v15
	v_mov_b32_e32 v12, 0
	s_andn2_b64 s[10:11], s[10:11], exec
	s_and_b64 s[26:27], vcc, exec
	v_mov_b32_e32 v13, 0
	s_or_b64 s[10:11], s[10:11], s[26:27]
; %bb.2229:
	s_or_b64 exec, exec, s[24:25]
	s_and_saveexec_b64 s[24:25], s[10:11]
	s_cbranch_execz .LBB142_2231
; %bb.2230:
	v_and_b32_e32 v13, 0xffff, v15
	v_lshlrev_b32_e32 v12, 24, v15
	v_and_b32_e32 v15, 7, v13
	v_ffbh_u32_e32 v19, v15
	v_min_u32_e32 v19, 32, v19
	v_subrev_u32_e32 v20, 28, v19
	v_bfe_u32 v17, v13, 3, 4
	v_lshlrev_b32_e32 v13, v20, v13
	v_sub_u32_e32 v19, 29, v19
	v_and_b32_e32 v13, 7, v13
	v_cmp_eq_u32_e32 vcc, 0, v17
	v_cndmask_b32_e32 v17, v17, v19, vcc
	v_cndmask_b32_e32 v13, v15, v13, vcc
	v_mov_b32_e32 v15, 0x3b800000
	v_lshlrev_b32_e32 v13, 20, v13
	v_and_b32_e32 v12, 0x80000000, v12
	v_lshl_add_u32 v15, v17, 23, v15
	v_or3_b32 v12, v12, v15, v13
	v_cvt_f64_f32_e32 v[12:13], v12
.LBB142_2231:
	s_or_b64 exec, exec, s[24:25]
.LBB142_2232:
	s_mov_b64 s[10:11], -1
.LBB142_2233:
	s_mov_b64 s[24:25], 0
.LBB142_2234:
	s_and_b64 vcc, exec, s[24:25]
	s_cbranch_vccz .LBB142_2265
; %bb.2235:
	s_cmp_gt_i32 s29, 22
	s_cbranch_scc0 .LBB142_2247
; %bb.2236:
	s_cmp_lt_i32 s29, 24
	s_cbranch_scc1 .LBB142_2248
; %bb.2237:
	s_cmp_gt_i32 s29, 24
	s_cbranch_scc0 .LBB142_2249
; %bb.2238:
	global_load_ubyte v15, v[10:11], off
	s_movk_i32 s4, 0x7f
	s_waitcnt vmcnt(0)
	v_cmp_lt_i16_e32 vcc, s4, v15
	s_mov_b64 s[4:5], 0
	s_and_saveexec_b64 s[10:11], vcc
	s_xor_b64 s[10:11], exec, s[10:11]
	s_cbranch_execz .LBB142_2242
; %bb.2239:
	s_movk_i32 s4, 0x80
	v_cmp_eq_u16_e32 vcc, s4, v15
	s_mov_b64 s[4:5], -1
	s_and_saveexec_b64 s[24:25], vcc
; %bb.2240:
	s_xor_b64 s[4:5], exec, -1
; %bb.2241:
	s_or_b64 exec, exec, s[24:25]
	s_and_b64 s[4:5], s[4:5], exec
.LBB142_2242:
	s_or_saveexec_b64 s[10:11], s[10:11]
	v_bfrev_b32_e32 v12, 4
	v_mov_b32_e32 v13, 0x7ff80000
	s_xor_b64 exec, exec, s[10:11]
; %bb.2243:
	v_cmp_ne_u16_e32 vcc, 0, v15
	v_mov_b32_e32 v12, 0
	s_andn2_b64 s[4:5], s[4:5], exec
	s_and_b64 s[24:25], vcc, exec
	v_mov_b32_e32 v13, 0
	s_or_b64 s[4:5], s[4:5], s[24:25]
; %bb.2244:
	s_or_b64 exec, exec, s[10:11]
	s_and_saveexec_b64 s[10:11], s[4:5]
	s_cbranch_execz .LBB142_2246
; %bb.2245:
	v_and_b32_e32 v13, 0xffff, v15
	v_lshlrev_b32_e32 v12, 24, v15
	v_and_b32_e32 v15, 3, v13
	v_ffbh_u32_e32 v19, v15
	v_min_u32_e32 v19, 32, v19
	v_subrev_u32_e32 v20, 29, v19
	v_bfe_u32 v17, v13, 2, 5
	v_lshlrev_b32_e32 v13, v20, v13
	v_sub_u32_e32 v19, 30, v19
	v_and_b32_e32 v13, 3, v13
	v_cmp_eq_u32_e32 vcc, 0, v17
	v_cndmask_b32_e32 v17, v17, v19, vcc
	v_cndmask_b32_e32 v13, v15, v13, vcc
	v_mov_b32_e32 v15, 0x37800000
	v_lshlrev_b32_e32 v13, 21, v13
	v_and_b32_e32 v12, 0x80000000, v12
	v_lshl_add_u32 v15, v17, 23, v15
	v_or3_b32 v12, v12, v15, v13
	v_cvt_f64_f32_e32 v[12:13], v12
.LBB142_2246:
	s_or_b64 exec, exec, s[10:11]
	s_mov_b64 s[4:5], 0
	s_branch .LBB142_2250
.LBB142_2247:
	s_mov_b64 s[4:5], -1
                                        ; implicit-def: $vgpr12_vgpr13
	s_branch .LBB142_2256
.LBB142_2248:
	s_mov_b64 s[4:5], -1
                                        ; implicit-def: $vgpr12_vgpr13
	s_branch .LBB142_2253
.LBB142_2249:
	s_mov_b64 s[4:5], -1
                                        ; implicit-def: $vgpr12_vgpr13
.LBB142_2250:
	s_and_b64 vcc, exec, s[4:5]
	s_cbranch_vccz .LBB142_2252
; %bb.2251:
	global_load_ubyte v12, v[10:11], off
	s_mov_b32 s4, 0x7f800000
	s_waitcnt vmcnt(0)
	v_lshlrev_b32_e32 v12, 24, v12
	v_and_b32_e32 v13, 0x7f000000, v12
	v_ffbh_u32_e32 v15, v13
	v_min_u32_e32 v15, 32, v15
	v_sub_u32_e64 v15, v15, 4 clamp
	v_lshlrev_b32_e32 v19, v15, v13
	v_lshlrev_b32_e32 v15, 23, v15
	v_lshrrev_b32_e32 v19, 4, v19
	v_add_u32_e32 v17, 0x1000000, v13
	v_sub_u32_e32 v15, v19, v15
	v_ashrrev_i32_e32 v17, 8, v17
	v_add_u32_e32 v15, 0x3c000000, v15
	v_and_or_b32 v15, v17, s4, v15
	v_cmp_ne_u32_e32 vcc, 0, v13
	v_cndmask_b32_e32 v13, 0, v15, vcc
	s_brev_b32 s4, 1
	v_and_or_b32 v12, v12, s4, v13
	v_cvt_f64_f32_e32 v[12:13], v12
.LBB142_2252:
	s_mov_b64 s[4:5], 0
.LBB142_2253:
	s_andn2_b64 vcc, exec, s[4:5]
	s_cbranch_vccnz .LBB142_2255
; %bb.2254:
	global_load_ubyte v12, v[10:11], off
	s_movk_i32 s4, 0x7f00
	s_brev_b32 s5, 16
	s_waitcnt vmcnt(0)
	v_lshlrev_b16_e32 v13, 8, v12
	v_lshlrev_b32_e32 v12, 25, v12
	v_lshrrev_b32_e32 v15, 4, v12
	v_and_or_b32 v17, v13, s4, 0.5
	v_or_b32_e32 v15, 0x70000000, v15
	v_add_f32_e32 v17, -0.5, v17
	v_mul_f32_e32 v15, 0x7800000, v15
	v_cmp_gt_u32_e32 vcc, s5, v12
	v_bfe_i32 v13, v13, 0, 16
	v_cndmask_b32_e32 v12, v15, v17, vcc
	s_brev_b32 s4, 1
	v_and_or_b32 v12, v13, s4, v12
	v_cvt_f64_f32_e32 v[12:13], v12
.LBB142_2255:
	s_mov_b64 s[4:5], 0
	s_mov_b64 s[10:11], -1
.LBB142_2256:
	s_andn2_b64 vcc, exec, s[4:5]
	s_mov_b64 s[4:5], 0
	s_cbranch_vccnz .LBB142_2265
; %bb.2257:
	s_cmp_gt_i32 s29, 14
	s_cbranch_scc0 .LBB142_2260
; %bb.2258:
	s_cmp_eq_u32 s29, 15
	s_cbranch_scc0 .LBB142_2261
; %bb.2259:
	global_load_ushort v12, v[10:11], off
	s_mov_b64 s[0:1], 0
	s_mov_b64 s[10:11], -1
	s_waitcnt vmcnt(0)
	v_lshlrev_b32_e32 v12, 16, v12
	v_cvt_f64_f32_e32 v[12:13], v12
	s_branch .LBB142_2262
.LBB142_2260:
	s_mov_b64 s[24:25], -1
                                        ; implicit-def: $vgpr12_vgpr13
	s_branch .LBB142_2263
.LBB142_2261:
	s_mov_b64 s[0:1], -1
                                        ; implicit-def: $vgpr12_vgpr13
.LBB142_2262:
	s_mov_b64 s[24:25], 0
.LBB142_2263:
	s_and_b64 vcc, exec, s[24:25]
	s_cbranch_vccz .LBB142_2265
; %bb.2264:
	s_cmp_lg_u32 s29, 11
	s_mov_b64 s[4:5], -1
	s_cselect_b64 s[0:1], -1, 0
.LBB142_2265:
	s_and_b64 vcc, exec, s[0:1]
	s_cbranch_vccnz .LBB142_2330
; %bb.2266:
	s_andn2_b64 vcc, exec, s[4:5]
	s_cbranch_vccnz .LBB142_2268
.LBB142_2267:
	global_load_ubyte v13, v[10:11], off
	v_mov_b32_e32 v15, 0x3ff00000
	v_mov_b32_e32 v12, 0
	s_mov_b64 s[10:11], -1
	s_waitcnt vmcnt(0)
	v_cmp_ne_u16_e32 vcc, 0, v13
	v_cndmask_b32_e32 v13, 0, v15, vcc
.LBB142_2268:
	s_mov_b64 s[0:1], 0
.LBB142_2269:
	s_and_b64 vcc, exec, s[0:1]
	s_cbranch_vccz .LBB142_2318
; %bb.2270:
	s_and_b32 s4, 0xffff, s31
	s_cmp_lt_i32 s4, 5
	s_cbranch_scc1 .LBB142_2275
; %bb.2271:
	s_cmp_lt_i32 s4, 8
	s_cbranch_scc1 .LBB142_2276
; %bb.2272:
	;; [unrolled: 3-line block ×3, first 2 shown]
	s_cmp_gt_i32 s4, 9
	s_cbranch_scc0 .LBB142_2278
; %bb.2274:
	global_load_dwordx2 v[12:13], v[10:11], off
	s_mov_b64 s[0:1], 0
	s_branch .LBB142_2279
.LBB142_2275:
	s_mov_b64 s[0:1], -1
                                        ; implicit-def: $vgpr12_vgpr13
	s_branch .LBB142_2297
.LBB142_2276:
	s_mov_b64 s[0:1], -1
                                        ; implicit-def: $vgpr12_vgpr13
	s_branch .LBB142_2285
.LBB142_2277:
	s_mov_b64 s[0:1], -1
                                        ; implicit-def: $vgpr12_vgpr13
	s_branch .LBB142_2282
.LBB142_2278:
	s_mov_b64 s[0:1], -1
                                        ; implicit-def: $vgpr12_vgpr13
.LBB142_2279:
	s_andn2_b64 vcc, exec, s[0:1]
	s_cbranch_vccnz .LBB142_2281
; %bb.2280:
	global_load_dword v12, v[10:11], off
	s_waitcnt vmcnt(0)
	v_cvt_f64_f32_e32 v[12:13], v12
.LBB142_2281:
	s_mov_b64 s[0:1], 0
.LBB142_2282:
	s_andn2_b64 vcc, exec, s[0:1]
	s_cbranch_vccnz .LBB142_2284
; %bb.2283:
	global_load_dword v12, v[10:11], off
	s_waitcnt vmcnt(0)
	v_cvt_f32_f16_e32 v12, v12
	v_cvt_f64_f32_e32 v[12:13], v12
.LBB142_2284:
	s_mov_b64 s[0:1], 0
.LBB142_2285:
	s_andn2_b64 vcc, exec, s[0:1]
	s_cbranch_vccnz .LBB142_2296
; %bb.2286:
	s_cmp_lt_i32 s4, 6
	s_cbranch_scc1 .LBB142_2289
; %bb.2287:
	s_cmp_gt_i32 s4, 6
	s_cbranch_scc0 .LBB142_2290
; %bb.2288:
	global_load_dwordx2 v[12:13], v[10:11], off
	s_mov_b64 s[0:1], 0
	s_branch .LBB142_2291
.LBB142_2289:
	s_mov_b64 s[0:1], -1
                                        ; implicit-def: $vgpr12_vgpr13
	s_branch .LBB142_2294
.LBB142_2290:
	s_mov_b64 s[0:1], -1
                                        ; implicit-def: $vgpr12_vgpr13
.LBB142_2291:
	s_andn2_b64 vcc, exec, s[0:1]
	s_cbranch_vccnz .LBB142_2293
; %bb.2292:
	global_load_dword v12, v[10:11], off
	s_waitcnt vmcnt(0)
	v_cvt_f64_f32_e32 v[12:13], v12
.LBB142_2293:
	s_mov_b64 s[0:1], 0
.LBB142_2294:
	s_andn2_b64 vcc, exec, s[0:1]
	s_cbranch_vccnz .LBB142_2296
; %bb.2295:
	global_load_ushort v12, v[10:11], off
	s_waitcnt vmcnt(0)
	v_cvt_f32_f16_e32 v12, v12
	v_cvt_f64_f32_e32 v[12:13], v12
.LBB142_2296:
	s_mov_b64 s[0:1], 0
.LBB142_2297:
	s_andn2_b64 vcc, exec, s[0:1]
	s_cbranch_vccnz .LBB142_2317
; %bb.2298:
	s_cmp_lt_i32 s4, 2
	s_cbranch_scc1 .LBB142_2302
; %bb.2299:
	s_cmp_lt_i32 s4, 3
	s_cbranch_scc1 .LBB142_2303
; %bb.2300:
	s_cmp_gt_i32 s4, 3
	s_cbranch_scc0 .LBB142_2304
; %bb.2301:
	global_load_dwordx2 v[12:13], v[10:11], off
	s_mov_b64 s[0:1], 0
	s_waitcnt vmcnt(0)
	v_cvt_f64_i32_e32 v[19:20], v13
	v_cvt_f64_u32_e32 v[12:13], v12
	v_ldexp_f64 v[19:20], v[19:20], 32
	v_add_f64 v[12:13], v[19:20], v[12:13]
	s_branch .LBB142_2305
.LBB142_2302:
	s_mov_b64 s[0:1], -1
                                        ; implicit-def: $vgpr12_vgpr13
	s_branch .LBB142_2311
.LBB142_2303:
	s_mov_b64 s[0:1], -1
                                        ; implicit-def: $vgpr12_vgpr13
	s_branch .LBB142_2308
.LBB142_2304:
	s_mov_b64 s[0:1], -1
                                        ; implicit-def: $vgpr12_vgpr13
.LBB142_2305:
	s_andn2_b64 vcc, exec, s[0:1]
	s_cbranch_vccnz .LBB142_2307
; %bb.2306:
	global_load_dword v12, v[10:11], off
	s_waitcnt vmcnt(0)
	v_cvt_f64_i32_e32 v[12:13], v12
.LBB142_2307:
	s_mov_b64 s[0:1], 0
.LBB142_2308:
	s_andn2_b64 vcc, exec, s[0:1]
	s_cbranch_vccnz .LBB142_2310
; %bb.2309:
	global_load_sshort v12, v[10:11], off
	s_waitcnt vmcnt(0)
	v_cvt_f64_i32_e32 v[12:13], v12
.LBB142_2310:
	s_mov_b64 s[0:1], 0
.LBB142_2311:
	s_andn2_b64 vcc, exec, s[0:1]
	s_cbranch_vccnz .LBB142_2317
; %bb.2312:
	s_cmp_gt_i32 s4, 0
	s_cbranch_scc0 .LBB142_2314
; %bb.2313:
	global_load_sbyte v12, v[10:11], off
	s_mov_b64 s[0:1], 0
	s_waitcnt vmcnt(0)
	v_cvt_f64_i32_e32 v[12:13], v12
	s_branch .LBB142_2315
.LBB142_2314:
	s_mov_b64 s[0:1], -1
                                        ; implicit-def: $vgpr12_vgpr13
.LBB142_2315:
	s_andn2_b64 vcc, exec, s[0:1]
	s_cbranch_vccnz .LBB142_2317
; %bb.2316:
	global_load_ubyte v10, v[10:11], off
	s_waitcnt vmcnt(0)
	v_cvt_f64_u32_e32 v[12:13], v10
.LBB142_2317:
	s_mov_b64 s[10:11], -1
.LBB142_2318:
	s_andn2_b64 vcc, exec, s[10:11]
	s_cbranch_vccnz .LBB142_3012
; %bb.2319:
	v_add_u32_e32 v10, s9, v14
	v_ashrrev_i32_e32 v11, 31, v10
	v_mov_b32_e32 v15, s19
	v_add_co_u32_e32 v14, vcc, s18, v10
	s_cmp_lt_i32 s30, 11
	v_addc_co_u32_e32 v15, vcc, v15, v11, vcc
	s_cbranch_scc1 .LBB142_2326
; %bb.2320:
	s_and_b32 s9, 0xffff, s30
	s_cmp_gt_i32 s9, 25
	s_mov_b64 s[4:5], 0
	s_cbranch_scc0 .LBB142_2327
; %bb.2321:
	s_cmp_gt_i32 s9, 28
	s_cbranch_scc0 .LBB142_2328
; %bb.2322:
	s_cmp_gt_i32 s9, 43
	;; [unrolled: 3-line block ×3, first 2 shown]
	s_cbranch_scc0 .LBB142_2331
; %bb.2324:
	s_cmp_eq_u32 s9, 46
	s_mov_b64 s[18:19], 0
	s_cbranch_scc0 .LBB142_2332
; %bb.2325:
	global_load_dword v10, v[14:15], off
	s_mov_b64 s[0:1], 0
	s_mov_b64 s[10:11], -1
	s_waitcnt vmcnt(0)
	v_lshlrev_b32_e32 v10, 16, v10
	v_cvt_f64_f32_e32 v[10:11], v10
	s_branch .LBB142_2333
.LBB142_2326:
	s_mov_b64 s[0:1], -1
	s_mov_b64 s[10:11], 0
                                        ; implicit-def: $vgpr10_vgpr11
	s_branch .LBB142_2399
.LBB142_2327:
	s_mov_b64 s[18:19], -1
	s_mov_b64 s[10:11], 0
	s_mov_b64 s[0:1], 0
                                        ; implicit-def: $vgpr10_vgpr11
	s_branch .LBB142_2364
.LBB142_2328:
	s_mov_b64 s[18:19], -1
	s_mov_b64 s[10:11], 0
	s_mov_b64 s[0:1], 0
                                        ; implicit-def: $vgpr10_vgpr11
	s_branch .LBB142_2343
.LBB142_2329:
	s_mov_b64 s[18:19], -1
	s_mov_b64 s[10:11], 0
	s_mov_b64 s[0:1], 0
                                        ; implicit-def: $vgpr10_vgpr11
	s_branch .LBB142_2338
.LBB142_2330:
	s_trap 2
	s_or_b64 s[22:23], s[22:23], exec
	s_cbranch_execz .LBB142_2267
	s_branch .LBB142_2268
.LBB142_2331:
	s_mov_b64 s[18:19], -1
	s_mov_b64 s[10:11], 0
	s_mov_b64 s[0:1], 0
                                        ; implicit-def: $vgpr10_vgpr11
	s_branch .LBB142_2333
.LBB142_2332:
	s_mov_b64 s[0:1], -1
                                        ; implicit-def: $vgpr10_vgpr11
	s_mov_b64 s[10:11], 0
.LBB142_2333:
	s_and_b64 vcc, exec, s[18:19]
	s_cbranch_vccz .LBB142_2337
; %bb.2334:
	s_cmp_eq_u32 s9, 44
	s_cbranch_scc0 .LBB142_2336
; %bb.2335:
	global_load_ubyte v17, v[14:15], off
	s_movk_i32 s10, 0xff
	v_bfrev_b32_e32 v19, 4
	v_mov_b32_e32 v20, 0x7ff80000
	v_bfrev_b32_e32 v21, 28
	s_mov_b64 s[0:1], 0
	s_waitcnt vmcnt(0)
	v_lshlrev_b32_e32 v10, 23, v17
	v_cvt_f64_f32_e32 v[10:11], v10
	v_cmp_ne_u32_e32 vcc, s10, v17
	s_mov_b64 s[10:11], -1
	v_cndmask_b32_e32 v10, v19, v10, vcc
	v_cndmask_b32_e32 v11, v20, v11, vcc
	v_cmp_ne_u32_e32 vcc, 0, v17
	v_cndmask_b32_e32 v11, v21, v11, vcc
	v_cndmask_b32_e32 v10, 0, v10, vcc
	s_branch .LBB142_2337
.LBB142_2336:
	s_mov_b64 s[0:1], -1
                                        ; implicit-def: $vgpr10_vgpr11
.LBB142_2337:
	s_mov_b64 s[18:19], 0
.LBB142_2338:
	s_and_b64 vcc, exec, s[18:19]
	s_cbranch_vccz .LBB142_2342
; %bb.2339:
	s_cmp_eq_u32 s9, 29
	s_cbranch_scc0 .LBB142_2341
; %bb.2340:
	global_load_dwordx2 v[10:11], v[14:15], off
	s_mov_b64 s[0:1], 0
	s_mov_b64 s[10:11], -1
	s_mov_b64 s[18:19], 0
	s_waitcnt vmcnt(0)
	v_cvt_f64_u32_e32 v[19:20], v11
	v_cvt_f64_u32_e32 v[10:11], v10
	v_ldexp_f64 v[19:20], v[19:20], 32
	v_add_f64 v[10:11], v[19:20], v[10:11]
	s_branch .LBB142_2343
.LBB142_2341:
	s_mov_b64 s[0:1], -1
                                        ; implicit-def: $vgpr10_vgpr11
.LBB142_2342:
	s_mov_b64 s[18:19], 0
.LBB142_2343:
	s_and_b64 vcc, exec, s[18:19]
	s_cbranch_vccz .LBB142_2363
; %bb.2344:
	s_cmp_lt_i32 s9, 27
	s_cbranch_scc1 .LBB142_2347
; %bb.2345:
	s_cmp_gt_i32 s9, 27
	s_cbranch_scc0 .LBB142_2348
; %bb.2346:
	global_load_dword v10, v[14:15], off
	s_mov_b64 s[10:11], 0
	s_waitcnt vmcnt(0)
	v_cvt_f64_u32_e32 v[10:11], v10
	s_branch .LBB142_2349
.LBB142_2347:
	s_mov_b64 s[10:11], -1
                                        ; implicit-def: $vgpr10_vgpr11
	s_branch .LBB142_2352
.LBB142_2348:
	s_mov_b64 s[10:11], -1
                                        ; implicit-def: $vgpr10_vgpr11
.LBB142_2349:
	s_andn2_b64 vcc, exec, s[10:11]
	s_cbranch_vccnz .LBB142_2351
; %bb.2350:
	global_load_ushort v10, v[14:15], off
	s_waitcnt vmcnt(0)
	v_cvt_f64_u32_e32 v[10:11], v10
.LBB142_2351:
	s_mov_b64 s[10:11], 0
.LBB142_2352:
	s_andn2_b64 vcc, exec, s[10:11]
	s_cbranch_vccnz .LBB142_2362
; %bb.2353:
	global_load_ubyte v17, v[14:15], off
	s_movk_i32 s10, 0x7f
	s_waitcnt vmcnt(0)
	v_cmp_lt_i16_e32 vcc, s10, v17
	s_mov_b64 s[10:11], 0
	s_and_saveexec_b64 s[18:19], vcc
	s_xor_b64 s[18:19], exec, s[18:19]
	s_cbranch_execz .LBB142_2357
; %bb.2354:
	s_movk_i32 s10, 0x80
	v_cmp_eq_u16_e32 vcc, s10, v17
	s_mov_b64 s[10:11], -1
	s_and_saveexec_b64 s[24:25], vcc
; %bb.2355:
	s_xor_b64 s[10:11], exec, -1
; %bb.2356:
	s_or_b64 exec, exec, s[24:25]
	s_and_b64 s[10:11], s[10:11], exec
.LBB142_2357:
	s_or_saveexec_b64 s[18:19], s[18:19]
	v_bfrev_b32_e32 v10, 4
	v_mov_b32_e32 v11, 0x7ff80000
	s_xor_b64 exec, exec, s[18:19]
; %bb.2358:
	v_cmp_ne_u16_e32 vcc, 0, v17
	v_mov_b32_e32 v10, 0
	s_andn2_b64 s[10:11], s[10:11], exec
	s_and_b64 s[24:25], vcc, exec
	v_mov_b32_e32 v11, 0
	s_or_b64 s[10:11], s[10:11], s[24:25]
; %bb.2359:
	s_or_b64 exec, exec, s[18:19]
	s_and_saveexec_b64 s[18:19], s[10:11]
	s_cbranch_execz .LBB142_2361
; %bb.2360:
	v_and_b32_e32 v11, 0xffff, v17
	v_lshlrev_b32_e32 v10, 24, v17
	v_and_b32_e32 v17, 7, v11
	v_ffbh_u32_e32 v20, v17
	v_min_u32_e32 v20, 32, v20
	v_subrev_u32_e32 v21, 28, v20
	v_bfe_u32 v19, v11, 3, 4
	v_lshlrev_b32_e32 v11, v21, v11
	v_sub_u32_e32 v20, 29, v20
	v_and_b32_e32 v11, 7, v11
	v_cmp_eq_u32_e32 vcc, 0, v19
	v_cndmask_b32_e32 v19, v19, v20, vcc
	v_cndmask_b32_e32 v11, v17, v11, vcc
	v_mov_b32_e32 v17, 0x3b800000
	v_lshlrev_b32_e32 v11, 20, v11
	v_and_b32_e32 v10, 0x80000000, v10
	v_lshl_add_u32 v17, v19, 23, v17
	v_or3_b32 v10, v10, v17, v11
	v_cvt_f64_f32_e32 v[10:11], v10
.LBB142_2361:
	s_or_b64 exec, exec, s[18:19]
.LBB142_2362:
	s_mov_b64 s[10:11], -1
.LBB142_2363:
	s_mov_b64 s[18:19], 0
.LBB142_2364:
	s_and_b64 vcc, exec, s[18:19]
	s_cbranch_vccz .LBB142_2395
; %bb.2365:
	s_cmp_gt_i32 s9, 22
	s_cbranch_scc0 .LBB142_2377
; %bb.2366:
	s_cmp_lt_i32 s9, 24
	s_cbranch_scc1 .LBB142_2378
; %bb.2367:
	s_cmp_gt_i32 s9, 24
	s_cbranch_scc0 .LBB142_2379
; %bb.2368:
	global_load_ubyte v17, v[14:15], off
	s_movk_i32 s4, 0x7f
	s_waitcnt vmcnt(0)
	v_cmp_lt_i16_e32 vcc, s4, v17
	s_mov_b64 s[4:5], 0
	s_and_saveexec_b64 s[10:11], vcc
	s_xor_b64 s[10:11], exec, s[10:11]
	s_cbranch_execz .LBB142_2372
; %bb.2369:
	s_movk_i32 s4, 0x80
	v_cmp_eq_u16_e32 vcc, s4, v17
	s_mov_b64 s[4:5], -1
	s_and_saveexec_b64 s[18:19], vcc
; %bb.2370:
	s_xor_b64 s[4:5], exec, -1
; %bb.2371:
	s_or_b64 exec, exec, s[18:19]
	s_and_b64 s[4:5], s[4:5], exec
.LBB142_2372:
	s_or_saveexec_b64 s[10:11], s[10:11]
	v_bfrev_b32_e32 v10, 4
	v_mov_b32_e32 v11, 0x7ff80000
	s_xor_b64 exec, exec, s[10:11]
; %bb.2373:
	v_cmp_ne_u16_e32 vcc, 0, v17
	v_mov_b32_e32 v10, 0
	s_andn2_b64 s[4:5], s[4:5], exec
	s_and_b64 s[18:19], vcc, exec
	v_mov_b32_e32 v11, 0
	s_or_b64 s[4:5], s[4:5], s[18:19]
; %bb.2374:
	s_or_b64 exec, exec, s[10:11]
	s_and_saveexec_b64 s[10:11], s[4:5]
	s_cbranch_execz .LBB142_2376
; %bb.2375:
	v_and_b32_e32 v11, 0xffff, v17
	v_lshlrev_b32_e32 v10, 24, v17
	v_and_b32_e32 v17, 3, v11
	v_ffbh_u32_e32 v20, v17
	v_min_u32_e32 v20, 32, v20
	v_subrev_u32_e32 v21, 29, v20
	v_bfe_u32 v19, v11, 2, 5
	v_lshlrev_b32_e32 v11, v21, v11
	v_sub_u32_e32 v20, 30, v20
	v_and_b32_e32 v11, 3, v11
	v_cmp_eq_u32_e32 vcc, 0, v19
	v_cndmask_b32_e32 v19, v19, v20, vcc
	v_cndmask_b32_e32 v11, v17, v11, vcc
	v_mov_b32_e32 v17, 0x37800000
	v_lshlrev_b32_e32 v11, 21, v11
	v_and_b32_e32 v10, 0x80000000, v10
	v_lshl_add_u32 v17, v19, 23, v17
	v_or3_b32 v10, v10, v17, v11
	v_cvt_f64_f32_e32 v[10:11], v10
.LBB142_2376:
	s_or_b64 exec, exec, s[10:11]
	s_mov_b64 s[4:5], 0
	s_branch .LBB142_2380
.LBB142_2377:
	s_mov_b64 s[4:5], -1
                                        ; implicit-def: $vgpr10_vgpr11
	s_branch .LBB142_2386
.LBB142_2378:
	s_mov_b64 s[4:5], -1
                                        ; implicit-def: $vgpr10_vgpr11
	s_branch .LBB142_2383
.LBB142_2379:
	s_mov_b64 s[4:5], -1
                                        ; implicit-def: $vgpr10_vgpr11
.LBB142_2380:
	s_and_b64 vcc, exec, s[4:5]
	s_cbranch_vccz .LBB142_2382
; %bb.2381:
	global_load_ubyte v10, v[14:15], off
	s_mov_b32 s4, 0x7f800000
	s_waitcnt vmcnt(0)
	v_lshlrev_b32_e32 v10, 24, v10
	v_and_b32_e32 v11, 0x7f000000, v10
	v_ffbh_u32_e32 v17, v11
	v_min_u32_e32 v17, 32, v17
	v_sub_u32_e64 v17, v17, 4 clamp
	v_lshlrev_b32_e32 v20, v17, v11
	v_lshlrev_b32_e32 v17, 23, v17
	v_lshrrev_b32_e32 v20, 4, v20
	v_add_u32_e32 v19, 0x1000000, v11
	v_sub_u32_e32 v17, v20, v17
	v_ashrrev_i32_e32 v19, 8, v19
	v_add_u32_e32 v17, 0x3c000000, v17
	v_and_or_b32 v17, v19, s4, v17
	v_cmp_ne_u32_e32 vcc, 0, v11
	v_cndmask_b32_e32 v11, 0, v17, vcc
	s_brev_b32 s4, 1
	v_and_or_b32 v10, v10, s4, v11
	v_cvt_f64_f32_e32 v[10:11], v10
.LBB142_2382:
	s_mov_b64 s[4:5], 0
.LBB142_2383:
	s_andn2_b64 vcc, exec, s[4:5]
	s_cbranch_vccnz .LBB142_2385
; %bb.2384:
	global_load_ubyte v10, v[14:15], off
	s_movk_i32 s4, 0x7f00
	s_brev_b32 s5, 16
	s_waitcnt vmcnt(0)
	v_lshlrev_b16_e32 v11, 8, v10
	v_lshlrev_b32_e32 v10, 25, v10
	v_lshrrev_b32_e32 v17, 4, v10
	v_and_or_b32 v19, v11, s4, 0.5
	v_or_b32_e32 v17, 0x70000000, v17
	v_add_f32_e32 v19, -0.5, v19
	v_mul_f32_e32 v17, 0x7800000, v17
	v_cmp_gt_u32_e32 vcc, s5, v10
	v_bfe_i32 v11, v11, 0, 16
	v_cndmask_b32_e32 v10, v17, v19, vcc
	s_brev_b32 s4, 1
	v_and_or_b32 v10, v11, s4, v10
	v_cvt_f64_f32_e32 v[10:11], v10
.LBB142_2385:
	s_mov_b64 s[4:5], 0
	s_mov_b64 s[10:11], -1
.LBB142_2386:
	s_andn2_b64 vcc, exec, s[4:5]
	s_mov_b64 s[4:5], 0
	s_cbranch_vccnz .LBB142_2395
; %bb.2387:
	s_cmp_gt_i32 s9, 14
	s_cbranch_scc0 .LBB142_2390
; %bb.2388:
	s_cmp_eq_u32 s9, 15
	s_cbranch_scc0 .LBB142_2391
; %bb.2389:
	global_load_ushort v10, v[14:15], off
	s_mov_b64 s[0:1], 0
	s_mov_b64 s[10:11], -1
	s_waitcnt vmcnt(0)
	v_lshlrev_b32_e32 v10, 16, v10
	v_cvt_f64_f32_e32 v[10:11], v10
	s_branch .LBB142_2392
.LBB142_2390:
	s_mov_b64 s[18:19], -1
                                        ; implicit-def: $vgpr10_vgpr11
	s_branch .LBB142_2393
.LBB142_2391:
	s_mov_b64 s[0:1], -1
                                        ; implicit-def: $vgpr10_vgpr11
.LBB142_2392:
	s_mov_b64 s[18:19], 0
.LBB142_2393:
	s_and_b64 vcc, exec, s[18:19]
	s_cbranch_vccz .LBB142_2395
; %bb.2394:
	s_cmp_lg_u32 s9, 11
	s_mov_b64 s[4:5], -1
	s_cselect_b64 s[0:1], -1, 0
.LBB142_2395:
	s_and_b64 vcc, exec, s[0:1]
	s_cbranch_vccnz .LBB142_2460
; %bb.2396:
	s_andn2_b64 vcc, exec, s[4:5]
	s_cbranch_vccnz .LBB142_2398
.LBB142_2397:
	global_load_ubyte v11, v[14:15], off
	v_mov_b32_e32 v17, 0x3ff00000
	v_mov_b32_e32 v10, 0
	s_mov_b64 s[10:11], -1
	s_waitcnt vmcnt(0)
	v_cmp_ne_u16_e32 vcc, 0, v11
	v_cndmask_b32_e32 v11, 0, v17, vcc
.LBB142_2398:
	s_mov_b64 s[0:1], 0
.LBB142_2399:
	s_and_b64 vcc, exec, s[0:1]
	s_cbranch_vccz .LBB142_2448
; %bb.2400:
	s_and_b32 s4, 0xffff, s30
	s_cmp_lt_i32 s4, 5
	s_cbranch_scc1 .LBB142_2405
; %bb.2401:
	s_cmp_lt_i32 s4, 8
	s_cbranch_scc1 .LBB142_2406
; %bb.2402:
	;; [unrolled: 3-line block ×3, first 2 shown]
	s_cmp_gt_i32 s4, 9
	s_cbranch_scc0 .LBB142_2408
; %bb.2404:
	global_load_dwordx2 v[10:11], v[14:15], off
	s_mov_b64 s[0:1], 0
	s_branch .LBB142_2409
.LBB142_2405:
	s_mov_b64 s[0:1], -1
                                        ; implicit-def: $vgpr10_vgpr11
	s_branch .LBB142_2427
.LBB142_2406:
	s_mov_b64 s[0:1], -1
                                        ; implicit-def: $vgpr10_vgpr11
	s_branch .LBB142_2415
.LBB142_2407:
	s_mov_b64 s[0:1], -1
                                        ; implicit-def: $vgpr10_vgpr11
	s_branch .LBB142_2412
.LBB142_2408:
	s_mov_b64 s[0:1], -1
                                        ; implicit-def: $vgpr10_vgpr11
.LBB142_2409:
	s_andn2_b64 vcc, exec, s[0:1]
	s_cbranch_vccnz .LBB142_2411
; %bb.2410:
	global_load_dword v10, v[14:15], off
	s_waitcnt vmcnt(0)
	v_cvt_f64_f32_e32 v[10:11], v10
.LBB142_2411:
	s_mov_b64 s[0:1], 0
.LBB142_2412:
	s_andn2_b64 vcc, exec, s[0:1]
	s_cbranch_vccnz .LBB142_2414
; %bb.2413:
	global_load_dword v10, v[14:15], off
	s_waitcnt vmcnt(0)
	v_cvt_f32_f16_e32 v10, v10
	v_cvt_f64_f32_e32 v[10:11], v10
.LBB142_2414:
	s_mov_b64 s[0:1], 0
.LBB142_2415:
	s_andn2_b64 vcc, exec, s[0:1]
	s_cbranch_vccnz .LBB142_2426
; %bb.2416:
	s_cmp_lt_i32 s4, 6
	s_cbranch_scc1 .LBB142_2419
; %bb.2417:
	s_cmp_gt_i32 s4, 6
	s_cbranch_scc0 .LBB142_2420
; %bb.2418:
	global_load_dwordx2 v[10:11], v[14:15], off
	s_mov_b64 s[0:1], 0
	s_branch .LBB142_2421
.LBB142_2419:
	s_mov_b64 s[0:1], -1
                                        ; implicit-def: $vgpr10_vgpr11
	s_branch .LBB142_2424
.LBB142_2420:
	s_mov_b64 s[0:1], -1
                                        ; implicit-def: $vgpr10_vgpr11
.LBB142_2421:
	s_andn2_b64 vcc, exec, s[0:1]
	s_cbranch_vccnz .LBB142_2423
; %bb.2422:
	global_load_dword v10, v[14:15], off
	s_waitcnt vmcnt(0)
	v_cvt_f64_f32_e32 v[10:11], v10
.LBB142_2423:
	s_mov_b64 s[0:1], 0
.LBB142_2424:
	s_andn2_b64 vcc, exec, s[0:1]
	s_cbranch_vccnz .LBB142_2426
; %bb.2425:
	global_load_ushort v10, v[14:15], off
	s_waitcnt vmcnt(0)
	v_cvt_f32_f16_e32 v10, v10
	v_cvt_f64_f32_e32 v[10:11], v10
.LBB142_2426:
	s_mov_b64 s[0:1], 0
.LBB142_2427:
	s_andn2_b64 vcc, exec, s[0:1]
	s_cbranch_vccnz .LBB142_2447
; %bb.2428:
	s_cmp_lt_i32 s4, 2
	s_cbranch_scc1 .LBB142_2432
; %bb.2429:
	s_cmp_lt_i32 s4, 3
	s_cbranch_scc1 .LBB142_2433
; %bb.2430:
	s_cmp_gt_i32 s4, 3
	s_cbranch_scc0 .LBB142_2434
; %bb.2431:
	global_load_dwordx2 v[10:11], v[14:15], off
	s_mov_b64 s[0:1], 0
	s_waitcnt vmcnt(0)
	v_cvt_f64_i32_e32 v[19:20], v11
	v_cvt_f64_u32_e32 v[10:11], v10
	v_ldexp_f64 v[19:20], v[19:20], 32
	v_add_f64 v[10:11], v[19:20], v[10:11]
	s_branch .LBB142_2435
.LBB142_2432:
	s_mov_b64 s[0:1], -1
                                        ; implicit-def: $vgpr10_vgpr11
	s_branch .LBB142_2441
.LBB142_2433:
	s_mov_b64 s[0:1], -1
                                        ; implicit-def: $vgpr10_vgpr11
	s_branch .LBB142_2438
.LBB142_2434:
	s_mov_b64 s[0:1], -1
                                        ; implicit-def: $vgpr10_vgpr11
.LBB142_2435:
	s_andn2_b64 vcc, exec, s[0:1]
	s_cbranch_vccnz .LBB142_2437
; %bb.2436:
	global_load_dword v10, v[14:15], off
	s_waitcnt vmcnt(0)
	v_cvt_f64_i32_e32 v[10:11], v10
.LBB142_2437:
	s_mov_b64 s[0:1], 0
.LBB142_2438:
	s_andn2_b64 vcc, exec, s[0:1]
	s_cbranch_vccnz .LBB142_2440
; %bb.2439:
	global_load_sshort v10, v[14:15], off
	s_waitcnt vmcnt(0)
	v_cvt_f64_i32_e32 v[10:11], v10
.LBB142_2440:
	s_mov_b64 s[0:1], 0
.LBB142_2441:
	s_andn2_b64 vcc, exec, s[0:1]
	s_cbranch_vccnz .LBB142_2447
; %bb.2442:
	s_cmp_gt_i32 s4, 0
	s_cbranch_scc0 .LBB142_2444
; %bb.2443:
	global_load_sbyte v10, v[14:15], off
	s_mov_b64 s[0:1], 0
	s_waitcnt vmcnt(0)
	v_cvt_f64_i32_e32 v[10:11], v10
	s_branch .LBB142_2445
.LBB142_2444:
	s_mov_b64 s[0:1], -1
                                        ; implicit-def: $vgpr10_vgpr11
.LBB142_2445:
	s_andn2_b64 vcc, exec, s[0:1]
	s_cbranch_vccnz .LBB142_2447
; %bb.2446:
	global_load_ubyte v10, v[14:15], off
	s_waitcnt vmcnt(0)
	v_cvt_f64_u32_e32 v[10:11], v10
.LBB142_2447:
	s_mov_b64 s[10:11], -1
.LBB142_2448:
	s_andn2_b64 vcc, exec, s[10:11]
	s_cbranch_vccnz .LBB142_3012
; %bb.2449:
	v_add_u32_e32 v14, s28, v16
	v_ashrrev_i32_e32 v15, 31, v14
	v_mov_b32_e32 v17, s3
	v_add_co_u32_e32 v16, vcc, s2, v14
	s_cmp_lt_i32 s31, 11
	v_addc_co_u32_e32 v17, vcc, v17, v15, vcc
	s_cbranch_scc1 .LBB142_2456
; %bb.2450:
	s_and_b32 s9, 0xffff, s31
	s_cmp_gt_i32 s9, 25
	s_mov_b64 s[2:3], 0
	s_cbranch_scc0 .LBB142_2457
; %bb.2451:
	s_cmp_gt_i32 s9, 28
	s_cbranch_scc0 .LBB142_2458
; %bb.2452:
	s_cmp_gt_i32 s9, 43
	;; [unrolled: 3-line block ×3, first 2 shown]
	s_cbranch_scc0 .LBB142_2461
; %bb.2454:
	s_cmp_eq_u32 s9, 46
	s_mov_b64 s[10:11], 0
	s_cbranch_scc0 .LBB142_2462
; %bb.2455:
	global_load_dword v14, v[16:17], off
	s_mov_b64 s[0:1], 0
	s_mov_b64 s[4:5], -1
	s_waitcnt vmcnt(0)
	v_lshlrev_b32_e32 v14, 16, v14
	v_cvt_f64_f32_e32 v[14:15], v14
	s_branch .LBB142_2463
.LBB142_2456:
	s_mov_b64 s[0:1], -1
	s_mov_b64 s[4:5], 0
                                        ; implicit-def: $vgpr14_vgpr15
	s_branch .LBB142_2529
.LBB142_2457:
	s_mov_b64 s[10:11], -1
	s_mov_b64 s[4:5], 0
	s_mov_b64 s[0:1], 0
                                        ; implicit-def: $vgpr14_vgpr15
	s_branch .LBB142_2494
.LBB142_2458:
	s_mov_b64 s[10:11], -1
	s_mov_b64 s[4:5], 0
	s_mov_b64 s[0:1], 0
                                        ; implicit-def: $vgpr14_vgpr15
	s_branch .LBB142_2473
.LBB142_2459:
	s_mov_b64 s[10:11], -1
	s_mov_b64 s[4:5], 0
	s_mov_b64 s[0:1], 0
                                        ; implicit-def: $vgpr14_vgpr15
	s_branch .LBB142_2468
.LBB142_2460:
	s_trap 2
	s_or_b64 s[22:23], s[22:23], exec
	s_cbranch_execz .LBB142_2397
	s_branch .LBB142_2398
.LBB142_2461:
	s_mov_b64 s[10:11], -1
	s_mov_b64 s[4:5], 0
	s_mov_b64 s[0:1], 0
                                        ; implicit-def: $vgpr14_vgpr15
	s_branch .LBB142_2463
.LBB142_2462:
	s_mov_b64 s[0:1], -1
                                        ; implicit-def: $vgpr14_vgpr15
	s_mov_b64 s[4:5], 0
.LBB142_2463:
	s_and_b64 vcc, exec, s[10:11]
	s_cbranch_vccz .LBB142_2467
; %bb.2464:
	s_cmp_eq_u32 s9, 44
	s_cbranch_scc0 .LBB142_2466
; %bb.2465:
	global_load_ubyte v19, v[16:17], off
	s_movk_i32 s4, 0xff
	v_bfrev_b32_e32 v20, 4
	v_mov_b32_e32 v21, 0x7ff80000
	v_bfrev_b32_e32 v22, 28
	s_mov_b64 s[0:1], 0
	s_waitcnt vmcnt(0)
	v_lshlrev_b32_e32 v14, 23, v19
	v_cvt_f64_f32_e32 v[14:15], v14
	v_cmp_ne_u32_e32 vcc, s4, v19
	s_mov_b64 s[4:5], -1
	v_cndmask_b32_e32 v14, v20, v14, vcc
	v_cndmask_b32_e32 v15, v21, v15, vcc
	v_cmp_ne_u32_e32 vcc, 0, v19
	v_cndmask_b32_e32 v15, v22, v15, vcc
	v_cndmask_b32_e32 v14, 0, v14, vcc
	s_branch .LBB142_2467
.LBB142_2466:
	s_mov_b64 s[0:1], -1
                                        ; implicit-def: $vgpr14_vgpr15
.LBB142_2467:
	s_mov_b64 s[10:11], 0
.LBB142_2468:
	s_and_b64 vcc, exec, s[10:11]
	s_cbranch_vccz .LBB142_2472
; %bb.2469:
	s_cmp_eq_u32 s9, 29
	s_cbranch_scc0 .LBB142_2471
; %bb.2470:
	global_load_dwordx2 v[14:15], v[16:17], off
	s_mov_b64 s[0:1], 0
	s_mov_b64 s[4:5], -1
	s_mov_b64 s[10:11], 0
	s_waitcnt vmcnt(0)
	v_cvt_f64_u32_e32 v[19:20], v15
	v_cvt_f64_u32_e32 v[14:15], v14
	v_ldexp_f64 v[19:20], v[19:20], 32
	v_add_f64 v[14:15], v[19:20], v[14:15]
	s_branch .LBB142_2473
.LBB142_2471:
	s_mov_b64 s[0:1], -1
                                        ; implicit-def: $vgpr14_vgpr15
.LBB142_2472:
	s_mov_b64 s[10:11], 0
.LBB142_2473:
	s_and_b64 vcc, exec, s[10:11]
	s_cbranch_vccz .LBB142_2493
; %bb.2474:
	s_cmp_lt_i32 s9, 27
	s_cbranch_scc1 .LBB142_2477
; %bb.2475:
	s_cmp_gt_i32 s9, 27
	s_cbranch_scc0 .LBB142_2478
; %bb.2476:
	global_load_dword v14, v[16:17], off
	s_mov_b64 s[4:5], 0
	s_waitcnt vmcnt(0)
	v_cvt_f64_u32_e32 v[14:15], v14
	s_branch .LBB142_2479
.LBB142_2477:
	s_mov_b64 s[4:5], -1
                                        ; implicit-def: $vgpr14_vgpr15
	s_branch .LBB142_2482
.LBB142_2478:
	s_mov_b64 s[4:5], -1
                                        ; implicit-def: $vgpr14_vgpr15
.LBB142_2479:
	s_andn2_b64 vcc, exec, s[4:5]
	s_cbranch_vccnz .LBB142_2481
; %bb.2480:
	global_load_ushort v14, v[16:17], off
	s_waitcnt vmcnt(0)
	v_cvt_f64_u32_e32 v[14:15], v14
.LBB142_2481:
	s_mov_b64 s[4:5], 0
.LBB142_2482:
	s_andn2_b64 vcc, exec, s[4:5]
	s_cbranch_vccnz .LBB142_2492
; %bb.2483:
	global_load_ubyte v19, v[16:17], off
	s_movk_i32 s4, 0x7f
	s_waitcnt vmcnt(0)
	v_cmp_lt_i16_e32 vcc, s4, v19
	s_mov_b64 s[4:5], 0
	s_and_saveexec_b64 s[10:11], vcc
	s_xor_b64 s[10:11], exec, s[10:11]
	s_cbranch_execz .LBB142_2487
; %bb.2484:
	s_movk_i32 s4, 0x80
	v_cmp_eq_u16_e32 vcc, s4, v19
	s_mov_b64 s[4:5], -1
	s_and_saveexec_b64 s[18:19], vcc
; %bb.2485:
	s_xor_b64 s[4:5], exec, -1
; %bb.2486:
	s_or_b64 exec, exec, s[18:19]
	s_and_b64 s[4:5], s[4:5], exec
.LBB142_2487:
	s_or_saveexec_b64 s[10:11], s[10:11]
	v_bfrev_b32_e32 v14, 4
	v_mov_b32_e32 v15, 0x7ff80000
	s_xor_b64 exec, exec, s[10:11]
; %bb.2488:
	v_cmp_ne_u16_e32 vcc, 0, v19
	v_mov_b32_e32 v14, 0
	s_andn2_b64 s[4:5], s[4:5], exec
	s_and_b64 s[18:19], vcc, exec
	v_mov_b32_e32 v15, 0
	s_or_b64 s[4:5], s[4:5], s[18:19]
; %bb.2489:
	s_or_b64 exec, exec, s[10:11]
	s_and_saveexec_b64 s[10:11], s[4:5]
	s_cbranch_execz .LBB142_2491
; %bb.2490:
	v_and_b32_e32 v15, 0xffff, v19
	v_lshlrev_b32_e32 v14, 24, v19
	v_and_b32_e32 v19, 7, v15
	v_ffbh_u32_e32 v21, v19
	v_min_u32_e32 v21, 32, v21
	v_subrev_u32_e32 v22, 28, v21
	v_bfe_u32 v20, v15, 3, 4
	v_lshlrev_b32_e32 v15, v22, v15
	v_sub_u32_e32 v21, 29, v21
	v_and_b32_e32 v15, 7, v15
	v_cmp_eq_u32_e32 vcc, 0, v20
	v_cndmask_b32_e32 v20, v20, v21, vcc
	v_cndmask_b32_e32 v15, v19, v15, vcc
	v_mov_b32_e32 v19, 0x3b800000
	v_lshlrev_b32_e32 v15, 20, v15
	v_and_b32_e32 v14, 0x80000000, v14
	v_lshl_add_u32 v19, v20, 23, v19
	v_or3_b32 v14, v14, v19, v15
	v_cvt_f64_f32_e32 v[14:15], v14
.LBB142_2491:
	s_or_b64 exec, exec, s[10:11]
.LBB142_2492:
	s_mov_b64 s[4:5], -1
.LBB142_2493:
	s_mov_b64 s[10:11], 0
.LBB142_2494:
	s_and_b64 vcc, exec, s[10:11]
	s_cbranch_vccz .LBB142_2525
; %bb.2495:
	s_cmp_gt_i32 s9, 22
	s_cbranch_scc0 .LBB142_2507
; %bb.2496:
	s_cmp_lt_i32 s9, 24
	s_cbranch_scc1 .LBB142_2508
; %bb.2497:
	s_cmp_gt_i32 s9, 24
	s_cbranch_scc0 .LBB142_2509
; %bb.2498:
	global_load_ubyte v19, v[16:17], off
	s_movk_i32 s2, 0x7f
	s_waitcnt vmcnt(0)
	v_cmp_lt_i16_e32 vcc, s2, v19
	s_mov_b64 s[2:3], 0
	s_and_saveexec_b64 s[4:5], vcc
	s_xor_b64 s[4:5], exec, s[4:5]
	s_cbranch_execz .LBB142_2502
; %bb.2499:
	s_movk_i32 s2, 0x80
	v_cmp_eq_u16_e32 vcc, s2, v19
	s_mov_b64 s[2:3], -1
	s_and_saveexec_b64 s[10:11], vcc
; %bb.2500:
	s_xor_b64 s[2:3], exec, -1
; %bb.2501:
	s_or_b64 exec, exec, s[10:11]
	s_and_b64 s[2:3], s[2:3], exec
.LBB142_2502:
	s_or_saveexec_b64 s[4:5], s[4:5]
	v_bfrev_b32_e32 v14, 4
	v_mov_b32_e32 v15, 0x7ff80000
	s_xor_b64 exec, exec, s[4:5]
; %bb.2503:
	v_cmp_ne_u16_e32 vcc, 0, v19
	v_mov_b32_e32 v14, 0
	s_andn2_b64 s[2:3], s[2:3], exec
	s_and_b64 s[10:11], vcc, exec
	v_mov_b32_e32 v15, 0
	s_or_b64 s[2:3], s[2:3], s[10:11]
; %bb.2504:
	s_or_b64 exec, exec, s[4:5]
	s_and_saveexec_b64 s[4:5], s[2:3]
	s_cbranch_execz .LBB142_2506
; %bb.2505:
	v_and_b32_e32 v15, 0xffff, v19
	v_lshlrev_b32_e32 v14, 24, v19
	v_and_b32_e32 v19, 3, v15
	v_ffbh_u32_e32 v21, v19
	v_min_u32_e32 v21, 32, v21
	v_subrev_u32_e32 v22, 29, v21
	v_bfe_u32 v20, v15, 2, 5
	v_lshlrev_b32_e32 v15, v22, v15
	v_sub_u32_e32 v21, 30, v21
	v_and_b32_e32 v15, 3, v15
	v_cmp_eq_u32_e32 vcc, 0, v20
	v_cndmask_b32_e32 v20, v20, v21, vcc
	v_cndmask_b32_e32 v15, v19, v15, vcc
	v_mov_b32_e32 v19, 0x37800000
	v_lshlrev_b32_e32 v15, 21, v15
	v_and_b32_e32 v14, 0x80000000, v14
	v_lshl_add_u32 v19, v20, 23, v19
	v_or3_b32 v14, v14, v19, v15
	v_cvt_f64_f32_e32 v[14:15], v14
.LBB142_2506:
	s_or_b64 exec, exec, s[4:5]
	s_mov_b64 s[2:3], 0
	s_branch .LBB142_2510
.LBB142_2507:
	s_mov_b64 s[2:3], -1
                                        ; implicit-def: $vgpr14_vgpr15
	s_branch .LBB142_2516
.LBB142_2508:
	s_mov_b64 s[2:3], -1
                                        ; implicit-def: $vgpr14_vgpr15
	s_branch .LBB142_2513
.LBB142_2509:
	s_mov_b64 s[2:3], -1
                                        ; implicit-def: $vgpr14_vgpr15
.LBB142_2510:
	s_and_b64 vcc, exec, s[2:3]
	s_cbranch_vccz .LBB142_2512
; %bb.2511:
	global_load_ubyte v14, v[16:17], off
	s_mov_b32 s2, 0x7f800000
	s_waitcnt vmcnt(0)
	v_lshlrev_b32_e32 v14, 24, v14
	v_and_b32_e32 v15, 0x7f000000, v14
	v_ffbh_u32_e32 v19, v15
	v_min_u32_e32 v19, 32, v19
	v_sub_u32_e64 v19, v19, 4 clamp
	v_lshlrev_b32_e32 v21, v19, v15
	v_lshlrev_b32_e32 v19, 23, v19
	v_lshrrev_b32_e32 v21, 4, v21
	v_add_u32_e32 v20, 0x1000000, v15
	v_sub_u32_e32 v19, v21, v19
	v_ashrrev_i32_e32 v20, 8, v20
	v_add_u32_e32 v19, 0x3c000000, v19
	v_and_or_b32 v19, v20, s2, v19
	v_cmp_ne_u32_e32 vcc, 0, v15
	v_cndmask_b32_e32 v15, 0, v19, vcc
	s_brev_b32 s2, 1
	v_and_or_b32 v14, v14, s2, v15
	v_cvt_f64_f32_e32 v[14:15], v14
.LBB142_2512:
	s_mov_b64 s[2:3], 0
.LBB142_2513:
	s_andn2_b64 vcc, exec, s[2:3]
	s_cbranch_vccnz .LBB142_2515
; %bb.2514:
	global_load_ubyte v14, v[16:17], off
	s_movk_i32 s2, 0x7f00
	s_brev_b32 s3, 16
	s_waitcnt vmcnt(0)
	v_lshlrev_b16_e32 v15, 8, v14
	v_lshlrev_b32_e32 v14, 25, v14
	v_lshrrev_b32_e32 v19, 4, v14
	v_and_or_b32 v20, v15, s2, 0.5
	v_or_b32_e32 v19, 0x70000000, v19
	v_add_f32_e32 v20, -0.5, v20
	v_mul_f32_e32 v19, 0x7800000, v19
	v_cmp_gt_u32_e32 vcc, s3, v14
	v_bfe_i32 v15, v15, 0, 16
	v_cndmask_b32_e32 v14, v19, v20, vcc
	s_brev_b32 s2, 1
	v_and_or_b32 v14, v15, s2, v14
	v_cvt_f64_f32_e32 v[14:15], v14
.LBB142_2515:
	s_mov_b64 s[2:3], 0
	s_mov_b64 s[4:5], -1
.LBB142_2516:
	s_andn2_b64 vcc, exec, s[2:3]
	s_mov_b64 s[2:3], 0
	s_cbranch_vccnz .LBB142_2525
; %bb.2517:
	s_cmp_gt_i32 s9, 14
	s_cbranch_scc0 .LBB142_2520
; %bb.2518:
	s_cmp_eq_u32 s9, 15
	s_cbranch_scc0 .LBB142_2521
; %bb.2519:
	global_load_ushort v14, v[16:17], off
	s_mov_b64 s[0:1], 0
	s_mov_b64 s[4:5], -1
	s_waitcnt vmcnt(0)
	v_lshlrev_b32_e32 v14, 16, v14
	v_cvt_f64_f32_e32 v[14:15], v14
	s_branch .LBB142_2522
.LBB142_2520:
	s_mov_b64 s[10:11], -1
                                        ; implicit-def: $vgpr14_vgpr15
	s_branch .LBB142_2523
.LBB142_2521:
	s_mov_b64 s[0:1], -1
                                        ; implicit-def: $vgpr14_vgpr15
.LBB142_2522:
	s_mov_b64 s[10:11], 0
.LBB142_2523:
	s_and_b64 vcc, exec, s[10:11]
	s_cbranch_vccz .LBB142_2525
; %bb.2524:
	s_cmp_lg_u32 s9, 11
	s_mov_b64 s[2:3], -1
	s_cselect_b64 s[0:1], -1, 0
.LBB142_2525:
	s_and_b64 vcc, exec, s[0:1]
	s_cbranch_vccnz .LBB142_3058
; %bb.2526:
	s_andn2_b64 vcc, exec, s[2:3]
	s_cbranch_vccnz .LBB142_2528
.LBB142_2527:
	global_load_ubyte v15, v[16:17], off
	v_mov_b32_e32 v19, 0x3ff00000
	v_mov_b32_e32 v14, 0
	s_mov_b64 s[4:5], -1
	s_waitcnt vmcnt(0)
	v_cmp_ne_u16_e32 vcc, 0, v15
	v_cndmask_b32_e32 v15, 0, v19, vcc
.LBB142_2528:
	s_mov_b64 s[0:1], 0
.LBB142_2529:
	s_and_b64 vcc, exec, s[0:1]
	s_cbranch_vccz .LBB142_2578
; %bb.2530:
	s_and_b32 s2, 0xffff, s31
	s_cmp_lt_i32 s2, 5
	s_cbranch_scc1 .LBB142_2535
; %bb.2531:
	s_cmp_lt_i32 s2, 8
	s_cbranch_scc1 .LBB142_2536
; %bb.2532:
	;; [unrolled: 3-line block ×3, first 2 shown]
	s_cmp_gt_i32 s2, 9
	s_cbranch_scc0 .LBB142_2538
; %bb.2534:
	global_load_dwordx2 v[14:15], v[16:17], off
	s_mov_b64 s[0:1], 0
	s_branch .LBB142_2539
.LBB142_2535:
	s_mov_b64 s[0:1], -1
                                        ; implicit-def: $vgpr14_vgpr15
	s_branch .LBB142_2557
.LBB142_2536:
	s_mov_b64 s[0:1], -1
                                        ; implicit-def: $vgpr14_vgpr15
	s_branch .LBB142_2545
.LBB142_2537:
	s_mov_b64 s[0:1], -1
                                        ; implicit-def: $vgpr14_vgpr15
	s_branch .LBB142_2542
.LBB142_2538:
	s_mov_b64 s[0:1], -1
                                        ; implicit-def: $vgpr14_vgpr15
.LBB142_2539:
	s_andn2_b64 vcc, exec, s[0:1]
	s_cbranch_vccnz .LBB142_2541
; %bb.2540:
	global_load_dword v14, v[16:17], off
	s_waitcnt vmcnt(0)
	v_cvt_f64_f32_e32 v[14:15], v14
.LBB142_2541:
	s_mov_b64 s[0:1], 0
.LBB142_2542:
	s_andn2_b64 vcc, exec, s[0:1]
	s_cbranch_vccnz .LBB142_2544
; %bb.2543:
	global_load_dword v14, v[16:17], off
	s_waitcnt vmcnt(0)
	v_cvt_f32_f16_e32 v14, v14
	v_cvt_f64_f32_e32 v[14:15], v14
.LBB142_2544:
	s_mov_b64 s[0:1], 0
.LBB142_2545:
	s_andn2_b64 vcc, exec, s[0:1]
	s_cbranch_vccnz .LBB142_2556
; %bb.2546:
	s_cmp_lt_i32 s2, 6
	s_cbranch_scc1 .LBB142_2549
; %bb.2547:
	s_cmp_gt_i32 s2, 6
	s_cbranch_scc0 .LBB142_2550
; %bb.2548:
	global_load_dwordx2 v[14:15], v[16:17], off
	s_mov_b64 s[0:1], 0
	s_branch .LBB142_2551
.LBB142_2549:
	s_mov_b64 s[0:1], -1
                                        ; implicit-def: $vgpr14_vgpr15
	s_branch .LBB142_2554
.LBB142_2550:
	s_mov_b64 s[0:1], -1
                                        ; implicit-def: $vgpr14_vgpr15
.LBB142_2551:
	s_andn2_b64 vcc, exec, s[0:1]
	s_cbranch_vccnz .LBB142_2553
; %bb.2552:
	global_load_dword v14, v[16:17], off
	s_waitcnt vmcnt(0)
	v_cvt_f64_f32_e32 v[14:15], v14
.LBB142_2553:
	s_mov_b64 s[0:1], 0
.LBB142_2554:
	s_andn2_b64 vcc, exec, s[0:1]
	s_cbranch_vccnz .LBB142_2556
; %bb.2555:
	global_load_ushort v14, v[16:17], off
	s_waitcnt vmcnt(0)
	v_cvt_f32_f16_e32 v14, v14
	v_cvt_f64_f32_e32 v[14:15], v14
.LBB142_2556:
	s_mov_b64 s[0:1], 0
.LBB142_2557:
	s_andn2_b64 vcc, exec, s[0:1]
	s_cbranch_vccnz .LBB142_2577
; %bb.2558:
	s_cmp_lt_i32 s2, 2
	s_cbranch_scc1 .LBB142_2562
; %bb.2559:
	s_cmp_lt_i32 s2, 3
	s_cbranch_scc1 .LBB142_2563
; %bb.2560:
	s_cmp_gt_i32 s2, 3
	s_cbranch_scc0 .LBB142_2564
; %bb.2561:
	global_load_dwordx2 v[14:15], v[16:17], off
	s_mov_b64 s[0:1], 0
	s_waitcnt vmcnt(0)
	v_cvt_f64_i32_e32 v[19:20], v15
	v_cvt_f64_u32_e32 v[14:15], v14
	v_ldexp_f64 v[19:20], v[19:20], 32
	v_add_f64 v[14:15], v[19:20], v[14:15]
	s_branch .LBB142_2565
.LBB142_2562:
	s_mov_b64 s[0:1], -1
                                        ; implicit-def: $vgpr14_vgpr15
	s_branch .LBB142_2571
.LBB142_2563:
	s_mov_b64 s[0:1], -1
                                        ; implicit-def: $vgpr14_vgpr15
	s_branch .LBB142_2568
.LBB142_2564:
	s_mov_b64 s[0:1], -1
                                        ; implicit-def: $vgpr14_vgpr15
.LBB142_2565:
	s_andn2_b64 vcc, exec, s[0:1]
	s_cbranch_vccnz .LBB142_2567
; %bb.2566:
	global_load_dword v14, v[16:17], off
	s_waitcnt vmcnt(0)
	v_cvt_f64_i32_e32 v[14:15], v14
.LBB142_2567:
	s_mov_b64 s[0:1], 0
.LBB142_2568:
	s_andn2_b64 vcc, exec, s[0:1]
	s_cbranch_vccnz .LBB142_2570
; %bb.2569:
	global_load_sshort v14, v[16:17], off
	s_waitcnt vmcnt(0)
	v_cvt_f64_i32_e32 v[14:15], v14
.LBB142_2570:
	s_mov_b64 s[0:1], 0
.LBB142_2571:
	s_andn2_b64 vcc, exec, s[0:1]
	s_cbranch_vccnz .LBB142_2577
; %bb.2572:
	s_cmp_gt_i32 s2, 0
	s_cbranch_scc0 .LBB142_2574
; %bb.2573:
	global_load_sbyte v14, v[16:17], off
	s_mov_b64 s[0:1], 0
	s_waitcnt vmcnt(0)
	v_cvt_f64_i32_e32 v[14:15], v14
	s_branch .LBB142_2575
.LBB142_2574:
	s_mov_b64 s[0:1], -1
                                        ; implicit-def: $vgpr14_vgpr15
.LBB142_2575:
	s_andn2_b64 vcc, exec, s[0:1]
	s_cbranch_vccnz .LBB142_2577
; %bb.2576:
	global_load_ubyte v14, v[16:17], off
	s_waitcnt vmcnt(0)
	v_cvt_f64_u32_e32 v[14:15], v14
.LBB142_2577:
	s_mov_b64 s[4:5], -1
.LBB142_2578:
	s_andn2_b64 vcc, exec, s[4:5]
	s_cbranch_vccnz .LBB142_3012
; %bb.2579:
	s_waitcnt vmcnt(0)
	v_cmp_nge_f64_e32 vcc, s[12:13], v[0:1]
	v_mul_lo_u32 v18, s8, v18
	v_mov_b32_e32 v16, s15
	v_mov_b32_e32 v0, s14
	;; [unrolled: 1-line block ×3, first 2 shown]
	s_and_b32 s24, s33, 0xff
	s_cmp_lt_i32 s24, 11
	v_cndmask_b32_e32 v1, v16, v3, vcc
	v_ashrrev_i32_e32 v3, 31, v18
	v_cndmask_b32_e32 v0, v0, v2, vcc
	v_add_co_u32_e32 v16, vcc, s16, v18
	v_addc_co_u32_e32 v17, vcc, v17, v3, vcc
	s_cbranch_scc1 .LBB142_2657
; %bb.2580:
	s_and_b32 s9, 0xffff, s24
	s_mov_b64 s[10:11], -1
	s_mov_b64 s[2:3], 0
	s_cmp_gt_i32 s9, 25
	s_mov_b64 s[4:5], 0
	s_mov_b64 s[0:1], 0
	s_cbranch_scc0 .LBB142_2613
; %bb.2581:
	s_cmp_gt_i32 s9, 28
	s_cbranch_scc0 .LBB142_2596
; %bb.2582:
	s_cmp_gt_i32 s9, 43
	;; [unrolled: 3-line block ×3, first 2 shown]
	s_cbranch_scc0 .LBB142_2586
; %bb.2584:
	s_mov_b64 s[0:1], -1
	s_mov_b64 s[10:11], 0
	s_cmp_eq_u32 s9, 46
	s_cbranch_scc0 .LBB142_2586
; %bb.2585:
	v_cvt_f32_f64_e32 v2, v[0:1]
	s_movk_i32 s0, 0x7fff
	v_mov_b32_e32 v3, 0x7fc0
	s_mov_b64 s[4:5], -1
	v_bfe_u32 v19, v2, 16, 1
	v_cmp_o_f32_e32 vcc, v2, v2
	v_add3_u32 v2, v2, v19, s0
	v_cndmask_b32_sdwa v2, v3, v2, vcc dst_sel:DWORD dst_unused:UNUSED_PAD src0_sel:DWORD src1_sel:WORD_1
	global_store_dword v[16:17], v2, off
	s_mov_b64 s[0:1], 0
.LBB142_2586:
	s_and_b64 vcc, exec, s[10:11]
	s_cbranch_vccz .LBB142_2591
; %bb.2587:
	s_cmp_eq_u32 s9, 44
	s_mov_b64 s[0:1], -1
	s_cbranch_scc0 .LBB142_2591
; %bb.2588:
	v_cvt_f32_f64_e32 v2, v[0:1]
	s_movk_i32 s0, 0xff
	v_mov_b32_e32 v19, 0xff
	v_bfe_u32 v3, v2, 23, 8
	v_cmp_ne_u32_e32 vcc, s0, v3
	s_and_saveexec_b64 s[4:5], vcc
; %bb.2589:
	s_mov_b32 s0, 0x3fffff
	v_lshrrev_b32_e32 v19, 23, v2
	v_and_b32_e32 v20, 0x400000, v2
	v_and_or_b32 v2, v2, s0, v3
	v_cmp_ne_u32_e32 vcc, 0, v20
	v_cmp_ne_u32_e64 s[0:1], 0, v2
	s_and_b64 s[0:1], vcc, s[0:1]
	v_cndmask_b32_e64 v2, 0, 1, s[0:1]
	v_add_u32_e32 v19, v19, v2
; %bb.2590:
	s_or_b64 exec, exec, s[4:5]
	s_mov_b64 s[0:1], 0
	s_mov_b64 s[4:5], -1
	global_store_byte v[16:17], v19, off
.LBB142_2591:
	s_mov_b64 s[10:11], 0
.LBB142_2592:
	s_and_b64 vcc, exec, s[10:11]
	s_cbranch_vccz .LBB142_2595
; %bb.2593:
	s_cmp_eq_u32 s9, 29
	s_mov_b64 s[0:1], -1
	s_cbranch_scc0 .LBB142_2595
; %bb.2594:
	v_trunc_f64_e32 v[2:3], v[0:1]
	s_movk_i32 s0, 0xffe0
	s_mov_b64 s[4:5], -1
	v_ldexp_f64 v[19:20], v[2:3], s0
	s_mov_b32 s0, 0
	s_mov_b32 s1, 0xc1f00000
	v_floor_f64_e32 v[19:20], v[19:20]
	v_fma_f64 v[2:3], v[19:20], s[0:1], v[2:3]
	v_cvt_u32_f64_e32 v20, v[19:20]
	s_mov_b64 s[0:1], 0
	v_cvt_u32_f64_e32 v19, v[2:3]
	global_store_dwordx2 v[16:17], v[19:20], off
.LBB142_2595:
	s_mov_b64 s[10:11], 0
.LBB142_2596:
	s_and_b64 vcc, exec, s[10:11]
	s_cbranch_vccz .LBB142_2612
; %bb.2597:
	s_cmp_lt_i32 s9, 27
	s_mov_b64 s[4:5], -1
	s_cbranch_scc1 .LBB142_2603
; %bb.2598:
	v_cvt_u32_f64_e32 v2, v[0:1]
	s_cmp_gt_i32 s9, 27
	s_cbranch_scc0 .LBB142_2600
; %bb.2599:
	s_mov_b64 s[4:5], 0
	global_store_dword v[16:17], v2, off
.LBB142_2600:
	s_andn2_b64 vcc, exec, s[4:5]
	s_cbranch_vccnz .LBB142_2602
; %bb.2601:
	global_store_short v[16:17], v2, off
.LBB142_2602:
	s_mov_b64 s[4:5], 0
.LBB142_2603:
	s_andn2_b64 vcc, exec, s[4:5]
	s_cbranch_vccnz .LBB142_2611
; %bb.2604:
	v_cvt_f32_f64_e32 v2, v[0:1]
	s_mov_b32 s4, 0x43800000
	v_mov_b32_e32 v19, 0x80
	v_and_b32_e32 v3, 0x7fffffff, v2
	v_cmp_gt_u32_e32 vcc, s4, v3
	s_and_saveexec_b64 s[4:5], vcc
	s_cbranch_execz .LBB142_2610
; %bb.2605:
	s_mov_b32 s10, 0x3bffffff
	v_cmp_lt_u32_e32 vcc, s10, v3
	s_mov_b64 s[10:11], 0
                                        ; implicit-def: $vgpr3
	s_and_saveexec_b64 s[18:19], vcc
	s_xor_b64 s[18:19], exec, s[18:19]
	s_cbranch_execz .LBB142_3059
; %bb.2606:
	v_bfe_u32 v3, v2, 20, 1
	s_mov_b32 s25, 0x487ffff
	v_add3_u32 v3, v2, v3, s25
	s_mov_b64 s[10:11], exec
	v_lshrrev_b32_e32 v3, 20, v3
	s_andn2_saveexec_b64 s[18:19], s[18:19]
	s_cbranch_execnz .LBB142_3060
.LBB142_2607:
	s_or_b64 exec, exec, s[18:19]
	v_mov_b32_e32 v19, 0
	s_and_saveexec_b64 s[18:19], s[10:11]
.LBB142_2608:
	v_lshrrev_b32_e32 v2, 24, v2
	s_movk_i32 s10, 0x80
	v_and_or_b32 v19, v2, s10, v3
.LBB142_2609:
	s_or_b64 exec, exec, s[18:19]
.LBB142_2610:
	s_or_b64 exec, exec, s[4:5]
	global_store_byte v[16:17], v19, off
.LBB142_2611:
	s_mov_b64 s[4:5], -1
.LBB142_2612:
	s_mov_b64 s[10:11], 0
.LBB142_2613:
	s_and_b64 vcc, exec, s[10:11]
	s_cbranch_vccz .LBB142_2653
; %bb.2614:
	s_cmp_gt_i32 s9, 22
	s_mov_b64 s[2:3], -1
	s_cbranch_scc0 .LBB142_2646
; %bb.2615:
	s_cmp_lt_i32 s9, 24
	s_cbranch_scc1 .LBB142_2635
; %bb.2616:
	s_cmp_gt_i32 s9, 24
	s_cbranch_scc0 .LBB142_2624
; %bb.2617:
	v_cvt_f32_f64_e32 v2, v[0:1]
	s_mov_b32 s2, 0x47800000
	v_mov_b32_e32 v19, 0x80
	v_and_b32_e32 v3, 0x7fffffff, v2
	v_cmp_gt_u32_e32 vcc, s2, v3
	s_and_saveexec_b64 s[2:3], vcc
	s_cbranch_execz .LBB142_2623
; %bb.2618:
	s_mov_b32 s4, 0x37ffffff
	v_cmp_lt_u32_e32 vcc, s4, v3
	s_mov_b64 s[4:5], 0
                                        ; implicit-def: $vgpr3
	s_and_saveexec_b64 s[10:11], vcc
	s_xor_b64 s[10:11], exec, s[10:11]
	s_cbranch_execz .LBB142_3062
; %bb.2619:
	v_bfe_u32 v3, v2, 21, 1
	s_mov_b32 s18, 0x88fffff
	v_add3_u32 v3, v2, v3, s18
	s_mov_b64 s[4:5], exec
	v_lshrrev_b32_e32 v3, 21, v3
	s_andn2_saveexec_b64 s[10:11], s[10:11]
	s_cbranch_execnz .LBB142_3063
.LBB142_2620:
	s_or_b64 exec, exec, s[10:11]
	v_mov_b32_e32 v19, 0
	s_and_saveexec_b64 s[10:11], s[4:5]
.LBB142_2621:
	v_lshrrev_b32_e32 v2, 24, v2
	s_movk_i32 s4, 0x80
	v_and_or_b32 v19, v2, s4, v3
.LBB142_2622:
	s_or_b64 exec, exec, s[10:11]
.LBB142_2623:
	s_or_b64 exec, exec, s[2:3]
	s_mov_b64 s[2:3], 0
	global_store_byte v[16:17], v19, off
.LBB142_2624:
	s_and_b64 vcc, exec, s[2:3]
	s_cbranch_vccz .LBB142_2634
; %bb.2625:
	v_cvt_f32_f64_e32 v2, v[0:1]
	s_mov_b32 s2, 0x43f00000
                                        ; implicit-def: $vgpr3
	v_and_b32_e32 v19, 0x7fffffff, v2
	v_cmp_gt_u32_e32 vcc, s2, v19
	s_and_saveexec_b64 s[2:3], vcc
	s_xor_b64 s[2:3], exec, s[2:3]
	s_cbranch_execz .LBB142_2631
; %bb.2626:
	s_mov_b32 s4, 0x3c7fffff
	v_cmp_lt_u32_e32 vcc, s4, v19
                                        ; implicit-def: $vgpr3
	s_and_saveexec_b64 s[4:5], vcc
	s_xor_b64 s[4:5], exec, s[4:5]
; %bb.2627:
	v_bfe_u32 v3, v2, 20, 1
	s_mov_b32 s10, 0x407ffff
	v_add3_u32 v3, v2, v3, s10
	v_lshrrev_b32_e32 v19, 20, v3
	v_and_b32_e32 v3, 0xff00000, v3
	s_mov_b32 s10, 0x7f00000
	v_mov_b32_e32 v20, 0x7e
	v_cmp_ne_u32_e32 vcc, s10, v3
	v_cndmask_b32_e32 v3, v20, v19, vcc
; %bb.2628:
	s_andn2_saveexec_b64 s[4:5], s[4:5]
; %bb.2629:
	s_mov_b32 s10, 0x46800000
	v_add_f32_e64 v3, |v2|, s10
; %bb.2630:
	s_or_b64 exec, exec, s[4:5]
                                        ; implicit-def: $vgpr19
.LBB142_2631:
	s_andn2_saveexec_b64 s[2:3], s[2:3]
; %bb.2632:
	s_mov_b32 s4, 0x7f800000
	v_mov_b32_e32 v3, 0x7e
	v_mov_b32_e32 v20, 0x7f
	v_cmp_lt_u32_e32 vcc, s4, v19
	v_cndmask_b32_e32 v3, v3, v20, vcc
; %bb.2633:
	s_or_b64 exec, exec, s[2:3]
	v_lshrrev_b32_e32 v2, 24, v2
	s_movk_i32 s2, 0x80
	v_and_or_b32 v2, v2, s2, v3
	global_store_byte v[16:17], v2, off
.LBB142_2634:
	s_mov_b64 s[2:3], 0
.LBB142_2635:
	s_andn2_b64 vcc, exec, s[2:3]
	s_cbranch_vccnz .LBB142_2645
; %bb.2636:
	v_cvt_f32_f64_e32 v2, v[0:1]
	s_mov_b32 s2, 0x47800000
                                        ; implicit-def: $vgpr3
	v_and_b32_e32 v19, 0x7fffffff, v2
	v_cmp_gt_u32_e32 vcc, s2, v19
	s_and_saveexec_b64 s[2:3], vcc
	s_xor_b64 s[2:3], exec, s[2:3]
	s_cbranch_execz .LBB142_2642
; %bb.2637:
	s_mov_b32 s4, 0x387fffff
	v_cmp_lt_u32_e32 vcc, s4, v19
                                        ; implicit-def: $vgpr3
	s_and_saveexec_b64 s[4:5], vcc
	s_xor_b64 s[4:5], exec, s[4:5]
; %bb.2638:
	v_bfe_u32 v3, v2, 21, 1
	s_mov_b32 s10, 0x80fffff
	v_add3_u32 v3, v2, v3, s10
	v_lshrrev_b32_e32 v3, 21, v3
; %bb.2639:
	s_andn2_saveexec_b64 s[4:5], s[4:5]
; %bb.2640:
	s_mov_b32 s10, 0x43000000
	v_add_f32_e64 v3, |v2|, s10
; %bb.2641:
	s_or_b64 exec, exec, s[4:5]
                                        ; implicit-def: $vgpr19
.LBB142_2642:
	s_andn2_saveexec_b64 s[2:3], s[2:3]
; %bb.2643:
	s_mov_b32 s4, 0x7f800000
	v_mov_b32_e32 v3, 0x7c
	v_mov_b32_e32 v20, 0x7f
	v_cmp_lt_u32_e32 vcc, s4, v19
	v_cndmask_b32_e32 v3, v3, v20, vcc
; %bb.2644:
	s_or_b64 exec, exec, s[2:3]
	v_lshrrev_b32_e32 v2, 24, v2
	s_movk_i32 s2, 0x80
	v_and_or_b32 v2, v2, s2, v3
	global_store_byte v[16:17], v2, off
.LBB142_2645:
	s_mov_b64 s[2:3], 0
	s_mov_b64 s[4:5], -1
.LBB142_2646:
	s_andn2_b64 vcc, exec, s[2:3]
	s_mov_b64 s[2:3], 0
	s_cbranch_vccnz .LBB142_2653
; %bb.2647:
	s_cmp_gt_i32 s9, 14
	s_mov_b64 s[10:11], -1
	s_cbranch_scc0 .LBB142_2651
; %bb.2648:
	s_cmp_eq_u32 s9, 15
	s_mov_b64 s[0:1], -1
	s_cbranch_scc0 .LBB142_2650
; %bb.2649:
	v_cvt_f32_f64_e32 v2, v[0:1]
	s_movk_i32 s0, 0x7fff
	v_mov_b32_e32 v3, 0x7fc0
	s_mov_b64 s[4:5], -1
	v_bfe_u32 v19, v2, 16, 1
	v_cmp_o_f32_e32 vcc, v2, v2
	v_add3_u32 v2, v2, v19, s0
	v_cndmask_b32_sdwa v2, v3, v2, vcc dst_sel:DWORD dst_unused:UNUSED_PAD src0_sel:DWORD src1_sel:WORD_1
	global_store_short v[16:17], v2, off
	s_mov_b64 s[0:1], 0
.LBB142_2650:
	s_mov_b64 s[10:11], 0
.LBB142_2651:
	s_and_b64 vcc, exec, s[10:11]
	s_cbranch_vccz .LBB142_2653
; %bb.2652:
	s_cmp_lg_u32 s9, 11
	s_mov_b64 s[2:3], -1
	s_cselect_b64 s[0:1], -1, 0
.LBB142_2653:
	s_and_b64 vcc, exec, s[0:1]
	s_cbranch_vccnz .LBB142_3061
; %bb.2654:
	s_andn2_b64 vcc, exec, s[2:3]
	s_cbranch_vccnz .LBB142_2656
.LBB142_2655:
	v_cmp_neq_f64_e32 vcc, 0, v[0:1]
	s_mov_b64 s[4:5], -1
	v_cndmask_b32_e64 v2, 0, 1, vcc
	global_store_byte v[16:17], v2, off
.LBB142_2656:
	s_mov_b64 s[0:1], 0
	s_branch .LBB142_2658
.LBB142_2657:
	s_mov_b64 s[0:1], -1
	s_mov_b64 s[4:5], 0
.LBB142_2658:
	s_and_b64 vcc, exec, s[0:1]
	s_cbranch_vccz .LBB142_2697
; %bb.2659:
	s_and_b32 s2, 0xffff, s24
	s_cmp_lt_i32 s2, 5
	s_mov_b64 s[0:1], -1
	s_cbranch_scc1 .LBB142_2680
; %bb.2660:
	s_cmp_lt_i32 s2, 8
	s_cbranch_scc1 .LBB142_2670
; %bb.2661:
	s_cmp_lt_i32 s2, 9
	s_cbranch_scc1 .LBB142_2667
; %bb.2662:
	s_cmp_gt_i32 s2, 9
	s_cbranch_scc0 .LBB142_2664
; %bb.2663:
	v_mov_b32_e32 v2, 0
	v_mov_b32_e32 v3, v2
	global_store_dwordx4 v[16:17], v[0:3], off
	s_mov_b64 s[0:1], 0
.LBB142_2664:
	s_andn2_b64 vcc, exec, s[0:1]
	s_cbranch_vccnz .LBB142_2666
; %bb.2665:
	v_cvt_f32_f64_e32 v2, v[0:1]
	v_mov_b32_e32 v3, 0
	global_store_dwordx2 v[16:17], v[2:3], off
.LBB142_2666:
	s_mov_b64 s[0:1], 0
.LBB142_2667:
	s_andn2_b64 vcc, exec, s[0:1]
	s_cbranch_vccnz .LBB142_2669
; %bb.2668:
	s_movk_i32 s0, 0x1ff
	v_and_or_b32 v2, v1, s0, v0
	v_cmp_ne_u32_e32 vcc, 0, v2
	v_cndmask_b32_e64 v2, 0, 1, vcc
	v_lshrrev_b32_e32 v3, 8, v1
	s_movk_i32 s0, 0xffe
	v_bfe_u32 v19, v1, 20, 11
	v_and_or_b32 v2, v3, s0, v2
	v_sub_u32_e32 v20, 0x3f1, v19
	v_or_b32_e32 v3, 0x1000, v2
	v_med3_i32 v20, v20, 0, 13
	v_lshrrev_b32_e32 v21, v20, v3
	v_lshlrev_b32_e32 v20, v20, v21
	v_cmp_ne_u32_e32 vcc, v20, v3
	v_cndmask_b32_e64 v3, 0, 1, vcc
	v_add_u32_e32 v19, 0xfffffc10, v19
	v_or_b32_e32 v3, v21, v3
	v_lshl_or_b32 v20, v19, 12, v2
	v_cmp_gt_i32_e32 vcc, 1, v19
	v_cndmask_b32_e32 v3, v20, v3, vcc
	v_and_b32_e32 v20, 7, v3
	v_cmp_lt_i32_e32 vcc, 5, v20
	v_cndmask_b32_e64 v21, 0, 1, vcc
	v_cmp_eq_u32_e32 vcc, 3, v20
	v_cndmask_b32_e64 v20, 0, 1, vcc
	v_or_b32_e32 v20, v20, v21
	v_lshrrev_b32_e32 v3, 2, v3
	v_add_u32_e32 v3, v3, v20
	v_mov_b32_e32 v20, 0x7c00
	v_cmp_gt_i32_e32 vcc, 31, v19
	v_cndmask_b32_e32 v3, v20, v3, vcc
	v_mov_b32_e32 v21, 0x7e00
	v_cmp_ne_u32_e32 vcc, 0, v2
	s_movk_i32 s0, 0x40f
	v_cndmask_b32_e32 v2, v20, v21, vcc
	v_cmp_eq_u32_e32 vcc, s0, v19
	v_cndmask_b32_e32 v2, v3, v2, vcc
	v_lshrrev_b32_e32 v3, 16, v1
	s_mov_b32 s0, 0x8000
	v_and_or_b32 v2, v3, s0, v2
	v_and_b32_e32 v2, 0xffff, v2
	global_store_dword v[16:17], v2, off
.LBB142_2669:
	s_mov_b64 s[0:1], 0
.LBB142_2670:
	s_andn2_b64 vcc, exec, s[0:1]
	s_cbranch_vccnz .LBB142_2679
; %bb.2671:
	s_cmp_lt_i32 s2, 6
	s_mov_b64 s[0:1], -1
	s_cbranch_scc1 .LBB142_2677
; %bb.2672:
	s_cmp_gt_i32 s2, 6
	s_cbranch_scc0 .LBB142_2674
; %bb.2673:
	global_store_dwordx2 v[16:17], v[0:1], off
	s_mov_b64 s[0:1], 0
.LBB142_2674:
	s_andn2_b64 vcc, exec, s[0:1]
	s_cbranch_vccnz .LBB142_2676
; %bb.2675:
	v_cvt_f32_f64_e32 v2, v[0:1]
	global_store_dword v[16:17], v2, off
.LBB142_2676:
	s_mov_b64 s[0:1], 0
.LBB142_2677:
	s_andn2_b64 vcc, exec, s[0:1]
	s_cbranch_vccnz .LBB142_2679
; %bb.2678:
	s_movk_i32 s0, 0x1ff
	v_and_or_b32 v2, v1, s0, v0
	v_cmp_ne_u32_e32 vcc, 0, v2
	v_cndmask_b32_e64 v2, 0, 1, vcc
	v_lshrrev_b32_e32 v3, 8, v1
	s_movk_i32 s0, 0xffe
	v_bfe_u32 v19, v1, 20, 11
	v_and_or_b32 v2, v3, s0, v2
	v_sub_u32_e32 v20, 0x3f1, v19
	v_or_b32_e32 v3, 0x1000, v2
	v_med3_i32 v20, v20, 0, 13
	v_lshrrev_b32_e32 v21, v20, v3
	v_lshlrev_b32_e32 v20, v20, v21
	v_cmp_ne_u32_e32 vcc, v20, v3
	v_cndmask_b32_e64 v3, 0, 1, vcc
	v_add_u32_e32 v19, 0xfffffc10, v19
	v_or_b32_e32 v3, v21, v3
	v_lshl_or_b32 v20, v19, 12, v2
	v_cmp_gt_i32_e32 vcc, 1, v19
	v_cndmask_b32_e32 v3, v20, v3, vcc
	v_and_b32_e32 v20, 7, v3
	v_cmp_lt_i32_e32 vcc, 5, v20
	v_cndmask_b32_e64 v21, 0, 1, vcc
	v_cmp_eq_u32_e32 vcc, 3, v20
	v_cndmask_b32_e64 v20, 0, 1, vcc
	v_or_b32_e32 v20, v20, v21
	v_lshrrev_b32_e32 v3, 2, v3
	v_add_u32_e32 v3, v3, v20
	v_mov_b32_e32 v20, 0x7c00
	v_cmp_gt_i32_e32 vcc, 31, v19
	v_cndmask_b32_e32 v3, v20, v3, vcc
	v_mov_b32_e32 v21, 0x7e00
	v_cmp_ne_u32_e32 vcc, 0, v2
	s_movk_i32 s0, 0x40f
	v_cndmask_b32_e32 v2, v20, v21, vcc
	v_cmp_eq_u32_e32 vcc, s0, v19
	v_cndmask_b32_e32 v2, v3, v2, vcc
	v_lshrrev_b32_e32 v3, 16, v1
	s_mov_b32 s0, 0x8000
	v_and_or_b32 v2, v3, s0, v2
	global_store_short v[16:17], v2, off
.LBB142_2679:
	s_mov_b64 s[0:1], 0
.LBB142_2680:
	s_andn2_b64 vcc, exec, s[0:1]
	s_cbranch_vccnz .LBB142_2696
; %bb.2681:
	s_cmp_lt_i32 s2, 2
	s_mov_b64 s[0:1], -1
	s_cbranch_scc1 .LBB142_2691
; %bb.2682:
	s_cmp_lt_i32 s2, 3
	s_cbranch_scc1 .LBB142_2688
; %bb.2683:
	s_cmp_gt_i32 s2, 3
	s_cbranch_scc0 .LBB142_2685
; %bb.2684:
	v_trunc_f64_e32 v[2:3], v[0:1]
	s_movk_i32 s0, 0xffe0
	v_ldexp_f64 v[19:20], v[2:3], s0
	s_mov_b32 s0, 0
	s_mov_b32 s1, 0xc1f00000
	v_floor_f64_e32 v[19:20], v[19:20]
	v_fma_f64 v[2:3], v[19:20], s[0:1], v[2:3]
	v_cvt_i32_f64_e32 v20, v[19:20]
	s_mov_b64 s[0:1], 0
	v_cvt_u32_f64_e32 v19, v[2:3]
	global_store_dwordx2 v[16:17], v[19:20], off
.LBB142_2685:
	s_andn2_b64 vcc, exec, s[0:1]
	s_cbranch_vccnz .LBB142_2687
; %bb.2686:
	v_cvt_i32_f64_e32 v2, v[0:1]
	global_store_dword v[16:17], v2, off
.LBB142_2687:
	s_mov_b64 s[0:1], 0
.LBB142_2688:
	s_andn2_b64 vcc, exec, s[0:1]
	s_cbranch_vccnz .LBB142_2690
; %bb.2689:
	v_cvt_i32_f64_e32 v2, v[0:1]
	global_store_short v[16:17], v2, off
.LBB142_2690:
	s_mov_b64 s[0:1], 0
.LBB142_2691:
	s_andn2_b64 vcc, exec, s[0:1]
	s_cbranch_vccnz .LBB142_2696
; %bb.2692:
	s_cmp_gt_i32 s2, 0
	s_mov_b64 s[0:1], -1
	s_cbranch_scc0 .LBB142_2694
; %bb.2693:
	v_cvt_i32_f64_e32 v2, v[0:1]
	s_mov_b64 s[0:1], 0
	global_store_byte v[16:17], v2, off
.LBB142_2694:
	s_andn2_b64 vcc, exec, s[0:1]
	s_cbranch_vccnz .LBB142_2696
; %bb.2695:
	v_trunc_f64_e32 v[0:1], v[0:1]
	s_movk_i32 s0, 0xffe0
	v_ldexp_f64 v[2:3], v[0:1], s0
	s_mov_b32 s0, 0
	s_mov_b32 s1, 0xc1f00000
	v_floor_f64_e32 v[2:3], v[2:3]
	v_fma_f64 v[0:1], v[2:3], s[0:1], v[0:1]
	v_cvt_u32_f64_e32 v0, v[0:1]
	global_store_byte v[16:17], v0, off
.LBB142_2696:
	s_mov_b64 s[4:5], -1
.LBB142_2697:
	s_andn2_b64 vcc, exec, s[4:5]
	s_cbranch_vccnz .LBB142_3012
; %bb.2698:
	v_cmp_nge_f64_e32 vcc, s[12:13], v[4:5]
	v_mov_b32_e32 v0, s15
	s_lshl_b32 s18, s8, 7
	v_mov_b32_e32 v2, s14
	v_mov_b32_e32 v3, s17
	s_cmp_lt_i32 s24, 11
	v_cndmask_b32_e32 v1, v0, v9, vcc
	v_add_u32_e32 v9, s18, v18
	v_ashrrev_i32_e32 v5, 31, v9
	v_cndmask_b32_e32 v0, v2, v8, vcc
	v_add_co_u32_e32 v4, vcc, s16, v9
	v_addc_co_u32_e32 v5, vcc, v3, v5, vcc
	s_cbranch_scc1 .LBB142_2776
; %bb.2699:
	s_and_b32 s19, 0xffff, s24
	s_mov_b64 s[8:9], -1
	s_mov_b64 s[2:3], 0
	s_cmp_gt_i32 s19, 25
	s_mov_b64 s[4:5], 0
	s_mov_b64 s[0:1], 0
	s_cbranch_scc0 .LBB142_2732
; %bb.2700:
	s_cmp_gt_i32 s19, 28
	s_cbranch_scc0 .LBB142_2715
; %bb.2701:
	s_cmp_gt_i32 s19, 43
	;; [unrolled: 3-line block ×3, first 2 shown]
	s_cbranch_scc0 .LBB142_2705
; %bb.2703:
	s_mov_b64 s[0:1], -1
	s_mov_b64 s[8:9], 0
	s_cmp_eq_u32 s19, 46
	s_cbranch_scc0 .LBB142_2705
; %bb.2704:
	v_cvt_f32_f64_e32 v2, v[0:1]
	s_movk_i32 s0, 0x7fff
	v_mov_b32_e32 v3, 0x7fc0
	s_mov_b64 s[4:5], -1
	v_bfe_u32 v8, v2, 16, 1
	v_cmp_o_f32_e32 vcc, v2, v2
	v_add3_u32 v2, v2, v8, s0
	v_cndmask_b32_sdwa v2, v3, v2, vcc dst_sel:DWORD dst_unused:UNUSED_PAD src0_sel:DWORD src1_sel:WORD_1
	global_store_dword v[4:5], v2, off
	s_mov_b64 s[0:1], 0
.LBB142_2705:
	s_and_b64 vcc, exec, s[8:9]
	s_cbranch_vccz .LBB142_2710
; %bb.2706:
	s_cmp_eq_u32 s19, 44
	s_mov_b64 s[0:1], -1
	s_cbranch_scc0 .LBB142_2710
; %bb.2707:
	v_cvt_f32_f64_e32 v2, v[0:1]
	s_movk_i32 s0, 0xff
	v_mov_b32_e32 v8, 0xff
	v_bfe_u32 v3, v2, 23, 8
	v_cmp_ne_u32_e32 vcc, s0, v3
	s_and_saveexec_b64 s[4:5], vcc
; %bb.2708:
	s_mov_b32 s0, 0x3fffff
	v_lshrrev_b32_e32 v8, 23, v2
	v_and_b32_e32 v16, 0x400000, v2
	v_and_or_b32 v2, v2, s0, v3
	v_cmp_ne_u32_e32 vcc, 0, v16
	v_cmp_ne_u32_e64 s[0:1], 0, v2
	s_and_b64 s[0:1], vcc, s[0:1]
	v_cndmask_b32_e64 v2, 0, 1, s[0:1]
	v_add_u32_e32 v8, v8, v2
; %bb.2709:
	s_or_b64 exec, exec, s[4:5]
	s_mov_b64 s[0:1], 0
	s_mov_b64 s[4:5], -1
	global_store_byte v[4:5], v8, off
.LBB142_2710:
	s_mov_b64 s[8:9], 0
.LBB142_2711:
	s_and_b64 vcc, exec, s[8:9]
	s_cbranch_vccz .LBB142_2714
; %bb.2712:
	s_cmp_eq_u32 s19, 29
	s_mov_b64 s[0:1], -1
	s_cbranch_scc0 .LBB142_2714
; %bb.2713:
	v_trunc_f64_e32 v[2:3], v[0:1]
	s_movk_i32 s0, 0xffe0
	s_mov_b64 s[4:5], -1
	v_ldexp_f64 v[16:17], v[2:3], s0
	s_mov_b32 s0, 0
	s_mov_b32 s1, 0xc1f00000
	v_floor_f64_e32 v[16:17], v[16:17]
	v_fma_f64 v[2:3], v[16:17], s[0:1], v[2:3]
	v_cvt_u32_f64_e32 v17, v[16:17]
	s_mov_b64 s[0:1], 0
	v_cvt_u32_f64_e32 v16, v[2:3]
	global_store_dwordx2 v[4:5], v[16:17], off
.LBB142_2714:
	s_mov_b64 s[8:9], 0
.LBB142_2715:
	s_and_b64 vcc, exec, s[8:9]
	s_cbranch_vccz .LBB142_2731
; %bb.2716:
	s_cmp_lt_i32 s19, 27
	s_mov_b64 s[4:5], -1
	s_cbranch_scc1 .LBB142_2722
; %bb.2717:
	v_cvt_u32_f64_e32 v2, v[0:1]
	s_cmp_gt_i32 s19, 27
	s_cbranch_scc0 .LBB142_2719
; %bb.2718:
	s_mov_b64 s[4:5], 0
	global_store_dword v[4:5], v2, off
.LBB142_2719:
	s_andn2_b64 vcc, exec, s[4:5]
	s_cbranch_vccnz .LBB142_2721
; %bb.2720:
	global_store_short v[4:5], v2, off
.LBB142_2721:
	s_mov_b64 s[4:5], 0
.LBB142_2722:
	s_andn2_b64 vcc, exec, s[4:5]
	s_cbranch_vccnz .LBB142_2730
; %bb.2723:
	v_cvt_f32_f64_e32 v2, v[0:1]
	s_mov_b32 s4, 0x43800000
	v_mov_b32_e32 v8, 0x80
	v_and_b32_e32 v3, 0x7fffffff, v2
	v_cmp_gt_u32_e32 vcc, s4, v3
	s_and_saveexec_b64 s[4:5], vcc
	s_cbranch_execz .LBB142_2729
; %bb.2724:
	s_mov_b32 s8, 0x3bffffff
	v_cmp_lt_u32_e32 vcc, s8, v3
	s_mov_b64 s[8:9], 0
                                        ; implicit-def: $vgpr3
	s_and_saveexec_b64 s[10:11], vcc
	s_xor_b64 s[10:11], exec, s[10:11]
	s_cbranch_execz .LBB142_3064
; %bb.2725:
	v_bfe_u32 v3, v2, 20, 1
	s_mov_b32 s25, 0x487ffff
	v_add3_u32 v3, v2, v3, s25
	s_mov_b64 s[8:9], exec
	v_lshrrev_b32_e32 v3, 20, v3
	s_andn2_saveexec_b64 s[10:11], s[10:11]
	s_cbranch_execnz .LBB142_3065
.LBB142_2726:
	s_or_b64 exec, exec, s[10:11]
	v_mov_b32_e32 v8, 0
	s_and_saveexec_b64 s[10:11], s[8:9]
.LBB142_2727:
	v_lshrrev_b32_e32 v2, 24, v2
	s_movk_i32 s8, 0x80
	v_and_or_b32 v8, v2, s8, v3
.LBB142_2728:
	s_or_b64 exec, exec, s[10:11]
.LBB142_2729:
	s_or_b64 exec, exec, s[4:5]
	global_store_byte v[4:5], v8, off
.LBB142_2730:
	s_mov_b64 s[4:5], -1
.LBB142_2731:
	s_mov_b64 s[8:9], 0
.LBB142_2732:
	s_and_b64 vcc, exec, s[8:9]
	s_cbranch_vccz .LBB142_2772
; %bb.2733:
	s_cmp_gt_i32 s19, 22
	s_mov_b64 s[2:3], -1
	s_cbranch_scc0 .LBB142_2765
; %bb.2734:
	s_cmp_lt_i32 s19, 24
	s_cbranch_scc1 .LBB142_2754
; %bb.2735:
	s_cmp_gt_i32 s19, 24
	s_cbranch_scc0 .LBB142_2743
; %bb.2736:
	v_cvt_f32_f64_e32 v2, v[0:1]
	s_mov_b32 s2, 0x47800000
	v_mov_b32_e32 v8, 0x80
	v_and_b32_e32 v3, 0x7fffffff, v2
	v_cmp_gt_u32_e32 vcc, s2, v3
	s_and_saveexec_b64 s[2:3], vcc
	s_cbranch_execz .LBB142_2742
; %bb.2737:
	s_mov_b32 s4, 0x37ffffff
	v_cmp_lt_u32_e32 vcc, s4, v3
	s_mov_b64 s[4:5], 0
                                        ; implicit-def: $vgpr3
	s_and_saveexec_b64 s[8:9], vcc
	s_xor_b64 s[8:9], exec, s[8:9]
	s_cbranch_execz .LBB142_3067
; %bb.2738:
	v_bfe_u32 v3, v2, 21, 1
	s_mov_b32 s10, 0x88fffff
	v_add3_u32 v3, v2, v3, s10
	s_mov_b64 s[4:5], exec
	v_lshrrev_b32_e32 v3, 21, v3
	s_andn2_saveexec_b64 s[8:9], s[8:9]
	s_cbranch_execnz .LBB142_3068
.LBB142_2739:
	s_or_b64 exec, exec, s[8:9]
	v_mov_b32_e32 v8, 0
	s_and_saveexec_b64 s[8:9], s[4:5]
.LBB142_2740:
	v_lshrrev_b32_e32 v2, 24, v2
	s_movk_i32 s4, 0x80
	v_and_or_b32 v8, v2, s4, v3
.LBB142_2741:
	s_or_b64 exec, exec, s[8:9]
.LBB142_2742:
	s_or_b64 exec, exec, s[2:3]
	s_mov_b64 s[2:3], 0
	global_store_byte v[4:5], v8, off
.LBB142_2743:
	s_and_b64 vcc, exec, s[2:3]
	s_cbranch_vccz .LBB142_2753
; %bb.2744:
	v_cvt_f32_f64_e32 v2, v[0:1]
	s_mov_b32 s2, 0x43f00000
                                        ; implicit-def: $vgpr3
	v_and_b32_e32 v8, 0x7fffffff, v2
	v_cmp_gt_u32_e32 vcc, s2, v8
	s_and_saveexec_b64 s[2:3], vcc
	s_xor_b64 s[2:3], exec, s[2:3]
	s_cbranch_execz .LBB142_2750
; %bb.2745:
	s_mov_b32 s4, 0x3c7fffff
	v_cmp_lt_u32_e32 vcc, s4, v8
                                        ; implicit-def: $vgpr3
	s_and_saveexec_b64 s[4:5], vcc
	s_xor_b64 s[4:5], exec, s[4:5]
; %bb.2746:
	v_bfe_u32 v3, v2, 20, 1
	s_mov_b32 s8, 0x407ffff
	v_add3_u32 v3, v2, v3, s8
	v_lshrrev_b32_e32 v8, 20, v3
	v_and_b32_e32 v3, 0xff00000, v3
	s_mov_b32 s8, 0x7f00000
	v_mov_b32_e32 v16, 0x7e
	v_cmp_ne_u32_e32 vcc, s8, v3
	v_cndmask_b32_e32 v3, v16, v8, vcc
; %bb.2747:
	s_andn2_saveexec_b64 s[4:5], s[4:5]
; %bb.2748:
	s_mov_b32 s8, 0x46800000
	v_add_f32_e64 v3, |v2|, s8
; %bb.2749:
	s_or_b64 exec, exec, s[4:5]
                                        ; implicit-def: $vgpr8
.LBB142_2750:
	s_andn2_saveexec_b64 s[2:3], s[2:3]
; %bb.2751:
	s_mov_b32 s4, 0x7f800000
	v_mov_b32_e32 v3, 0x7e
	v_mov_b32_e32 v16, 0x7f
	v_cmp_lt_u32_e32 vcc, s4, v8
	v_cndmask_b32_e32 v3, v3, v16, vcc
; %bb.2752:
	s_or_b64 exec, exec, s[2:3]
	v_lshrrev_b32_e32 v2, 24, v2
	s_movk_i32 s2, 0x80
	v_and_or_b32 v2, v2, s2, v3
	global_store_byte v[4:5], v2, off
.LBB142_2753:
	s_mov_b64 s[2:3], 0
.LBB142_2754:
	s_andn2_b64 vcc, exec, s[2:3]
	s_cbranch_vccnz .LBB142_2764
; %bb.2755:
	v_cvt_f32_f64_e32 v2, v[0:1]
	s_mov_b32 s2, 0x47800000
                                        ; implicit-def: $vgpr3
	v_and_b32_e32 v8, 0x7fffffff, v2
	v_cmp_gt_u32_e32 vcc, s2, v8
	s_and_saveexec_b64 s[2:3], vcc
	s_xor_b64 s[2:3], exec, s[2:3]
	s_cbranch_execz .LBB142_2761
; %bb.2756:
	s_mov_b32 s4, 0x387fffff
	v_cmp_lt_u32_e32 vcc, s4, v8
                                        ; implicit-def: $vgpr3
	s_and_saveexec_b64 s[4:5], vcc
	s_xor_b64 s[4:5], exec, s[4:5]
; %bb.2757:
	v_bfe_u32 v3, v2, 21, 1
	s_mov_b32 s8, 0x80fffff
	v_add3_u32 v3, v2, v3, s8
	v_lshrrev_b32_e32 v3, 21, v3
; %bb.2758:
	s_andn2_saveexec_b64 s[4:5], s[4:5]
; %bb.2759:
	s_mov_b32 s8, 0x43000000
	v_add_f32_e64 v3, |v2|, s8
; %bb.2760:
	s_or_b64 exec, exec, s[4:5]
                                        ; implicit-def: $vgpr8
.LBB142_2761:
	s_andn2_saveexec_b64 s[2:3], s[2:3]
; %bb.2762:
	s_mov_b32 s4, 0x7f800000
	v_mov_b32_e32 v3, 0x7c
	v_mov_b32_e32 v16, 0x7f
	v_cmp_lt_u32_e32 vcc, s4, v8
	v_cndmask_b32_e32 v3, v3, v16, vcc
; %bb.2763:
	s_or_b64 exec, exec, s[2:3]
	v_lshrrev_b32_e32 v2, 24, v2
	s_movk_i32 s2, 0x80
	v_and_or_b32 v2, v2, s2, v3
	global_store_byte v[4:5], v2, off
.LBB142_2764:
	s_mov_b64 s[2:3], 0
	s_mov_b64 s[4:5], -1
.LBB142_2765:
	s_andn2_b64 vcc, exec, s[2:3]
	s_mov_b64 s[2:3], 0
	s_cbranch_vccnz .LBB142_2772
; %bb.2766:
	s_cmp_gt_i32 s19, 14
	s_mov_b64 s[8:9], -1
	s_cbranch_scc0 .LBB142_2770
; %bb.2767:
	s_cmp_eq_u32 s19, 15
	s_mov_b64 s[0:1], -1
	s_cbranch_scc0 .LBB142_2769
; %bb.2768:
	v_cvt_f32_f64_e32 v2, v[0:1]
	s_movk_i32 s0, 0x7fff
	v_mov_b32_e32 v3, 0x7fc0
	s_mov_b64 s[4:5], -1
	v_bfe_u32 v8, v2, 16, 1
	v_cmp_o_f32_e32 vcc, v2, v2
	v_add3_u32 v2, v2, v8, s0
	v_cndmask_b32_sdwa v2, v3, v2, vcc dst_sel:DWORD dst_unused:UNUSED_PAD src0_sel:DWORD src1_sel:WORD_1
	global_store_short v[4:5], v2, off
	s_mov_b64 s[0:1], 0
.LBB142_2769:
	s_mov_b64 s[8:9], 0
.LBB142_2770:
	s_and_b64 vcc, exec, s[8:9]
	s_cbranch_vccz .LBB142_2772
; %bb.2771:
	s_cmp_lg_u32 s19, 11
	s_mov_b64 s[2:3], -1
	s_cselect_b64 s[0:1], -1, 0
.LBB142_2772:
	s_and_b64 vcc, exec, s[0:1]
	s_cbranch_vccnz .LBB142_3066
; %bb.2773:
	s_andn2_b64 vcc, exec, s[2:3]
	s_cbranch_vccnz .LBB142_2775
.LBB142_2774:
	v_cmp_neq_f64_e32 vcc, 0, v[0:1]
	s_mov_b64 s[4:5], -1
	v_cndmask_b32_e64 v2, 0, 1, vcc
	global_store_byte v[4:5], v2, off
.LBB142_2775:
	s_mov_b64 s[0:1], 0
	s_branch .LBB142_2777
.LBB142_2776:
	s_mov_b64 s[0:1], -1
	s_mov_b64 s[4:5], 0
.LBB142_2777:
	s_and_b64 vcc, exec, s[0:1]
	s_cbranch_vccz .LBB142_2816
; %bb.2778:
	s_and_b32 s2, 0xffff, s24
	s_cmp_lt_i32 s2, 5
	s_mov_b64 s[0:1], -1
	s_cbranch_scc1 .LBB142_2799
; %bb.2779:
	s_cmp_lt_i32 s2, 8
	s_cbranch_scc1 .LBB142_2789
; %bb.2780:
	s_cmp_lt_i32 s2, 9
	s_cbranch_scc1 .LBB142_2786
; %bb.2781:
	s_cmp_gt_i32 s2, 9
	s_cbranch_scc0 .LBB142_2783
; %bb.2782:
	v_mov_b32_e32 v2, 0
	v_mov_b32_e32 v3, v2
	global_store_dwordx4 v[4:5], v[0:3], off
	s_mov_b64 s[0:1], 0
.LBB142_2783:
	s_andn2_b64 vcc, exec, s[0:1]
	s_cbranch_vccnz .LBB142_2785
; %bb.2784:
	v_cvt_f32_f64_e32 v2, v[0:1]
	v_mov_b32_e32 v3, 0
	global_store_dwordx2 v[4:5], v[2:3], off
.LBB142_2785:
	s_mov_b64 s[0:1], 0
.LBB142_2786:
	s_andn2_b64 vcc, exec, s[0:1]
	s_cbranch_vccnz .LBB142_2788
; %bb.2787:
	s_movk_i32 s0, 0x1ff
	v_and_or_b32 v2, v1, s0, v0
	v_cmp_ne_u32_e32 vcc, 0, v2
	v_cndmask_b32_e64 v2, 0, 1, vcc
	v_lshrrev_b32_e32 v3, 8, v1
	s_movk_i32 s0, 0xffe
	v_bfe_u32 v8, v1, 20, 11
	v_and_or_b32 v2, v3, s0, v2
	v_sub_u32_e32 v16, 0x3f1, v8
	v_or_b32_e32 v3, 0x1000, v2
	v_med3_i32 v16, v16, 0, 13
	v_lshrrev_b32_e32 v17, v16, v3
	v_lshlrev_b32_e32 v16, v16, v17
	v_cmp_ne_u32_e32 vcc, v16, v3
	v_cndmask_b32_e64 v3, 0, 1, vcc
	v_add_u32_e32 v8, 0xfffffc10, v8
	v_or_b32_e32 v3, v17, v3
	v_lshl_or_b32 v16, v8, 12, v2
	v_cmp_gt_i32_e32 vcc, 1, v8
	v_cndmask_b32_e32 v3, v16, v3, vcc
	v_and_b32_e32 v16, 7, v3
	v_cmp_lt_i32_e32 vcc, 5, v16
	v_cndmask_b32_e64 v17, 0, 1, vcc
	v_cmp_eq_u32_e32 vcc, 3, v16
	v_cndmask_b32_e64 v16, 0, 1, vcc
	v_or_b32_e32 v16, v16, v17
	v_lshrrev_b32_e32 v3, 2, v3
	v_add_u32_e32 v3, v3, v16
	v_mov_b32_e32 v16, 0x7c00
	v_cmp_gt_i32_e32 vcc, 31, v8
	v_cndmask_b32_e32 v3, v16, v3, vcc
	v_mov_b32_e32 v17, 0x7e00
	v_cmp_ne_u32_e32 vcc, 0, v2
	s_movk_i32 s0, 0x40f
	v_cndmask_b32_e32 v2, v16, v17, vcc
	v_cmp_eq_u32_e32 vcc, s0, v8
	v_cndmask_b32_e32 v2, v3, v2, vcc
	v_lshrrev_b32_e32 v3, 16, v1
	s_mov_b32 s0, 0x8000
	v_and_or_b32 v2, v3, s0, v2
	v_and_b32_e32 v2, 0xffff, v2
	global_store_dword v[4:5], v2, off
.LBB142_2788:
	s_mov_b64 s[0:1], 0
.LBB142_2789:
	s_andn2_b64 vcc, exec, s[0:1]
	s_cbranch_vccnz .LBB142_2798
; %bb.2790:
	s_cmp_lt_i32 s2, 6
	s_mov_b64 s[0:1], -1
	s_cbranch_scc1 .LBB142_2796
; %bb.2791:
	s_cmp_gt_i32 s2, 6
	s_cbranch_scc0 .LBB142_2793
; %bb.2792:
	global_store_dwordx2 v[4:5], v[0:1], off
	s_mov_b64 s[0:1], 0
.LBB142_2793:
	s_andn2_b64 vcc, exec, s[0:1]
	s_cbranch_vccnz .LBB142_2795
; %bb.2794:
	v_cvt_f32_f64_e32 v2, v[0:1]
	global_store_dword v[4:5], v2, off
.LBB142_2795:
	s_mov_b64 s[0:1], 0
.LBB142_2796:
	s_andn2_b64 vcc, exec, s[0:1]
	s_cbranch_vccnz .LBB142_2798
; %bb.2797:
	s_movk_i32 s0, 0x1ff
	v_and_or_b32 v2, v1, s0, v0
	v_cmp_ne_u32_e32 vcc, 0, v2
	v_cndmask_b32_e64 v2, 0, 1, vcc
	v_lshrrev_b32_e32 v3, 8, v1
	s_movk_i32 s0, 0xffe
	v_bfe_u32 v8, v1, 20, 11
	v_and_or_b32 v2, v3, s0, v2
	v_sub_u32_e32 v16, 0x3f1, v8
	v_or_b32_e32 v3, 0x1000, v2
	v_med3_i32 v16, v16, 0, 13
	v_lshrrev_b32_e32 v17, v16, v3
	v_lshlrev_b32_e32 v16, v16, v17
	v_cmp_ne_u32_e32 vcc, v16, v3
	v_cndmask_b32_e64 v3, 0, 1, vcc
	v_add_u32_e32 v8, 0xfffffc10, v8
	v_or_b32_e32 v3, v17, v3
	v_lshl_or_b32 v16, v8, 12, v2
	v_cmp_gt_i32_e32 vcc, 1, v8
	v_cndmask_b32_e32 v3, v16, v3, vcc
	v_and_b32_e32 v16, 7, v3
	v_cmp_lt_i32_e32 vcc, 5, v16
	v_cndmask_b32_e64 v17, 0, 1, vcc
	v_cmp_eq_u32_e32 vcc, 3, v16
	v_cndmask_b32_e64 v16, 0, 1, vcc
	v_or_b32_e32 v16, v16, v17
	v_lshrrev_b32_e32 v3, 2, v3
	v_add_u32_e32 v3, v3, v16
	v_mov_b32_e32 v16, 0x7c00
	v_cmp_gt_i32_e32 vcc, 31, v8
	v_cndmask_b32_e32 v3, v16, v3, vcc
	v_mov_b32_e32 v17, 0x7e00
	v_cmp_ne_u32_e32 vcc, 0, v2
	s_movk_i32 s0, 0x40f
	v_cndmask_b32_e32 v2, v16, v17, vcc
	v_cmp_eq_u32_e32 vcc, s0, v8
	v_cndmask_b32_e32 v2, v3, v2, vcc
	v_lshrrev_b32_e32 v3, 16, v1
	s_mov_b32 s0, 0x8000
	v_and_or_b32 v2, v3, s0, v2
	global_store_short v[4:5], v2, off
.LBB142_2798:
	s_mov_b64 s[0:1], 0
.LBB142_2799:
	s_andn2_b64 vcc, exec, s[0:1]
	s_cbranch_vccnz .LBB142_2815
; %bb.2800:
	s_cmp_lt_i32 s2, 2
	s_mov_b64 s[0:1], -1
	s_cbranch_scc1 .LBB142_2810
; %bb.2801:
	s_cmp_lt_i32 s2, 3
	s_cbranch_scc1 .LBB142_2807
; %bb.2802:
	s_cmp_gt_i32 s2, 3
	s_cbranch_scc0 .LBB142_2804
; %bb.2803:
	v_trunc_f64_e32 v[2:3], v[0:1]
	s_movk_i32 s0, 0xffe0
	v_ldexp_f64 v[16:17], v[2:3], s0
	s_mov_b32 s0, 0
	s_mov_b32 s1, 0xc1f00000
	v_floor_f64_e32 v[16:17], v[16:17]
	v_fma_f64 v[2:3], v[16:17], s[0:1], v[2:3]
	v_cvt_i32_f64_e32 v17, v[16:17]
	s_mov_b64 s[0:1], 0
	v_cvt_u32_f64_e32 v16, v[2:3]
	global_store_dwordx2 v[4:5], v[16:17], off
.LBB142_2804:
	s_andn2_b64 vcc, exec, s[0:1]
	s_cbranch_vccnz .LBB142_2806
; %bb.2805:
	v_cvt_i32_f64_e32 v2, v[0:1]
	global_store_dword v[4:5], v2, off
.LBB142_2806:
	s_mov_b64 s[0:1], 0
.LBB142_2807:
	s_andn2_b64 vcc, exec, s[0:1]
	s_cbranch_vccnz .LBB142_2809
; %bb.2808:
	v_cvt_i32_f64_e32 v2, v[0:1]
	global_store_short v[4:5], v2, off
.LBB142_2809:
	s_mov_b64 s[0:1], 0
.LBB142_2810:
	s_andn2_b64 vcc, exec, s[0:1]
	s_cbranch_vccnz .LBB142_2815
; %bb.2811:
	s_cmp_gt_i32 s2, 0
	s_mov_b64 s[0:1], -1
	s_cbranch_scc0 .LBB142_2813
; %bb.2812:
	v_cvt_i32_f64_e32 v2, v[0:1]
	s_mov_b64 s[0:1], 0
	global_store_byte v[4:5], v2, off
.LBB142_2813:
	s_andn2_b64 vcc, exec, s[0:1]
	s_cbranch_vccnz .LBB142_2815
; %bb.2814:
	v_trunc_f64_e32 v[0:1], v[0:1]
	s_movk_i32 s0, 0xffe0
	v_ldexp_f64 v[2:3], v[0:1], s0
	s_mov_b32 s0, 0
	s_mov_b32 s1, 0xc1f00000
	v_floor_f64_e32 v[2:3], v[2:3]
	v_fma_f64 v[0:1], v[2:3], s[0:1], v[0:1]
	v_cvt_u32_f64_e32 v0, v[0:1]
	global_store_byte v[4:5], v0, off
.LBB142_2815:
	s_mov_b64 s[4:5], -1
.LBB142_2816:
	s_andn2_b64 vcc, exec, s[4:5]
	s_cbranch_vccnz .LBB142_3012
; %bb.2817:
	v_cmp_nge_f64_e32 vcc, s[12:13], v[6:7]
	v_mov_b32_e32 v0, s15
	v_mov_b32_e32 v2, s14
	v_add_u32_e32 v6, s18, v9
	v_mov_b32_e32 v3, s17
	v_ashrrev_i32_e32 v5, 31, v6
	s_cmp_lt_i32 s24, 11
	v_cndmask_b32_e32 v1, v0, v13, vcc
	v_cndmask_b32_e32 v0, v2, v12, vcc
	v_add_co_u32_e32 v4, vcc, s16, v6
	v_addc_co_u32_e32 v5, vcc, v3, v5, vcc
	s_cbranch_scc1 .LBB142_2895
; %bb.2818:
	s_and_b32 s19, 0xffff, s24
	s_mov_b64 s[8:9], -1
	s_mov_b64 s[2:3], 0
	s_cmp_gt_i32 s19, 25
	s_mov_b64 s[4:5], 0
	s_mov_b64 s[0:1], 0
	s_cbranch_scc0 .LBB142_2851
; %bb.2819:
	s_cmp_gt_i32 s19, 28
	s_cbranch_scc0 .LBB142_2834
; %bb.2820:
	s_cmp_gt_i32 s19, 43
	;; [unrolled: 3-line block ×3, first 2 shown]
	s_cbranch_scc0 .LBB142_2824
; %bb.2822:
	s_mov_b64 s[0:1], -1
	s_mov_b64 s[8:9], 0
	s_cmp_eq_u32 s19, 46
	s_cbranch_scc0 .LBB142_2824
; %bb.2823:
	v_cvt_f32_f64_e32 v2, v[0:1]
	s_movk_i32 s0, 0x7fff
	v_mov_b32_e32 v3, 0x7fc0
	s_mov_b64 s[4:5], -1
	v_bfe_u32 v7, v2, 16, 1
	v_cmp_o_f32_e32 vcc, v2, v2
	v_add3_u32 v2, v2, v7, s0
	v_cndmask_b32_sdwa v2, v3, v2, vcc dst_sel:DWORD dst_unused:UNUSED_PAD src0_sel:DWORD src1_sel:WORD_1
	global_store_dword v[4:5], v2, off
	s_mov_b64 s[0:1], 0
.LBB142_2824:
	s_and_b64 vcc, exec, s[8:9]
	s_cbranch_vccz .LBB142_2829
; %bb.2825:
	s_cmp_eq_u32 s19, 44
	s_mov_b64 s[0:1], -1
	s_cbranch_scc0 .LBB142_2829
; %bb.2826:
	v_cvt_f32_f64_e32 v2, v[0:1]
	s_movk_i32 s0, 0xff
	v_mov_b32_e32 v7, 0xff
	v_bfe_u32 v3, v2, 23, 8
	v_cmp_ne_u32_e32 vcc, s0, v3
	s_and_saveexec_b64 s[4:5], vcc
; %bb.2827:
	s_mov_b32 s0, 0x3fffff
	v_lshrrev_b32_e32 v7, 23, v2
	v_and_b32_e32 v8, 0x400000, v2
	v_and_or_b32 v2, v2, s0, v3
	v_cmp_ne_u32_e32 vcc, 0, v8
	v_cmp_ne_u32_e64 s[0:1], 0, v2
	s_and_b64 s[0:1], vcc, s[0:1]
	v_cndmask_b32_e64 v2, 0, 1, s[0:1]
	v_add_u32_e32 v7, v7, v2
; %bb.2828:
	s_or_b64 exec, exec, s[4:5]
	s_mov_b64 s[0:1], 0
	s_mov_b64 s[4:5], -1
	global_store_byte v[4:5], v7, off
.LBB142_2829:
	s_mov_b64 s[8:9], 0
.LBB142_2830:
	s_and_b64 vcc, exec, s[8:9]
	s_cbranch_vccz .LBB142_2833
; %bb.2831:
	s_cmp_eq_u32 s19, 29
	s_mov_b64 s[0:1], -1
	s_cbranch_scc0 .LBB142_2833
; %bb.2832:
	v_trunc_f64_e32 v[2:3], v[0:1]
	s_movk_i32 s0, 0xffe0
	s_mov_b64 s[4:5], -1
	v_ldexp_f64 v[7:8], v[2:3], s0
	s_mov_b32 s0, 0
	s_mov_b32 s1, 0xc1f00000
	v_floor_f64_e32 v[7:8], v[7:8]
	v_fma_f64 v[2:3], v[7:8], s[0:1], v[2:3]
	v_cvt_u32_f64_e32 v8, v[7:8]
	s_mov_b64 s[0:1], 0
	v_cvt_u32_f64_e32 v7, v[2:3]
	global_store_dwordx2 v[4:5], v[7:8], off
.LBB142_2833:
	s_mov_b64 s[8:9], 0
.LBB142_2834:
	s_and_b64 vcc, exec, s[8:9]
	s_cbranch_vccz .LBB142_2850
; %bb.2835:
	s_cmp_lt_i32 s19, 27
	s_mov_b64 s[4:5], -1
	s_cbranch_scc1 .LBB142_2841
; %bb.2836:
	v_cvt_u32_f64_e32 v2, v[0:1]
	s_cmp_gt_i32 s19, 27
	s_cbranch_scc0 .LBB142_2838
; %bb.2837:
	s_mov_b64 s[4:5], 0
	global_store_dword v[4:5], v2, off
.LBB142_2838:
	s_andn2_b64 vcc, exec, s[4:5]
	s_cbranch_vccnz .LBB142_2840
; %bb.2839:
	global_store_short v[4:5], v2, off
.LBB142_2840:
	s_mov_b64 s[4:5], 0
.LBB142_2841:
	s_andn2_b64 vcc, exec, s[4:5]
	s_cbranch_vccnz .LBB142_2849
; %bb.2842:
	v_cvt_f32_f64_e32 v2, v[0:1]
	s_mov_b32 s4, 0x43800000
	v_mov_b32_e32 v7, 0x80
	v_and_b32_e32 v3, 0x7fffffff, v2
	v_cmp_gt_u32_e32 vcc, s4, v3
	s_and_saveexec_b64 s[4:5], vcc
	s_cbranch_execz .LBB142_2848
; %bb.2843:
	s_mov_b32 s8, 0x3bffffff
	v_cmp_lt_u32_e32 vcc, s8, v3
	s_mov_b64 s[8:9], 0
                                        ; implicit-def: $vgpr3
	s_and_saveexec_b64 s[10:11], vcc
	s_xor_b64 s[10:11], exec, s[10:11]
	s_cbranch_execz .LBB142_3069
; %bb.2844:
	v_bfe_u32 v3, v2, 20, 1
	s_mov_b32 s25, 0x487ffff
	v_add3_u32 v3, v2, v3, s25
	s_mov_b64 s[8:9], exec
	v_lshrrev_b32_e32 v3, 20, v3
	s_andn2_saveexec_b64 s[10:11], s[10:11]
	s_cbranch_execnz .LBB142_3070
.LBB142_2845:
	s_or_b64 exec, exec, s[10:11]
	v_mov_b32_e32 v7, 0
	s_and_saveexec_b64 s[10:11], s[8:9]
.LBB142_2846:
	v_lshrrev_b32_e32 v2, 24, v2
	s_movk_i32 s8, 0x80
	v_and_or_b32 v7, v2, s8, v3
.LBB142_2847:
	s_or_b64 exec, exec, s[10:11]
.LBB142_2848:
	s_or_b64 exec, exec, s[4:5]
	global_store_byte v[4:5], v7, off
.LBB142_2849:
	s_mov_b64 s[4:5], -1
.LBB142_2850:
	s_mov_b64 s[8:9], 0
.LBB142_2851:
	s_and_b64 vcc, exec, s[8:9]
	s_cbranch_vccz .LBB142_2891
; %bb.2852:
	s_cmp_gt_i32 s19, 22
	s_mov_b64 s[2:3], -1
	s_cbranch_scc0 .LBB142_2884
; %bb.2853:
	s_cmp_lt_i32 s19, 24
	s_cbranch_scc1 .LBB142_2873
; %bb.2854:
	s_cmp_gt_i32 s19, 24
	s_cbranch_scc0 .LBB142_2862
; %bb.2855:
	v_cvt_f32_f64_e32 v2, v[0:1]
	s_mov_b32 s2, 0x47800000
	v_mov_b32_e32 v7, 0x80
	v_and_b32_e32 v3, 0x7fffffff, v2
	v_cmp_gt_u32_e32 vcc, s2, v3
	s_and_saveexec_b64 s[2:3], vcc
	s_cbranch_execz .LBB142_2861
; %bb.2856:
	s_mov_b32 s4, 0x37ffffff
	v_cmp_lt_u32_e32 vcc, s4, v3
	s_mov_b64 s[4:5], 0
                                        ; implicit-def: $vgpr3
	s_and_saveexec_b64 s[8:9], vcc
	s_xor_b64 s[8:9], exec, s[8:9]
	s_cbranch_execz .LBB142_3072
; %bb.2857:
	v_bfe_u32 v3, v2, 21, 1
	s_mov_b32 s10, 0x88fffff
	v_add3_u32 v3, v2, v3, s10
	s_mov_b64 s[4:5], exec
	v_lshrrev_b32_e32 v3, 21, v3
	s_andn2_saveexec_b64 s[8:9], s[8:9]
	s_cbranch_execnz .LBB142_3073
.LBB142_2858:
	s_or_b64 exec, exec, s[8:9]
	v_mov_b32_e32 v7, 0
	s_and_saveexec_b64 s[8:9], s[4:5]
.LBB142_2859:
	v_lshrrev_b32_e32 v2, 24, v2
	s_movk_i32 s4, 0x80
	v_and_or_b32 v7, v2, s4, v3
.LBB142_2860:
	s_or_b64 exec, exec, s[8:9]
.LBB142_2861:
	s_or_b64 exec, exec, s[2:3]
	s_mov_b64 s[2:3], 0
	global_store_byte v[4:5], v7, off
.LBB142_2862:
	s_and_b64 vcc, exec, s[2:3]
	s_cbranch_vccz .LBB142_2872
; %bb.2863:
	v_cvt_f32_f64_e32 v2, v[0:1]
	s_mov_b32 s2, 0x43f00000
                                        ; implicit-def: $vgpr3
	v_and_b32_e32 v7, 0x7fffffff, v2
	v_cmp_gt_u32_e32 vcc, s2, v7
	s_and_saveexec_b64 s[2:3], vcc
	s_xor_b64 s[2:3], exec, s[2:3]
	s_cbranch_execz .LBB142_2869
; %bb.2864:
	s_mov_b32 s4, 0x3c7fffff
	v_cmp_lt_u32_e32 vcc, s4, v7
                                        ; implicit-def: $vgpr3
	s_and_saveexec_b64 s[4:5], vcc
	s_xor_b64 s[4:5], exec, s[4:5]
; %bb.2865:
	v_bfe_u32 v3, v2, 20, 1
	s_mov_b32 s8, 0x407ffff
	v_add3_u32 v3, v2, v3, s8
	v_lshrrev_b32_e32 v7, 20, v3
	v_and_b32_e32 v3, 0xff00000, v3
	s_mov_b32 s8, 0x7f00000
	v_mov_b32_e32 v8, 0x7e
	v_cmp_ne_u32_e32 vcc, s8, v3
	v_cndmask_b32_e32 v3, v8, v7, vcc
; %bb.2866:
	s_andn2_saveexec_b64 s[4:5], s[4:5]
; %bb.2867:
	s_mov_b32 s8, 0x46800000
	v_add_f32_e64 v3, |v2|, s8
; %bb.2868:
	s_or_b64 exec, exec, s[4:5]
                                        ; implicit-def: $vgpr7
.LBB142_2869:
	s_andn2_saveexec_b64 s[2:3], s[2:3]
; %bb.2870:
	s_mov_b32 s4, 0x7f800000
	v_mov_b32_e32 v3, 0x7e
	v_mov_b32_e32 v8, 0x7f
	v_cmp_lt_u32_e32 vcc, s4, v7
	v_cndmask_b32_e32 v3, v3, v8, vcc
; %bb.2871:
	s_or_b64 exec, exec, s[2:3]
	v_lshrrev_b32_e32 v2, 24, v2
	s_movk_i32 s2, 0x80
	v_and_or_b32 v2, v2, s2, v3
	global_store_byte v[4:5], v2, off
.LBB142_2872:
	s_mov_b64 s[2:3], 0
.LBB142_2873:
	s_andn2_b64 vcc, exec, s[2:3]
	s_cbranch_vccnz .LBB142_2883
; %bb.2874:
	v_cvt_f32_f64_e32 v2, v[0:1]
	s_mov_b32 s2, 0x47800000
                                        ; implicit-def: $vgpr3
	v_and_b32_e32 v7, 0x7fffffff, v2
	v_cmp_gt_u32_e32 vcc, s2, v7
	s_and_saveexec_b64 s[2:3], vcc
	s_xor_b64 s[2:3], exec, s[2:3]
	s_cbranch_execz .LBB142_2880
; %bb.2875:
	s_mov_b32 s4, 0x387fffff
	v_cmp_lt_u32_e32 vcc, s4, v7
                                        ; implicit-def: $vgpr3
	s_and_saveexec_b64 s[4:5], vcc
	s_xor_b64 s[4:5], exec, s[4:5]
; %bb.2876:
	v_bfe_u32 v3, v2, 21, 1
	s_mov_b32 s8, 0x80fffff
	v_add3_u32 v3, v2, v3, s8
	v_lshrrev_b32_e32 v3, 21, v3
; %bb.2877:
	s_andn2_saveexec_b64 s[4:5], s[4:5]
; %bb.2878:
	s_mov_b32 s8, 0x43000000
	v_add_f32_e64 v3, |v2|, s8
; %bb.2879:
	s_or_b64 exec, exec, s[4:5]
                                        ; implicit-def: $vgpr7
.LBB142_2880:
	s_andn2_saveexec_b64 s[2:3], s[2:3]
; %bb.2881:
	s_mov_b32 s4, 0x7f800000
	v_mov_b32_e32 v3, 0x7c
	v_mov_b32_e32 v8, 0x7f
	v_cmp_lt_u32_e32 vcc, s4, v7
	v_cndmask_b32_e32 v3, v3, v8, vcc
; %bb.2882:
	s_or_b64 exec, exec, s[2:3]
	v_lshrrev_b32_e32 v2, 24, v2
	s_movk_i32 s2, 0x80
	v_and_or_b32 v2, v2, s2, v3
	global_store_byte v[4:5], v2, off
.LBB142_2883:
	s_mov_b64 s[2:3], 0
	s_mov_b64 s[4:5], -1
.LBB142_2884:
	s_andn2_b64 vcc, exec, s[2:3]
	s_mov_b64 s[2:3], 0
	s_cbranch_vccnz .LBB142_2891
; %bb.2885:
	s_cmp_gt_i32 s19, 14
	s_mov_b64 s[8:9], -1
	s_cbranch_scc0 .LBB142_2889
; %bb.2886:
	s_cmp_eq_u32 s19, 15
	s_mov_b64 s[0:1], -1
	s_cbranch_scc0 .LBB142_2888
; %bb.2887:
	v_cvt_f32_f64_e32 v2, v[0:1]
	s_movk_i32 s0, 0x7fff
	v_mov_b32_e32 v3, 0x7fc0
	s_mov_b64 s[4:5], -1
	v_bfe_u32 v7, v2, 16, 1
	v_cmp_o_f32_e32 vcc, v2, v2
	v_add3_u32 v2, v2, v7, s0
	v_cndmask_b32_sdwa v2, v3, v2, vcc dst_sel:DWORD dst_unused:UNUSED_PAD src0_sel:DWORD src1_sel:WORD_1
	global_store_short v[4:5], v2, off
	s_mov_b64 s[0:1], 0
.LBB142_2888:
	s_mov_b64 s[8:9], 0
.LBB142_2889:
	s_and_b64 vcc, exec, s[8:9]
	s_cbranch_vccz .LBB142_2891
; %bb.2890:
	s_cmp_lg_u32 s19, 11
	s_mov_b64 s[2:3], -1
	s_cselect_b64 s[0:1], -1, 0
.LBB142_2891:
	s_and_b64 vcc, exec, s[0:1]
	s_cbranch_vccnz .LBB142_3071
; %bb.2892:
	s_andn2_b64 vcc, exec, s[2:3]
	s_cbranch_vccnz .LBB142_2894
.LBB142_2893:
	v_cmp_neq_f64_e32 vcc, 0, v[0:1]
	s_mov_b64 s[4:5], -1
	v_cndmask_b32_e64 v2, 0, 1, vcc
	global_store_byte v[4:5], v2, off
.LBB142_2894:
	s_mov_b64 s[0:1], 0
	s_branch .LBB142_2896
.LBB142_2895:
	s_mov_b64 s[0:1], -1
	s_mov_b64 s[4:5], 0
.LBB142_2896:
	s_and_b64 vcc, exec, s[0:1]
	s_cbranch_vccz .LBB142_2935
; %bb.2897:
	s_and_b32 s2, 0xffff, s24
	s_cmp_lt_i32 s2, 5
	s_mov_b64 s[0:1], -1
	s_cbranch_scc1 .LBB142_2918
; %bb.2898:
	s_cmp_lt_i32 s2, 8
	s_cbranch_scc1 .LBB142_2908
; %bb.2899:
	s_cmp_lt_i32 s2, 9
	s_cbranch_scc1 .LBB142_2905
; %bb.2900:
	s_cmp_gt_i32 s2, 9
	s_cbranch_scc0 .LBB142_2902
; %bb.2901:
	v_mov_b32_e32 v2, 0
	v_mov_b32_e32 v3, v2
	global_store_dwordx4 v[4:5], v[0:3], off
	s_mov_b64 s[0:1], 0
.LBB142_2902:
	s_andn2_b64 vcc, exec, s[0:1]
	s_cbranch_vccnz .LBB142_2904
; %bb.2903:
	v_cvt_f32_f64_e32 v2, v[0:1]
	v_mov_b32_e32 v3, 0
	global_store_dwordx2 v[4:5], v[2:3], off
.LBB142_2904:
	s_mov_b64 s[0:1], 0
.LBB142_2905:
	s_andn2_b64 vcc, exec, s[0:1]
	s_cbranch_vccnz .LBB142_2907
; %bb.2906:
	s_movk_i32 s0, 0x1ff
	v_and_or_b32 v2, v1, s0, v0
	v_cmp_ne_u32_e32 vcc, 0, v2
	v_cndmask_b32_e64 v2, 0, 1, vcc
	v_lshrrev_b32_e32 v3, 8, v1
	s_movk_i32 s0, 0xffe
	v_bfe_u32 v7, v1, 20, 11
	v_and_or_b32 v2, v3, s0, v2
	v_sub_u32_e32 v8, 0x3f1, v7
	v_or_b32_e32 v3, 0x1000, v2
	v_med3_i32 v8, v8, 0, 13
	v_lshrrev_b32_e32 v9, v8, v3
	v_lshlrev_b32_e32 v8, v8, v9
	v_cmp_ne_u32_e32 vcc, v8, v3
	v_cndmask_b32_e64 v3, 0, 1, vcc
	v_add_u32_e32 v7, 0xfffffc10, v7
	v_or_b32_e32 v3, v9, v3
	v_lshl_or_b32 v8, v7, 12, v2
	v_cmp_gt_i32_e32 vcc, 1, v7
	v_cndmask_b32_e32 v3, v8, v3, vcc
	v_and_b32_e32 v8, 7, v3
	v_cmp_lt_i32_e32 vcc, 5, v8
	v_cndmask_b32_e64 v9, 0, 1, vcc
	v_cmp_eq_u32_e32 vcc, 3, v8
	v_cndmask_b32_e64 v8, 0, 1, vcc
	v_or_b32_e32 v8, v8, v9
	v_lshrrev_b32_e32 v3, 2, v3
	v_add_u32_e32 v3, v3, v8
	v_mov_b32_e32 v8, 0x7c00
	v_cmp_gt_i32_e32 vcc, 31, v7
	v_cndmask_b32_e32 v3, v8, v3, vcc
	v_mov_b32_e32 v9, 0x7e00
	v_cmp_ne_u32_e32 vcc, 0, v2
	s_movk_i32 s0, 0x40f
	v_cndmask_b32_e32 v2, v8, v9, vcc
	v_cmp_eq_u32_e32 vcc, s0, v7
	v_cndmask_b32_e32 v2, v3, v2, vcc
	v_lshrrev_b32_e32 v3, 16, v1
	s_mov_b32 s0, 0x8000
	v_and_or_b32 v2, v3, s0, v2
	v_and_b32_e32 v2, 0xffff, v2
	global_store_dword v[4:5], v2, off
.LBB142_2907:
	s_mov_b64 s[0:1], 0
.LBB142_2908:
	s_andn2_b64 vcc, exec, s[0:1]
	s_cbranch_vccnz .LBB142_2917
; %bb.2909:
	s_cmp_lt_i32 s2, 6
	s_mov_b64 s[0:1], -1
	s_cbranch_scc1 .LBB142_2915
; %bb.2910:
	s_cmp_gt_i32 s2, 6
	s_cbranch_scc0 .LBB142_2912
; %bb.2911:
	global_store_dwordx2 v[4:5], v[0:1], off
	s_mov_b64 s[0:1], 0
.LBB142_2912:
	s_andn2_b64 vcc, exec, s[0:1]
	s_cbranch_vccnz .LBB142_2914
; %bb.2913:
	v_cvt_f32_f64_e32 v2, v[0:1]
	global_store_dword v[4:5], v2, off
.LBB142_2914:
	s_mov_b64 s[0:1], 0
.LBB142_2915:
	s_andn2_b64 vcc, exec, s[0:1]
	s_cbranch_vccnz .LBB142_2917
; %bb.2916:
	s_movk_i32 s0, 0x1ff
	v_and_or_b32 v2, v1, s0, v0
	v_cmp_ne_u32_e32 vcc, 0, v2
	v_cndmask_b32_e64 v2, 0, 1, vcc
	v_lshrrev_b32_e32 v3, 8, v1
	s_movk_i32 s0, 0xffe
	v_bfe_u32 v7, v1, 20, 11
	v_and_or_b32 v2, v3, s0, v2
	v_sub_u32_e32 v8, 0x3f1, v7
	v_or_b32_e32 v3, 0x1000, v2
	v_med3_i32 v8, v8, 0, 13
	v_lshrrev_b32_e32 v9, v8, v3
	v_lshlrev_b32_e32 v8, v8, v9
	v_cmp_ne_u32_e32 vcc, v8, v3
	v_cndmask_b32_e64 v3, 0, 1, vcc
	v_add_u32_e32 v7, 0xfffffc10, v7
	v_or_b32_e32 v3, v9, v3
	v_lshl_or_b32 v8, v7, 12, v2
	v_cmp_gt_i32_e32 vcc, 1, v7
	v_cndmask_b32_e32 v3, v8, v3, vcc
	v_and_b32_e32 v8, 7, v3
	v_cmp_lt_i32_e32 vcc, 5, v8
	v_cndmask_b32_e64 v9, 0, 1, vcc
	v_cmp_eq_u32_e32 vcc, 3, v8
	v_cndmask_b32_e64 v8, 0, 1, vcc
	v_or_b32_e32 v8, v8, v9
	v_lshrrev_b32_e32 v3, 2, v3
	v_add_u32_e32 v3, v3, v8
	v_mov_b32_e32 v8, 0x7c00
	v_cmp_gt_i32_e32 vcc, 31, v7
	v_cndmask_b32_e32 v3, v8, v3, vcc
	v_mov_b32_e32 v9, 0x7e00
	v_cmp_ne_u32_e32 vcc, 0, v2
	s_movk_i32 s0, 0x40f
	v_cndmask_b32_e32 v2, v8, v9, vcc
	v_cmp_eq_u32_e32 vcc, s0, v7
	v_cndmask_b32_e32 v2, v3, v2, vcc
	v_lshrrev_b32_e32 v3, 16, v1
	s_mov_b32 s0, 0x8000
	v_and_or_b32 v2, v3, s0, v2
	global_store_short v[4:5], v2, off
.LBB142_2917:
	s_mov_b64 s[0:1], 0
.LBB142_2918:
	s_andn2_b64 vcc, exec, s[0:1]
	s_cbranch_vccnz .LBB142_2934
; %bb.2919:
	s_cmp_lt_i32 s2, 2
	s_mov_b64 s[0:1], -1
	s_cbranch_scc1 .LBB142_2929
; %bb.2920:
	s_cmp_lt_i32 s2, 3
	s_cbranch_scc1 .LBB142_2926
; %bb.2921:
	s_cmp_gt_i32 s2, 3
	s_cbranch_scc0 .LBB142_2923
; %bb.2922:
	v_trunc_f64_e32 v[2:3], v[0:1]
	s_movk_i32 s0, 0xffe0
	v_ldexp_f64 v[7:8], v[2:3], s0
	s_mov_b32 s0, 0
	s_mov_b32 s1, 0xc1f00000
	v_floor_f64_e32 v[7:8], v[7:8]
	v_fma_f64 v[2:3], v[7:8], s[0:1], v[2:3]
	v_cvt_i32_f64_e32 v8, v[7:8]
	s_mov_b64 s[0:1], 0
	v_cvt_u32_f64_e32 v7, v[2:3]
	global_store_dwordx2 v[4:5], v[7:8], off
.LBB142_2923:
	s_andn2_b64 vcc, exec, s[0:1]
	s_cbranch_vccnz .LBB142_2925
; %bb.2924:
	v_cvt_i32_f64_e32 v2, v[0:1]
	global_store_dword v[4:5], v2, off
.LBB142_2925:
	s_mov_b64 s[0:1], 0
.LBB142_2926:
	s_andn2_b64 vcc, exec, s[0:1]
	s_cbranch_vccnz .LBB142_2928
; %bb.2927:
	v_cvt_i32_f64_e32 v2, v[0:1]
	global_store_short v[4:5], v2, off
.LBB142_2928:
	s_mov_b64 s[0:1], 0
.LBB142_2929:
	s_andn2_b64 vcc, exec, s[0:1]
	s_cbranch_vccnz .LBB142_2934
; %bb.2930:
	s_cmp_gt_i32 s2, 0
	s_mov_b64 s[0:1], -1
	s_cbranch_scc0 .LBB142_2932
; %bb.2931:
	v_cvt_i32_f64_e32 v2, v[0:1]
	s_mov_b64 s[0:1], 0
	global_store_byte v[4:5], v2, off
.LBB142_2932:
	s_andn2_b64 vcc, exec, s[0:1]
	s_cbranch_vccnz .LBB142_2934
; %bb.2933:
	v_trunc_f64_e32 v[0:1], v[0:1]
	s_movk_i32 s0, 0xffe0
	v_ldexp_f64 v[2:3], v[0:1], s0
	s_mov_b32 s0, 0
	s_mov_b32 s1, 0xc1f00000
	v_floor_f64_e32 v[2:3], v[2:3]
	v_fma_f64 v[0:1], v[2:3], s[0:1], v[0:1]
	v_cvt_u32_f64_e32 v0, v[0:1]
	global_store_byte v[4:5], v0, off
.LBB142_2934:
	s_mov_b64 s[4:5], -1
.LBB142_2935:
	s_andn2_b64 vcc, exec, s[4:5]
	s_cbranch_vccnz .LBB142_3012
; %bb.2936:
	v_cmp_nge_f64_e32 vcc, s[12:13], v[10:11]
	v_mov_b32_e32 v0, s15
	v_mov_b32_e32 v2, s14
	v_add_u32_e32 v3, s18, v6
	v_mov_b32_e32 v5, s17
	v_ashrrev_i32_e32 v6, 31, v3
	s_cmp_lt_i32 s24, 11
	v_cndmask_b32_e32 v1, v0, v15, vcc
	v_cndmask_b32_e32 v0, v2, v14, vcc
	v_add_co_u32_e32 v4, vcc, s16, v3
	v_addc_co_u32_e32 v5, vcc, v5, v6, vcc
	s_cbranch_scc1 .LBB142_3057
; %bb.2937:
	s_and_b32 s12, 0xffff, s24
	s_mov_b64 s[4:5], -1
	s_mov_b64 s[2:3], 0
	s_cmp_gt_i32 s12, 25
	s_mov_b64 s[0:1], 0
	s_cbranch_scc0 .LBB142_2970
; %bb.2938:
	s_cmp_gt_i32 s12, 28
	s_cbranch_scc0 .LBB142_2954
; %bb.2939:
	s_cmp_gt_i32 s12, 43
	;; [unrolled: 3-line block ×3, first 2 shown]
	s_cbranch_scc0 .LBB142_2944
; %bb.2941:
	s_cmp_eq_u32 s12, 46
	s_mov_b64 s[0:1], -1
	s_cbranch_scc0 .LBB142_2943
; %bb.2942:
	v_cvt_f32_f64_e32 v2, v[0:1]
	s_movk_i32 s0, 0x7fff
	v_mov_b32_e32 v3, 0x7fc0
	v_bfe_u32 v6, v2, 16, 1
	v_cmp_o_f32_e32 vcc, v2, v2
	v_add3_u32 v2, v2, v6, s0
	v_cndmask_b32_sdwa v2, v3, v2, vcc dst_sel:DWORD dst_unused:UNUSED_PAD src0_sel:DWORD src1_sel:WORD_1
	global_store_dword v[4:5], v2, off
	s_mov_b64 s[0:1], 0
.LBB142_2943:
	s_mov_b64 s[4:5], 0
.LBB142_2944:
	s_and_b64 vcc, exec, s[4:5]
	s_cbranch_vccz .LBB142_2949
; %bb.2945:
	s_cmp_eq_u32 s12, 44
	s_mov_b64 s[0:1], -1
	s_cbranch_scc0 .LBB142_2949
; %bb.2946:
	v_cvt_f32_f64_e32 v2, v[0:1]
	s_movk_i32 s0, 0xff
	v_mov_b32_e32 v6, 0xff
	v_bfe_u32 v3, v2, 23, 8
	v_cmp_ne_u32_e32 vcc, s0, v3
	s_and_saveexec_b64 s[4:5], vcc
; %bb.2947:
	s_mov_b32 s0, 0x3fffff
	v_lshrrev_b32_e32 v6, 23, v2
	v_and_b32_e32 v7, 0x400000, v2
	v_and_or_b32 v2, v2, s0, v3
	v_cmp_ne_u32_e32 vcc, 0, v7
	v_cmp_ne_u32_e64 s[0:1], 0, v2
	s_and_b64 s[0:1], vcc, s[0:1]
	v_cndmask_b32_e64 v2, 0, 1, s[0:1]
	v_add_u32_e32 v6, v6, v2
; %bb.2948:
	s_or_b64 exec, exec, s[4:5]
	s_mov_b64 s[0:1], 0
	global_store_byte v[4:5], v6, off
.LBB142_2949:
	s_mov_b64 s[4:5], 0
.LBB142_2950:
	s_and_b64 vcc, exec, s[4:5]
	s_cbranch_vccz .LBB142_2953
; %bb.2951:
	s_cmp_eq_u32 s12, 29
	s_mov_b64 s[0:1], -1
	s_cbranch_scc0 .LBB142_2953
; %bb.2952:
	v_trunc_f64_e32 v[2:3], v[0:1]
	s_movk_i32 s0, 0xffe0
	v_ldexp_f64 v[6:7], v[2:3], s0
	s_mov_b32 s0, 0
	s_mov_b32 s1, 0xc1f00000
	v_floor_f64_e32 v[6:7], v[6:7]
	v_fma_f64 v[2:3], v[6:7], s[0:1], v[2:3]
	v_cvt_u32_f64_e32 v7, v[6:7]
	s_mov_b64 s[0:1], 0
	v_cvt_u32_f64_e32 v6, v[2:3]
	global_store_dwordx2 v[4:5], v[6:7], off
.LBB142_2953:
	s_mov_b64 s[4:5], 0
.LBB142_2954:
	s_and_b64 vcc, exec, s[4:5]
	s_cbranch_vccz .LBB142_2969
; %bb.2955:
	s_cmp_lt_i32 s12, 27
	s_mov_b64 s[4:5], -1
	s_cbranch_scc1 .LBB142_2961
; %bb.2956:
	v_cvt_u32_f64_e32 v2, v[0:1]
	s_cmp_gt_i32 s12, 27
	s_cbranch_scc0 .LBB142_2958
; %bb.2957:
	global_store_dword v[4:5], v2, off
	s_mov_b64 s[4:5], 0
.LBB142_2958:
	s_andn2_b64 vcc, exec, s[4:5]
	s_cbranch_vccnz .LBB142_2960
; %bb.2959:
	global_store_short v[4:5], v2, off
.LBB142_2960:
	s_mov_b64 s[4:5], 0
.LBB142_2961:
	s_andn2_b64 vcc, exec, s[4:5]
	s_cbranch_vccnz .LBB142_2969
; %bb.2962:
	v_cvt_f32_f64_e32 v2, v[0:1]
	s_mov_b32 s4, 0x43800000
	v_mov_b32_e32 v6, 0x80
	v_and_b32_e32 v3, 0x7fffffff, v2
	v_cmp_gt_u32_e32 vcc, s4, v3
	s_and_saveexec_b64 s[4:5], vcc
	s_cbranch_execz .LBB142_2968
; %bb.2963:
	s_mov_b32 s8, 0x3bffffff
	v_cmp_lt_u32_e32 vcc, s8, v3
	s_mov_b64 s[8:9], 0
                                        ; implicit-def: $vgpr3
	s_and_saveexec_b64 s[10:11], vcc
	s_xor_b64 s[10:11], exec, s[10:11]
	s_cbranch_execz .LBB142_3074
; %bb.2964:
	v_bfe_u32 v3, v2, 20, 1
	s_mov_b32 s13, 0x487ffff
	v_add3_u32 v3, v2, v3, s13
	s_mov_b64 s[8:9], exec
	v_lshrrev_b32_e32 v3, 20, v3
	s_andn2_saveexec_b64 s[10:11], s[10:11]
	s_cbranch_execnz .LBB142_3075
.LBB142_2965:
	s_or_b64 exec, exec, s[10:11]
	v_mov_b32_e32 v6, 0
	s_and_saveexec_b64 s[10:11], s[8:9]
.LBB142_2966:
	v_lshrrev_b32_e32 v2, 24, v2
	s_movk_i32 s8, 0x80
	v_and_or_b32 v6, v2, s8, v3
.LBB142_2967:
	s_or_b64 exec, exec, s[10:11]
.LBB142_2968:
	s_or_b64 exec, exec, s[4:5]
	global_store_byte v[4:5], v6, off
.LBB142_2969:
	s_mov_b64 s[4:5], 0
.LBB142_2970:
	s_and_b64 vcc, exec, s[4:5]
	s_cbranch_vccz .LBB142_3010
; %bb.2971:
	s_cmp_gt_i32 s12, 22
	s_mov_b64 s[2:3], -1
	s_cbranch_scc0 .LBB142_3003
; %bb.2972:
	s_cmp_lt_i32 s12, 24
	s_cbranch_scc1 .LBB142_2992
; %bb.2973:
	s_cmp_gt_i32 s12, 24
	s_cbranch_scc0 .LBB142_2981
; %bb.2974:
	v_cvt_f32_f64_e32 v2, v[0:1]
	s_mov_b32 s2, 0x47800000
	v_mov_b32_e32 v6, 0x80
	v_and_b32_e32 v3, 0x7fffffff, v2
	v_cmp_gt_u32_e32 vcc, s2, v3
	s_and_saveexec_b64 s[2:3], vcc
	s_cbranch_execz .LBB142_2980
; %bb.2975:
	s_mov_b32 s4, 0x37ffffff
	v_cmp_lt_u32_e32 vcc, s4, v3
	s_mov_b64 s[4:5], 0
                                        ; implicit-def: $vgpr3
	s_and_saveexec_b64 s[8:9], vcc
	s_xor_b64 s[8:9], exec, s[8:9]
	s_cbranch_execz .LBB142_3077
; %bb.2976:
	v_bfe_u32 v3, v2, 21, 1
	s_mov_b32 s10, 0x88fffff
	v_add3_u32 v3, v2, v3, s10
	s_mov_b64 s[4:5], exec
	v_lshrrev_b32_e32 v3, 21, v3
	s_andn2_saveexec_b64 s[8:9], s[8:9]
	s_cbranch_execnz .LBB142_3078
.LBB142_2977:
	s_or_b64 exec, exec, s[8:9]
	v_mov_b32_e32 v6, 0
	s_and_saveexec_b64 s[8:9], s[4:5]
.LBB142_2978:
	v_lshrrev_b32_e32 v2, 24, v2
	s_movk_i32 s4, 0x80
	v_and_or_b32 v6, v2, s4, v3
.LBB142_2979:
	s_or_b64 exec, exec, s[8:9]
.LBB142_2980:
	s_or_b64 exec, exec, s[2:3]
	s_mov_b64 s[2:3], 0
	global_store_byte v[4:5], v6, off
.LBB142_2981:
	s_and_b64 vcc, exec, s[2:3]
	s_cbranch_vccz .LBB142_2991
; %bb.2982:
	v_cvt_f32_f64_e32 v2, v[0:1]
	s_mov_b32 s2, 0x43f00000
                                        ; implicit-def: $vgpr3
	v_and_b32_e32 v6, 0x7fffffff, v2
	v_cmp_gt_u32_e32 vcc, s2, v6
	s_and_saveexec_b64 s[2:3], vcc
	s_xor_b64 s[2:3], exec, s[2:3]
	s_cbranch_execz .LBB142_2988
; %bb.2983:
	s_mov_b32 s4, 0x3c7fffff
	v_cmp_lt_u32_e32 vcc, s4, v6
                                        ; implicit-def: $vgpr3
	s_and_saveexec_b64 s[4:5], vcc
	s_xor_b64 s[4:5], exec, s[4:5]
; %bb.2984:
	v_bfe_u32 v3, v2, 20, 1
	s_mov_b32 s8, 0x407ffff
	v_add3_u32 v3, v2, v3, s8
	v_lshrrev_b32_e32 v6, 20, v3
	v_and_b32_e32 v3, 0xff00000, v3
	s_mov_b32 s8, 0x7f00000
	v_mov_b32_e32 v7, 0x7e
	v_cmp_ne_u32_e32 vcc, s8, v3
	v_cndmask_b32_e32 v3, v7, v6, vcc
; %bb.2985:
	s_andn2_saveexec_b64 s[4:5], s[4:5]
; %bb.2986:
	s_mov_b32 s8, 0x46800000
	v_add_f32_e64 v3, |v2|, s8
; %bb.2987:
	s_or_b64 exec, exec, s[4:5]
                                        ; implicit-def: $vgpr6
.LBB142_2988:
	s_andn2_saveexec_b64 s[2:3], s[2:3]
; %bb.2989:
	s_mov_b32 s4, 0x7f800000
	v_mov_b32_e32 v3, 0x7e
	v_mov_b32_e32 v7, 0x7f
	v_cmp_lt_u32_e32 vcc, s4, v6
	v_cndmask_b32_e32 v3, v3, v7, vcc
; %bb.2990:
	s_or_b64 exec, exec, s[2:3]
	v_lshrrev_b32_e32 v2, 24, v2
	s_movk_i32 s2, 0x80
	v_and_or_b32 v2, v2, s2, v3
	global_store_byte v[4:5], v2, off
.LBB142_2991:
	s_mov_b64 s[2:3], 0
.LBB142_2992:
	s_andn2_b64 vcc, exec, s[2:3]
	s_cbranch_vccnz .LBB142_3002
; %bb.2993:
	v_cvt_f32_f64_e32 v2, v[0:1]
	s_mov_b32 s2, 0x47800000
                                        ; implicit-def: $vgpr3
	v_and_b32_e32 v6, 0x7fffffff, v2
	v_cmp_gt_u32_e32 vcc, s2, v6
	s_and_saveexec_b64 s[2:3], vcc
	s_xor_b64 s[2:3], exec, s[2:3]
	s_cbranch_execz .LBB142_2999
; %bb.2994:
	s_mov_b32 s4, 0x387fffff
	v_cmp_lt_u32_e32 vcc, s4, v6
                                        ; implicit-def: $vgpr3
	s_and_saveexec_b64 s[4:5], vcc
	s_xor_b64 s[4:5], exec, s[4:5]
; %bb.2995:
	v_bfe_u32 v3, v2, 21, 1
	s_mov_b32 s8, 0x80fffff
	v_add3_u32 v3, v2, v3, s8
	v_lshrrev_b32_e32 v3, 21, v3
; %bb.2996:
	s_andn2_saveexec_b64 s[4:5], s[4:5]
; %bb.2997:
	s_mov_b32 s8, 0x43000000
	v_add_f32_e64 v3, |v2|, s8
; %bb.2998:
	s_or_b64 exec, exec, s[4:5]
                                        ; implicit-def: $vgpr6
.LBB142_2999:
	s_andn2_saveexec_b64 s[2:3], s[2:3]
; %bb.3000:
	s_mov_b32 s4, 0x7f800000
	v_mov_b32_e32 v3, 0x7c
	v_mov_b32_e32 v7, 0x7f
	v_cmp_lt_u32_e32 vcc, s4, v6
	v_cndmask_b32_e32 v3, v3, v7, vcc
; %bb.3001:
	s_or_b64 exec, exec, s[2:3]
	v_lshrrev_b32_e32 v2, 24, v2
	s_movk_i32 s2, 0x80
	v_and_or_b32 v2, v2, s2, v3
	global_store_byte v[4:5], v2, off
.LBB142_3002:
	s_mov_b64 s[2:3], 0
.LBB142_3003:
	s_andn2_b64 vcc, exec, s[2:3]
	s_mov_b64 s[2:3], 0
	s_cbranch_vccnz .LBB142_3010
; %bb.3004:
	s_cmp_gt_i32 s12, 14
	s_mov_b64 s[4:5], -1
	s_cbranch_scc0 .LBB142_3008
; %bb.3005:
	s_cmp_eq_u32 s12, 15
	s_mov_b64 s[0:1], -1
	s_cbranch_scc0 .LBB142_3007
; %bb.3006:
	v_cvt_f32_f64_e32 v2, v[0:1]
	s_movk_i32 s0, 0x7fff
	v_mov_b32_e32 v3, 0x7fc0
	v_bfe_u32 v6, v2, 16, 1
	v_cmp_o_f32_e32 vcc, v2, v2
	v_add3_u32 v2, v2, v6, s0
	v_cndmask_b32_sdwa v2, v3, v2, vcc dst_sel:DWORD dst_unused:UNUSED_PAD src0_sel:DWORD src1_sel:WORD_1
	global_store_short v[4:5], v2, off
	s_mov_b64 s[0:1], 0
.LBB142_3007:
	s_mov_b64 s[4:5], 0
.LBB142_3008:
	s_and_b64 vcc, exec, s[4:5]
	s_cbranch_vccz .LBB142_3010
; %bb.3009:
	s_cmp_lg_u32 s12, 11
	s_mov_b64 s[2:3], -1
	s_cselect_b64 s[0:1], -1, 0
.LBB142_3010:
	s_and_b64 vcc, exec, s[0:1]
	s_cbranch_vccnz .LBB142_3076
.LBB142_3011:
	s_mov_b64 s[0:1], 0
	s_branch .LBB142_3013
.LBB142_3012:
	s_mov_b64 s[0:1], 0
	s_mov_b64 s[2:3], 0
                                        ; implicit-def: $sgpr24
                                        ; implicit-def: $vgpr4_vgpr5
                                        ; implicit-def: $vgpr0_vgpr1
.LBB142_3013:
	s_and_b64 s[4:5], s[2:3], exec
	s_andn2_b64 s[2:3], s[20:21], exec
	s_and_b64 s[8:9], s[22:23], exec
	s_and_b64 s[0:1], s[0:1], exec
	s_or_b64 s[20:21], s[2:3], s[8:9]
.LBB142_3014:
	s_or_b64 exec, exec, s[6:7]
	s_and_saveexec_b64 s[2:3], s[20:21]
	s_cbranch_execz .LBB142_3017
; %bb.3015:
	; divergent unreachable
	s_or_b64 exec, exec, s[2:3]
	s_and_saveexec_b64 s[2:3], s[4:5]
	s_xor_b64 s[2:3], exec, s[2:3]
	s_cbranch_execnz .LBB142_3018
.LBB142_3016:
	s_or_b64 exec, exec, s[2:3]
	s_and_saveexec_b64 s[2:3], s[0:1]
	s_cbranch_execnz .LBB142_3019
	s_branch .LBB142_3056
.LBB142_3017:
	s_or_b64 exec, exec, s[2:3]
	s_and_saveexec_b64 s[2:3], s[4:5]
	s_xor_b64 s[2:3], exec, s[2:3]
	s_cbranch_execz .LBB142_3016
.LBB142_3018:
	s_waitcnt vmcnt(0)
	v_cmp_neq_f64_e32 vcc, 0, v[0:1]
	v_cndmask_b32_e64 v2, 0, 1, vcc
	global_store_byte v[4:5], v2, off
	s_or_b64 exec, exec, s[2:3]
	s_and_saveexec_b64 s[2:3], s[0:1]
	s_cbranch_execz .LBB142_3056
.LBB142_3019:
	s_sext_i32_i16 s2, s24
	s_cmp_lt_i32 s2, 5
	s_mov_b64 s[0:1], -1
	s_cbranch_scc1 .LBB142_3040
; %bb.3020:
	s_cmp_lt_i32 s2, 8
	s_cbranch_scc1 .LBB142_3030
; %bb.3021:
	s_cmp_lt_i32 s2, 9
	s_cbranch_scc1 .LBB142_3027
; %bb.3022:
	s_cmp_gt_i32 s2, 9
	s_cbranch_scc0 .LBB142_3024
; %bb.3023:
	s_waitcnt vmcnt(0)
	v_mov_b32_e32 v2, 0
	v_mov_b32_e32 v3, v2
	global_store_dwordx4 v[4:5], v[0:3], off
	s_mov_b64 s[0:1], 0
.LBB142_3024:
	s_andn2_b64 vcc, exec, s[0:1]
	s_cbranch_vccnz .LBB142_3026
; %bb.3025:
	s_waitcnt vmcnt(0)
	v_cvt_f32_f64_e32 v2, v[0:1]
	v_mov_b32_e32 v3, 0
	global_store_dwordx2 v[4:5], v[2:3], off
.LBB142_3026:
	s_mov_b64 s[0:1], 0
.LBB142_3027:
	s_andn2_b64 vcc, exec, s[0:1]
	s_cbranch_vccnz .LBB142_3029
; %bb.3028:
	s_movk_i32 s0, 0x1ff
	s_waitcnt vmcnt(0)
	v_and_or_b32 v2, v1, s0, v0
	v_cmp_ne_u32_e32 vcc, 0, v2
	v_cndmask_b32_e64 v2, 0, 1, vcc
	v_lshrrev_b32_e32 v3, 8, v1
	s_movk_i32 s0, 0xffe
	v_bfe_u32 v6, v1, 20, 11
	v_and_or_b32 v2, v3, s0, v2
	v_sub_u32_e32 v7, 0x3f1, v6
	v_or_b32_e32 v3, 0x1000, v2
	v_med3_i32 v7, v7, 0, 13
	v_lshrrev_b32_e32 v8, v7, v3
	v_lshlrev_b32_e32 v7, v7, v8
	v_cmp_ne_u32_e32 vcc, v7, v3
	v_cndmask_b32_e64 v3, 0, 1, vcc
	v_add_u32_e32 v6, 0xfffffc10, v6
	v_or_b32_e32 v3, v8, v3
	v_lshl_or_b32 v7, v6, 12, v2
	v_cmp_gt_i32_e32 vcc, 1, v6
	v_cndmask_b32_e32 v3, v7, v3, vcc
	v_and_b32_e32 v7, 7, v3
	v_cmp_lt_i32_e32 vcc, 5, v7
	v_cndmask_b32_e64 v8, 0, 1, vcc
	v_cmp_eq_u32_e32 vcc, 3, v7
	v_cndmask_b32_e64 v7, 0, 1, vcc
	v_or_b32_e32 v7, v7, v8
	v_lshrrev_b32_e32 v3, 2, v3
	v_add_u32_e32 v3, v3, v7
	v_mov_b32_e32 v7, 0x7c00
	v_cmp_gt_i32_e32 vcc, 31, v6
	v_cndmask_b32_e32 v3, v7, v3, vcc
	v_mov_b32_e32 v8, 0x7e00
	v_cmp_ne_u32_e32 vcc, 0, v2
	s_movk_i32 s0, 0x40f
	v_cndmask_b32_e32 v2, v7, v8, vcc
	v_cmp_eq_u32_e32 vcc, s0, v6
	v_cndmask_b32_e32 v2, v3, v2, vcc
	v_lshrrev_b32_e32 v3, 16, v1
	s_mov_b32 s0, 0x8000
	v_and_or_b32 v2, v3, s0, v2
	v_and_b32_e32 v2, 0xffff, v2
	global_store_dword v[4:5], v2, off
.LBB142_3029:
	s_mov_b64 s[0:1], 0
.LBB142_3030:
	s_andn2_b64 vcc, exec, s[0:1]
	s_cbranch_vccnz .LBB142_3039
; %bb.3031:
	s_sext_i32_i16 s2, s24
	s_cmp_lt_i32 s2, 6
	s_mov_b64 s[0:1], -1
	s_cbranch_scc1 .LBB142_3037
; %bb.3032:
	s_cmp_gt_i32 s2, 6
	s_cbranch_scc0 .LBB142_3034
; %bb.3033:
	s_waitcnt vmcnt(0)
	global_store_dwordx2 v[4:5], v[0:1], off
	s_mov_b64 s[0:1], 0
.LBB142_3034:
	s_andn2_b64 vcc, exec, s[0:1]
	s_cbranch_vccnz .LBB142_3036
; %bb.3035:
	s_waitcnt vmcnt(0)
	v_cvt_f32_f64_e32 v2, v[0:1]
	global_store_dword v[4:5], v2, off
.LBB142_3036:
	s_mov_b64 s[0:1], 0
.LBB142_3037:
	s_andn2_b64 vcc, exec, s[0:1]
	s_cbranch_vccnz .LBB142_3039
; %bb.3038:
	s_movk_i32 s0, 0x1ff
	s_waitcnt vmcnt(0)
	v_and_or_b32 v2, v1, s0, v0
	v_cmp_ne_u32_e32 vcc, 0, v2
	v_cndmask_b32_e64 v2, 0, 1, vcc
	v_lshrrev_b32_e32 v3, 8, v1
	s_movk_i32 s0, 0xffe
	v_bfe_u32 v6, v1, 20, 11
	v_and_or_b32 v2, v3, s0, v2
	v_sub_u32_e32 v7, 0x3f1, v6
	v_or_b32_e32 v3, 0x1000, v2
	v_med3_i32 v7, v7, 0, 13
	v_lshrrev_b32_e32 v8, v7, v3
	v_lshlrev_b32_e32 v7, v7, v8
	v_cmp_ne_u32_e32 vcc, v7, v3
	v_cndmask_b32_e64 v3, 0, 1, vcc
	v_add_u32_e32 v6, 0xfffffc10, v6
	v_or_b32_e32 v3, v8, v3
	v_lshl_or_b32 v7, v6, 12, v2
	v_cmp_gt_i32_e32 vcc, 1, v6
	v_cndmask_b32_e32 v3, v7, v3, vcc
	v_and_b32_e32 v7, 7, v3
	v_cmp_lt_i32_e32 vcc, 5, v7
	v_cndmask_b32_e64 v8, 0, 1, vcc
	v_cmp_eq_u32_e32 vcc, 3, v7
	v_cndmask_b32_e64 v7, 0, 1, vcc
	v_or_b32_e32 v7, v7, v8
	v_lshrrev_b32_e32 v3, 2, v3
	v_add_u32_e32 v3, v3, v7
	v_mov_b32_e32 v7, 0x7c00
	v_cmp_gt_i32_e32 vcc, 31, v6
	v_cndmask_b32_e32 v3, v7, v3, vcc
	v_mov_b32_e32 v8, 0x7e00
	v_cmp_ne_u32_e32 vcc, 0, v2
	s_movk_i32 s0, 0x40f
	v_cndmask_b32_e32 v2, v7, v8, vcc
	v_cmp_eq_u32_e32 vcc, s0, v6
	v_cndmask_b32_e32 v2, v3, v2, vcc
	v_lshrrev_b32_e32 v3, 16, v1
	s_mov_b32 s0, 0x8000
	v_and_or_b32 v2, v3, s0, v2
	global_store_short v[4:5], v2, off
.LBB142_3039:
	s_mov_b64 s[0:1], 0
.LBB142_3040:
	s_andn2_b64 vcc, exec, s[0:1]
	s_cbranch_vccnz .LBB142_3056
; %bb.3041:
	s_sext_i32_i16 s2, s24
	s_cmp_lt_i32 s2, 2
	s_mov_b64 s[0:1], -1
	s_cbranch_scc1 .LBB142_3051
; %bb.3042:
	s_cmp_lt_i32 s2, 3
	s_cbranch_scc1 .LBB142_3048
; %bb.3043:
	s_cmp_gt_i32 s2, 3
	s_cbranch_scc0 .LBB142_3045
; %bb.3044:
	s_waitcnt vmcnt(0)
	v_trunc_f64_e32 v[2:3], v[0:1]
	s_movk_i32 s0, 0xffe0
	v_ldexp_f64 v[6:7], v[2:3], s0
	s_mov_b32 s0, 0
	s_mov_b32 s1, 0xc1f00000
	v_floor_f64_e32 v[6:7], v[6:7]
	v_fma_f64 v[2:3], v[6:7], s[0:1], v[2:3]
	v_cvt_i32_f64_e32 v7, v[6:7]
	s_mov_b64 s[0:1], 0
	v_cvt_u32_f64_e32 v6, v[2:3]
	global_store_dwordx2 v[4:5], v[6:7], off
.LBB142_3045:
	s_andn2_b64 vcc, exec, s[0:1]
	s_cbranch_vccnz .LBB142_3047
; %bb.3046:
	s_waitcnt vmcnt(0)
	v_cvt_i32_f64_e32 v2, v[0:1]
	global_store_dword v[4:5], v2, off
.LBB142_3047:
	s_mov_b64 s[0:1], 0
.LBB142_3048:
	s_andn2_b64 vcc, exec, s[0:1]
	s_cbranch_vccnz .LBB142_3050
; %bb.3049:
	s_waitcnt vmcnt(0)
	v_cvt_i32_f64_e32 v2, v[0:1]
	global_store_short v[4:5], v2, off
.LBB142_3050:
	s_mov_b64 s[0:1], 0
.LBB142_3051:
	s_andn2_b64 vcc, exec, s[0:1]
	s_cbranch_vccnz .LBB142_3056
; %bb.3052:
	s_sext_i32_i16 s0, s24
	s_cmp_gt_i32 s0, 0
	s_mov_b64 s[0:1], -1
	s_cbranch_scc0 .LBB142_3054
; %bb.3053:
	s_waitcnt vmcnt(0)
	v_cvt_i32_f64_e32 v2, v[0:1]
	s_mov_b64 s[0:1], 0
	global_store_byte v[4:5], v2, off
.LBB142_3054:
	s_andn2_b64 vcc, exec, s[0:1]
	s_cbranch_vccnz .LBB142_3056
; %bb.3055:
	s_waitcnt vmcnt(0)
	v_trunc_f64_e32 v[0:1], v[0:1]
	s_movk_i32 s0, 0xffe0
	v_ldexp_f64 v[2:3], v[0:1], s0
	s_mov_b32 s0, 0
	s_mov_b32 s1, 0xc1f00000
	v_floor_f64_e32 v[2:3], v[2:3]
	v_fma_f64 v[0:1], v[2:3], s[0:1], v[0:1]
	v_cvt_u32_f64_e32 v0, v[0:1]
	global_store_byte v[4:5], v0, off
	s_endpgm
.LBB142_3056:
	s_endpgm
.LBB142_3057:
	s_mov_b64 s[2:3], 0
	s_mov_b64 s[0:1], -1
	s_branch .LBB142_3013
.LBB142_3058:
	s_trap 2
	s_or_b64 s[22:23], s[22:23], exec
	s_cbranch_execz .LBB142_2527
	s_branch .LBB142_2528
.LBB142_3059:
	s_andn2_saveexec_b64 s[18:19], s[18:19]
	s_cbranch_execz .LBB142_2607
.LBB142_3060:
	s_mov_b32 s25, 0x46000000
	v_add_f32_e64 v3, |v2|, s25
	v_and_b32_e32 v3, 0xff, v3
	v_cmp_ne_u32_e32 vcc, 0, v3
	s_andn2_b64 s[10:11], s[10:11], exec
	s_and_b64 s[26:27], vcc, exec
	s_or_b64 s[10:11], s[10:11], s[26:27]
	s_or_b64 exec, exec, s[18:19]
	v_mov_b32_e32 v19, 0
	s_and_saveexec_b64 s[18:19], s[10:11]
	s_cbranch_execnz .LBB142_2608
	s_branch .LBB142_2609
.LBB142_3061:
	s_trap 2
	s_or_b64 s[22:23], s[22:23], exec
	s_cbranch_execz .LBB142_2655
	s_branch .LBB142_2656
.LBB142_3062:
	s_andn2_saveexec_b64 s[10:11], s[10:11]
	s_cbranch_execz .LBB142_2620
.LBB142_3063:
	s_mov_b32 s18, 0x42800000
	v_add_f32_e64 v3, |v2|, s18
	v_and_b32_e32 v3, 0xff, v3
	v_cmp_ne_u32_e32 vcc, 0, v3
	s_andn2_b64 s[4:5], s[4:5], exec
	s_and_b64 s[18:19], vcc, exec
	s_or_b64 s[4:5], s[4:5], s[18:19]
	s_or_b64 exec, exec, s[10:11]
	v_mov_b32_e32 v19, 0
	s_and_saveexec_b64 s[10:11], s[4:5]
	s_cbranch_execnz .LBB142_2621
	s_branch .LBB142_2622
.LBB142_3064:
	s_andn2_saveexec_b64 s[10:11], s[10:11]
	s_cbranch_execz .LBB142_2726
.LBB142_3065:
	s_mov_b32 s25, 0x46000000
	v_add_f32_e64 v3, |v2|, s25
	v_and_b32_e32 v3, 0xff, v3
	v_cmp_ne_u32_e32 vcc, 0, v3
	s_andn2_b64 s[8:9], s[8:9], exec
	s_and_b64 s[26:27], vcc, exec
	s_or_b64 s[8:9], s[8:9], s[26:27]
	s_or_b64 exec, exec, s[10:11]
	v_mov_b32_e32 v8, 0
	s_and_saveexec_b64 s[10:11], s[8:9]
	s_cbranch_execnz .LBB142_2727
	s_branch .LBB142_2728
.LBB142_3066:
	s_trap 2
	s_or_b64 s[22:23], s[22:23], exec
	s_cbranch_execz .LBB142_2774
	s_branch .LBB142_2775
.LBB142_3067:
	s_andn2_saveexec_b64 s[8:9], s[8:9]
	s_cbranch_execz .LBB142_2739
.LBB142_3068:
	s_mov_b32 s10, 0x42800000
	v_add_f32_e64 v3, |v2|, s10
	v_and_b32_e32 v3, 0xff, v3
	v_cmp_ne_u32_e32 vcc, 0, v3
	s_andn2_b64 s[4:5], s[4:5], exec
	s_and_b64 s[10:11], vcc, exec
	s_or_b64 s[4:5], s[4:5], s[10:11]
	s_or_b64 exec, exec, s[8:9]
	v_mov_b32_e32 v8, 0
	s_and_saveexec_b64 s[8:9], s[4:5]
	s_cbranch_execnz .LBB142_2740
	s_branch .LBB142_2741
.LBB142_3069:
	s_andn2_saveexec_b64 s[10:11], s[10:11]
	s_cbranch_execz .LBB142_2845
.LBB142_3070:
	s_mov_b32 s25, 0x46000000
	v_add_f32_e64 v3, |v2|, s25
	v_and_b32_e32 v3, 0xff, v3
	v_cmp_ne_u32_e32 vcc, 0, v3
	s_andn2_b64 s[8:9], s[8:9], exec
	s_and_b64 s[26:27], vcc, exec
	s_or_b64 s[8:9], s[8:9], s[26:27]
	s_or_b64 exec, exec, s[10:11]
	v_mov_b32_e32 v7, 0
	s_and_saveexec_b64 s[10:11], s[8:9]
	s_cbranch_execnz .LBB142_2846
	s_branch .LBB142_2847
.LBB142_3071:
	s_trap 2
	s_or_b64 s[22:23], s[22:23], exec
	s_cbranch_execz .LBB142_2893
	s_branch .LBB142_2894
.LBB142_3072:
	s_andn2_saveexec_b64 s[8:9], s[8:9]
	s_cbranch_execz .LBB142_2858
.LBB142_3073:
	s_mov_b32 s10, 0x42800000
	v_add_f32_e64 v3, |v2|, s10
	v_and_b32_e32 v3, 0xff, v3
	v_cmp_ne_u32_e32 vcc, 0, v3
	s_andn2_b64 s[4:5], s[4:5], exec
	s_and_b64 s[10:11], vcc, exec
	s_or_b64 s[4:5], s[4:5], s[10:11]
	s_or_b64 exec, exec, s[8:9]
	v_mov_b32_e32 v7, 0
	s_and_saveexec_b64 s[8:9], s[4:5]
	s_cbranch_execnz .LBB142_2859
	s_branch .LBB142_2860
.LBB142_3074:
	s_andn2_saveexec_b64 s[10:11], s[10:11]
	s_cbranch_execz .LBB142_2965
.LBB142_3075:
	s_mov_b32 s13, 0x46000000
	v_add_f32_e64 v3, |v2|, s13
	v_and_b32_e32 v3, 0xff, v3
	v_cmp_ne_u32_e32 vcc, 0, v3
	s_andn2_b64 s[8:9], s[8:9], exec
	s_and_b64 s[14:15], vcc, exec
	s_or_b64 s[8:9], s[8:9], s[14:15]
	s_or_b64 exec, exec, s[10:11]
	v_mov_b32_e32 v6, 0
	s_and_saveexec_b64 s[10:11], s[8:9]
	s_cbranch_execnz .LBB142_2966
	s_branch .LBB142_2967
.LBB142_3076:
	s_mov_b64 s[2:3], 0
	s_or_b64 s[22:23], s[22:23], exec
	s_trap 2
	s_branch .LBB142_3011
.LBB142_3077:
	s_andn2_saveexec_b64 s[8:9], s[8:9]
	s_cbranch_execz .LBB142_2977
.LBB142_3078:
	s_mov_b32 s10, 0x42800000
	v_add_f32_e64 v3, |v2|, s10
	v_and_b32_e32 v3, 0xff, v3
	v_cmp_ne_u32_e32 vcc, 0, v3
	s_andn2_b64 s[4:5], s[4:5], exec
	s_and_b64 s[10:11], vcc, exec
	s_or_b64 s[4:5], s[4:5], s[10:11]
	s_or_b64 exec, exec, s[8:9]
	v_mov_b32_e32 v6, 0
	s_and_saveexec_b64 s[8:9], s[4:5]
	s_cbranch_execnz .LBB142_2978
	s_branch .LBB142_2979
	.section	.rodata,"a",@progbits
	.p2align	6, 0x0
	.amdhsa_kernel _ZN2at6native32elementwise_kernel_manual_unrollILi128ELi4EZNS0_15gpu_kernel_implINS0_13BinaryFunctorIdddZNS0_12_GLOBAL__N_121threshold_kernel_implIdEEvRNS_18TensorIteratorBaseET_S8_EUlddE_EEEEvS7_RKS8_EUlibE_EEviT1_
		.amdhsa_group_segment_fixed_size 0
		.amdhsa_private_segment_fixed_size 0
		.amdhsa_kernarg_size 72
		.amdhsa_user_sgpr_count 6
		.amdhsa_user_sgpr_private_segment_buffer 1
		.amdhsa_user_sgpr_dispatch_ptr 0
		.amdhsa_user_sgpr_queue_ptr 0
		.amdhsa_user_sgpr_kernarg_segment_ptr 1
		.amdhsa_user_sgpr_dispatch_id 0
		.amdhsa_user_sgpr_flat_scratch_init 0
		.amdhsa_user_sgpr_private_segment_size 0
		.amdhsa_uses_dynamic_stack 0
		.amdhsa_system_sgpr_private_segment_wavefront_offset 0
		.amdhsa_system_sgpr_workgroup_id_x 1
		.amdhsa_system_sgpr_workgroup_id_y 0
		.amdhsa_system_sgpr_workgroup_id_z 0
		.amdhsa_system_sgpr_workgroup_info 0
		.amdhsa_system_vgpr_workitem_id 0
		.amdhsa_next_free_vgpr 23
		.amdhsa_next_free_sgpr 60
		.amdhsa_reserve_vcc 1
		.amdhsa_reserve_flat_scratch 0
		.amdhsa_float_round_mode_32 0
		.amdhsa_float_round_mode_16_64 0
		.amdhsa_float_denorm_mode_32 3
		.amdhsa_float_denorm_mode_16_64 3
		.amdhsa_dx10_clamp 1
		.amdhsa_ieee_mode 1
		.amdhsa_fp16_overflow 0
		.amdhsa_exception_fp_ieee_invalid_op 0
		.amdhsa_exception_fp_denorm_src 0
		.amdhsa_exception_fp_ieee_div_zero 0
		.amdhsa_exception_fp_ieee_overflow 0
		.amdhsa_exception_fp_ieee_underflow 0
		.amdhsa_exception_fp_ieee_inexact 0
		.amdhsa_exception_int_div_zero 0
	.end_amdhsa_kernel
	.section	.text._ZN2at6native32elementwise_kernel_manual_unrollILi128ELi4EZNS0_15gpu_kernel_implINS0_13BinaryFunctorIdddZNS0_12_GLOBAL__N_121threshold_kernel_implIdEEvRNS_18TensorIteratorBaseET_S8_EUlddE_EEEEvS7_RKS8_EUlibE_EEviT1_,"axG",@progbits,_ZN2at6native32elementwise_kernel_manual_unrollILi128ELi4EZNS0_15gpu_kernel_implINS0_13BinaryFunctorIdddZNS0_12_GLOBAL__N_121threshold_kernel_implIdEEvRNS_18TensorIteratorBaseET_S8_EUlddE_EEEEvS7_RKS8_EUlibE_EEviT1_,comdat
.Lfunc_end142:
	.size	_ZN2at6native32elementwise_kernel_manual_unrollILi128ELi4EZNS0_15gpu_kernel_implINS0_13BinaryFunctorIdddZNS0_12_GLOBAL__N_121threshold_kernel_implIdEEvRNS_18TensorIteratorBaseET_S8_EUlddE_EEEEvS7_RKS8_EUlibE_EEviT1_, .Lfunc_end142-_ZN2at6native32elementwise_kernel_manual_unrollILi128ELi4EZNS0_15gpu_kernel_implINS0_13BinaryFunctorIdddZNS0_12_GLOBAL__N_121threshold_kernel_implIdEEvRNS_18TensorIteratorBaseET_S8_EUlddE_EEEEvS7_RKS8_EUlibE_EEviT1_
                                        ; -- End function
	.set _ZN2at6native32elementwise_kernel_manual_unrollILi128ELi4EZNS0_15gpu_kernel_implINS0_13BinaryFunctorIdddZNS0_12_GLOBAL__N_121threshold_kernel_implIdEEvRNS_18TensorIteratorBaseET_S8_EUlddE_EEEEvS7_RKS8_EUlibE_EEviT1_.num_vgpr, 23
	.set _ZN2at6native32elementwise_kernel_manual_unrollILi128ELi4EZNS0_15gpu_kernel_implINS0_13BinaryFunctorIdddZNS0_12_GLOBAL__N_121threshold_kernel_implIdEEvRNS_18TensorIteratorBaseET_S8_EUlddE_EEEEvS7_RKS8_EUlibE_EEviT1_.num_agpr, 0
	.set _ZN2at6native32elementwise_kernel_manual_unrollILi128ELi4EZNS0_15gpu_kernel_implINS0_13BinaryFunctorIdddZNS0_12_GLOBAL__N_121threshold_kernel_implIdEEvRNS_18TensorIteratorBaseET_S8_EUlddE_EEEEvS7_RKS8_EUlibE_EEviT1_.numbered_sgpr, 60
	.set _ZN2at6native32elementwise_kernel_manual_unrollILi128ELi4EZNS0_15gpu_kernel_implINS0_13BinaryFunctorIdddZNS0_12_GLOBAL__N_121threshold_kernel_implIdEEvRNS_18TensorIteratorBaseET_S8_EUlddE_EEEEvS7_RKS8_EUlibE_EEviT1_.num_named_barrier, 0
	.set _ZN2at6native32elementwise_kernel_manual_unrollILi128ELi4EZNS0_15gpu_kernel_implINS0_13BinaryFunctorIdddZNS0_12_GLOBAL__N_121threshold_kernel_implIdEEvRNS_18TensorIteratorBaseET_S8_EUlddE_EEEEvS7_RKS8_EUlibE_EEviT1_.private_seg_size, 0
	.set _ZN2at6native32elementwise_kernel_manual_unrollILi128ELi4EZNS0_15gpu_kernel_implINS0_13BinaryFunctorIdddZNS0_12_GLOBAL__N_121threshold_kernel_implIdEEvRNS_18TensorIteratorBaseET_S8_EUlddE_EEEEvS7_RKS8_EUlibE_EEviT1_.uses_vcc, 1
	.set _ZN2at6native32elementwise_kernel_manual_unrollILi128ELi4EZNS0_15gpu_kernel_implINS0_13BinaryFunctorIdddZNS0_12_GLOBAL__N_121threshold_kernel_implIdEEvRNS_18TensorIteratorBaseET_S8_EUlddE_EEEEvS7_RKS8_EUlibE_EEviT1_.uses_flat_scratch, 0
	.set _ZN2at6native32elementwise_kernel_manual_unrollILi128ELi4EZNS0_15gpu_kernel_implINS0_13BinaryFunctorIdddZNS0_12_GLOBAL__N_121threshold_kernel_implIdEEvRNS_18TensorIteratorBaseET_S8_EUlddE_EEEEvS7_RKS8_EUlibE_EEviT1_.has_dyn_sized_stack, 0
	.set _ZN2at6native32elementwise_kernel_manual_unrollILi128ELi4EZNS0_15gpu_kernel_implINS0_13BinaryFunctorIdddZNS0_12_GLOBAL__N_121threshold_kernel_implIdEEvRNS_18TensorIteratorBaseET_S8_EUlddE_EEEEvS7_RKS8_EUlibE_EEviT1_.has_recursion, 0
	.set _ZN2at6native32elementwise_kernel_manual_unrollILi128ELi4EZNS0_15gpu_kernel_implINS0_13BinaryFunctorIdddZNS0_12_GLOBAL__N_121threshold_kernel_implIdEEvRNS_18TensorIteratorBaseET_S8_EUlddE_EEEEvS7_RKS8_EUlibE_EEviT1_.has_indirect_call, 0
	.section	.AMDGPU.csdata,"",@progbits
; Kernel info:
; codeLenInByte = 51004
; TotalNumSgprs: 64
; NumVgprs: 23
; ScratchSize: 0
; MemoryBound: 1
; FloatMode: 240
; IeeeMode: 1
; LDSByteSize: 0 bytes/workgroup (compile time only)
; SGPRBlocks: 7
; VGPRBlocks: 5
; NumSGPRsForWavesPerEU: 64
; NumVGPRsForWavesPerEU: 23
; Occupancy: 10
; WaveLimiterHint : 0
; COMPUTE_PGM_RSRC2:SCRATCH_EN: 0
; COMPUTE_PGM_RSRC2:USER_SGPR: 6
; COMPUTE_PGM_RSRC2:TRAP_HANDLER: 0
; COMPUTE_PGM_RSRC2:TGID_X_EN: 1
; COMPUTE_PGM_RSRC2:TGID_Y_EN: 0
; COMPUTE_PGM_RSRC2:TGID_Z_EN: 0
; COMPUTE_PGM_RSRC2:TIDIG_COMP_CNT: 0
	.section	.text._ZN2at6native32elementwise_kernel_manual_unrollILi128ELi4EZNS0_15gpu_kernel_implINS0_13BinaryFunctorIdddZNS0_12_GLOBAL__N_121threshold_kernel_implIdEEvRNS_18TensorIteratorBaseET_S8_EUlddE_EEEEvS7_RKS8_EUlibE0_EEviT1_,"axG",@progbits,_ZN2at6native32elementwise_kernel_manual_unrollILi128ELi4EZNS0_15gpu_kernel_implINS0_13BinaryFunctorIdddZNS0_12_GLOBAL__N_121threshold_kernel_implIdEEvRNS_18TensorIteratorBaseET_S8_EUlddE_EEEEvS7_RKS8_EUlibE0_EEviT1_,comdat
	.globl	_ZN2at6native32elementwise_kernel_manual_unrollILi128ELi4EZNS0_15gpu_kernel_implINS0_13BinaryFunctorIdddZNS0_12_GLOBAL__N_121threshold_kernel_implIdEEvRNS_18TensorIteratorBaseET_S8_EUlddE_EEEEvS7_RKS8_EUlibE0_EEviT1_ ; -- Begin function _ZN2at6native32elementwise_kernel_manual_unrollILi128ELi4EZNS0_15gpu_kernel_implINS0_13BinaryFunctorIdddZNS0_12_GLOBAL__N_121threshold_kernel_implIdEEvRNS_18TensorIteratorBaseET_S8_EUlddE_EEEEvS7_RKS8_EUlibE0_EEviT1_
	.p2align	8
	.type	_ZN2at6native32elementwise_kernel_manual_unrollILi128ELi4EZNS0_15gpu_kernel_implINS0_13BinaryFunctorIdddZNS0_12_GLOBAL__N_121threshold_kernel_implIdEEvRNS_18TensorIteratorBaseET_S8_EUlddE_EEEEvS7_RKS8_EUlibE0_EEviT1_,@function
_ZN2at6native32elementwise_kernel_manual_unrollILi128ELi4EZNS0_15gpu_kernel_implINS0_13BinaryFunctorIdddZNS0_12_GLOBAL__N_121threshold_kernel_implIdEEvRNS_18TensorIteratorBaseET_S8_EUlddE_EEEEvS7_RKS8_EUlibE0_EEviT1_: ; @_ZN2at6native32elementwise_kernel_manual_unrollILi128ELi4EZNS0_15gpu_kernel_implINS0_13BinaryFunctorIdddZNS0_12_GLOBAL__N_121threshold_kernel_implIdEEvRNS_18TensorIteratorBaseET_S8_EUlddE_EEEEvS7_RKS8_EUlibE0_EEviT1_
; %bb.0:
	s_load_dword s70, s[4:5], 0x0
	s_load_dword s33, s[4:5], 0x8
	s_add_u32 s2, s4, 8
	s_addc_u32 s3, s5, 0
	v_lshl_or_b32 v7, s6, 9, v0
	v_or_b32_e32 v20, 0x180, v7
	s_waitcnt lgkmcnt(0)
	s_add_i32 s72, s33, -1
	s_cmp_gt_u32 s72, 1
	v_cmp_le_i32_e32 vcc, s70, v20
	s_cselect_b64 s[24:25], -1, 0
	s_mov_b64 s[6:7], 0
	s_mov_b64 s[12:13], 0
	s_and_saveexec_b64 s[0:1], vcc
	s_xor_b64 s[26:27], exec, s[0:1]
	s_cbranch_execz .LBB143_1589
; %bb.1:
	s_load_dwordx8 s[8:15], s[2:3], 0x188
	s_cmp_lg_u32 s33, 0
	s_load_dwordx4 s[16:19], s[2:3], 0x4
	s_load_dwordx2 s[30:31], s[2:3], 0x14
	s_load_dwordx2 s[28:29], s[2:3], 0x1a8
	s_load_dword s73, s[2:3], 0x1b0
	s_load_dwordx4 s[20:23], s[2:3], 0xc4
	s_load_dwordx2 s[34:35], s[2:3], 0xd4
	s_cselect_b64 s[38:39], -1, 0
	s_min_u32 s76, s72, 15
	s_cmp_gt_u32 s33, 1
	s_cselect_b64 s[36:37], -1, 0
	s_waitcnt lgkmcnt(0)
	s_lshr_b32 s75, s73, 8
	s_lshr_b32 s74, s73, 16
	v_cmp_gt_i32_e32 vcc, s70, v7
	s_mov_b64 s[0:1], -1
	s_mov_b64 s[50:51], 0
	s_mov_b64 s[44:45], 0
	;; [unrolled: 1-line block ×4, first 2 shown]
	s_and_saveexec_b64 s[46:47], vcc
	s_cbranch_execz .LBB143_394
; %bb.2:
	s_andn2_b64 vcc, exec, s[24:25]
	s_cbranch_vccnz .LBB143_8
; %bb.3:
	s_andn2_b64 vcc, exec, s[38:39]
	s_cbranch_vccnz .LBB143_9
; %bb.4:
	s_add_i32 s0, s76, 1
	s_and_b32 s40, s0, 30
	s_add_u32 s0, s2, 0xffffffe8
	s_addc_u32 s1, s3, -1
	v_mov_b32_e32 v4, 0
	v_mov_b32_e32 v0, 0
	;; [unrolled: 1-line block ×4, first 2 shown]
.LBB143_5:                              ; =>This Inner Loop Header: Depth=1
	s_load_dwordx4 s[52:55], s[0:1], 0x1c
	s_load_dwordx2 s[42:43], s[0:1], 0x2c
	s_load_dwordx2 s[44:45], s[0:1], 0xec
	s_load_dwordx4 s[56:59], s[0:1], 0xdc
	s_add_u32 s0, s0, 24
	s_waitcnt lgkmcnt(0)
	v_mul_hi_u32 v3, s53, v1
	s_addc_u32 s1, s1, 0
	s_add_i32 s40, s40, -2
	s_cmp_lg_u32 s40, 0
	v_add_u32_e32 v3, v1, v3
	v_lshrrev_b32_e32 v3, s54, v3
	v_mul_lo_u32 v5, v3, s52
	v_mul_hi_u32 v6, s42, v3
	v_sub_u32_e32 v5, v1, v5
	v_add_u32_e32 v1, v3, v6
	v_lshrrev_b32_e32 v1, s43, v1
	v_mul_lo_u32 v9, v1, s55
	v_mul_lo_u32 v6, v5, s56
	;; [unrolled: 1-line block ×4, first 2 shown]
	v_sub_u32_e32 v3, v3, v9
	v_mul_lo_u32 v9, v3, s59
	v_mul_lo_u32 v10, v3, s44
	;; [unrolled: 1-line block ×3, first 2 shown]
	v_add3_u32 v2, v6, v2, v9
	v_add3_u32 v0, v8, v0, v10
	;; [unrolled: 1-line block ×3, first 2 shown]
	s_cbranch_scc1 .LBB143_5
; %bb.6:
	s_bitcmp1_b32 s76, 0
	s_cselect_b64 s[40:41], -1, 0
	s_and_b64 vcc, exec, s[40:41]
	s_cbranch_vccnz .LBB143_10
; %bb.7:
	s_load_dwordx2 s[40:41], s[0:1], 0x1c
	s_load_dword s44, s[0:1], 0x24
	s_load_dwordx2 s[42:43], s[0:1], 0xdc
	s_waitcnt lgkmcnt(0)
	v_mul_hi_u32 v3, s41, v1
	v_add_u32_e32 v3, v1, v3
	v_lshrrev_b32_e32 v3, s44, v3
	v_mul_lo_u32 v3, v3, s40
	s_load_dword s40, s[0:1], 0xe4
	v_sub_u32_e32 v5, v1, v3
	v_mad_u64_u32 v[2:3], s[0:1], v5, s42, v[2:3]
	v_mad_u64_u32 v[0:1], s[0:1], v5, s43, v[0:1]
	s_waitcnt lgkmcnt(0)
	v_mad_u64_u32 v[4:5], s[0:1], v5, s40, v[4:5]
	s_cbranch_execz .LBB143_11
	s_branch .LBB143_13
.LBB143_8:
                                        ; implicit-def: $vgpr2
                                        ; implicit-def: $vgpr0
                                        ; implicit-def: $vgpr4
	s_andn2_b64 vcc, exec, s[0:1]
	s_cbranch_vccz .LBB143_11
	s_branch .LBB143_13
.LBB143_9:
	v_mov_b32_e32 v2, 0
	v_mov_b32_e32 v0, 0
	;; [unrolled: 1-line block ×3, first 2 shown]
.LBB143_10:
	s_cbranch_execnz .LBB143_13
.LBB143_11:
	v_mul_hi_u32 v0, s17, v7
	s_andn2_b64 vcc, exec, s[36:37]
	v_add_u32_e32 v0, v7, v0
	v_lshrrev_b32_e32 v1, s18, v0
	v_mul_lo_u32 v0, v1, s16
	v_sub_u32_e32 v3, v7, v0
	v_mul_lo_u32 v2, v3, s20
	v_mul_lo_u32 v0, v3, s21
	;; [unrolled: 1-line block ×3, first 2 shown]
	s_cbranch_vccnz .LBB143_13
; %bb.12:
	v_mul_hi_u32 v3, s30, v1
	v_add_u32_e32 v3, v1, v3
	v_lshrrev_b32_e32 v3, s31, v3
	v_mul_lo_u32 v3, v3, s19
	v_sub_u32_e32 v5, v1, v3
	v_mad_u64_u32 v[2:3], s[0:1], v5, s23, v[2:3]
	v_mad_u64_u32 v[0:1], s[0:1], v5, s34, v[0:1]
	;; [unrolled: 1-line block ×3, first 2 shown]
.LBB143_13:
	v_mov_b32_e32 v1, s11
	s_and_b32 s48, s75, 0xff
	v_add_co_u32_e32 v5, vcc, s10, v0
	s_cmp_lt_i32 s48, 11
	v_addc_co_u32_e32 v6, vcc, 0, v1, vcc
	s_cbranch_scc1 .LBB143_20
; %bb.14:
	s_and_b32 s49, 0xffff, s48
	s_cmp_gt_i32 s49, 25
	s_cbranch_scc0 .LBB143_29
; %bb.15:
	s_cmp_gt_i32 s49, 28
	s_cbranch_scc0 .LBB143_39
; %bb.16:
	;; [unrolled: 3-line block ×4, first 2 shown]
	s_cmp_eq_u32 s49, 46
	s_mov_b64 s[40:41], 0
	s_cbranch_scc0 .LBB143_48
; %bb.19:
	global_load_dword v0, v[5:6], off
	s_mov_b64 s[0:1], -1
	s_mov_b64 s[44:45], 0
	s_waitcnt vmcnt(0)
	v_lshlrev_b32_e32 v0, 16, v0
	v_cvt_f64_f32_e32 v[0:1], v0
	s_branch .LBB143_50
.LBB143_20:
	s_mov_b64 s[44:45], 0
                                        ; implicit-def: $vgpr0_vgpr1
	s_mov_b64 s[0:1], 0
	s_cbranch_execnz .LBB143_116
.LBB143_21:
	s_andn2_b64 vcc, exec, s[0:1]
	s_cbranch_vccnz .LBB143_163
.LBB143_22:
	v_mov_b32_e32 v5, s13
	s_and_b32 s52, s74, 0xff
	v_add_co_u32_e32 v3, vcc, s12, v4
	s_cmp_lt_i32 s52, 11
	v_addc_co_u32_e32 v4, vcc, 0, v5, vcc
	s_cbranch_scc1 .LBB143_30
; %bb.23:
	s_and_b32 s53, 0xffff, s52
	s_cmp_gt_i32 s53, 25
	s_cbranch_scc0 .LBB143_40
; %bb.24:
	s_cmp_gt_i32 s53, 28
	s_cbranch_scc0 .LBB143_43
; %bb.25:
	;; [unrolled: 3-line block ×4, first 2 shown]
	s_cmp_eq_u32 s53, 46
	s_mov_b64 s[40:41], 0
	s_cbranch_scc0 .LBB143_164
; %bb.28:
	global_load_dword v5, v[3:4], off
	s_mov_b64 s[0:1], -1
	s_mov_b64 s[42:43], 0
	s_waitcnt vmcnt(0)
	v_lshlrev_b32_e32 v5, 16, v5
	v_cvt_f64_f32_e32 v[5:6], v5
	s_branch .LBB143_166
.LBB143_29:
	s_mov_b64 s[44:45], 0
	s_mov_b64 s[0:1], 0
                                        ; implicit-def: $vgpr0_vgpr1
	s_cbranch_execnz .LBB143_83
	s_branch .LBB143_115
.LBB143_30:
	s_mov_b64 s[42:43], 0
                                        ; implicit-def: $vgpr5_vgpr6
	s_mov_b64 s[0:1], 0
	s_cbranch_execnz .LBB143_343
.LBB143_31:
	s_andn2_b64 vcc, exec, s[0:1]
	s_cbranch_vccnz .LBB143_391
.LBB143_32:
	s_waitcnt vmcnt(0)
	v_cmp_nge_f64_e32 vcc, s[14:15], v[0:1]
	v_mov_b32_e32 v3, s29
	v_mov_b32_e32 v0, s28
	;; [unrolled: 1-line block ×3, first 2 shown]
	s_and_b32 s54, s73, 0xff
	s_cmp_lt_i32 s54, 11
	v_cndmask_b32_e32 v1, v3, v6, vcc
	v_cndmask_b32_e32 v0, v0, v5, vcc
	v_add_co_u32_e32 v4, vcc, s8, v2
	v_addc_co_u32_e32 v5, vcc, 0, v8, vcc
	s_cbranch_scc1 .LBB143_41
; %bb.33:
	s_and_b32 s55, 0xffff, s54
	s_cmp_gt_i32 s55, 25
	s_cbranch_scc0 .LBB143_44
; %bb.34:
	s_cmp_gt_i32 s55, 28
	s_cbranch_scc0 .LBB143_47
; %bb.35:
	;; [unrolled: 3-line block ×4, first 2 shown]
	s_mov_b64 s[48:49], 0
	s_mov_b64 s[0:1], -1
	s_cmp_eq_u32 s55, 46
	s_mov_b64 s[40:41], 0
	s_cbranch_scc0 .LBB143_170
; %bb.38:
	v_cvt_f32_f64_e32 v2, v[0:1]
	s_movk_i32 s0, 0x7fff
	v_mov_b32_e32 v3, 0x7fc0
	s_mov_b64 s[40:41], -1
	v_bfe_u32 v6, v2, 16, 1
	v_cmp_o_f32_e32 vcc, v2, v2
	v_add3_u32 v2, v2, v6, s0
	v_cndmask_b32_sdwa v2, v3, v2, vcc dst_sel:DWORD dst_unused:UNUSED_PAD src0_sel:DWORD src1_sel:WORD_1
	global_store_dword v[4:5], v2, off
	s_mov_b64 s[0:1], 0
	s_branch .LBB143_170
.LBB143_39:
	s_mov_b64 s[40:41], -1
	s_mov_b64 s[44:45], 0
	s_mov_b64 s[0:1], 0
                                        ; implicit-def: $vgpr0_vgpr1
	s_branch .LBB143_62
.LBB143_40:
	s_mov_b64 s[40:41], -1
	s_mov_b64 s[42:43], 0
	s_mov_b64 s[0:1], 0
                                        ; implicit-def: $vgpr5_vgpr6
	s_branch .LBB143_309
.LBB143_41:
	s_mov_b64 s[48:49], -1
	s_mov_b64 s[0:1], 0
	s_mov_b64 s[40:41], 0
	s_branch .LBB143_239
.LBB143_42:
	s_mov_b64 s[40:41], -1
	s_mov_b64 s[44:45], 0
	s_mov_b64 s[0:1], 0
                                        ; implicit-def: $vgpr0_vgpr1
	s_branch .LBB143_57
.LBB143_43:
	s_mov_b64 s[40:41], -1
	s_mov_b64 s[42:43], 0
	s_mov_b64 s[0:1], 0
                                        ; implicit-def: $vgpr5_vgpr6
	s_branch .LBB143_288
.LBB143_44:
	s_mov_b64 s[48:49], -1
	s_mov_b64 s[0:1], 0
	s_mov_b64 s[40:41], 0
	s_branch .LBB143_197
.LBB143_45:
	s_mov_b64 s[40:41], -1
	s_mov_b64 s[44:45], 0
	s_branch .LBB143_49
.LBB143_46:
	s_mov_b64 s[40:41], -1
	s_mov_b64 s[42:43], 0
	s_mov_b64 s[0:1], 0
                                        ; implicit-def: $vgpr5_vgpr6
	s_branch .LBB143_283
.LBB143_47:
	s_mov_b64 s[48:49], -1
	s_mov_b64 s[0:1], 0
	s_mov_b64 s[40:41], 0
	s_branch .LBB143_180
.LBB143_48:
	s_mov_b64 s[44:45], -1
.LBB143_49:
	s_mov_b64 s[0:1], 0
                                        ; implicit-def: $vgpr0_vgpr1
.LBB143_50:
	s_and_b64 vcc, exec, s[40:41]
	s_cbranch_vccz .LBB143_56
; %bb.51:
	s_cmp_eq_u32 s49, 44
	s_cbranch_scc0 .LBB143_55
; %bb.52:
	global_load_ubyte v3, v[5:6], off
	s_movk_i32 s40, 0xff
	v_bfrev_b32_e32 v8, 4
	v_mov_b32_e32 v9, 0x7ff80000
	v_bfrev_b32_e32 v10, 28
	s_mov_b64 s[0:1], -1
	s_mov_b64 s[44:45], 0
	s_waitcnt vmcnt(0)
	v_lshlrev_b32_e32 v0, 23, v3
	v_cvt_f64_f32_e32 v[0:1], v0
	v_cmp_ne_u32_e32 vcc, s40, v3
	v_cndmask_b32_e32 v0, v8, v0, vcc
	v_cndmask_b32_e32 v1, v9, v1, vcc
	v_cmp_ne_u32_e32 vcc, 0, v3
	v_cndmask_b32_e32 v1, v10, v1, vcc
	v_cndmask_b32_e32 v0, 0, v0, vcc
	s_branch .LBB143_56
.LBB143_53:
	s_mov_b64 s[40:41], -1
	s_mov_b64 s[42:43], 0
	s_branch .LBB143_165
.LBB143_54:
	s_mov_b64 s[48:49], -1
	s_mov_b64 s[0:1], 0
	s_mov_b64 s[40:41], 0
	s_branch .LBB143_176
.LBB143_55:
	s_mov_b64 s[44:45], -1
                                        ; implicit-def: $vgpr0_vgpr1
.LBB143_56:
	s_mov_b64 s[40:41], 0
.LBB143_57:
	s_and_b64 vcc, exec, s[40:41]
	s_cbranch_vccz .LBB143_61
; %bb.58:
	s_cmp_eq_u32 s49, 29
	s_cbranch_scc0 .LBB143_60
; %bb.59:
	global_load_dwordx2 v[0:1], v[5:6], off
	s_mov_b64 s[0:1], -1
	s_mov_b64 s[44:45], 0
	s_mov_b64 s[40:41], 0
	s_waitcnt vmcnt(0)
	v_cvt_f64_u32_e32 v[8:9], v1
	v_cvt_f64_u32_e32 v[0:1], v0
	v_ldexp_f64 v[8:9], v[8:9], 32
	v_add_f64 v[0:1], v[8:9], v[0:1]
	s_branch .LBB143_62
.LBB143_60:
	s_mov_b64 s[44:45], -1
                                        ; implicit-def: $vgpr0_vgpr1
.LBB143_61:
	s_mov_b64 s[40:41], 0
.LBB143_62:
	s_and_b64 vcc, exec, s[40:41]
	s_cbranch_vccz .LBB143_82
; %bb.63:
	s_cmp_lt_i32 s49, 27
	s_cbranch_scc1 .LBB143_66
; %bb.64:
	s_cmp_gt_i32 s49, 27
	s_cbranch_scc0 .LBB143_67
; %bb.65:
	global_load_dword v0, v[5:6], off
	s_mov_b64 s[0:1], 0
	s_waitcnt vmcnt(0)
	v_cvt_f64_u32_e32 v[0:1], v0
	s_branch .LBB143_68
.LBB143_66:
	s_mov_b64 s[0:1], -1
                                        ; implicit-def: $vgpr0_vgpr1
	s_branch .LBB143_71
.LBB143_67:
	s_mov_b64 s[0:1], -1
                                        ; implicit-def: $vgpr0_vgpr1
.LBB143_68:
	s_andn2_b64 vcc, exec, s[0:1]
	s_cbranch_vccnz .LBB143_70
; %bb.69:
	global_load_ushort v0, v[5:6], off
	s_waitcnt vmcnt(0)
	v_cvt_f64_u32_e32 v[0:1], v0
.LBB143_70:
	s_mov_b64 s[0:1], 0
.LBB143_71:
	s_andn2_b64 vcc, exec, s[0:1]
	s_cbranch_vccnz .LBB143_81
; %bb.72:
	global_load_ubyte v3, v[5:6], off
	s_movk_i32 s0, 0x7f
	s_waitcnt vmcnt(0)
	v_cmp_lt_i16_e32 vcc, s0, v3
	s_mov_b64 s[0:1], 0
	s_and_saveexec_b64 s[40:41], vcc
	s_xor_b64 s[40:41], exec, s[40:41]
	s_cbranch_execz .LBB143_76
; %bb.73:
	s_movk_i32 s0, 0x80
	v_cmp_eq_u16_e32 vcc, s0, v3
	s_mov_b64 s[0:1], -1
	s_and_saveexec_b64 s[42:43], vcc
; %bb.74:
	s_xor_b64 s[0:1], exec, -1
; %bb.75:
	s_or_b64 exec, exec, s[42:43]
	s_and_b64 s[0:1], s[0:1], exec
.LBB143_76:
	s_or_saveexec_b64 s[40:41], s[40:41]
	v_bfrev_b32_e32 v0, 4
	v_mov_b32_e32 v1, 0x7ff80000
	s_xor_b64 exec, exec, s[40:41]
; %bb.77:
	v_cmp_ne_u16_e32 vcc, 0, v3
	v_mov_b32_e32 v0, 0
	s_andn2_b64 s[0:1], s[0:1], exec
	s_and_b64 s[42:43], vcc, exec
	v_mov_b32_e32 v1, 0
	s_or_b64 s[0:1], s[0:1], s[42:43]
; %bb.78:
	s_or_b64 exec, exec, s[40:41]
	s_and_saveexec_b64 s[40:41], s[0:1]
	s_cbranch_execz .LBB143_80
; %bb.79:
	v_and_b32_e32 v1, 0xffff, v3
	v_lshlrev_b32_e32 v0, 24, v3
	v_and_b32_e32 v3, 7, v1
	v_ffbh_u32_e32 v9, v3
	v_min_u32_e32 v9, 32, v9
	v_subrev_u32_e32 v10, 28, v9
	v_bfe_u32 v8, v1, 3, 4
	v_lshlrev_b32_e32 v1, v10, v1
	v_sub_u32_e32 v9, 29, v9
	v_and_b32_e32 v1, 7, v1
	v_cmp_eq_u32_e32 vcc, 0, v8
	v_cndmask_b32_e32 v8, v8, v9, vcc
	v_cndmask_b32_e32 v1, v3, v1, vcc
	v_mov_b32_e32 v3, 0x3b800000
	v_lshlrev_b32_e32 v1, 20, v1
	v_and_b32_e32 v0, 0x80000000, v0
	v_lshl_add_u32 v3, v8, 23, v3
	v_or3_b32 v0, v0, v3, v1
	v_cvt_f64_f32_e32 v[0:1], v0
.LBB143_80:
	s_or_b64 exec, exec, s[40:41]
.LBB143_81:
	s_mov_b64 s[0:1], -1
.LBB143_82:
	s_branch .LBB143_115
.LBB143_83:
	s_cmp_gt_i32 s49, 22
	s_cbranch_scc0 .LBB143_95
; %bb.84:
	s_cmp_lt_i32 s49, 24
	s_cbranch_scc1 .LBB143_96
; %bb.85:
	s_cmp_gt_i32 s49, 24
	s_cbranch_scc0 .LBB143_97
; %bb.86:
	global_load_ubyte v3, v[5:6], off
	s_movk_i32 s0, 0x7f
	s_waitcnt vmcnt(0)
	v_cmp_lt_i16_e32 vcc, s0, v3
	s_mov_b64 s[0:1], 0
	s_and_saveexec_b64 s[40:41], vcc
	s_xor_b64 s[40:41], exec, s[40:41]
	s_cbranch_execz .LBB143_90
; %bb.87:
	s_movk_i32 s0, 0x80
	v_cmp_eq_u16_e32 vcc, s0, v3
	s_mov_b64 s[0:1], -1
	s_and_saveexec_b64 s[42:43], vcc
; %bb.88:
	s_xor_b64 s[0:1], exec, -1
; %bb.89:
	s_or_b64 exec, exec, s[42:43]
	s_and_b64 s[0:1], s[0:1], exec
.LBB143_90:
	s_or_saveexec_b64 s[40:41], s[40:41]
	v_bfrev_b32_e32 v0, 4
	v_mov_b32_e32 v1, 0x7ff80000
	s_xor_b64 exec, exec, s[40:41]
; %bb.91:
	v_cmp_ne_u16_e32 vcc, 0, v3
	v_mov_b32_e32 v0, 0
	s_andn2_b64 s[0:1], s[0:1], exec
	s_and_b64 s[42:43], vcc, exec
	v_mov_b32_e32 v1, 0
	s_or_b64 s[0:1], s[0:1], s[42:43]
; %bb.92:
	s_or_b64 exec, exec, s[40:41]
	s_and_saveexec_b64 s[40:41], s[0:1]
	s_cbranch_execz .LBB143_94
; %bb.93:
	v_and_b32_e32 v1, 0xffff, v3
	v_lshlrev_b32_e32 v0, 24, v3
	v_and_b32_e32 v3, 3, v1
	v_ffbh_u32_e32 v9, v3
	v_min_u32_e32 v9, 32, v9
	v_subrev_u32_e32 v10, 29, v9
	v_bfe_u32 v8, v1, 2, 5
	v_lshlrev_b32_e32 v1, v10, v1
	v_sub_u32_e32 v9, 30, v9
	v_and_b32_e32 v1, 3, v1
	v_cmp_eq_u32_e32 vcc, 0, v8
	v_cndmask_b32_e32 v8, v8, v9, vcc
	v_cndmask_b32_e32 v1, v3, v1, vcc
	v_mov_b32_e32 v3, 0x37800000
	v_lshlrev_b32_e32 v1, 21, v1
	v_and_b32_e32 v0, 0x80000000, v0
	v_lshl_add_u32 v3, v8, 23, v3
	v_or3_b32 v0, v0, v3, v1
	v_cvt_f64_f32_e32 v[0:1], v0
.LBB143_94:
	s_or_b64 exec, exec, s[40:41]
	s_mov_b64 s[0:1], 0
	s_branch .LBB143_98
.LBB143_95:
	s_mov_b64 s[40:41], -1
                                        ; implicit-def: $vgpr0_vgpr1
	s_branch .LBB143_104
.LBB143_96:
	s_mov_b64 s[0:1], -1
                                        ; implicit-def: $vgpr0_vgpr1
	s_branch .LBB143_101
.LBB143_97:
	s_mov_b64 s[0:1], -1
                                        ; implicit-def: $vgpr0_vgpr1
.LBB143_98:
	s_and_b64 vcc, exec, s[0:1]
	s_cbranch_vccz .LBB143_100
; %bb.99:
	global_load_ubyte v0, v[5:6], off
	s_mov_b32 s0, 0x7f800000
	s_waitcnt vmcnt(0)
	v_lshlrev_b32_e32 v0, 24, v0
	v_and_b32_e32 v1, 0x7f000000, v0
	v_ffbh_u32_e32 v3, v1
	v_min_u32_e32 v3, 32, v3
	v_sub_u32_e64 v3, v3, 4 clamp
	v_lshlrev_b32_e32 v9, v3, v1
	v_lshlrev_b32_e32 v3, 23, v3
	v_lshrrev_b32_e32 v9, 4, v9
	v_add_u32_e32 v8, 0x1000000, v1
	v_sub_u32_e32 v3, v9, v3
	v_ashrrev_i32_e32 v8, 8, v8
	v_add_u32_e32 v3, 0x3c000000, v3
	v_and_or_b32 v3, v8, s0, v3
	v_cmp_ne_u32_e32 vcc, 0, v1
	v_cndmask_b32_e32 v1, 0, v3, vcc
	s_brev_b32 s0, 1
	v_and_or_b32 v0, v0, s0, v1
	v_cvt_f64_f32_e32 v[0:1], v0
.LBB143_100:
	s_mov_b64 s[0:1], 0
.LBB143_101:
	s_andn2_b64 vcc, exec, s[0:1]
	s_cbranch_vccnz .LBB143_103
; %bb.102:
	global_load_ubyte v0, v[5:6], off
	s_movk_i32 s0, 0x7f00
	s_brev_b32 s1, 16
	s_waitcnt vmcnt(0)
	v_lshlrev_b16_e32 v1, 8, v0
	v_lshlrev_b32_e32 v0, 25, v0
	v_lshrrev_b32_e32 v3, 4, v0
	v_and_or_b32 v8, v1, s0, 0.5
	v_or_b32_e32 v3, 0x70000000, v3
	v_add_f32_e32 v8, -0.5, v8
	v_mul_f32_e32 v3, 0x7800000, v3
	v_cmp_gt_u32_e32 vcc, s1, v0
	v_bfe_i32 v1, v1, 0, 16
	v_cndmask_b32_e32 v0, v3, v8, vcc
	s_brev_b32 s0, 1
	v_and_or_b32 v0, v1, s0, v0
	v_cvt_f64_f32_e32 v[0:1], v0
.LBB143_103:
	s_mov_b64 s[40:41], 0
	s_mov_b64 s[0:1], -1
.LBB143_104:
	s_andn2_b64 vcc, exec, s[40:41]
	s_cbranch_vccnz .LBB143_115
; %bb.105:
	s_cmp_gt_i32 s49, 14
	s_cbranch_scc0 .LBB143_108
; %bb.106:
	s_cmp_eq_u32 s49, 15
	s_cbranch_scc0 .LBB143_109
; %bb.107:
	global_load_ushort v0, v[5:6], off
	s_mov_b64 s[0:1], -1
	s_mov_b64 s[44:45], 0
	s_waitcnt vmcnt(0)
	v_lshlrev_b32_e32 v0, 16, v0
	v_cvt_f64_f32_e32 v[0:1], v0
	s_branch .LBB143_110
.LBB143_108:
	s_mov_b64 s[40:41], -1
                                        ; implicit-def: $vgpr0_vgpr1
	s_branch .LBB143_111
.LBB143_109:
	s_mov_b64 s[44:45], -1
                                        ; implicit-def: $vgpr0_vgpr1
.LBB143_110:
	s_mov_b64 s[40:41], 0
.LBB143_111:
	s_and_b64 vcc, exec, s[40:41]
	s_cbranch_vccz .LBB143_115
; %bb.112:
	s_cmp_eq_u32 s49, 11
	s_cbranch_scc0 .LBB143_114
; %bb.113:
	global_load_ubyte v1, v[5:6], off
	v_mov_b32_e32 v3, 0x3ff00000
	v_mov_b32_e32 v0, 0
	s_mov_b64 s[0:1], -1
	s_mov_b64 s[44:45], 0
	s_waitcnt vmcnt(0)
	v_cmp_ne_u16_e32 vcc, 0, v1
	v_cndmask_b32_e32 v1, 0, v3, vcc
	s_branch .LBB143_115
.LBB143_114:
	s_mov_b64 s[44:45], -1
                                        ; implicit-def: $vgpr0_vgpr1
.LBB143_115:
	s_branch .LBB143_21
.LBB143_116:
	s_and_b32 s40, 0xffff, s48
	s_cmp_lt_i32 s40, 5
	s_cbranch_scc1 .LBB143_121
; %bb.117:
	s_cmp_lt_i32 s40, 8
	s_cbranch_scc1 .LBB143_122
; %bb.118:
	s_cmp_lt_i32 s40, 9
	s_cbranch_scc1 .LBB143_123
; %bb.119:
	s_cmp_gt_i32 s40, 9
	s_cbranch_scc0 .LBB143_124
; %bb.120:
	global_load_dwordx2 v[0:1], v[5:6], off
	s_mov_b64 s[0:1], 0
	s_branch .LBB143_125
.LBB143_121:
                                        ; implicit-def: $vgpr0_vgpr1
	s_branch .LBB143_143
.LBB143_122:
	s_mov_b64 s[0:1], -1
                                        ; implicit-def: $vgpr0_vgpr1
	s_branch .LBB143_131
.LBB143_123:
	s_mov_b64 s[0:1], -1
                                        ; implicit-def: $vgpr0_vgpr1
	s_branch .LBB143_128
.LBB143_124:
	s_mov_b64 s[0:1], -1
                                        ; implicit-def: $vgpr0_vgpr1
.LBB143_125:
	s_andn2_b64 vcc, exec, s[0:1]
	s_cbranch_vccnz .LBB143_127
; %bb.126:
	global_load_dword v0, v[5:6], off
	s_waitcnt vmcnt(0)
	v_cvt_f64_f32_e32 v[0:1], v0
.LBB143_127:
	s_mov_b64 s[0:1], 0
.LBB143_128:
	s_andn2_b64 vcc, exec, s[0:1]
	s_cbranch_vccnz .LBB143_130
; %bb.129:
	global_load_dword v0, v[5:6], off
	s_waitcnt vmcnt(0)
	v_cvt_f32_f16_e32 v0, v0
	v_cvt_f64_f32_e32 v[0:1], v0
.LBB143_130:
	s_mov_b64 s[0:1], 0
.LBB143_131:
	s_andn2_b64 vcc, exec, s[0:1]
	s_cbranch_vccnz .LBB143_142
; %bb.132:
	s_cmp_lt_i32 s40, 6
	s_cbranch_scc1 .LBB143_135
; %bb.133:
	s_cmp_gt_i32 s40, 6
	s_cbranch_scc0 .LBB143_136
; %bb.134:
	global_load_dwordx2 v[0:1], v[5:6], off
	s_mov_b64 s[0:1], 0
	s_branch .LBB143_137
.LBB143_135:
	s_mov_b64 s[0:1], -1
                                        ; implicit-def: $vgpr0_vgpr1
	s_branch .LBB143_140
.LBB143_136:
	s_mov_b64 s[0:1], -1
                                        ; implicit-def: $vgpr0_vgpr1
.LBB143_137:
	s_andn2_b64 vcc, exec, s[0:1]
	s_cbranch_vccnz .LBB143_139
; %bb.138:
	global_load_dword v0, v[5:6], off
	s_waitcnt vmcnt(0)
	v_cvt_f64_f32_e32 v[0:1], v0
.LBB143_139:
	s_mov_b64 s[0:1], 0
.LBB143_140:
	s_andn2_b64 vcc, exec, s[0:1]
	s_cbranch_vccnz .LBB143_142
; %bb.141:
	global_load_ushort v0, v[5:6], off
	s_waitcnt vmcnt(0)
	v_cvt_f32_f16_e32 v0, v0
	v_cvt_f64_f32_e32 v[0:1], v0
.LBB143_142:
	s_cbranch_execnz .LBB143_162
.LBB143_143:
	s_cmp_lt_i32 s40, 2
	s_cbranch_scc1 .LBB143_147
; %bb.144:
	s_cmp_lt_i32 s40, 3
	s_cbranch_scc1 .LBB143_148
; %bb.145:
	s_cmp_gt_i32 s40, 3
	s_cbranch_scc0 .LBB143_149
; %bb.146:
	global_load_dwordx2 v[0:1], v[5:6], off
	s_mov_b64 s[0:1], 0
	s_waitcnt vmcnt(0)
	v_cvt_f64_i32_e32 v[8:9], v1
	v_cvt_f64_u32_e32 v[0:1], v0
	v_ldexp_f64 v[8:9], v[8:9], 32
	v_add_f64 v[0:1], v[8:9], v[0:1]
	s_branch .LBB143_150
.LBB143_147:
	s_mov_b64 s[0:1], -1
                                        ; implicit-def: $vgpr0_vgpr1
	s_branch .LBB143_156
.LBB143_148:
	s_mov_b64 s[0:1], -1
                                        ; implicit-def: $vgpr0_vgpr1
	s_branch .LBB143_153
.LBB143_149:
	s_mov_b64 s[0:1], -1
                                        ; implicit-def: $vgpr0_vgpr1
.LBB143_150:
	s_andn2_b64 vcc, exec, s[0:1]
	s_cbranch_vccnz .LBB143_152
; %bb.151:
	global_load_dword v0, v[5:6], off
	s_waitcnt vmcnt(0)
	v_cvt_f64_i32_e32 v[0:1], v0
.LBB143_152:
	s_mov_b64 s[0:1], 0
.LBB143_153:
	s_andn2_b64 vcc, exec, s[0:1]
	s_cbranch_vccnz .LBB143_155
; %bb.154:
	global_load_sshort v0, v[5:6], off
	s_waitcnt vmcnt(0)
	v_cvt_f64_i32_e32 v[0:1], v0
.LBB143_155:
	s_mov_b64 s[0:1], 0
.LBB143_156:
	s_andn2_b64 vcc, exec, s[0:1]
	s_cbranch_vccnz .LBB143_162
; %bb.157:
	s_cmp_gt_i32 s40, 0
	s_cbranch_scc0 .LBB143_159
; %bb.158:
	global_load_sbyte v0, v[5:6], off
	s_mov_b64 s[0:1], 0
	s_waitcnt vmcnt(0)
	v_cvt_f64_i32_e32 v[0:1], v0
	s_branch .LBB143_160
.LBB143_159:
	s_mov_b64 s[0:1], -1
                                        ; implicit-def: $vgpr0_vgpr1
.LBB143_160:
	s_andn2_b64 vcc, exec, s[0:1]
	s_cbranch_vccnz .LBB143_162
; %bb.161:
	global_load_ubyte v0, v[5:6], off
	s_waitcnt vmcnt(0)
	v_cvt_f64_u32_e32 v[0:1], v0
.LBB143_162:
	s_branch .LBB143_22
.LBB143_163:
	s_mov_b64 s[0:1], 0
	s_mov_b64 s[42:43], 0
	s_branch .LBB143_392
.LBB143_164:
	s_mov_b64 s[42:43], -1
.LBB143_165:
	s_mov_b64 s[0:1], 0
                                        ; implicit-def: $vgpr5_vgpr6
.LBB143_166:
	s_and_b64 vcc, exec, s[40:41]
	s_cbranch_vccz .LBB143_282
; %bb.167:
	s_cmp_eq_u32 s53, 44
	s_cbranch_scc0 .LBB143_281
; %bb.168:
	global_load_ubyte v8, v[3:4], off
	s_movk_i32 s40, 0xff
	v_bfrev_b32_e32 v9, 4
	v_mov_b32_e32 v10, 0x7ff80000
	v_bfrev_b32_e32 v11, 28
	s_mov_b64 s[0:1], -1
	s_mov_b64 s[42:43], 0
	s_waitcnt vmcnt(0)
	v_lshlrev_b32_e32 v5, 23, v8
	v_cvt_f64_f32_e32 v[5:6], v5
	v_cmp_ne_u32_e32 vcc, s40, v8
	v_cndmask_b32_e32 v5, v9, v5, vcc
	v_cndmask_b32_e32 v6, v10, v6, vcc
	v_cmp_ne_u32_e32 vcc, 0, v8
	v_cndmask_b32_e32 v6, v11, v6, vcc
	v_cndmask_b32_e32 v5, 0, v5, vcc
	s_branch .LBB143_282
.LBB143_169:
	s_mov_b64 s[48:49], -1
	s_mov_b64 s[0:1], 0
	s_mov_b64 s[40:41], 0
.LBB143_170:
	s_and_b64 vcc, exec, s[48:49]
	s_cbranch_vccz .LBB143_175
; %bb.171:
	s_cmp_eq_u32 s55, 44
	s_mov_b64 s[0:1], -1
	s_cbranch_scc0 .LBB143_175
; %bb.172:
	v_cvt_f32_f64_e32 v2, v[0:1]
	s_movk_i32 s0, 0xff
	v_mov_b32_e32 v6, 0xff
	v_bfe_u32 v3, v2, 23, 8
	v_cmp_ne_u32_e32 vcc, s0, v3
	s_and_saveexec_b64 s[40:41], vcc
; %bb.173:
	s_mov_b32 s0, 0x3fffff
	v_lshrrev_b32_e32 v6, 23, v2
	v_and_b32_e32 v8, 0x400000, v2
	v_and_or_b32 v2, v2, s0, v3
	v_cmp_ne_u32_e32 vcc, 0, v8
	v_cmp_ne_u32_e64 s[0:1], 0, v2
	s_and_b64 s[0:1], vcc, s[0:1]
	v_cndmask_b32_e64 v2, 0, 1, s[0:1]
	v_add_u32_e32 v6, v6, v2
; %bb.174:
	s_or_b64 exec, exec, s[40:41]
	s_mov_b64 s[40:41], -1
	s_mov_b64 s[0:1], 0
	global_store_byte v[4:5], v6, off
.LBB143_175:
	s_mov_b64 s[48:49], 0
.LBB143_176:
	s_and_b64 vcc, exec, s[48:49]
	s_cbranch_vccz .LBB143_179
; %bb.177:
	s_cmp_eq_u32 s55, 29
	s_mov_b64 s[0:1], -1
	s_cbranch_scc0 .LBB143_179
; %bb.178:
	v_trunc_f64_e32 v[2:3], v[0:1]
	s_movk_i32 s0, 0xffe0
	s_mov_b64 s[40:41], -1
	s_mov_b64 s[48:49], 0
	v_ldexp_f64 v[8:9], v[2:3], s0
	s_mov_b32 s0, 0
	s_mov_b32 s1, 0xc1f00000
	v_floor_f64_e32 v[8:9], v[8:9]
	v_fma_f64 v[2:3], v[8:9], s[0:1], v[2:3]
	v_cvt_u32_f64_e32 v9, v[8:9]
	s_mov_b64 s[0:1], 0
	v_cvt_u32_f64_e32 v8, v[2:3]
	global_store_dwordx2 v[4:5], v[8:9], off
	s_branch .LBB143_180
.LBB143_179:
	s_mov_b64 s[48:49], 0
.LBB143_180:
	s_and_b64 vcc, exec, s[48:49]
	s_cbranch_vccz .LBB143_196
; %bb.181:
	s_cmp_lt_i32 s55, 27
	s_mov_b64 s[40:41], -1
	s_cbranch_scc1 .LBB143_187
; %bb.182:
	v_cvt_u32_f64_e32 v2, v[0:1]
	s_cmp_gt_i32 s55, 27
	s_cbranch_scc0 .LBB143_184
; %bb.183:
	s_mov_b64 s[40:41], 0
	global_store_dword v[4:5], v2, off
.LBB143_184:
	s_andn2_b64 vcc, exec, s[40:41]
	s_cbranch_vccnz .LBB143_186
; %bb.185:
	global_store_short v[4:5], v2, off
.LBB143_186:
	s_mov_b64 s[40:41], 0
.LBB143_187:
	s_andn2_b64 vcc, exec, s[40:41]
	s_cbranch_vccnz .LBB143_195
; %bb.188:
	v_cvt_f32_f64_e32 v2, v[0:1]
	s_mov_b32 s40, 0x43800000
	v_mov_b32_e32 v6, 0x80
	v_and_b32_e32 v3, 0x7fffffff, v2
	v_cmp_gt_u32_e32 vcc, s40, v3
	s_and_saveexec_b64 s[40:41], vcc
	s_cbranch_execz .LBB143_194
; %bb.189:
	s_mov_b32 s48, 0x3bffffff
	v_cmp_lt_u32_e32 vcc, s48, v3
	s_mov_b64 s[48:49], 0
                                        ; implicit-def: $vgpr3
	s_and_saveexec_b64 s[52:53], vcc
	s_xor_b64 s[52:53], exec, s[52:53]
	s_cbranch_execz .LBB143_434
; %bb.190:
	v_bfe_u32 v3, v2, 20, 1
	s_mov_b32 s56, 0x487ffff
	v_add3_u32 v3, v2, v3, s56
	s_mov_b64 s[48:49], exec
	v_lshrrev_b32_e32 v3, 20, v3
	s_andn2_saveexec_b64 s[52:53], s[52:53]
	s_cbranch_execnz .LBB143_435
.LBB143_191:
	s_or_b64 exec, exec, s[52:53]
	v_mov_b32_e32 v6, 0
	s_and_saveexec_b64 s[52:53], s[48:49]
.LBB143_192:
	v_lshrrev_b32_e32 v2, 24, v2
	s_movk_i32 s48, 0x80
	v_and_or_b32 v6, v2, s48, v3
.LBB143_193:
	s_or_b64 exec, exec, s[52:53]
.LBB143_194:
	s_or_b64 exec, exec, s[40:41]
	global_store_byte v[4:5], v6, off
.LBB143_195:
	s_mov_b64 s[40:41], -1
.LBB143_196:
	s_mov_b64 s[48:49], 0
.LBB143_197:
	s_and_b64 vcc, exec, s[48:49]
	s_cbranch_vccz .LBB143_238
; %bb.198:
	s_cmp_gt_i32 s55, 22
	s_mov_b64 s[48:49], -1
	s_cbranch_scc0 .LBB143_230
; %bb.199:
	s_cmp_lt_i32 s55, 24
	s_mov_b64 s[40:41], -1
	s_cbranch_scc1 .LBB143_219
; %bb.200:
	s_cmp_gt_i32 s55, 24
	s_cbranch_scc0 .LBB143_208
; %bb.201:
	v_cvt_f32_f64_e32 v2, v[0:1]
	s_mov_b32 s40, 0x47800000
	v_mov_b32_e32 v6, 0x80
	v_and_b32_e32 v3, 0x7fffffff, v2
	v_cmp_gt_u32_e32 vcc, s40, v3
	s_and_saveexec_b64 s[40:41], vcc
	s_cbranch_execz .LBB143_207
; %bb.202:
	s_mov_b32 s48, 0x37ffffff
	v_cmp_lt_u32_e32 vcc, s48, v3
	s_mov_b64 s[48:49], 0
                                        ; implicit-def: $vgpr3
	s_and_saveexec_b64 s[52:53], vcc
	s_xor_b64 s[52:53], exec, s[52:53]
	s_cbranch_execz .LBB143_553
; %bb.203:
	v_bfe_u32 v3, v2, 21, 1
	s_mov_b32 s56, 0x88fffff
	v_add3_u32 v3, v2, v3, s56
	s_mov_b64 s[48:49], exec
	v_lshrrev_b32_e32 v3, 21, v3
	s_andn2_saveexec_b64 s[52:53], s[52:53]
	s_cbranch_execnz .LBB143_554
.LBB143_204:
	s_or_b64 exec, exec, s[52:53]
	v_mov_b32_e32 v6, 0
	s_and_saveexec_b64 s[52:53], s[48:49]
.LBB143_205:
	v_lshrrev_b32_e32 v2, 24, v2
	s_movk_i32 s48, 0x80
	v_and_or_b32 v6, v2, s48, v3
.LBB143_206:
	s_or_b64 exec, exec, s[52:53]
.LBB143_207:
	s_or_b64 exec, exec, s[40:41]
	s_mov_b64 s[40:41], 0
	global_store_byte v[4:5], v6, off
.LBB143_208:
	s_and_b64 vcc, exec, s[40:41]
	s_cbranch_vccz .LBB143_218
; %bb.209:
	v_cvt_f32_f64_e32 v2, v[0:1]
	s_mov_b32 s40, 0x43f00000
                                        ; implicit-def: $vgpr3
	v_and_b32_e32 v6, 0x7fffffff, v2
	v_cmp_gt_u32_e32 vcc, s40, v6
	s_and_saveexec_b64 s[40:41], vcc
	s_xor_b64 s[40:41], exec, s[40:41]
	s_cbranch_execz .LBB143_215
; %bb.210:
	s_mov_b32 s48, 0x3c7fffff
	v_cmp_lt_u32_e32 vcc, s48, v6
                                        ; implicit-def: $vgpr3
	s_and_saveexec_b64 s[48:49], vcc
	s_xor_b64 s[48:49], exec, s[48:49]
; %bb.211:
	v_bfe_u32 v3, v2, 20, 1
	s_mov_b32 s52, 0x407ffff
	v_add3_u32 v3, v2, v3, s52
	v_lshrrev_b32_e32 v6, 20, v3
	v_and_b32_e32 v3, 0xff00000, v3
	s_mov_b32 s52, 0x7f00000
	v_mov_b32_e32 v8, 0x7e
	v_cmp_ne_u32_e32 vcc, s52, v3
	v_cndmask_b32_e32 v3, v8, v6, vcc
; %bb.212:
	s_andn2_saveexec_b64 s[48:49], s[48:49]
; %bb.213:
	s_mov_b32 s52, 0x46800000
	v_add_f32_e64 v3, |v2|, s52
; %bb.214:
	s_or_b64 exec, exec, s[48:49]
                                        ; implicit-def: $vgpr6
.LBB143_215:
	s_andn2_saveexec_b64 s[40:41], s[40:41]
; %bb.216:
	s_mov_b32 s48, 0x7f800000
	v_mov_b32_e32 v3, 0x7e
	v_mov_b32_e32 v8, 0x7f
	v_cmp_lt_u32_e32 vcc, s48, v6
	v_cndmask_b32_e32 v3, v3, v8, vcc
; %bb.217:
	s_or_b64 exec, exec, s[40:41]
	v_lshrrev_b32_e32 v2, 24, v2
	s_movk_i32 s40, 0x80
	v_and_or_b32 v2, v2, s40, v3
	global_store_byte v[4:5], v2, off
.LBB143_218:
	s_mov_b64 s[40:41], 0
.LBB143_219:
	s_andn2_b64 vcc, exec, s[40:41]
	s_cbranch_vccnz .LBB143_229
; %bb.220:
	v_cvt_f32_f64_e32 v2, v[0:1]
	s_mov_b32 s40, 0x47800000
                                        ; implicit-def: $vgpr3
	v_and_b32_e32 v6, 0x7fffffff, v2
	v_cmp_gt_u32_e32 vcc, s40, v6
	s_and_saveexec_b64 s[40:41], vcc
	s_xor_b64 s[40:41], exec, s[40:41]
	s_cbranch_execz .LBB143_226
; %bb.221:
	s_mov_b32 s48, 0x387fffff
	v_cmp_lt_u32_e32 vcc, s48, v6
                                        ; implicit-def: $vgpr3
	s_and_saveexec_b64 s[48:49], vcc
	s_xor_b64 s[48:49], exec, s[48:49]
; %bb.222:
	v_bfe_u32 v3, v2, 21, 1
	s_mov_b32 s52, 0x80fffff
	v_add3_u32 v3, v2, v3, s52
	v_lshrrev_b32_e32 v3, 21, v3
; %bb.223:
	s_andn2_saveexec_b64 s[48:49], s[48:49]
; %bb.224:
	s_mov_b32 s52, 0x43000000
	v_add_f32_e64 v3, |v2|, s52
; %bb.225:
	s_or_b64 exec, exec, s[48:49]
                                        ; implicit-def: $vgpr6
.LBB143_226:
	s_andn2_saveexec_b64 s[40:41], s[40:41]
; %bb.227:
	s_mov_b32 s48, 0x7f800000
	v_mov_b32_e32 v3, 0x7c
	v_mov_b32_e32 v8, 0x7f
	v_cmp_lt_u32_e32 vcc, s48, v6
	v_cndmask_b32_e32 v3, v3, v8, vcc
; %bb.228:
	s_or_b64 exec, exec, s[40:41]
	v_lshrrev_b32_e32 v2, 24, v2
	s_movk_i32 s40, 0x80
	v_and_or_b32 v2, v2, s40, v3
	global_store_byte v[4:5], v2, off
.LBB143_229:
	s_mov_b64 s[48:49], 0
	s_mov_b64 s[40:41], -1
.LBB143_230:
	s_andn2_b64 vcc, exec, s[48:49]
	s_cbranch_vccnz .LBB143_238
; %bb.231:
	s_cmp_gt_i32 s55, 14
	s_mov_b64 s[48:49], -1
	s_cbranch_scc0 .LBB143_235
; %bb.232:
	s_cmp_eq_u32 s55, 15
	s_mov_b64 s[0:1], -1
	s_cbranch_scc0 .LBB143_234
; %bb.233:
	v_cvt_f32_f64_e32 v2, v[0:1]
	s_movk_i32 s0, 0x7fff
	v_mov_b32_e32 v3, 0x7fc0
	s_mov_b64 s[40:41], -1
	v_bfe_u32 v6, v2, 16, 1
	v_cmp_o_f32_e32 vcc, v2, v2
	v_add3_u32 v2, v2, v6, s0
	v_cndmask_b32_sdwa v2, v3, v2, vcc dst_sel:DWORD dst_unused:UNUSED_PAD src0_sel:DWORD src1_sel:WORD_1
	global_store_short v[4:5], v2, off
	s_mov_b64 s[0:1], 0
.LBB143_234:
	s_mov_b64 s[48:49], 0
.LBB143_235:
	s_and_b64 vcc, exec, s[48:49]
	s_cbranch_vccz .LBB143_238
; %bb.236:
	s_cmp_eq_u32 s55, 11
	s_mov_b64 s[0:1], -1
	s_cbranch_scc0 .LBB143_238
; %bb.237:
	v_cmp_neq_f64_e32 vcc, 0, v[0:1]
	s_mov_b64 s[0:1], 0
	s_mov_b64 s[40:41], -1
	v_cndmask_b32_e64 v2, 0, 1, vcc
	global_store_byte v[4:5], v2, off
.LBB143_238:
	s_mov_b64 s[48:49], 0
.LBB143_239:
	s_and_b64 vcc, exec, s[48:49]
	s_cbranch_vccz .LBB143_278
; %bb.240:
	s_and_b32 s48, 0xffff, s54
	s_cmp_lt_i32 s48, 5
	s_mov_b64 s[40:41], -1
	s_cbranch_scc1 .LBB143_261
; %bb.241:
	s_cmp_lt_i32 s48, 8
	s_cbranch_scc1 .LBB143_251
; %bb.242:
	s_cmp_lt_i32 s48, 9
	s_cbranch_scc1 .LBB143_248
; %bb.243:
	s_cmp_gt_i32 s48, 9
	s_cbranch_scc0 .LBB143_245
; %bb.244:
	v_mov_b32_e32 v2, 0
	v_mov_b32_e32 v3, v2
	global_store_dwordx4 v[4:5], v[0:3], off
	s_mov_b64 s[40:41], 0
.LBB143_245:
	s_andn2_b64 vcc, exec, s[40:41]
	s_cbranch_vccnz .LBB143_247
; %bb.246:
	v_cvt_f32_f64_e32 v2, v[0:1]
	v_mov_b32_e32 v3, 0
	global_store_dwordx2 v[4:5], v[2:3], off
.LBB143_247:
	s_mov_b64 s[40:41], 0
.LBB143_248:
	s_andn2_b64 vcc, exec, s[40:41]
	s_cbranch_vccnz .LBB143_250
; %bb.249:
	s_movk_i32 s40, 0x1ff
	v_and_or_b32 v2, v1, s40, v0
	v_cmp_ne_u32_e32 vcc, 0, v2
	v_cndmask_b32_e64 v2, 0, 1, vcc
	v_lshrrev_b32_e32 v3, 8, v1
	s_movk_i32 s40, 0xffe
	v_bfe_u32 v6, v1, 20, 11
	v_and_or_b32 v2, v3, s40, v2
	v_sub_u32_e32 v8, 0x3f1, v6
	v_or_b32_e32 v3, 0x1000, v2
	v_med3_i32 v8, v8, 0, 13
	v_lshrrev_b32_e32 v9, v8, v3
	v_lshlrev_b32_e32 v8, v8, v9
	v_cmp_ne_u32_e32 vcc, v8, v3
	v_cndmask_b32_e64 v3, 0, 1, vcc
	v_add_u32_e32 v6, 0xfffffc10, v6
	v_or_b32_e32 v3, v9, v3
	v_lshl_or_b32 v8, v6, 12, v2
	v_cmp_gt_i32_e32 vcc, 1, v6
	v_cndmask_b32_e32 v3, v8, v3, vcc
	v_and_b32_e32 v8, 7, v3
	v_cmp_lt_i32_e32 vcc, 5, v8
	v_cndmask_b32_e64 v9, 0, 1, vcc
	v_cmp_eq_u32_e32 vcc, 3, v8
	v_cndmask_b32_e64 v8, 0, 1, vcc
	v_or_b32_e32 v8, v8, v9
	v_lshrrev_b32_e32 v3, 2, v3
	v_add_u32_e32 v3, v3, v8
	v_mov_b32_e32 v8, 0x7c00
	v_cmp_gt_i32_e32 vcc, 31, v6
	v_cndmask_b32_e32 v3, v8, v3, vcc
	v_mov_b32_e32 v9, 0x7e00
	v_cmp_ne_u32_e32 vcc, 0, v2
	s_movk_i32 s40, 0x40f
	v_cndmask_b32_e32 v2, v8, v9, vcc
	v_cmp_eq_u32_e32 vcc, s40, v6
	v_cndmask_b32_e32 v2, v3, v2, vcc
	v_lshrrev_b32_e32 v3, 16, v1
	s_mov_b32 s40, 0x8000
	v_and_or_b32 v2, v3, s40, v2
	v_and_b32_e32 v2, 0xffff, v2
	global_store_dword v[4:5], v2, off
.LBB143_250:
	s_mov_b64 s[40:41], 0
.LBB143_251:
	s_andn2_b64 vcc, exec, s[40:41]
	s_cbranch_vccnz .LBB143_260
; %bb.252:
	s_cmp_lt_i32 s48, 6
	s_mov_b64 s[40:41], -1
	s_cbranch_scc1 .LBB143_258
; %bb.253:
	s_cmp_gt_i32 s48, 6
	s_cbranch_scc0 .LBB143_255
; %bb.254:
	global_store_dwordx2 v[4:5], v[0:1], off
	s_mov_b64 s[40:41], 0
.LBB143_255:
	s_andn2_b64 vcc, exec, s[40:41]
	s_cbranch_vccnz .LBB143_257
; %bb.256:
	v_cvt_f32_f64_e32 v2, v[0:1]
	global_store_dword v[4:5], v2, off
.LBB143_257:
	s_mov_b64 s[40:41], 0
.LBB143_258:
	s_andn2_b64 vcc, exec, s[40:41]
	s_cbranch_vccnz .LBB143_260
; %bb.259:
	s_movk_i32 s40, 0x1ff
	v_and_or_b32 v2, v1, s40, v0
	v_cmp_ne_u32_e32 vcc, 0, v2
	v_cndmask_b32_e64 v2, 0, 1, vcc
	v_lshrrev_b32_e32 v3, 8, v1
	s_movk_i32 s40, 0xffe
	v_bfe_u32 v6, v1, 20, 11
	v_and_or_b32 v2, v3, s40, v2
	v_sub_u32_e32 v8, 0x3f1, v6
	v_or_b32_e32 v3, 0x1000, v2
	v_med3_i32 v8, v8, 0, 13
	v_lshrrev_b32_e32 v9, v8, v3
	v_lshlrev_b32_e32 v8, v8, v9
	v_cmp_ne_u32_e32 vcc, v8, v3
	v_cndmask_b32_e64 v3, 0, 1, vcc
	v_add_u32_e32 v6, 0xfffffc10, v6
	v_or_b32_e32 v3, v9, v3
	v_lshl_or_b32 v8, v6, 12, v2
	v_cmp_gt_i32_e32 vcc, 1, v6
	v_cndmask_b32_e32 v3, v8, v3, vcc
	v_and_b32_e32 v8, 7, v3
	v_cmp_lt_i32_e32 vcc, 5, v8
	v_cndmask_b32_e64 v9, 0, 1, vcc
	v_cmp_eq_u32_e32 vcc, 3, v8
	v_cndmask_b32_e64 v8, 0, 1, vcc
	v_or_b32_e32 v8, v8, v9
	v_lshrrev_b32_e32 v3, 2, v3
	v_add_u32_e32 v3, v3, v8
	v_mov_b32_e32 v8, 0x7c00
	v_cmp_gt_i32_e32 vcc, 31, v6
	v_cndmask_b32_e32 v3, v8, v3, vcc
	v_mov_b32_e32 v9, 0x7e00
	v_cmp_ne_u32_e32 vcc, 0, v2
	s_movk_i32 s40, 0x40f
	v_cndmask_b32_e32 v2, v8, v9, vcc
	v_cmp_eq_u32_e32 vcc, s40, v6
	v_cndmask_b32_e32 v2, v3, v2, vcc
	v_lshrrev_b32_e32 v3, 16, v1
	s_mov_b32 s40, 0x8000
	v_and_or_b32 v2, v3, s40, v2
	global_store_short v[4:5], v2, off
.LBB143_260:
	s_mov_b64 s[40:41], 0
.LBB143_261:
	s_andn2_b64 vcc, exec, s[40:41]
	s_cbranch_vccnz .LBB143_277
; %bb.262:
	s_cmp_lt_i32 s48, 2
	s_mov_b64 s[40:41], -1
	s_cbranch_scc1 .LBB143_272
; %bb.263:
	s_cmp_lt_i32 s48, 3
	s_cbranch_scc1 .LBB143_269
; %bb.264:
	s_cmp_gt_i32 s48, 3
	s_cbranch_scc0 .LBB143_266
; %bb.265:
	v_trunc_f64_e32 v[2:3], v[0:1]
	s_movk_i32 s40, 0xffe0
	v_ldexp_f64 v[8:9], v[2:3], s40
	s_mov_b32 s40, 0
	s_mov_b32 s41, 0xc1f00000
	v_floor_f64_e32 v[8:9], v[8:9]
	v_fma_f64 v[2:3], v[8:9], s[40:41], v[2:3]
	v_cvt_i32_f64_e32 v9, v[8:9]
	s_mov_b64 s[40:41], 0
	v_cvt_u32_f64_e32 v8, v[2:3]
	global_store_dwordx2 v[4:5], v[8:9], off
.LBB143_266:
	s_andn2_b64 vcc, exec, s[40:41]
	s_cbranch_vccnz .LBB143_268
; %bb.267:
	v_cvt_i32_f64_e32 v2, v[0:1]
	global_store_dword v[4:5], v2, off
.LBB143_268:
	s_mov_b64 s[40:41], 0
.LBB143_269:
	s_andn2_b64 vcc, exec, s[40:41]
	s_cbranch_vccnz .LBB143_271
; %bb.270:
	v_cvt_i32_f64_e32 v2, v[0:1]
	global_store_short v[4:5], v2, off
.LBB143_271:
	s_mov_b64 s[40:41], 0
.LBB143_272:
	s_andn2_b64 vcc, exec, s[40:41]
	s_cbranch_vccnz .LBB143_277
; %bb.273:
	s_cmp_gt_i32 s48, 0
	s_mov_b64 s[40:41], -1
	s_cbranch_scc0 .LBB143_275
; %bb.274:
	v_cvt_i32_f64_e32 v2, v[0:1]
	s_mov_b64 s[40:41], 0
	global_store_byte v[4:5], v2, off
.LBB143_275:
	s_andn2_b64 vcc, exec, s[40:41]
	s_cbranch_vccnz .LBB143_277
; %bb.276:
	v_trunc_f64_e32 v[0:1], v[0:1]
	s_movk_i32 s40, 0xffe0
	v_ldexp_f64 v[2:3], v[0:1], s40
	s_mov_b32 s40, 0
	s_mov_b32 s41, 0xc1f00000
	v_floor_f64_e32 v[2:3], v[2:3]
	v_fma_f64 v[0:1], v[2:3], s[40:41], v[0:1]
	v_cvt_u32_f64_e32 v0, v[0:1]
	global_store_byte v[4:5], v0, off
.LBB143_277:
	s_mov_b64 s[40:41], -1
.LBB143_278:
	s_andn2_b64 vcc, exec, s[40:41]
	s_cbranch_vccnz .LBB143_280
; %bb.279:
	v_add_u32_e32 v7, 0x80, v7
	s_mov_b64 s[48:49], -1
	s_branch .LBB143_393
.LBB143_280:
	s_mov_b64 s[48:49], 0
                                        ; implicit-def: $vgpr7
	s_branch .LBB143_393
.LBB143_281:
	s_mov_b64 s[42:43], -1
                                        ; implicit-def: $vgpr5_vgpr6
.LBB143_282:
	s_mov_b64 s[40:41], 0
.LBB143_283:
	s_and_b64 vcc, exec, s[40:41]
	s_cbranch_vccz .LBB143_287
; %bb.284:
	s_cmp_eq_u32 s53, 29
	s_cbranch_scc0 .LBB143_286
; %bb.285:
	global_load_dwordx2 v[5:6], v[3:4], off
	s_mov_b64 s[0:1], -1
	s_mov_b64 s[42:43], 0
	s_mov_b64 s[40:41], 0
	s_waitcnt vmcnt(0)
	v_cvt_f64_u32_e32 v[8:9], v6
	v_cvt_f64_u32_e32 v[5:6], v5
	v_ldexp_f64 v[8:9], v[8:9], 32
	v_add_f64 v[5:6], v[8:9], v[5:6]
	s_branch .LBB143_288
.LBB143_286:
	s_mov_b64 s[42:43], -1
                                        ; implicit-def: $vgpr5_vgpr6
.LBB143_287:
	s_mov_b64 s[40:41], 0
.LBB143_288:
	s_and_b64 vcc, exec, s[40:41]
	s_cbranch_vccz .LBB143_308
; %bb.289:
	s_cmp_lt_i32 s53, 27
	s_cbranch_scc1 .LBB143_292
; %bb.290:
	s_cmp_gt_i32 s53, 27
	s_cbranch_scc0 .LBB143_293
; %bb.291:
	global_load_dword v5, v[3:4], off
	s_mov_b64 s[0:1], 0
	s_waitcnt vmcnt(0)
	v_cvt_f64_u32_e32 v[5:6], v5
	s_branch .LBB143_294
.LBB143_292:
	s_mov_b64 s[0:1], -1
                                        ; implicit-def: $vgpr5_vgpr6
	s_branch .LBB143_297
.LBB143_293:
	s_mov_b64 s[0:1], -1
                                        ; implicit-def: $vgpr5_vgpr6
.LBB143_294:
	s_andn2_b64 vcc, exec, s[0:1]
	s_cbranch_vccnz .LBB143_296
; %bb.295:
	global_load_ushort v5, v[3:4], off
	s_waitcnt vmcnt(0)
	v_cvt_f64_u32_e32 v[5:6], v5
.LBB143_296:
	s_mov_b64 s[0:1], 0
.LBB143_297:
	s_andn2_b64 vcc, exec, s[0:1]
	s_cbranch_vccnz .LBB143_307
; %bb.298:
	global_load_ubyte v8, v[3:4], off
	s_movk_i32 s0, 0x7f
	s_waitcnt vmcnt(0)
	v_cmp_lt_i16_e32 vcc, s0, v8
	s_mov_b64 s[0:1], 0
	s_and_saveexec_b64 s[40:41], vcc
	s_xor_b64 s[40:41], exec, s[40:41]
	s_cbranch_execz .LBB143_302
; %bb.299:
	s_movk_i32 s0, 0x80
	v_cmp_eq_u16_e32 vcc, s0, v8
	s_mov_b64 s[0:1], -1
	s_and_saveexec_b64 s[48:49], vcc
; %bb.300:
	s_xor_b64 s[0:1], exec, -1
; %bb.301:
	s_or_b64 exec, exec, s[48:49]
	s_and_b64 s[0:1], s[0:1], exec
.LBB143_302:
	s_or_saveexec_b64 s[40:41], s[40:41]
	v_bfrev_b32_e32 v5, 4
	v_mov_b32_e32 v6, 0x7ff80000
	s_xor_b64 exec, exec, s[40:41]
; %bb.303:
	v_cmp_ne_u16_e32 vcc, 0, v8
	v_mov_b32_e32 v5, 0
	s_andn2_b64 s[0:1], s[0:1], exec
	s_and_b64 s[48:49], vcc, exec
	v_mov_b32_e32 v6, 0
	s_or_b64 s[0:1], s[0:1], s[48:49]
; %bb.304:
	s_or_b64 exec, exec, s[40:41]
	s_and_saveexec_b64 s[40:41], s[0:1]
	s_cbranch_execz .LBB143_306
; %bb.305:
	v_and_b32_e32 v6, 0xffff, v8
	v_lshlrev_b32_e32 v5, 24, v8
	v_and_b32_e32 v8, 7, v6
	v_ffbh_u32_e32 v10, v8
	v_min_u32_e32 v10, 32, v10
	v_subrev_u32_e32 v11, 28, v10
	v_bfe_u32 v9, v6, 3, 4
	v_lshlrev_b32_e32 v6, v11, v6
	v_sub_u32_e32 v10, 29, v10
	v_and_b32_e32 v6, 7, v6
	v_cmp_eq_u32_e32 vcc, 0, v9
	v_cndmask_b32_e32 v9, v9, v10, vcc
	v_cndmask_b32_e32 v6, v8, v6, vcc
	v_mov_b32_e32 v8, 0x3b800000
	v_lshlrev_b32_e32 v6, 20, v6
	v_and_b32_e32 v5, 0x80000000, v5
	v_lshl_add_u32 v8, v9, 23, v8
	v_or3_b32 v5, v5, v8, v6
	v_cvt_f64_f32_e32 v[5:6], v5
.LBB143_306:
	s_or_b64 exec, exec, s[40:41]
.LBB143_307:
	s_mov_b64 s[0:1], -1
.LBB143_308:
	s_mov_b64 s[40:41], 0
.LBB143_309:
	s_and_b64 vcc, exec, s[40:41]
	s_cbranch_vccz .LBB143_342
; %bb.310:
	s_cmp_gt_i32 s53, 22
	s_cbranch_scc0 .LBB143_322
; %bb.311:
	s_cmp_lt_i32 s53, 24
	s_cbranch_scc1 .LBB143_323
; %bb.312:
	s_cmp_gt_i32 s53, 24
	s_cbranch_scc0 .LBB143_324
; %bb.313:
	global_load_ubyte v8, v[3:4], off
	s_movk_i32 s0, 0x7f
	s_waitcnt vmcnt(0)
	v_cmp_lt_i16_e32 vcc, s0, v8
	s_mov_b64 s[0:1], 0
	s_and_saveexec_b64 s[40:41], vcc
	s_xor_b64 s[40:41], exec, s[40:41]
	s_cbranch_execz .LBB143_317
; %bb.314:
	s_movk_i32 s0, 0x80
	v_cmp_eq_u16_e32 vcc, s0, v8
	s_mov_b64 s[0:1], -1
	s_and_saveexec_b64 s[48:49], vcc
; %bb.315:
	s_xor_b64 s[0:1], exec, -1
; %bb.316:
	s_or_b64 exec, exec, s[48:49]
	s_and_b64 s[0:1], s[0:1], exec
.LBB143_317:
	s_or_saveexec_b64 s[40:41], s[40:41]
	v_bfrev_b32_e32 v5, 4
	v_mov_b32_e32 v6, 0x7ff80000
	s_xor_b64 exec, exec, s[40:41]
; %bb.318:
	v_cmp_ne_u16_e32 vcc, 0, v8
	v_mov_b32_e32 v5, 0
	s_andn2_b64 s[0:1], s[0:1], exec
	s_and_b64 s[48:49], vcc, exec
	v_mov_b32_e32 v6, 0
	s_or_b64 s[0:1], s[0:1], s[48:49]
; %bb.319:
	s_or_b64 exec, exec, s[40:41]
	s_and_saveexec_b64 s[40:41], s[0:1]
	s_cbranch_execz .LBB143_321
; %bb.320:
	v_and_b32_e32 v6, 0xffff, v8
	v_lshlrev_b32_e32 v5, 24, v8
	v_and_b32_e32 v8, 3, v6
	v_ffbh_u32_e32 v10, v8
	v_min_u32_e32 v10, 32, v10
	v_subrev_u32_e32 v11, 29, v10
	v_bfe_u32 v9, v6, 2, 5
	v_lshlrev_b32_e32 v6, v11, v6
	v_sub_u32_e32 v10, 30, v10
	v_and_b32_e32 v6, 3, v6
	v_cmp_eq_u32_e32 vcc, 0, v9
	v_cndmask_b32_e32 v9, v9, v10, vcc
	v_cndmask_b32_e32 v6, v8, v6, vcc
	v_mov_b32_e32 v8, 0x37800000
	v_lshlrev_b32_e32 v6, 21, v6
	v_and_b32_e32 v5, 0x80000000, v5
	v_lshl_add_u32 v8, v9, 23, v8
	v_or3_b32 v5, v5, v8, v6
	v_cvt_f64_f32_e32 v[5:6], v5
.LBB143_321:
	s_or_b64 exec, exec, s[40:41]
	s_mov_b64 s[0:1], 0
	s_branch .LBB143_325
.LBB143_322:
	s_mov_b64 s[40:41], -1
                                        ; implicit-def: $vgpr5_vgpr6
	s_branch .LBB143_331
.LBB143_323:
	s_mov_b64 s[0:1], -1
                                        ; implicit-def: $vgpr5_vgpr6
	s_branch .LBB143_328
.LBB143_324:
	s_mov_b64 s[0:1], -1
                                        ; implicit-def: $vgpr5_vgpr6
.LBB143_325:
	s_and_b64 vcc, exec, s[0:1]
	s_cbranch_vccz .LBB143_327
; %bb.326:
	global_load_ubyte v5, v[3:4], off
	s_mov_b32 s0, 0x7f800000
	s_waitcnt vmcnt(0)
	v_lshlrev_b32_e32 v5, 24, v5
	v_and_b32_e32 v6, 0x7f000000, v5
	v_ffbh_u32_e32 v8, v6
	v_min_u32_e32 v8, 32, v8
	v_sub_u32_e64 v8, v8, 4 clamp
	v_lshlrev_b32_e32 v10, v8, v6
	v_lshlrev_b32_e32 v8, 23, v8
	v_lshrrev_b32_e32 v10, 4, v10
	v_add_u32_e32 v9, 0x1000000, v6
	v_sub_u32_e32 v8, v10, v8
	v_ashrrev_i32_e32 v9, 8, v9
	v_add_u32_e32 v8, 0x3c000000, v8
	v_and_or_b32 v8, v9, s0, v8
	v_cmp_ne_u32_e32 vcc, 0, v6
	v_cndmask_b32_e32 v6, 0, v8, vcc
	s_brev_b32 s0, 1
	v_and_or_b32 v5, v5, s0, v6
	v_cvt_f64_f32_e32 v[5:6], v5
.LBB143_327:
	s_mov_b64 s[0:1], 0
.LBB143_328:
	s_andn2_b64 vcc, exec, s[0:1]
	s_cbranch_vccnz .LBB143_330
; %bb.329:
	global_load_ubyte v5, v[3:4], off
	s_movk_i32 s0, 0x7f00
	s_brev_b32 s1, 16
	s_waitcnt vmcnt(0)
	v_lshlrev_b16_e32 v6, 8, v5
	v_lshlrev_b32_e32 v5, 25, v5
	v_lshrrev_b32_e32 v8, 4, v5
	v_and_or_b32 v9, v6, s0, 0.5
	v_or_b32_e32 v8, 0x70000000, v8
	v_add_f32_e32 v9, -0.5, v9
	v_mul_f32_e32 v8, 0x7800000, v8
	v_cmp_gt_u32_e32 vcc, s1, v5
	v_bfe_i32 v6, v6, 0, 16
	v_cndmask_b32_e32 v5, v8, v9, vcc
	s_brev_b32 s0, 1
	v_and_or_b32 v5, v6, s0, v5
	v_cvt_f64_f32_e32 v[5:6], v5
.LBB143_330:
	s_mov_b64 s[40:41], 0
	s_mov_b64 s[0:1], -1
.LBB143_331:
	s_andn2_b64 vcc, exec, s[40:41]
	s_cbranch_vccnz .LBB143_342
; %bb.332:
	s_cmp_gt_i32 s53, 14
	s_cbranch_scc0 .LBB143_335
; %bb.333:
	s_cmp_eq_u32 s53, 15
	s_cbranch_scc0 .LBB143_336
; %bb.334:
	global_load_ushort v5, v[3:4], off
	s_mov_b64 s[0:1], -1
	s_mov_b64 s[42:43], 0
	s_waitcnt vmcnt(0)
	v_lshlrev_b32_e32 v5, 16, v5
	v_cvt_f64_f32_e32 v[5:6], v5
	s_branch .LBB143_337
.LBB143_335:
	s_mov_b64 s[40:41], -1
                                        ; implicit-def: $vgpr5_vgpr6
	s_branch .LBB143_338
.LBB143_336:
	s_mov_b64 s[42:43], -1
                                        ; implicit-def: $vgpr5_vgpr6
.LBB143_337:
	s_mov_b64 s[40:41], 0
.LBB143_338:
	s_and_b64 vcc, exec, s[40:41]
	s_cbranch_vccz .LBB143_342
; %bb.339:
	s_cmp_eq_u32 s53, 11
	s_cbranch_scc0 .LBB143_341
; %bb.340:
	global_load_ubyte v6, v[3:4], off
	v_mov_b32_e32 v8, 0x3ff00000
	v_mov_b32_e32 v5, 0
	s_mov_b64 s[0:1], -1
	s_mov_b64 s[42:43], 0
	s_waitcnt vmcnt(0)
	v_cmp_ne_u16_e32 vcc, 0, v6
	v_cndmask_b32_e32 v6, 0, v8, vcc
	s_branch .LBB143_342
.LBB143_341:
	s_mov_b64 s[42:43], -1
                                        ; implicit-def: $vgpr5_vgpr6
.LBB143_342:
	s_branch .LBB143_31
.LBB143_343:
	s_and_b32 s40, 0xffff, s52
	s_cmp_lt_i32 s40, 5
	s_cbranch_scc1 .LBB143_348
; %bb.344:
	s_cmp_lt_i32 s40, 8
	s_cbranch_scc1 .LBB143_349
; %bb.345:
	;; [unrolled: 3-line block ×3, first 2 shown]
	s_cmp_gt_i32 s40, 9
	s_cbranch_scc0 .LBB143_351
; %bb.347:
	global_load_dwordx2 v[5:6], v[3:4], off
	s_mov_b64 s[0:1], 0
	s_branch .LBB143_352
.LBB143_348:
	s_mov_b64 s[0:1], -1
                                        ; implicit-def: $vgpr5_vgpr6
	s_branch .LBB143_370
.LBB143_349:
	s_mov_b64 s[0:1], -1
                                        ; implicit-def: $vgpr5_vgpr6
	s_branch .LBB143_358
.LBB143_350:
	s_mov_b64 s[0:1], -1
                                        ; implicit-def: $vgpr5_vgpr6
	s_branch .LBB143_355
.LBB143_351:
	s_mov_b64 s[0:1], -1
                                        ; implicit-def: $vgpr5_vgpr6
.LBB143_352:
	s_andn2_b64 vcc, exec, s[0:1]
	s_cbranch_vccnz .LBB143_354
; %bb.353:
	global_load_dword v5, v[3:4], off
	s_waitcnt vmcnt(0)
	v_cvt_f64_f32_e32 v[5:6], v5
.LBB143_354:
	s_mov_b64 s[0:1], 0
.LBB143_355:
	s_andn2_b64 vcc, exec, s[0:1]
	s_cbranch_vccnz .LBB143_357
; %bb.356:
	global_load_dword v5, v[3:4], off
	s_waitcnt vmcnt(0)
	v_cvt_f32_f16_e32 v5, v5
	v_cvt_f64_f32_e32 v[5:6], v5
.LBB143_357:
	s_mov_b64 s[0:1], 0
.LBB143_358:
	s_andn2_b64 vcc, exec, s[0:1]
	s_cbranch_vccnz .LBB143_369
; %bb.359:
	s_cmp_lt_i32 s40, 6
	s_cbranch_scc1 .LBB143_362
; %bb.360:
	s_cmp_gt_i32 s40, 6
	s_cbranch_scc0 .LBB143_363
; %bb.361:
	global_load_dwordx2 v[5:6], v[3:4], off
	s_mov_b64 s[0:1], 0
	s_branch .LBB143_364
.LBB143_362:
	s_mov_b64 s[0:1], -1
                                        ; implicit-def: $vgpr5_vgpr6
	s_branch .LBB143_367
.LBB143_363:
	s_mov_b64 s[0:1], -1
                                        ; implicit-def: $vgpr5_vgpr6
.LBB143_364:
	s_andn2_b64 vcc, exec, s[0:1]
	s_cbranch_vccnz .LBB143_366
; %bb.365:
	global_load_dword v5, v[3:4], off
	s_waitcnt vmcnt(0)
	v_cvt_f64_f32_e32 v[5:6], v5
.LBB143_366:
	s_mov_b64 s[0:1], 0
.LBB143_367:
	s_andn2_b64 vcc, exec, s[0:1]
	s_cbranch_vccnz .LBB143_369
; %bb.368:
	global_load_ushort v5, v[3:4], off
	s_waitcnt vmcnt(0)
	v_cvt_f32_f16_e32 v5, v5
	v_cvt_f64_f32_e32 v[5:6], v5
.LBB143_369:
	s_mov_b64 s[0:1], 0
.LBB143_370:
	s_andn2_b64 vcc, exec, s[0:1]
	s_cbranch_vccnz .LBB143_390
; %bb.371:
	s_cmp_lt_i32 s40, 2
	s_cbranch_scc1 .LBB143_375
; %bb.372:
	s_cmp_lt_i32 s40, 3
	s_cbranch_scc1 .LBB143_376
; %bb.373:
	s_cmp_gt_i32 s40, 3
	s_cbranch_scc0 .LBB143_377
; %bb.374:
	global_load_dwordx2 v[5:6], v[3:4], off
	s_mov_b64 s[0:1], 0
	s_waitcnt vmcnt(0)
	v_cvt_f64_i32_e32 v[8:9], v6
	v_cvt_f64_u32_e32 v[5:6], v5
	v_ldexp_f64 v[8:9], v[8:9], 32
	v_add_f64 v[5:6], v[8:9], v[5:6]
	s_branch .LBB143_378
.LBB143_375:
	s_mov_b64 s[0:1], -1
                                        ; implicit-def: $vgpr5_vgpr6
	s_branch .LBB143_384
.LBB143_376:
	s_mov_b64 s[0:1], -1
                                        ; implicit-def: $vgpr5_vgpr6
	s_branch .LBB143_381
.LBB143_377:
	s_mov_b64 s[0:1], -1
                                        ; implicit-def: $vgpr5_vgpr6
.LBB143_378:
	s_andn2_b64 vcc, exec, s[0:1]
	s_cbranch_vccnz .LBB143_380
; %bb.379:
	global_load_dword v5, v[3:4], off
	s_waitcnt vmcnt(0)
	v_cvt_f64_i32_e32 v[5:6], v5
.LBB143_380:
	s_mov_b64 s[0:1], 0
.LBB143_381:
	s_andn2_b64 vcc, exec, s[0:1]
	s_cbranch_vccnz .LBB143_383
; %bb.382:
	global_load_sshort v5, v[3:4], off
	s_waitcnt vmcnt(0)
	v_cvt_f64_i32_e32 v[5:6], v5
.LBB143_383:
	s_mov_b64 s[0:1], 0
.LBB143_384:
	s_andn2_b64 vcc, exec, s[0:1]
	s_cbranch_vccnz .LBB143_390
; %bb.385:
	s_cmp_gt_i32 s40, 0
	s_cbranch_scc0 .LBB143_387
; %bb.386:
	global_load_sbyte v5, v[3:4], off
	s_mov_b64 s[0:1], 0
	s_waitcnt vmcnt(0)
	v_cvt_f64_i32_e32 v[5:6], v5
	s_branch .LBB143_388
.LBB143_387:
	s_mov_b64 s[0:1], -1
                                        ; implicit-def: $vgpr5_vgpr6
.LBB143_388:
	s_andn2_b64 vcc, exec, s[0:1]
	s_cbranch_vccnz .LBB143_390
; %bb.389:
	global_load_ubyte v3, v[3:4], off
	s_waitcnt vmcnt(0)
	v_cvt_f64_u32_e32 v[5:6], v3
.LBB143_390:
	s_branch .LBB143_32
.LBB143_391:
	s_mov_b64 s[0:1], 0
.LBB143_392:
                                        ; implicit-def: $vgpr7
	s_mov_b64 s[48:49], 0
.LBB143_393:
	s_and_b64 s[40:41], s[0:1], exec
	s_and_b64 s[42:43], s[42:43], exec
	;; [unrolled: 1-line block ×3, first 2 shown]
	s_orn2_b64 s[0:1], s[48:49], exec
.LBB143_394:
	s_or_b64 exec, exec, s[46:47]
	s_mov_b64 s[54:55], 0
	s_mov_b64 s[52:53], 0
                                        ; implicit-def: $sgpr77
                                        ; implicit-def: $vgpr5_vgpr6
                                        ; implicit-def: $vgpr2
                                        ; implicit-def: $vgpr0
                                        ; implicit-def: $vgpr3_vgpr4
	s_and_saveexec_b64 s[46:47], s[0:1]
	s_cbranch_execz .LBB143_402
; %bb.395:
	v_cmp_gt_i32_e32 vcc, s70, v7
	s_mov_b64 s[0:1], -1
	s_mov_b64 s[48:49], s[44:45]
	s_mov_b64 s[50:51], s[42:43]
	;; [unrolled: 1-line block ×3, first 2 shown]
	s_and_saveexec_b64 s[54:55], vcc
	s_cbranch_execz .LBB143_795
; %bb.396:
	s_andn2_b64 vcc, exec, s[24:25]
	s_cbranch_vccnz .LBB143_405
; %bb.397:
	s_andn2_b64 vcc, exec, s[38:39]
	s_cbranch_vccnz .LBB143_406
; %bb.398:
	s_add_i32 s0, s76, 1
	s_and_b32 s48, s0, 30
	s_add_u32 s0, s2, 0xffffffe8
	s_addc_u32 s1, s3, -1
	v_mov_b32_e32 v4, 0
	s_waitcnt vmcnt(0)
	v_mov_b32_e32 v0, 0
	v_mov_b32_e32 v2, 0
	;; [unrolled: 1-line block ×3, first 2 shown]
.LBB143_399:                            ; =>This Inner Loop Header: Depth=1
	s_load_dwordx4 s[56:59], s[0:1], 0x1c
	s_load_dwordx2 s[50:51], s[0:1], 0x2c
	s_load_dwordx2 s[52:53], s[0:1], 0xec
	s_load_dwordx4 s[60:63], s[0:1], 0xdc
	s_add_u32 s0, s0, 24
	s_waitcnt lgkmcnt(0)
	v_mul_hi_u32 v3, s57, v1
	s_addc_u32 s1, s1, 0
	s_add_i32 s48, s48, -2
	s_cmp_eq_u32 s48, 0
	v_add_u32_e32 v3, v1, v3
	v_lshrrev_b32_e32 v3, s58, v3
	v_mul_lo_u32 v5, v3, s56
	v_mul_hi_u32 v6, s50, v3
	v_sub_u32_e32 v5, v1, v5
	v_add_u32_e32 v1, v3, v6
	v_lshrrev_b32_e32 v1, s51, v1
	v_mul_lo_u32 v9, v1, s59
	v_mul_lo_u32 v6, v5, s60
	;; [unrolled: 1-line block ×4, first 2 shown]
	v_sub_u32_e32 v3, v3, v9
	v_mul_lo_u32 v9, v3, s63
	v_mul_lo_u32 v10, v3, s52
	;; [unrolled: 1-line block ×3, first 2 shown]
	v_add3_u32 v2, v6, v2, v9
	v_add3_u32 v0, v8, v0, v10
	;; [unrolled: 1-line block ×3, first 2 shown]
	s_cbranch_scc0 .LBB143_399
; %bb.400:
	s_bitcmp1_b32 s76, 0
	s_cselect_b64 s[48:49], -1, 0
	s_and_b64 vcc, exec, s[48:49]
	s_cbranch_vccnz .LBB143_407
; %bb.401:
	s_load_dwordx2 s[48:49], s[0:1], 0x1c
	s_load_dword s52, s[0:1], 0x24
	s_load_dwordx2 s[50:51], s[0:1], 0xdc
	s_waitcnt lgkmcnt(0)
	v_mul_hi_u32 v3, s49, v1
	v_add_u32_e32 v3, v1, v3
	v_lshrrev_b32_e32 v3, s52, v3
	v_mul_lo_u32 v3, v3, s48
	s_load_dword s48, s[0:1], 0xe4
	v_sub_u32_e32 v5, v1, v3
	v_mad_u64_u32 v[2:3], s[0:1], v5, s50, v[2:3]
	v_mad_u64_u32 v[0:1], s[0:1], v5, s51, v[0:1]
	s_waitcnt lgkmcnt(0)
	v_mad_u64_u32 v[4:5], s[0:1], v5, s48, v[4:5]
	s_branch .LBB143_407
.LBB143_402:
	s_or_b64 exec, exec, s[46:47]
	s_mov_b64 s[10:11], 0
	s_and_saveexec_b64 s[0:1], s[44:45]
	s_cbranch_execnz .LBB143_1293
.LBB143_403:
	s_or_b64 exec, exec, s[0:1]
	s_and_saveexec_b64 s[0:1], s[50:51]
	s_xor_b64 s[0:1], exec, s[0:1]
	s_cbranch_execz .LBB143_1294
.LBB143_404:
	s_waitcnt vmcnt(0)
	global_load_ubyte v1, v[5:6], off
	v_mov_b32_e32 v4, 0x3ff00000
	v_mov_b32_e32 v3, 0
	s_or_b64 s[52:53], s[52:53], exec
	s_waitcnt vmcnt(0)
	v_cmp_ne_u16_e32 vcc, 0, v1
	v_cndmask_b32_e32 v4, 0, v4, vcc
	s_or_b64 exec, exec, s[0:1]
	s_and_saveexec_b64 s[0:1], s[54:55]
	s_cbranch_execz .LBB143_1340
	s_branch .LBB143_1295
.LBB143_405:
                                        ; implicit-def: $vgpr2
                                        ; implicit-def: $vgpr0
                                        ; implicit-def: $vgpr4
	s_andn2_b64 vcc, exec, s[0:1]
	s_cbranch_vccz .LBB143_408
	s_branch .LBB143_410
.LBB143_406:
	v_mov_b32_e32 v2, 0
	s_waitcnt vmcnt(0)
	v_mov_b32_e32 v0, 0
	v_mov_b32_e32 v4, 0
.LBB143_407:
	s_cbranch_execnz .LBB143_410
.LBB143_408:
	s_waitcnt vmcnt(0)
	v_mul_hi_u32 v0, s17, v7
	s_andn2_b64 vcc, exec, s[36:37]
	v_add_u32_e32 v0, v7, v0
	v_lshrrev_b32_e32 v1, s18, v0
	v_mul_lo_u32 v0, v1, s16
	v_sub_u32_e32 v3, v7, v0
	v_mul_lo_u32 v2, v3, s20
	v_mul_lo_u32 v0, v3, s21
	;; [unrolled: 1-line block ×3, first 2 shown]
	s_cbranch_vccnz .LBB143_410
; %bb.409:
	v_mul_hi_u32 v3, s30, v1
	v_add_u32_e32 v3, v1, v3
	v_lshrrev_b32_e32 v3, s31, v3
	v_mul_lo_u32 v3, v3, s19
	v_sub_u32_e32 v5, v1, v3
	v_mad_u64_u32 v[2:3], s[0:1], v5, s23, v[2:3]
	v_mad_u64_u32 v[0:1], s[0:1], v5, s34, v[0:1]
	;; [unrolled: 1-line block ×3, first 2 shown]
.LBB143_410:
	s_waitcnt vmcnt(0)
	v_mov_b32_e32 v1, s11
	s_and_b32 s56, s75, 0xff
	v_add_co_u32_e32 v5, vcc, s10, v0
	s_cmp_lt_i32 s56, 11
	v_addc_co_u32_e32 v6, vcc, 0, v1, vcc
	s_cbranch_scc1 .LBB143_417
; %bb.411:
	s_and_b32 s57, 0xffff, s56
	s_cmp_gt_i32 s57, 25
	s_cbranch_scc0 .LBB143_426
; %bb.412:
	s_cmp_gt_i32 s57, 28
	s_cbranch_scc0 .LBB143_428
; %bb.413:
	s_cmp_gt_i32 s57, 43
	s_cbranch_scc0 .LBB143_430
; %bb.414:
	s_cmp_gt_i32 s57, 45
	s_cbranch_scc0 .LBB143_432
; %bb.415:
	s_cmp_eq_u32 s57, 46
	s_mov_b64 s[50:51], 0
	s_cbranch_scc0 .LBB143_436
; %bb.416:
	global_load_dword v0, v[5:6], off
	s_mov_b64 s[0:1], -1
	s_mov_b64 s[48:49], 0
	s_waitcnt vmcnt(0)
	v_lshlrev_b32_e32 v0, 16, v0
	v_cvt_f64_f32_e32 v[0:1], v0
	s_branch .LBB143_437
.LBB143_417:
	s_mov_b64 s[0:1], 0
                                        ; implicit-def: $vgpr0_vgpr1
	s_mov_b64 s[48:49], s[44:45]
	s_cbranch_execnz .LBB143_503
.LBB143_418:
	s_andn2_b64 vcc, exec, s[0:1]
	s_cbranch_vccnz .LBB143_551
.LBB143_419:
	v_mov_b32_e32 v5, s13
	s_and_b32 s58, s74, 0xff
	v_add_co_u32_e32 v3, vcc, s12, v4
	s_cmp_lt_i32 s58, 11
	v_addc_co_u32_e32 v4, vcc, 0, v5, vcc
	s_cbranch_scc1 .LBB143_427
; %bb.420:
	s_and_b32 s59, 0xffff, s58
	s_cmp_gt_i32 s59, 25
	s_cbranch_scc0 .LBB143_429
; %bb.421:
	s_cmp_gt_i32 s59, 28
	s_cbranch_scc0 .LBB143_431
; %bb.422:
	;; [unrolled: 3-line block ×4, first 2 shown]
	s_cmp_eq_u32 s59, 46
	s_mov_b64 s[52:53], 0
	s_cbranch_scc0 .LBB143_555
; %bb.425:
	global_load_dword v5, v[3:4], off
	s_mov_b64 s[0:1], -1
	s_mov_b64 s[50:51], 0
	s_waitcnt vmcnt(0)
	v_lshlrev_b32_e32 v5, 16, v5
	v_cvt_f64_f32_e32 v[5:6], v5
	s_branch .LBB143_556
.LBB143_426:
	s_mov_b64 s[50:51], -1
	s_mov_b64 s[0:1], 0
	s_mov_b64 s[48:49], s[44:45]
                                        ; implicit-def: $vgpr0_vgpr1
	s_branch .LBB143_469
.LBB143_427:
	s_mov_b64 s[52:53], -1
	s_mov_b64 s[0:1], 0
                                        ; implicit-def: $vgpr5_vgpr6
	s_mov_b64 s[50:51], s[42:43]
	s_branch .LBB143_621
.LBB143_428:
	s_mov_b64 s[50:51], -1
	s_mov_b64 s[0:1], 0
	s_mov_b64 s[48:49], s[44:45]
                                        ; implicit-def: $vgpr0_vgpr1
	s_branch .LBB143_448
.LBB143_429:
	s_mov_b64 s[52:53], -1
	s_mov_b64 s[0:1], 0
	s_mov_b64 s[50:51], s[42:43]
                                        ; implicit-def: $vgpr5_vgpr6
	s_branch .LBB143_587
.LBB143_430:
	s_mov_b64 s[50:51], -1
	s_mov_b64 s[0:1], 0
	s_mov_b64 s[48:49], s[44:45]
                                        ; implicit-def: $vgpr0_vgpr1
	s_branch .LBB143_443
.LBB143_431:
	s_mov_b64 s[52:53], -1
	s_mov_b64 s[0:1], 0
	s_mov_b64 s[50:51], s[42:43]
                                        ; implicit-def: $vgpr5_vgpr6
	s_branch .LBB143_566
.LBB143_432:
	s_mov_b64 s[50:51], -1
	s_mov_b64 s[0:1], 0
	s_mov_b64 s[48:49], s[44:45]
                                        ; implicit-def: $vgpr0_vgpr1
	s_branch .LBB143_437
.LBB143_433:
	s_mov_b64 s[52:53], -1
	s_mov_b64 s[0:1], 0
	s_mov_b64 s[50:51], s[42:43]
                                        ; implicit-def: $vgpr5_vgpr6
	s_branch .LBB143_561
.LBB143_434:
	s_andn2_saveexec_b64 s[52:53], s[52:53]
	s_cbranch_execz .LBB143_191
.LBB143_435:
	s_mov_b32 s56, 0x46000000
	v_add_f32_e64 v3, |v2|, s56
	v_and_b32_e32 v3, 0xff, v3
	v_cmp_ne_u32_e32 vcc, 0, v3
	s_andn2_b64 s[48:49], s[48:49], exec
	s_and_b64 s[56:57], vcc, exec
	s_or_b64 s[48:49], s[48:49], s[56:57]
	s_or_b64 exec, exec, s[52:53]
	v_mov_b32_e32 v6, 0
	s_and_saveexec_b64 s[52:53], s[48:49]
	s_cbranch_execnz .LBB143_192
	s_branch .LBB143_193
.LBB143_436:
	s_mov_b64 s[48:49], -1
                                        ; implicit-def: $vgpr0_vgpr1
	s_mov_b64 s[0:1], 0
.LBB143_437:
	s_and_b64 vcc, exec, s[50:51]
	s_cbranch_vccz .LBB143_442
; %bb.438:
	s_cmp_eq_u32 s57, 44
	s_cbranch_scc0 .LBB143_441
; %bb.439:
	global_load_ubyte v3, v[5:6], off
	s_movk_i32 s48, 0xff
	v_bfrev_b32_e32 v8, 4
	v_mov_b32_e32 v9, 0x7ff80000
	v_bfrev_b32_e32 v10, 28
	s_mov_b64 s[0:1], -1
	s_waitcnt vmcnt(0)
	v_lshlrev_b32_e32 v0, 23, v3
	v_cvt_f64_f32_e32 v[0:1], v0
	v_cmp_ne_u32_e32 vcc, s48, v3
	s_mov_b64 s[48:49], 0
	v_cndmask_b32_e32 v0, v8, v0, vcc
	v_cndmask_b32_e32 v1, v9, v1, vcc
	v_cmp_ne_u32_e32 vcc, 0, v3
	v_cndmask_b32_e32 v1, v10, v1, vcc
	v_cndmask_b32_e32 v0, 0, v0, vcc
	s_branch .LBB143_442
.LBB143_440:
	s_mov_b64 s[52:53], -1
	s_mov_b64 s[0:1], 0
	s_mov_b64 s[50:51], s[42:43]
                                        ; implicit-def: $vgpr5_vgpr6
	s_branch .LBB143_556
.LBB143_441:
	s_mov_b64 s[48:49], -1
                                        ; implicit-def: $vgpr0_vgpr1
.LBB143_442:
	s_mov_b64 s[50:51], 0
.LBB143_443:
	s_and_b64 vcc, exec, s[50:51]
	s_cbranch_vccz .LBB143_447
; %bb.444:
	s_cmp_eq_u32 s57, 29
	s_cbranch_scc0 .LBB143_446
; %bb.445:
	global_load_dwordx2 v[0:1], v[5:6], off
	s_mov_b64 s[0:1], -1
	s_mov_b64 s[48:49], 0
	s_mov_b64 s[50:51], 0
	s_waitcnt vmcnt(0)
	v_cvt_f64_u32_e32 v[8:9], v1
	v_cvt_f64_u32_e32 v[0:1], v0
	v_ldexp_f64 v[8:9], v[8:9], 32
	v_add_f64 v[0:1], v[8:9], v[0:1]
	s_branch .LBB143_448
.LBB143_446:
	s_mov_b64 s[48:49], -1
                                        ; implicit-def: $vgpr0_vgpr1
.LBB143_447:
	s_mov_b64 s[50:51], 0
.LBB143_448:
	s_and_b64 vcc, exec, s[50:51]
	s_cbranch_vccz .LBB143_468
; %bb.449:
	s_cmp_lt_i32 s57, 27
	s_cbranch_scc1 .LBB143_452
; %bb.450:
	s_cmp_gt_i32 s57, 27
	s_cbranch_scc0 .LBB143_453
; %bb.451:
	global_load_dword v0, v[5:6], off
	s_mov_b64 s[0:1], 0
	s_waitcnt vmcnt(0)
	v_cvt_f64_u32_e32 v[0:1], v0
	s_branch .LBB143_454
.LBB143_452:
	s_mov_b64 s[0:1], -1
                                        ; implicit-def: $vgpr0_vgpr1
	s_branch .LBB143_457
.LBB143_453:
	s_mov_b64 s[0:1], -1
                                        ; implicit-def: $vgpr0_vgpr1
.LBB143_454:
	s_andn2_b64 vcc, exec, s[0:1]
	s_cbranch_vccnz .LBB143_456
; %bb.455:
	global_load_ushort v0, v[5:6], off
	s_waitcnt vmcnt(0)
	v_cvt_f64_u32_e32 v[0:1], v0
.LBB143_456:
	s_mov_b64 s[0:1], 0
.LBB143_457:
	s_andn2_b64 vcc, exec, s[0:1]
	s_cbranch_vccnz .LBB143_467
; %bb.458:
	global_load_ubyte v3, v[5:6], off
	s_movk_i32 s0, 0x7f
	s_waitcnt vmcnt(0)
	v_cmp_lt_i16_e32 vcc, s0, v3
	s_mov_b64 s[0:1], 0
	s_and_saveexec_b64 s[50:51], vcc
	s_xor_b64 s[50:51], exec, s[50:51]
	s_cbranch_execz .LBB143_462
; %bb.459:
	s_movk_i32 s0, 0x80
	v_cmp_eq_u16_e32 vcc, s0, v3
	s_mov_b64 s[0:1], -1
	s_and_saveexec_b64 s[52:53], vcc
; %bb.460:
	s_xor_b64 s[0:1], exec, -1
; %bb.461:
	s_or_b64 exec, exec, s[52:53]
	s_and_b64 s[0:1], s[0:1], exec
.LBB143_462:
	s_or_saveexec_b64 s[50:51], s[50:51]
	v_bfrev_b32_e32 v0, 4
	v_mov_b32_e32 v1, 0x7ff80000
	s_xor_b64 exec, exec, s[50:51]
; %bb.463:
	v_cmp_ne_u16_e32 vcc, 0, v3
	v_mov_b32_e32 v0, 0
	s_andn2_b64 s[0:1], s[0:1], exec
	s_and_b64 s[52:53], vcc, exec
	v_mov_b32_e32 v1, 0
	s_or_b64 s[0:1], s[0:1], s[52:53]
; %bb.464:
	s_or_b64 exec, exec, s[50:51]
	s_and_saveexec_b64 s[50:51], s[0:1]
	s_cbranch_execz .LBB143_466
; %bb.465:
	v_and_b32_e32 v1, 0xffff, v3
	v_lshlrev_b32_e32 v0, 24, v3
	v_and_b32_e32 v3, 7, v1
	v_ffbh_u32_e32 v9, v3
	v_min_u32_e32 v9, 32, v9
	v_subrev_u32_e32 v10, 28, v9
	v_bfe_u32 v8, v1, 3, 4
	v_lshlrev_b32_e32 v1, v10, v1
	v_sub_u32_e32 v9, 29, v9
	v_and_b32_e32 v1, 7, v1
	v_cmp_eq_u32_e32 vcc, 0, v8
	v_cndmask_b32_e32 v8, v8, v9, vcc
	v_cndmask_b32_e32 v1, v3, v1, vcc
	v_mov_b32_e32 v3, 0x3b800000
	v_lshlrev_b32_e32 v1, 20, v1
	v_and_b32_e32 v0, 0x80000000, v0
	v_lshl_add_u32 v3, v8, 23, v3
	v_or3_b32 v0, v0, v3, v1
	v_cvt_f64_f32_e32 v[0:1], v0
.LBB143_466:
	s_or_b64 exec, exec, s[50:51]
.LBB143_467:
	s_mov_b64 s[0:1], -1
.LBB143_468:
	s_mov_b64 s[50:51], 0
.LBB143_469:
	s_and_b64 vcc, exec, s[50:51]
	s_cbranch_vccz .LBB143_502
; %bb.470:
	s_cmp_gt_i32 s57, 22
	s_cbranch_scc0 .LBB143_482
; %bb.471:
	s_cmp_lt_i32 s57, 24
	s_cbranch_scc1 .LBB143_483
; %bb.472:
	s_cmp_gt_i32 s57, 24
	s_cbranch_scc0 .LBB143_484
; %bb.473:
	global_load_ubyte v3, v[5:6], off
	s_movk_i32 s0, 0x7f
	s_waitcnt vmcnt(0)
	v_cmp_lt_i16_e32 vcc, s0, v3
	s_mov_b64 s[0:1], 0
	s_and_saveexec_b64 s[50:51], vcc
	s_xor_b64 s[50:51], exec, s[50:51]
	s_cbranch_execz .LBB143_477
; %bb.474:
	s_movk_i32 s0, 0x80
	v_cmp_eq_u16_e32 vcc, s0, v3
	s_mov_b64 s[0:1], -1
	s_and_saveexec_b64 s[52:53], vcc
; %bb.475:
	s_xor_b64 s[0:1], exec, -1
; %bb.476:
	s_or_b64 exec, exec, s[52:53]
	s_and_b64 s[0:1], s[0:1], exec
.LBB143_477:
	s_or_saveexec_b64 s[50:51], s[50:51]
	v_bfrev_b32_e32 v0, 4
	v_mov_b32_e32 v1, 0x7ff80000
	s_xor_b64 exec, exec, s[50:51]
; %bb.478:
	v_cmp_ne_u16_e32 vcc, 0, v3
	v_mov_b32_e32 v0, 0
	s_andn2_b64 s[0:1], s[0:1], exec
	s_and_b64 s[52:53], vcc, exec
	v_mov_b32_e32 v1, 0
	s_or_b64 s[0:1], s[0:1], s[52:53]
; %bb.479:
	s_or_b64 exec, exec, s[50:51]
	s_and_saveexec_b64 s[50:51], s[0:1]
	s_cbranch_execz .LBB143_481
; %bb.480:
	v_and_b32_e32 v1, 0xffff, v3
	v_lshlrev_b32_e32 v0, 24, v3
	v_and_b32_e32 v3, 3, v1
	v_ffbh_u32_e32 v9, v3
	v_min_u32_e32 v9, 32, v9
	v_subrev_u32_e32 v10, 29, v9
	v_bfe_u32 v8, v1, 2, 5
	v_lshlrev_b32_e32 v1, v10, v1
	v_sub_u32_e32 v9, 30, v9
	v_and_b32_e32 v1, 3, v1
	v_cmp_eq_u32_e32 vcc, 0, v8
	v_cndmask_b32_e32 v8, v8, v9, vcc
	v_cndmask_b32_e32 v1, v3, v1, vcc
	v_mov_b32_e32 v3, 0x37800000
	v_lshlrev_b32_e32 v1, 21, v1
	v_and_b32_e32 v0, 0x80000000, v0
	v_lshl_add_u32 v3, v8, 23, v3
	v_or3_b32 v0, v0, v3, v1
	v_cvt_f64_f32_e32 v[0:1], v0
.LBB143_481:
	s_or_b64 exec, exec, s[50:51]
	s_mov_b64 s[0:1], 0
	s_branch .LBB143_485
.LBB143_482:
	s_mov_b64 s[50:51], -1
                                        ; implicit-def: $vgpr0_vgpr1
	s_branch .LBB143_491
.LBB143_483:
	s_mov_b64 s[0:1], -1
                                        ; implicit-def: $vgpr0_vgpr1
	s_branch .LBB143_488
.LBB143_484:
	s_mov_b64 s[0:1], -1
                                        ; implicit-def: $vgpr0_vgpr1
.LBB143_485:
	s_and_b64 vcc, exec, s[0:1]
	s_cbranch_vccz .LBB143_487
; %bb.486:
	global_load_ubyte v0, v[5:6], off
	s_mov_b32 s0, 0x7f800000
	s_waitcnt vmcnt(0)
	v_lshlrev_b32_e32 v0, 24, v0
	v_and_b32_e32 v1, 0x7f000000, v0
	v_ffbh_u32_e32 v3, v1
	v_min_u32_e32 v3, 32, v3
	v_sub_u32_e64 v3, v3, 4 clamp
	v_lshlrev_b32_e32 v9, v3, v1
	v_lshlrev_b32_e32 v3, 23, v3
	v_lshrrev_b32_e32 v9, 4, v9
	v_add_u32_e32 v8, 0x1000000, v1
	v_sub_u32_e32 v3, v9, v3
	v_ashrrev_i32_e32 v8, 8, v8
	v_add_u32_e32 v3, 0x3c000000, v3
	v_and_or_b32 v3, v8, s0, v3
	v_cmp_ne_u32_e32 vcc, 0, v1
	v_cndmask_b32_e32 v1, 0, v3, vcc
	s_brev_b32 s0, 1
	v_and_or_b32 v0, v0, s0, v1
	v_cvt_f64_f32_e32 v[0:1], v0
.LBB143_487:
	s_mov_b64 s[0:1], 0
.LBB143_488:
	s_andn2_b64 vcc, exec, s[0:1]
	s_cbranch_vccnz .LBB143_490
; %bb.489:
	global_load_ubyte v0, v[5:6], off
	s_movk_i32 s0, 0x7f00
	s_brev_b32 s1, 16
	s_waitcnt vmcnt(0)
	v_lshlrev_b16_e32 v1, 8, v0
	v_lshlrev_b32_e32 v0, 25, v0
	v_lshrrev_b32_e32 v3, 4, v0
	v_and_or_b32 v8, v1, s0, 0.5
	v_or_b32_e32 v3, 0x70000000, v3
	v_add_f32_e32 v8, -0.5, v8
	v_mul_f32_e32 v3, 0x7800000, v3
	v_cmp_gt_u32_e32 vcc, s1, v0
	v_bfe_i32 v1, v1, 0, 16
	v_cndmask_b32_e32 v0, v3, v8, vcc
	s_brev_b32 s0, 1
	v_and_or_b32 v0, v1, s0, v0
	v_cvt_f64_f32_e32 v[0:1], v0
.LBB143_490:
	s_mov_b64 s[50:51], 0
	s_mov_b64 s[0:1], -1
.LBB143_491:
	s_andn2_b64 vcc, exec, s[50:51]
	s_cbranch_vccnz .LBB143_502
; %bb.492:
	s_cmp_gt_i32 s57, 14
	s_cbranch_scc0 .LBB143_495
; %bb.493:
	s_cmp_eq_u32 s57, 15
	s_cbranch_scc0 .LBB143_496
; %bb.494:
	global_load_ushort v0, v[5:6], off
	s_mov_b64 s[0:1], -1
	s_mov_b64 s[48:49], 0
	s_waitcnt vmcnt(0)
	v_lshlrev_b32_e32 v0, 16, v0
	v_cvt_f64_f32_e32 v[0:1], v0
	s_branch .LBB143_497
.LBB143_495:
	s_mov_b64 s[50:51], -1
                                        ; implicit-def: $vgpr0_vgpr1
	s_branch .LBB143_498
.LBB143_496:
	s_mov_b64 s[48:49], -1
                                        ; implicit-def: $vgpr0_vgpr1
.LBB143_497:
	s_mov_b64 s[50:51], 0
.LBB143_498:
	s_and_b64 vcc, exec, s[50:51]
	s_cbranch_vccz .LBB143_502
; %bb.499:
	s_cmp_eq_u32 s57, 11
	s_cbranch_scc0 .LBB143_501
; %bb.500:
	global_load_ubyte v1, v[5:6], off
	v_mov_b32_e32 v3, 0x3ff00000
	v_mov_b32_e32 v0, 0
	s_mov_b64 s[0:1], -1
	s_mov_b64 s[48:49], 0
	s_waitcnt vmcnt(0)
	v_cmp_ne_u16_e32 vcc, 0, v1
	v_cndmask_b32_e32 v1, 0, v3, vcc
	s_branch .LBB143_502
.LBB143_501:
	s_mov_b64 s[48:49], -1
                                        ; implicit-def: $vgpr0_vgpr1
.LBB143_502:
	s_branch .LBB143_418
.LBB143_503:
	s_and_b32 s50, 0xffff, s56
	s_cmp_lt_i32 s50, 5
	s_cbranch_scc1 .LBB143_508
; %bb.504:
	s_cmp_lt_i32 s50, 8
	s_cbranch_scc1 .LBB143_509
; %bb.505:
	;; [unrolled: 3-line block ×3, first 2 shown]
	s_cmp_gt_i32 s50, 9
	s_cbranch_scc0 .LBB143_511
; %bb.507:
	global_load_dwordx2 v[0:1], v[5:6], off
	s_mov_b64 s[0:1], 0
	s_branch .LBB143_512
.LBB143_508:
	s_mov_b64 s[0:1], -1
                                        ; implicit-def: $vgpr0_vgpr1
	s_branch .LBB143_530
.LBB143_509:
	s_mov_b64 s[0:1], -1
                                        ; implicit-def: $vgpr0_vgpr1
	s_branch .LBB143_518
.LBB143_510:
	s_mov_b64 s[0:1], -1
                                        ; implicit-def: $vgpr0_vgpr1
	s_branch .LBB143_515
.LBB143_511:
	s_mov_b64 s[0:1], -1
                                        ; implicit-def: $vgpr0_vgpr1
.LBB143_512:
	s_andn2_b64 vcc, exec, s[0:1]
	s_cbranch_vccnz .LBB143_514
; %bb.513:
	global_load_dword v0, v[5:6], off
	s_waitcnt vmcnt(0)
	v_cvt_f64_f32_e32 v[0:1], v0
.LBB143_514:
	s_mov_b64 s[0:1], 0
.LBB143_515:
	s_andn2_b64 vcc, exec, s[0:1]
	s_cbranch_vccnz .LBB143_517
; %bb.516:
	global_load_dword v0, v[5:6], off
	s_waitcnt vmcnt(0)
	v_cvt_f32_f16_e32 v0, v0
	v_cvt_f64_f32_e32 v[0:1], v0
.LBB143_517:
	s_mov_b64 s[0:1], 0
.LBB143_518:
	s_andn2_b64 vcc, exec, s[0:1]
	s_cbranch_vccnz .LBB143_529
; %bb.519:
	s_cmp_lt_i32 s50, 6
	s_cbranch_scc1 .LBB143_522
; %bb.520:
	s_cmp_gt_i32 s50, 6
	s_cbranch_scc0 .LBB143_523
; %bb.521:
	global_load_dwordx2 v[0:1], v[5:6], off
	s_mov_b64 s[0:1], 0
	s_branch .LBB143_524
.LBB143_522:
	s_mov_b64 s[0:1], -1
                                        ; implicit-def: $vgpr0_vgpr1
	s_branch .LBB143_527
.LBB143_523:
	s_mov_b64 s[0:1], -1
                                        ; implicit-def: $vgpr0_vgpr1
.LBB143_524:
	s_andn2_b64 vcc, exec, s[0:1]
	s_cbranch_vccnz .LBB143_526
; %bb.525:
	global_load_dword v0, v[5:6], off
	s_waitcnt vmcnt(0)
	v_cvt_f64_f32_e32 v[0:1], v0
.LBB143_526:
	s_mov_b64 s[0:1], 0
.LBB143_527:
	s_andn2_b64 vcc, exec, s[0:1]
	s_cbranch_vccnz .LBB143_529
; %bb.528:
	global_load_ushort v0, v[5:6], off
	s_waitcnt vmcnt(0)
	v_cvt_f32_f16_e32 v0, v0
	v_cvt_f64_f32_e32 v[0:1], v0
.LBB143_529:
	s_mov_b64 s[0:1], 0
.LBB143_530:
	s_andn2_b64 vcc, exec, s[0:1]
	s_cbranch_vccnz .LBB143_550
; %bb.531:
	s_cmp_lt_i32 s50, 2
	s_cbranch_scc1 .LBB143_535
; %bb.532:
	s_cmp_lt_i32 s50, 3
	s_cbranch_scc1 .LBB143_536
; %bb.533:
	s_cmp_gt_i32 s50, 3
	s_cbranch_scc0 .LBB143_537
; %bb.534:
	global_load_dwordx2 v[0:1], v[5:6], off
	s_mov_b64 s[0:1], 0
	s_waitcnt vmcnt(0)
	v_cvt_f64_i32_e32 v[8:9], v1
	v_cvt_f64_u32_e32 v[0:1], v0
	v_ldexp_f64 v[8:9], v[8:9], 32
	v_add_f64 v[0:1], v[8:9], v[0:1]
	s_branch .LBB143_538
.LBB143_535:
	s_mov_b64 s[0:1], -1
                                        ; implicit-def: $vgpr0_vgpr1
	s_branch .LBB143_544
.LBB143_536:
	s_mov_b64 s[0:1], -1
                                        ; implicit-def: $vgpr0_vgpr1
	s_branch .LBB143_541
.LBB143_537:
	s_mov_b64 s[0:1], -1
                                        ; implicit-def: $vgpr0_vgpr1
.LBB143_538:
	s_andn2_b64 vcc, exec, s[0:1]
	s_cbranch_vccnz .LBB143_540
; %bb.539:
	global_load_dword v0, v[5:6], off
	s_waitcnt vmcnt(0)
	v_cvt_f64_i32_e32 v[0:1], v0
.LBB143_540:
	s_mov_b64 s[0:1], 0
.LBB143_541:
	s_andn2_b64 vcc, exec, s[0:1]
	s_cbranch_vccnz .LBB143_543
; %bb.542:
	global_load_sshort v0, v[5:6], off
	s_waitcnt vmcnt(0)
	v_cvt_f64_i32_e32 v[0:1], v0
.LBB143_543:
	s_mov_b64 s[0:1], 0
.LBB143_544:
	s_andn2_b64 vcc, exec, s[0:1]
	s_cbranch_vccnz .LBB143_550
; %bb.545:
	s_cmp_gt_i32 s50, 0
	s_cbranch_scc0 .LBB143_547
; %bb.546:
	global_load_sbyte v0, v[5:6], off
	s_mov_b64 s[0:1], 0
	s_waitcnt vmcnt(0)
	v_cvt_f64_i32_e32 v[0:1], v0
	s_branch .LBB143_548
.LBB143_547:
	s_mov_b64 s[0:1], -1
                                        ; implicit-def: $vgpr0_vgpr1
.LBB143_548:
	s_andn2_b64 vcc, exec, s[0:1]
	s_cbranch_vccnz .LBB143_550
; %bb.549:
	global_load_ubyte v0, v[5:6], off
	s_waitcnt vmcnt(0)
	v_cvt_f64_u32_e32 v[0:1], v0
.LBB143_550:
	s_branch .LBB143_419
.LBB143_551:
	s_mov_b64 s[56:57], 0
	s_mov_b64 s[0:1], s[40:41]
	;; [unrolled: 1-line block ×3, first 2 shown]
.LBB143_552:
                                        ; implicit-def: $vgpr7
	s_branch .LBB143_794
.LBB143_553:
	s_andn2_saveexec_b64 s[52:53], s[52:53]
	s_cbranch_execz .LBB143_204
.LBB143_554:
	s_mov_b32 s56, 0x42800000
	v_add_f32_e64 v3, |v2|, s56
	v_and_b32_e32 v3, 0xff, v3
	v_cmp_ne_u32_e32 vcc, 0, v3
	s_andn2_b64 s[48:49], s[48:49], exec
	s_and_b64 s[56:57], vcc, exec
	s_or_b64 s[48:49], s[48:49], s[56:57]
	s_or_b64 exec, exec, s[52:53]
	v_mov_b32_e32 v6, 0
	s_and_saveexec_b64 s[52:53], s[48:49]
	s_cbranch_execnz .LBB143_205
	s_branch .LBB143_206
.LBB143_555:
	s_mov_b64 s[50:51], -1
                                        ; implicit-def: $vgpr5_vgpr6
	s_mov_b64 s[0:1], 0
.LBB143_556:
	s_and_b64 vcc, exec, s[52:53]
	s_cbranch_vccz .LBB143_560
; %bb.557:
	s_cmp_eq_u32 s59, 44
	s_cbranch_scc0 .LBB143_559
; %bb.558:
	global_load_ubyte v8, v[3:4], off
	s_movk_i32 s50, 0xff
	v_bfrev_b32_e32 v9, 4
	v_mov_b32_e32 v10, 0x7ff80000
	v_bfrev_b32_e32 v11, 28
	s_mov_b64 s[0:1], -1
	s_waitcnt vmcnt(0)
	v_lshlrev_b32_e32 v5, 23, v8
	v_cvt_f64_f32_e32 v[5:6], v5
	v_cmp_ne_u32_e32 vcc, s50, v8
	s_mov_b64 s[50:51], 0
	v_cndmask_b32_e32 v5, v9, v5, vcc
	v_cndmask_b32_e32 v6, v10, v6, vcc
	v_cmp_ne_u32_e32 vcc, 0, v8
	v_cndmask_b32_e32 v6, v11, v6, vcc
	v_cndmask_b32_e32 v5, 0, v5, vcc
	s_branch .LBB143_560
.LBB143_559:
	s_mov_b64 s[50:51], -1
                                        ; implicit-def: $vgpr5_vgpr6
.LBB143_560:
	s_mov_b64 s[52:53], 0
.LBB143_561:
	s_and_b64 vcc, exec, s[52:53]
	s_cbranch_vccz .LBB143_565
; %bb.562:
	s_cmp_eq_u32 s59, 29
	s_cbranch_scc0 .LBB143_564
; %bb.563:
	global_load_dwordx2 v[5:6], v[3:4], off
	s_mov_b64 s[0:1], -1
	s_mov_b64 s[50:51], 0
	s_mov_b64 s[52:53], 0
	s_waitcnt vmcnt(0)
	v_cvt_f64_u32_e32 v[8:9], v6
	v_cvt_f64_u32_e32 v[5:6], v5
	v_ldexp_f64 v[8:9], v[8:9], 32
	v_add_f64 v[5:6], v[8:9], v[5:6]
	s_branch .LBB143_566
.LBB143_564:
	s_mov_b64 s[50:51], -1
                                        ; implicit-def: $vgpr5_vgpr6
.LBB143_565:
	s_mov_b64 s[52:53], 0
.LBB143_566:
	s_and_b64 vcc, exec, s[52:53]
	s_cbranch_vccz .LBB143_586
; %bb.567:
	s_cmp_lt_i32 s59, 27
	s_cbranch_scc1 .LBB143_570
; %bb.568:
	s_cmp_gt_i32 s59, 27
	s_cbranch_scc0 .LBB143_571
; %bb.569:
	global_load_dword v5, v[3:4], off
	s_mov_b64 s[0:1], 0
	s_waitcnt vmcnt(0)
	v_cvt_f64_u32_e32 v[5:6], v5
	s_branch .LBB143_572
.LBB143_570:
	s_mov_b64 s[0:1], -1
                                        ; implicit-def: $vgpr5_vgpr6
	s_branch .LBB143_575
.LBB143_571:
	s_mov_b64 s[0:1], -1
                                        ; implicit-def: $vgpr5_vgpr6
.LBB143_572:
	s_andn2_b64 vcc, exec, s[0:1]
	s_cbranch_vccnz .LBB143_574
; %bb.573:
	global_load_ushort v5, v[3:4], off
	s_waitcnt vmcnt(0)
	v_cvt_f64_u32_e32 v[5:6], v5
.LBB143_574:
	s_mov_b64 s[0:1], 0
.LBB143_575:
	s_andn2_b64 vcc, exec, s[0:1]
	s_cbranch_vccnz .LBB143_585
; %bb.576:
	global_load_ubyte v8, v[3:4], off
	s_movk_i32 s0, 0x7f
	s_waitcnt vmcnt(0)
	v_cmp_lt_i16_e32 vcc, s0, v8
	s_mov_b64 s[0:1], 0
	s_and_saveexec_b64 s[52:53], vcc
	s_xor_b64 s[52:53], exec, s[52:53]
	s_cbranch_execz .LBB143_580
; %bb.577:
	s_movk_i32 s0, 0x80
	v_cmp_eq_u16_e32 vcc, s0, v8
	s_mov_b64 s[0:1], -1
	s_and_saveexec_b64 s[56:57], vcc
; %bb.578:
	s_xor_b64 s[0:1], exec, -1
; %bb.579:
	s_or_b64 exec, exec, s[56:57]
	s_and_b64 s[0:1], s[0:1], exec
.LBB143_580:
	s_or_saveexec_b64 s[52:53], s[52:53]
	v_bfrev_b32_e32 v5, 4
	v_mov_b32_e32 v6, 0x7ff80000
	s_xor_b64 exec, exec, s[52:53]
; %bb.581:
	v_cmp_ne_u16_e32 vcc, 0, v8
	v_mov_b32_e32 v5, 0
	s_andn2_b64 s[0:1], s[0:1], exec
	s_and_b64 s[56:57], vcc, exec
	v_mov_b32_e32 v6, 0
	s_or_b64 s[0:1], s[0:1], s[56:57]
; %bb.582:
	s_or_b64 exec, exec, s[52:53]
	s_and_saveexec_b64 s[52:53], s[0:1]
	s_cbranch_execz .LBB143_584
; %bb.583:
	v_and_b32_e32 v6, 0xffff, v8
	v_lshlrev_b32_e32 v5, 24, v8
	v_and_b32_e32 v8, 7, v6
	v_ffbh_u32_e32 v10, v8
	v_min_u32_e32 v10, 32, v10
	v_subrev_u32_e32 v11, 28, v10
	v_bfe_u32 v9, v6, 3, 4
	v_lshlrev_b32_e32 v6, v11, v6
	v_sub_u32_e32 v10, 29, v10
	v_and_b32_e32 v6, 7, v6
	v_cmp_eq_u32_e32 vcc, 0, v9
	v_cndmask_b32_e32 v9, v9, v10, vcc
	v_cndmask_b32_e32 v6, v8, v6, vcc
	v_mov_b32_e32 v8, 0x3b800000
	v_lshlrev_b32_e32 v6, 20, v6
	v_and_b32_e32 v5, 0x80000000, v5
	v_lshl_add_u32 v8, v9, 23, v8
	v_or3_b32 v5, v5, v8, v6
	v_cvt_f64_f32_e32 v[5:6], v5
.LBB143_584:
	s_or_b64 exec, exec, s[52:53]
.LBB143_585:
	s_mov_b64 s[0:1], -1
.LBB143_586:
	s_mov_b64 s[52:53], 0
.LBB143_587:
	s_and_b64 vcc, exec, s[52:53]
	s_cbranch_vccz .LBB143_620
; %bb.588:
	s_cmp_gt_i32 s59, 22
	s_cbranch_scc0 .LBB143_600
; %bb.589:
	s_cmp_lt_i32 s59, 24
	s_cbranch_scc1 .LBB143_601
; %bb.590:
	s_cmp_gt_i32 s59, 24
	s_cbranch_scc0 .LBB143_602
; %bb.591:
	global_load_ubyte v8, v[3:4], off
	s_movk_i32 s0, 0x7f
	s_waitcnt vmcnt(0)
	v_cmp_lt_i16_e32 vcc, s0, v8
	s_mov_b64 s[0:1], 0
	s_and_saveexec_b64 s[52:53], vcc
	s_xor_b64 s[52:53], exec, s[52:53]
	s_cbranch_execz .LBB143_595
; %bb.592:
	s_movk_i32 s0, 0x80
	v_cmp_eq_u16_e32 vcc, s0, v8
	s_mov_b64 s[0:1], -1
	s_and_saveexec_b64 s[56:57], vcc
; %bb.593:
	s_xor_b64 s[0:1], exec, -1
; %bb.594:
	s_or_b64 exec, exec, s[56:57]
	s_and_b64 s[0:1], s[0:1], exec
.LBB143_595:
	s_or_saveexec_b64 s[52:53], s[52:53]
	v_bfrev_b32_e32 v5, 4
	v_mov_b32_e32 v6, 0x7ff80000
	s_xor_b64 exec, exec, s[52:53]
; %bb.596:
	v_cmp_ne_u16_e32 vcc, 0, v8
	v_mov_b32_e32 v5, 0
	s_andn2_b64 s[0:1], s[0:1], exec
	s_and_b64 s[56:57], vcc, exec
	v_mov_b32_e32 v6, 0
	s_or_b64 s[0:1], s[0:1], s[56:57]
; %bb.597:
	s_or_b64 exec, exec, s[52:53]
	s_and_saveexec_b64 s[52:53], s[0:1]
	s_cbranch_execz .LBB143_599
; %bb.598:
	v_and_b32_e32 v6, 0xffff, v8
	v_lshlrev_b32_e32 v5, 24, v8
	v_and_b32_e32 v8, 3, v6
	v_ffbh_u32_e32 v10, v8
	v_min_u32_e32 v10, 32, v10
	v_subrev_u32_e32 v11, 29, v10
	v_bfe_u32 v9, v6, 2, 5
	v_lshlrev_b32_e32 v6, v11, v6
	v_sub_u32_e32 v10, 30, v10
	v_and_b32_e32 v6, 3, v6
	v_cmp_eq_u32_e32 vcc, 0, v9
	v_cndmask_b32_e32 v9, v9, v10, vcc
	v_cndmask_b32_e32 v6, v8, v6, vcc
	v_mov_b32_e32 v8, 0x37800000
	v_lshlrev_b32_e32 v6, 21, v6
	v_and_b32_e32 v5, 0x80000000, v5
	v_lshl_add_u32 v8, v9, 23, v8
	v_or3_b32 v5, v5, v8, v6
	v_cvt_f64_f32_e32 v[5:6], v5
.LBB143_599:
	s_or_b64 exec, exec, s[52:53]
	s_mov_b64 s[0:1], 0
	s_branch .LBB143_603
.LBB143_600:
	s_mov_b64 s[52:53], -1
                                        ; implicit-def: $vgpr5_vgpr6
	s_branch .LBB143_609
.LBB143_601:
	s_mov_b64 s[0:1], -1
                                        ; implicit-def: $vgpr5_vgpr6
	s_branch .LBB143_606
.LBB143_602:
	s_mov_b64 s[0:1], -1
                                        ; implicit-def: $vgpr5_vgpr6
.LBB143_603:
	s_and_b64 vcc, exec, s[0:1]
	s_cbranch_vccz .LBB143_605
; %bb.604:
	global_load_ubyte v5, v[3:4], off
	s_mov_b32 s0, 0x7f800000
	s_waitcnt vmcnt(0)
	v_lshlrev_b32_e32 v5, 24, v5
	v_and_b32_e32 v6, 0x7f000000, v5
	v_ffbh_u32_e32 v8, v6
	v_min_u32_e32 v8, 32, v8
	v_sub_u32_e64 v8, v8, 4 clamp
	v_lshlrev_b32_e32 v10, v8, v6
	v_lshlrev_b32_e32 v8, 23, v8
	v_lshrrev_b32_e32 v10, 4, v10
	v_add_u32_e32 v9, 0x1000000, v6
	v_sub_u32_e32 v8, v10, v8
	v_ashrrev_i32_e32 v9, 8, v9
	v_add_u32_e32 v8, 0x3c000000, v8
	v_and_or_b32 v8, v9, s0, v8
	v_cmp_ne_u32_e32 vcc, 0, v6
	v_cndmask_b32_e32 v6, 0, v8, vcc
	s_brev_b32 s0, 1
	v_and_or_b32 v5, v5, s0, v6
	v_cvt_f64_f32_e32 v[5:6], v5
.LBB143_605:
	s_mov_b64 s[0:1], 0
.LBB143_606:
	s_andn2_b64 vcc, exec, s[0:1]
	s_cbranch_vccnz .LBB143_608
; %bb.607:
	global_load_ubyte v5, v[3:4], off
	s_movk_i32 s0, 0x7f00
	s_brev_b32 s1, 16
	s_waitcnt vmcnt(0)
	v_lshlrev_b16_e32 v6, 8, v5
	v_lshlrev_b32_e32 v5, 25, v5
	v_lshrrev_b32_e32 v8, 4, v5
	v_and_or_b32 v9, v6, s0, 0.5
	v_or_b32_e32 v8, 0x70000000, v8
	v_add_f32_e32 v9, -0.5, v9
	v_mul_f32_e32 v8, 0x7800000, v8
	v_cmp_gt_u32_e32 vcc, s1, v5
	v_bfe_i32 v6, v6, 0, 16
	v_cndmask_b32_e32 v5, v8, v9, vcc
	s_brev_b32 s0, 1
	v_and_or_b32 v5, v6, s0, v5
	v_cvt_f64_f32_e32 v[5:6], v5
.LBB143_608:
	s_mov_b64 s[52:53], 0
	s_mov_b64 s[0:1], -1
.LBB143_609:
	s_andn2_b64 vcc, exec, s[52:53]
	s_cbranch_vccnz .LBB143_620
; %bb.610:
	s_cmp_gt_i32 s59, 14
	s_cbranch_scc0 .LBB143_613
; %bb.611:
	s_cmp_eq_u32 s59, 15
	s_cbranch_scc0 .LBB143_614
; %bb.612:
	global_load_ushort v5, v[3:4], off
	s_mov_b64 s[0:1], -1
	s_mov_b64 s[50:51], 0
	s_waitcnt vmcnt(0)
	v_lshlrev_b32_e32 v5, 16, v5
	v_cvt_f64_f32_e32 v[5:6], v5
	s_branch .LBB143_615
.LBB143_613:
	s_mov_b64 s[52:53], -1
                                        ; implicit-def: $vgpr5_vgpr6
	s_branch .LBB143_616
.LBB143_614:
	s_mov_b64 s[50:51], -1
                                        ; implicit-def: $vgpr5_vgpr6
.LBB143_615:
	s_mov_b64 s[52:53], 0
.LBB143_616:
	s_and_b64 vcc, exec, s[52:53]
	s_cbranch_vccz .LBB143_620
; %bb.617:
	s_cmp_eq_u32 s59, 11
	s_cbranch_scc0 .LBB143_619
; %bb.618:
	global_load_ubyte v6, v[3:4], off
	v_mov_b32_e32 v8, 0x3ff00000
	v_mov_b32_e32 v5, 0
	s_mov_b64 s[0:1], -1
	s_mov_b64 s[50:51], 0
	s_waitcnt vmcnt(0)
	v_cmp_ne_u16_e32 vcc, 0, v6
	v_cndmask_b32_e32 v6, 0, v8, vcc
	s_branch .LBB143_620
.LBB143_619:
	s_mov_b64 s[50:51], -1
                                        ; implicit-def: $vgpr5_vgpr6
.LBB143_620:
	s_mov_b64 s[52:53], 0
.LBB143_621:
	s_and_b64 vcc, exec, s[52:53]
	s_cbranch_vccz .LBB143_670
; %bb.622:
	s_and_b32 s52, 0xffff, s58
	s_cmp_lt_i32 s52, 5
	s_cbranch_scc1 .LBB143_627
; %bb.623:
	s_cmp_lt_i32 s52, 8
	s_cbranch_scc1 .LBB143_628
; %bb.624:
	;; [unrolled: 3-line block ×3, first 2 shown]
	s_cmp_gt_i32 s52, 9
	s_cbranch_scc0 .LBB143_630
; %bb.626:
	global_load_dwordx2 v[5:6], v[3:4], off
	s_mov_b64 s[0:1], 0
	s_branch .LBB143_631
.LBB143_627:
	s_mov_b64 s[0:1], -1
                                        ; implicit-def: $vgpr5_vgpr6
	s_branch .LBB143_649
.LBB143_628:
	s_mov_b64 s[0:1], -1
                                        ; implicit-def: $vgpr5_vgpr6
	s_branch .LBB143_637
.LBB143_629:
	s_mov_b64 s[0:1], -1
                                        ; implicit-def: $vgpr5_vgpr6
	s_branch .LBB143_634
.LBB143_630:
	s_mov_b64 s[0:1], -1
                                        ; implicit-def: $vgpr5_vgpr6
.LBB143_631:
	s_andn2_b64 vcc, exec, s[0:1]
	s_cbranch_vccnz .LBB143_633
; %bb.632:
	global_load_dword v5, v[3:4], off
	s_waitcnt vmcnt(0)
	v_cvt_f64_f32_e32 v[5:6], v5
.LBB143_633:
	s_mov_b64 s[0:1], 0
.LBB143_634:
	s_andn2_b64 vcc, exec, s[0:1]
	s_cbranch_vccnz .LBB143_636
; %bb.635:
	global_load_dword v5, v[3:4], off
	s_waitcnt vmcnt(0)
	v_cvt_f32_f16_e32 v5, v5
	v_cvt_f64_f32_e32 v[5:6], v5
.LBB143_636:
	s_mov_b64 s[0:1], 0
.LBB143_637:
	s_andn2_b64 vcc, exec, s[0:1]
	s_cbranch_vccnz .LBB143_648
; %bb.638:
	s_cmp_lt_i32 s52, 6
	s_cbranch_scc1 .LBB143_641
; %bb.639:
	s_cmp_gt_i32 s52, 6
	s_cbranch_scc0 .LBB143_642
; %bb.640:
	global_load_dwordx2 v[5:6], v[3:4], off
	s_mov_b64 s[0:1], 0
	s_branch .LBB143_643
.LBB143_641:
	s_mov_b64 s[0:1], -1
                                        ; implicit-def: $vgpr5_vgpr6
	s_branch .LBB143_646
.LBB143_642:
	s_mov_b64 s[0:1], -1
                                        ; implicit-def: $vgpr5_vgpr6
.LBB143_643:
	s_andn2_b64 vcc, exec, s[0:1]
	s_cbranch_vccnz .LBB143_645
; %bb.644:
	global_load_dword v5, v[3:4], off
	s_waitcnt vmcnt(0)
	v_cvt_f64_f32_e32 v[5:6], v5
.LBB143_645:
	s_mov_b64 s[0:1], 0
.LBB143_646:
	s_andn2_b64 vcc, exec, s[0:1]
	s_cbranch_vccnz .LBB143_648
; %bb.647:
	global_load_ushort v5, v[3:4], off
	s_waitcnt vmcnt(0)
	v_cvt_f32_f16_e32 v5, v5
	v_cvt_f64_f32_e32 v[5:6], v5
.LBB143_648:
	s_mov_b64 s[0:1], 0
.LBB143_649:
	s_andn2_b64 vcc, exec, s[0:1]
	s_cbranch_vccnz .LBB143_669
; %bb.650:
	s_cmp_lt_i32 s52, 2
	s_cbranch_scc1 .LBB143_654
; %bb.651:
	s_cmp_lt_i32 s52, 3
	s_cbranch_scc1 .LBB143_655
; %bb.652:
	s_cmp_gt_i32 s52, 3
	s_cbranch_scc0 .LBB143_656
; %bb.653:
	global_load_dwordx2 v[5:6], v[3:4], off
	s_mov_b64 s[0:1], 0
	s_waitcnt vmcnt(0)
	v_cvt_f64_i32_e32 v[8:9], v6
	v_cvt_f64_u32_e32 v[5:6], v5
	v_ldexp_f64 v[8:9], v[8:9], 32
	v_add_f64 v[5:6], v[8:9], v[5:6]
	s_branch .LBB143_657
.LBB143_654:
	s_mov_b64 s[0:1], -1
                                        ; implicit-def: $vgpr5_vgpr6
	s_branch .LBB143_663
.LBB143_655:
	s_mov_b64 s[0:1], -1
                                        ; implicit-def: $vgpr5_vgpr6
	s_branch .LBB143_660
.LBB143_656:
	s_mov_b64 s[0:1], -1
                                        ; implicit-def: $vgpr5_vgpr6
.LBB143_657:
	s_andn2_b64 vcc, exec, s[0:1]
	s_cbranch_vccnz .LBB143_659
; %bb.658:
	global_load_dword v5, v[3:4], off
	s_waitcnt vmcnt(0)
	v_cvt_f64_i32_e32 v[5:6], v5
.LBB143_659:
	s_mov_b64 s[0:1], 0
.LBB143_660:
	s_andn2_b64 vcc, exec, s[0:1]
	s_cbranch_vccnz .LBB143_662
; %bb.661:
	global_load_sshort v5, v[3:4], off
	s_waitcnt vmcnt(0)
	v_cvt_f64_i32_e32 v[5:6], v5
.LBB143_662:
	s_mov_b64 s[0:1], 0
.LBB143_663:
	s_andn2_b64 vcc, exec, s[0:1]
	s_cbranch_vccnz .LBB143_669
; %bb.664:
	s_cmp_gt_i32 s52, 0
	s_cbranch_scc0 .LBB143_666
; %bb.665:
	global_load_sbyte v5, v[3:4], off
	s_mov_b64 s[0:1], 0
	s_waitcnt vmcnt(0)
	v_cvt_f64_i32_e32 v[5:6], v5
	s_branch .LBB143_667
.LBB143_666:
	s_mov_b64 s[0:1], -1
                                        ; implicit-def: $vgpr5_vgpr6
.LBB143_667:
	s_andn2_b64 vcc, exec, s[0:1]
	s_cbranch_vccnz .LBB143_669
; %bb.668:
	global_load_ubyte v3, v[3:4], off
	s_waitcnt vmcnt(0)
	v_cvt_f64_u32_e32 v[5:6], v3
.LBB143_669:
	s_mov_b64 s[0:1], -1
.LBB143_670:
	s_andn2_b64 vcc, exec, s[0:1]
	s_cbranch_vccnz .LBB143_678
; %bb.671:
	s_waitcnt vmcnt(0)
	v_cmp_nge_f64_e32 vcc, s[14:15], v[0:1]
	v_mov_b32_e32 v3, s29
	v_mov_b32_e32 v0, s28
	v_mov_b32_e32 v8, s9
	s_and_b32 s60, s73, 0xff
	s_cmp_lt_i32 s60, 11
	v_cndmask_b32_e32 v1, v3, v6, vcc
	v_cndmask_b32_e32 v0, v0, v5, vcc
	v_add_co_u32_e32 v4, vcc, s8, v2
	v_addc_co_u32_e32 v5, vcc, 0, v8, vcc
	s_cbranch_scc1 .LBB143_679
; %bb.672:
	s_and_b32 s61, 0xffff, s60
	s_cmp_gt_i32 s61, 25
	s_cbranch_scc0 .LBB143_680
; %bb.673:
	s_cmp_gt_i32 s61, 28
	s_cbranch_scc0 .LBB143_681
; %bb.674:
	;; [unrolled: 3-line block ×4, first 2 shown]
	s_mov_b64 s[56:57], 0
	s_mov_b64 s[0:1], -1
	s_cmp_eq_u32 s61, 46
	s_mov_b64 s[52:53], 0
	s_cbranch_scc0 .LBB143_684
; %bb.677:
	v_cvt_f32_f64_e32 v2, v[0:1]
	s_movk_i32 s0, 0x7fff
	v_mov_b32_e32 v3, 0x7fc0
	s_mov_b64 s[52:53], -1
	v_bfe_u32 v6, v2, 16, 1
	v_cmp_o_f32_e32 vcc, v2, v2
	v_add3_u32 v2, v2, v6, s0
	v_cndmask_b32_sdwa v2, v3, v2, vcc dst_sel:DWORD dst_unused:UNUSED_PAD src0_sel:DWORD src1_sel:WORD_1
	global_store_dword v[4:5], v2, off
	s_mov_b64 s[0:1], 0
	s_branch .LBB143_684
.LBB143_678:
	s_mov_b64 s[56:57], 0
                                        ; implicit-def: $vgpr7
	s_mov_b64 s[0:1], s[40:41]
	s_branch .LBB143_794
.LBB143_679:
	s_mov_b64 s[56:57], -1
	s_mov_b64 s[52:53], 0
	s_mov_b64 s[0:1], s[40:41]
	s_branch .LBB143_753
.LBB143_680:
	s_mov_b64 s[56:57], -1
	s_mov_b64 s[52:53], 0
	s_mov_b64 s[0:1], s[40:41]
	s_branch .LBB143_711
.LBB143_681:
	s_mov_b64 s[56:57], -1
	s_mov_b64 s[52:53], 0
	s_mov_b64 s[0:1], s[40:41]
	s_branch .LBB143_694
.LBB143_682:
	s_mov_b64 s[56:57], -1
	s_mov_b64 s[52:53], 0
	s_mov_b64 s[0:1], s[40:41]
	s_branch .LBB143_690
.LBB143_683:
	s_mov_b64 s[56:57], -1
	s_mov_b64 s[52:53], 0
	s_mov_b64 s[0:1], s[40:41]
.LBB143_684:
	s_and_b64 vcc, exec, s[56:57]
	s_cbranch_vccz .LBB143_689
; %bb.685:
	s_cmp_eq_u32 s61, 44
	s_mov_b64 s[0:1], -1
	s_cbranch_scc0 .LBB143_689
; %bb.686:
	v_cvt_f32_f64_e32 v2, v[0:1]
	s_movk_i32 s0, 0xff
	v_mov_b32_e32 v6, 0xff
	v_bfe_u32 v3, v2, 23, 8
	v_cmp_ne_u32_e32 vcc, s0, v3
	s_and_saveexec_b64 s[52:53], vcc
; %bb.687:
	s_mov_b32 s0, 0x3fffff
	v_lshrrev_b32_e32 v6, 23, v2
	v_and_b32_e32 v8, 0x400000, v2
	v_and_or_b32 v2, v2, s0, v3
	v_cmp_ne_u32_e32 vcc, 0, v8
	v_cmp_ne_u32_e64 s[0:1], 0, v2
	s_and_b64 s[0:1], vcc, s[0:1]
	v_cndmask_b32_e64 v2, 0, 1, s[0:1]
	v_add_u32_e32 v6, v6, v2
; %bb.688:
	s_or_b64 exec, exec, s[52:53]
	s_mov_b64 s[52:53], -1
	s_mov_b64 s[0:1], 0
	global_store_byte v[4:5], v6, off
.LBB143_689:
	s_mov_b64 s[56:57], 0
.LBB143_690:
	s_and_b64 vcc, exec, s[56:57]
	s_cbranch_vccz .LBB143_693
; %bb.691:
	s_cmp_eq_u32 s61, 29
	s_mov_b64 s[0:1], -1
	s_cbranch_scc0 .LBB143_693
; %bb.692:
	v_trunc_f64_e32 v[2:3], v[0:1]
	s_movk_i32 s0, 0xffe0
	s_mov_b64 s[52:53], -1
	s_mov_b64 s[56:57], 0
	v_ldexp_f64 v[8:9], v[2:3], s0
	s_mov_b32 s0, 0
	s_mov_b32 s1, 0xc1f00000
	v_floor_f64_e32 v[8:9], v[8:9]
	v_fma_f64 v[2:3], v[8:9], s[0:1], v[2:3]
	v_cvt_u32_f64_e32 v9, v[8:9]
	s_mov_b64 s[0:1], 0
	v_cvt_u32_f64_e32 v8, v[2:3]
	global_store_dwordx2 v[4:5], v[8:9], off
	s_branch .LBB143_694
.LBB143_693:
	s_mov_b64 s[56:57], 0
.LBB143_694:
	s_and_b64 vcc, exec, s[56:57]
	s_cbranch_vccz .LBB143_710
; %bb.695:
	s_cmp_lt_i32 s61, 27
	s_mov_b64 s[52:53], -1
	s_cbranch_scc1 .LBB143_701
; %bb.696:
	v_cvt_u32_f64_e32 v2, v[0:1]
	s_cmp_gt_i32 s61, 27
	s_cbranch_scc0 .LBB143_698
; %bb.697:
	s_mov_b64 s[52:53], 0
	global_store_dword v[4:5], v2, off
.LBB143_698:
	s_andn2_b64 vcc, exec, s[52:53]
	s_cbranch_vccnz .LBB143_700
; %bb.699:
	global_store_short v[4:5], v2, off
.LBB143_700:
	s_mov_b64 s[52:53], 0
.LBB143_701:
	s_andn2_b64 vcc, exec, s[52:53]
	s_cbranch_vccnz .LBB143_709
; %bb.702:
	v_cvt_f32_f64_e32 v2, v[0:1]
	s_mov_b32 s52, 0x43800000
	v_mov_b32_e32 v6, 0x80
	v_and_b32_e32 v3, 0x7fffffff, v2
	v_cmp_gt_u32_e32 vcc, s52, v3
	s_and_saveexec_b64 s[52:53], vcc
	s_cbranch_execz .LBB143_708
; %bb.703:
	s_mov_b32 s56, 0x3bffffff
	v_cmp_lt_u32_e32 vcc, s56, v3
	s_mov_b64 s[56:57], 0
                                        ; implicit-def: $vgpr3
	s_and_saveexec_b64 s[58:59], vcc
	s_xor_b64 s[58:59], exec, s[58:59]
	s_cbranch_execz .LBB143_822
; %bb.704:
	v_bfe_u32 v3, v2, 20, 1
	s_mov_b32 s62, 0x487ffff
	v_add3_u32 v3, v2, v3, s62
	s_mov_b64 s[56:57], exec
	v_lshrrev_b32_e32 v3, 20, v3
	s_andn2_saveexec_b64 s[58:59], s[58:59]
	s_cbranch_execnz .LBB143_823
.LBB143_705:
	s_or_b64 exec, exec, s[58:59]
	v_mov_b32_e32 v6, 0
	s_and_saveexec_b64 s[58:59], s[56:57]
.LBB143_706:
	v_lshrrev_b32_e32 v2, 24, v2
	s_movk_i32 s56, 0x80
	v_and_or_b32 v6, v2, s56, v3
.LBB143_707:
	s_or_b64 exec, exec, s[58:59]
.LBB143_708:
	s_or_b64 exec, exec, s[52:53]
	global_store_byte v[4:5], v6, off
.LBB143_709:
	s_mov_b64 s[52:53], -1
.LBB143_710:
	s_mov_b64 s[56:57], 0
.LBB143_711:
	s_and_b64 vcc, exec, s[56:57]
	s_cbranch_vccz .LBB143_752
; %bb.712:
	s_cmp_gt_i32 s61, 22
	s_mov_b64 s[56:57], -1
	s_cbranch_scc0 .LBB143_744
; %bb.713:
	s_cmp_lt_i32 s61, 24
	s_mov_b64 s[52:53], -1
	s_cbranch_scc1 .LBB143_733
; %bb.714:
	s_cmp_gt_i32 s61, 24
	s_cbranch_scc0 .LBB143_722
; %bb.715:
	v_cvt_f32_f64_e32 v2, v[0:1]
	s_mov_b32 s52, 0x47800000
	v_mov_b32_e32 v6, 0x80
	v_and_b32_e32 v3, 0x7fffffff, v2
	v_cmp_gt_u32_e32 vcc, s52, v3
	s_and_saveexec_b64 s[52:53], vcc
	s_cbranch_execz .LBB143_721
; %bb.716:
	s_mov_b32 s56, 0x37ffffff
	v_cmp_lt_u32_e32 vcc, s56, v3
	s_mov_b64 s[56:57], 0
                                        ; implicit-def: $vgpr3
	s_and_saveexec_b64 s[58:59], vcc
	s_xor_b64 s[58:59], exec, s[58:59]
	s_cbranch_execz .LBB143_954
; %bb.717:
	v_bfe_u32 v3, v2, 21, 1
	s_mov_b32 s62, 0x88fffff
	v_add3_u32 v3, v2, v3, s62
	s_mov_b64 s[56:57], exec
	v_lshrrev_b32_e32 v3, 21, v3
	s_andn2_saveexec_b64 s[58:59], s[58:59]
	s_cbranch_execnz .LBB143_955
.LBB143_718:
	s_or_b64 exec, exec, s[58:59]
	v_mov_b32_e32 v6, 0
	s_and_saveexec_b64 s[58:59], s[56:57]
.LBB143_719:
	v_lshrrev_b32_e32 v2, 24, v2
	s_movk_i32 s56, 0x80
	v_and_or_b32 v6, v2, s56, v3
.LBB143_720:
	s_or_b64 exec, exec, s[58:59]
.LBB143_721:
	s_or_b64 exec, exec, s[52:53]
	s_mov_b64 s[52:53], 0
	global_store_byte v[4:5], v6, off
.LBB143_722:
	s_and_b64 vcc, exec, s[52:53]
	s_cbranch_vccz .LBB143_732
; %bb.723:
	v_cvt_f32_f64_e32 v2, v[0:1]
	s_mov_b32 s52, 0x43f00000
                                        ; implicit-def: $vgpr3
	v_and_b32_e32 v6, 0x7fffffff, v2
	v_cmp_gt_u32_e32 vcc, s52, v6
	s_and_saveexec_b64 s[52:53], vcc
	s_xor_b64 s[52:53], exec, s[52:53]
	s_cbranch_execz .LBB143_729
; %bb.724:
	s_mov_b32 s56, 0x3c7fffff
	v_cmp_lt_u32_e32 vcc, s56, v6
                                        ; implicit-def: $vgpr3
	s_and_saveexec_b64 s[56:57], vcc
	s_xor_b64 s[56:57], exec, s[56:57]
; %bb.725:
	v_bfe_u32 v3, v2, 20, 1
	s_mov_b32 s58, 0x407ffff
	v_add3_u32 v3, v2, v3, s58
	v_lshrrev_b32_e32 v6, 20, v3
	v_and_b32_e32 v3, 0xff00000, v3
	s_mov_b32 s58, 0x7f00000
	v_mov_b32_e32 v8, 0x7e
	v_cmp_ne_u32_e32 vcc, s58, v3
	v_cndmask_b32_e32 v3, v8, v6, vcc
; %bb.726:
	s_andn2_saveexec_b64 s[56:57], s[56:57]
; %bb.727:
	s_mov_b32 s58, 0x46800000
	v_add_f32_e64 v3, |v2|, s58
; %bb.728:
	s_or_b64 exec, exec, s[56:57]
                                        ; implicit-def: $vgpr6
.LBB143_729:
	s_andn2_saveexec_b64 s[52:53], s[52:53]
; %bb.730:
	s_mov_b32 s56, 0x7f800000
	v_mov_b32_e32 v3, 0x7e
	v_mov_b32_e32 v8, 0x7f
	v_cmp_lt_u32_e32 vcc, s56, v6
	v_cndmask_b32_e32 v3, v3, v8, vcc
; %bb.731:
	s_or_b64 exec, exec, s[52:53]
	v_lshrrev_b32_e32 v2, 24, v2
	s_movk_i32 s52, 0x80
	v_and_or_b32 v2, v2, s52, v3
	global_store_byte v[4:5], v2, off
.LBB143_732:
	s_mov_b64 s[52:53], 0
.LBB143_733:
	s_andn2_b64 vcc, exec, s[52:53]
	s_cbranch_vccnz .LBB143_743
; %bb.734:
	v_cvt_f32_f64_e32 v2, v[0:1]
	s_mov_b32 s52, 0x47800000
                                        ; implicit-def: $vgpr3
	v_and_b32_e32 v6, 0x7fffffff, v2
	v_cmp_gt_u32_e32 vcc, s52, v6
	s_and_saveexec_b64 s[52:53], vcc
	s_xor_b64 s[52:53], exec, s[52:53]
	s_cbranch_execz .LBB143_740
; %bb.735:
	s_mov_b32 s56, 0x387fffff
	v_cmp_lt_u32_e32 vcc, s56, v6
                                        ; implicit-def: $vgpr3
	s_and_saveexec_b64 s[56:57], vcc
	s_xor_b64 s[56:57], exec, s[56:57]
; %bb.736:
	v_bfe_u32 v3, v2, 21, 1
	s_mov_b32 s58, 0x80fffff
	v_add3_u32 v3, v2, v3, s58
	v_lshrrev_b32_e32 v3, 21, v3
; %bb.737:
	s_andn2_saveexec_b64 s[56:57], s[56:57]
; %bb.738:
	s_mov_b32 s58, 0x43000000
	v_add_f32_e64 v3, |v2|, s58
; %bb.739:
	s_or_b64 exec, exec, s[56:57]
                                        ; implicit-def: $vgpr6
.LBB143_740:
	s_andn2_saveexec_b64 s[52:53], s[52:53]
; %bb.741:
	s_mov_b32 s56, 0x7f800000
	v_mov_b32_e32 v3, 0x7c
	v_mov_b32_e32 v8, 0x7f
	v_cmp_lt_u32_e32 vcc, s56, v6
	v_cndmask_b32_e32 v3, v3, v8, vcc
; %bb.742:
	s_or_b64 exec, exec, s[52:53]
	v_lshrrev_b32_e32 v2, 24, v2
	s_movk_i32 s52, 0x80
	v_and_or_b32 v2, v2, s52, v3
	global_store_byte v[4:5], v2, off
.LBB143_743:
	s_mov_b64 s[56:57], 0
	s_mov_b64 s[52:53], -1
.LBB143_744:
	s_andn2_b64 vcc, exec, s[56:57]
	s_cbranch_vccnz .LBB143_752
; %bb.745:
	s_cmp_gt_i32 s61, 14
	s_mov_b64 s[56:57], -1
	s_cbranch_scc0 .LBB143_749
; %bb.746:
	s_cmp_eq_u32 s61, 15
	s_mov_b64 s[0:1], -1
	s_cbranch_scc0 .LBB143_748
; %bb.747:
	v_cvt_f32_f64_e32 v2, v[0:1]
	s_movk_i32 s0, 0x7fff
	v_mov_b32_e32 v3, 0x7fc0
	s_mov_b64 s[52:53], -1
	v_bfe_u32 v6, v2, 16, 1
	v_cmp_o_f32_e32 vcc, v2, v2
	v_add3_u32 v2, v2, v6, s0
	v_cndmask_b32_sdwa v2, v3, v2, vcc dst_sel:DWORD dst_unused:UNUSED_PAD src0_sel:DWORD src1_sel:WORD_1
	global_store_short v[4:5], v2, off
	s_mov_b64 s[0:1], 0
.LBB143_748:
	s_mov_b64 s[56:57], 0
.LBB143_749:
	s_and_b64 vcc, exec, s[56:57]
	s_cbranch_vccz .LBB143_752
; %bb.750:
	s_cmp_eq_u32 s61, 11
	s_mov_b64 s[0:1], -1
	s_cbranch_scc0 .LBB143_752
; %bb.751:
	v_cmp_neq_f64_e32 vcc, 0, v[0:1]
	s_mov_b64 s[0:1], 0
	s_mov_b64 s[52:53], -1
	v_cndmask_b32_e64 v2, 0, 1, vcc
	global_store_byte v[4:5], v2, off
.LBB143_752:
	s_mov_b64 s[56:57], 0
.LBB143_753:
	s_and_b64 vcc, exec, s[56:57]
	s_cbranch_vccz .LBB143_792
; %bb.754:
	s_and_b32 s56, 0xffff, s60
	s_cmp_lt_i32 s56, 5
	s_mov_b64 s[52:53], -1
	s_cbranch_scc1 .LBB143_775
; %bb.755:
	s_cmp_lt_i32 s56, 8
	s_cbranch_scc1 .LBB143_765
; %bb.756:
	s_cmp_lt_i32 s56, 9
	s_cbranch_scc1 .LBB143_762
; %bb.757:
	s_cmp_gt_i32 s56, 9
	s_cbranch_scc0 .LBB143_759
; %bb.758:
	v_mov_b32_e32 v2, 0
	v_mov_b32_e32 v3, v2
	s_mov_b64 s[52:53], 0
	global_store_dwordx4 v[4:5], v[0:3], off
.LBB143_759:
	s_andn2_b64 vcc, exec, s[52:53]
	s_cbranch_vccnz .LBB143_761
; %bb.760:
	v_cvt_f32_f64_e32 v2, v[0:1]
	v_mov_b32_e32 v3, 0
	global_store_dwordx2 v[4:5], v[2:3], off
.LBB143_761:
	s_mov_b64 s[52:53], 0
.LBB143_762:
	s_andn2_b64 vcc, exec, s[52:53]
	s_cbranch_vccnz .LBB143_764
; %bb.763:
	s_movk_i32 s52, 0x1ff
	v_and_or_b32 v2, v1, s52, v0
	v_cmp_ne_u32_e32 vcc, 0, v2
	v_cndmask_b32_e64 v2, 0, 1, vcc
	v_lshrrev_b32_e32 v3, 8, v1
	s_movk_i32 s52, 0xffe
	v_bfe_u32 v6, v1, 20, 11
	v_and_or_b32 v2, v3, s52, v2
	v_sub_u32_e32 v8, 0x3f1, v6
	v_or_b32_e32 v3, 0x1000, v2
	v_med3_i32 v8, v8, 0, 13
	v_lshrrev_b32_e32 v9, v8, v3
	v_lshlrev_b32_e32 v8, v8, v9
	v_cmp_ne_u32_e32 vcc, v8, v3
	v_cndmask_b32_e64 v3, 0, 1, vcc
	v_add_u32_e32 v6, 0xfffffc10, v6
	v_or_b32_e32 v3, v9, v3
	v_lshl_or_b32 v8, v6, 12, v2
	v_cmp_gt_i32_e32 vcc, 1, v6
	v_cndmask_b32_e32 v3, v8, v3, vcc
	v_and_b32_e32 v8, 7, v3
	v_cmp_lt_i32_e32 vcc, 5, v8
	v_cndmask_b32_e64 v9, 0, 1, vcc
	v_cmp_eq_u32_e32 vcc, 3, v8
	v_cndmask_b32_e64 v8, 0, 1, vcc
	v_or_b32_e32 v8, v8, v9
	v_lshrrev_b32_e32 v3, 2, v3
	v_add_u32_e32 v3, v3, v8
	v_mov_b32_e32 v8, 0x7c00
	v_cmp_gt_i32_e32 vcc, 31, v6
	v_cndmask_b32_e32 v3, v8, v3, vcc
	v_mov_b32_e32 v9, 0x7e00
	v_cmp_ne_u32_e32 vcc, 0, v2
	s_movk_i32 s52, 0x40f
	v_cndmask_b32_e32 v2, v8, v9, vcc
	v_cmp_eq_u32_e32 vcc, s52, v6
	v_cndmask_b32_e32 v2, v3, v2, vcc
	v_lshrrev_b32_e32 v3, 16, v1
	s_mov_b32 s52, 0x8000
	v_and_or_b32 v2, v3, s52, v2
	v_and_b32_e32 v2, 0xffff, v2
	global_store_dword v[4:5], v2, off
.LBB143_764:
	s_mov_b64 s[52:53], 0
.LBB143_765:
	s_andn2_b64 vcc, exec, s[52:53]
	s_cbranch_vccnz .LBB143_774
; %bb.766:
	s_cmp_lt_i32 s56, 6
	s_mov_b64 s[52:53], -1
	s_cbranch_scc1 .LBB143_772
; %bb.767:
	s_cmp_gt_i32 s56, 6
	s_cbranch_scc0 .LBB143_769
; %bb.768:
	s_mov_b64 s[52:53], 0
	global_store_dwordx2 v[4:5], v[0:1], off
.LBB143_769:
	s_andn2_b64 vcc, exec, s[52:53]
	s_cbranch_vccnz .LBB143_771
; %bb.770:
	v_cvt_f32_f64_e32 v2, v[0:1]
	global_store_dword v[4:5], v2, off
.LBB143_771:
	s_mov_b64 s[52:53], 0
.LBB143_772:
	s_andn2_b64 vcc, exec, s[52:53]
	s_cbranch_vccnz .LBB143_774
; %bb.773:
	s_movk_i32 s52, 0x1ff
	v_and_or_b32 v2, v1, s52, v0
	v_cmp_ne_u32_e32 vcc, 0, v2
	v_cndmask_b32_e64 v2, 0, 1, vcc
	v_lshrrev_b32_e32 v3, 8, v1
	s_movk_i32 s52, 0xffe
	v_bfe_u32 v6, v1, 20, 11
	v_and_or_b32 v2, v3, s52, v2
	v_sub_u32_e32 v8, 0x3f1, v6
	v_or_b32_e32 v3, 0x1000, v2
	v_med3_i32 v8, v8, 0, 13
	v_lshrrev_b32_e32 v9, v8, v3
	v_lshlrev_b32_e32 v8, v8, v9
	v_cmp_ne_u32_e32 vcc, v8, v3
	v_cndmask_b32_e64 v3, 0, 1, vcc
	v_add_u32_e32 v6, 0xfffffc10, v6
	v_or_b32_e32 v3, v9, v3
	v_lshl_or_b32 v8, v6, 12, v2
	v_cmp_gt_i32_e32 vcc, 1, v6
	v_cndmask_b32_e32 v3, v8, v3, vcc
	v_and_b32_e32 v8, 7, v3
	v_cmp_lt_i32_e32 vcc, 5, v8
	v_cndmask_b32_e64 v9, 0, 1, vcc
	v_cmp_eq_u32_e32 vcc, 3, v8
	v_cndmask_b32_e64 v8, 0, 1, vcc
	v_or_b32_e32 v8, v8, v9
	v_lshrrev_b32_e32 v3, 2, v3
	v_add_u32_e32 v3, v3, v8
	v_mov_b32_e32 v8, 0x7c00
	v_cmp_gt_i32_e32 vcc, 31, v6
	v_cndmask_b32_e32 v3, v8, v3, vcc
	v_mov_b32_e32 v9, 0x7e00
	v_cmp_ne_u32_e32 vcc, 0, v2
	s_movk_i32 s52, 0x40f
	v_cndmask_b32_e32 v2, v8, v9, vcc
	v_cmp_eq_u32_e32 vcc, s52, v6
	v_cndmask_b32_e32 v2, v3, v2, vcc
	v_lshrrev_b32_e32 v3, 16, v1
	s_mov_b32 s52, 0x8000
	v_and_or_b32 v2, v3, s52, v2
	global_store_short v[4:5], v2, off
.LBB143_774:
	s_mov_b64 s[52:53], 0
.LBB143_775:
	s_andn2_b64 vcc, exec, s[52:53]
	s_cbranch_vccnz .LBB143_791
; %bb.776:
	s_cmp_lt_i32 s56, 2
	s_mov_b64 s[52:53], -1
	s_cbranch_scc1 .LBB143_786
; %bb.777:
	s_cmp_lt_i32 s56, 3
	s_cbranch_scc1 .LBB143_783
; %bb.778:
	s_cmp_gt_i32 s56, 3
	s_cbranch_scc0 .LBB143_780
; %bb.779:
	v_trunc_f64_e32 v[2:3], v[0:1]
	s_movk_i32 s52, 0xffe0
	v_ldexp_f64 v[8:9], v[2:3], s52
	s_mov_b32 s52, 0
	s_mov_b32 s53, 0xc1f00000
	v_floor_f64_e32 v[8:9], v[8:9]
	v_fma_f64 v[2:3], v[8:9], s[52:53], v[2:3]
	v_cvt_i32_f64_e32 v9, v[8:9]
	s_mov_b64 s[52:53], 0
	v_cvt_u32_f64_e32 v8, v[2:3]
	global_store_dwordx2 v[4:5], v[8:9], off
.LBB143_780:
	s_andn2_b64 vcc, exec, s[52:53]
	s_cbranch_vccnz .LBB143_782
; %bb.781:
	v_cvt_i32_f64_e32 v2, v[0:1]
	global_store_dword v[4:5], v2, off
.LBB143_782:
	s_mov_b64 s[52:53], 0
.LBB143_783:
	s_andn2_b64 vcc, exec, s[52:53]
	s_cbranch_vccnz .LBB143_785
; %bb.784:
	v_cvt_i32_f64_e32 v2, v[0:1]
	global_store_short v[4:5], v2, off
.LBB143_785:
	s_mov_b64 s[52:53], 0
.LBB143_786:
	s_andn2_b64 vcc, exec, s[52:53]
	s_cbranch_vccnz .LBB143_791
; %bb.787:
	s_cmp_gt_i32 s56, 0
	s_mov_b64 s[52:53], -1
	s_cbranch_scc0 .LBB143_789
; %bb.788:
	v_cvt_i32_f64_e32 v2, v[0:1]
	s_mov_b64 s[52:53], 0
	global_store_byte v[4:5], v2, off
.LBB143_789:
	s_andn2_b64 vcc, exec, s[52:53]
	s_cbranch_vccnz .LBB143_791
; %bb.790:
	v_trunc_f64_e32 v[0:1], v[0:1]
	s_movk_i32 s52, 0xffe0
	v_ldexp_f64 v[2:3], v[0:1], s52
	s_mov_b32 s52, 0
	s_mov_b32 s53, 0xc1f00000
	v_floor_f64_e32 v[2:3], v[2:3]
	v_fma_f64 v[0:1], v[2:3], s[52:53], v[0:1]
	v_cvt_u32_f64_e32 v0, v[0:1]
	global_store_byte v[4:5], v0, off
.LBB143_791:
	s_mov_b64 s[52:53], -1
.LBB143_792:
	s_andn2_b64 vcc, exec, s[52:53]
	s_cbranch_vccnz .LBB143_804
; %bb.793:
	v_add_u32_e32 v7, 0x80, v7
	s_mov_b64 s[56:57], -1
.LBB143_794:
	s_andn2_b64 s[52:53], s[40:41], exec
	s_and_b64 s[0:1], s[0:1], exec
	s_or_b64 s[52:53], s[52:53], s[0:1]
	s_andn2_b64 s[0:1], s[42:43], exec
	s_and_b64 s[50:51], s[50:51], exec
	s_or_b64 s[50:51], s[0:1], s[50:51]
	;; [unrolled: 3-line block ×3, first 2 shown]
	s_orn2_b64 s[0:1], s[56:57], exec
.LBB143_795:
	s_or_b64 exec, exec, s[54:55]
	s_mov_b64 s[56:57], 0
	s_mov_b64 s[58:59], 0
	s_mov_b64 s[60:61], 0
                                        ; implicit-def: $sgpr77
                                        ; implicit-def: $vgpr5_vgpr6
                                        ; implicit-def: $vgpr2
                                        ; implicit-def: $vgpr0
                                        ; implicit-def: $vgpr3_vgpr4
	s_and_saveexec_b64 s[54:55], s[0:1]
	s_cbranch_execz .LBB143_1292
; %bb.796:
	v_cmp_gt_i32_e32 vcc, s70, v7
	s_mov_b64 s[68:69], -1
	s_mov_b64 s[0:1], s[48:49]
	s_mov_b64 s[60:61], s[50:51]
	;; [unrolled: 1-line block ×3, first 2 shown]
	s_and_saveexec_b64 s[56:57], vcc
	s_cbranch_execz .LBB143_1196
; %bb.797:
	s_andn2_b64 vcc, exec, s[24:25]
	s_cbranch_vccnz .LBB143_803
; %bb.798:
	s_andn2_b64 vcc, exec, s[38:39]
	s_cbranch_vccnz .LBB143_805
; %bb.799:
	s_add_i32 s0, s76, 1
	s_and_b32 s58, s0, 30
	s_add_u32 s0, s2, 0xffffffe8
	s_addc_u32 s1, s3, -1
	v_mov_b32_e32 v4, 0
	s_waitcnt vmcnt(0)
	v_mov_b32_e32 v0, 0
	v_mov_b32_e32 v2, 0
	;; [unrolled: 1-line block ×3, first 2 shown]
.LBB143_800:                            ; =>This Inner Loop Header: Depth=1
	s_load_dwordx4 s[60:63], s[0:1], 0x1c
	s_load_dwordx2 s[68:69], s[0:1], 0x2c
	s_load_dwordx2 s[78:79], s[0:1], 0xec
	s_load_dwordx4 s[64:67], s[0:1], 0xdc
	s_add_u32 s0, s0, 24
	s_waitcnt lgkmcnt(0)
	v_mul_hi_u32 v3, s61, v1
	s_addc_u32 s1, s1, 0
	s_add_i32 s58, s58, -2
	s_cmp_eq_u32 s58, 0
	v_add_u32_e32 v3, v1, v3
	v_lshrrev_b32_e32 v3, s62, v3
	v_mul_lo_u32 v5, v3, s60
	v_mul_hi_u32 v6, s68, v3
	v_sub_u32_e32 v5, v1, v5
	v_add_u32_e32 v1, v3, v6
	v_lshrrev_b32_e32 v1, s69, v1
	v_mul_lo_u32 v9, v1, s63
	v_mul_lo_u32 v6, v5, s64
	;; [unrolled: 1-line block ×4, first 2 shown]
	v_sub_u32_e32 v3, v3, v9
	v_mul_lo_u32 v9, v3, s67
	v_mul_lo_u32 v10, v3, s78
	;; [unrolled: 1-line block ×3, first 2 shown]
	v_add3_u32 v2, v6, v2, v9
	v_add3_u32 v0, v8, v0, v10
	v_add3_u32 v4, v5, v4, v3
	s_cbranch_scc0 .LBB143_800
; %bb.801:
	s_bitcmp1_b32 s76, 0
	s_cselect_b64 s[58:59], -1, 0
	s_and_b64 vcc, exec, s[58:59]
	s_cbranch_vccnz .LBB143_806
; %bb.802:
	s_load_dwordx2 s[58:59], s[0:1], 0x1c
	s_load_dword s62, s[0:1], 0x24
	s_load_dwordx2 s[60:61], s[0:1], 0xdc
	s_waitcnt lgkmcnt(0)
	v_mul_hi_u32 v3, s59, v1
	v_add_u32_e32 v3, v1, v3
	v_lshrrev_b32_e32 v3, s62, v3
	v_mul_lo_u32 v3, v3, s58
	s_load_dword s58, s[0:1], 0xe4
	v_sub_u32_e32 v5, v1, v3
	v_mad_u64_u32 v[2:3], s[0:1], v5, s60, v[2:3]
	v_mad_u64_u32 v[0:1], s[0:1], v5, s61, v[0:1]
	s_waitcnt lgkmcnt(0)
	v_mad_u64_u32 v[4:5], s[0:1], v5, s58, v[4:5]
	s_branch .LBB143_806
.LBB143_803:
	s_mov_b64 s[0:1], -1
                                        ; implicit-def: $vgpr2
                                        ; implicit-def: $vgpr0
                                        ; implicit-def: $vgpr4
	s_branch .LBB143_807
.LBB143_804:
	s_mov_b64 s[56:57], 0
	s_branch .LBB143_552
.LBB143_805:
	v_mov_b32_e32 v2, 0
	s_waitcnt vmcnt(0)
	v_mov_b32_e32 v0, 0
	v_mov_b32_e32 v4, 0
.LBB143_806:
	s_mov_b64 s[0:1], 0
.LBB143_807:
	s_andn2_b64 vcc, exec, s[0:1]
	s_cbranch_vccnz .LBB143_810
; %bb.808:
	s_waitcnt vmcnt(0)
	v_mul_hi_u32 v0, s17, v7
	s_andn2_b64 vcc, exec, s[36:37]
	v_add_u32_e32 v0, v7, v0
	v_lshrrev_b32_e32 v1, s18, v0
	v_mul_lo_u32 v0, v1, s16
	v_sub_u32_e32 v3, v7, v0
	v_mul_lo_u32 v2, v3, s20
	v_mul_lo_u32 v0, v3, s21
	;; [unrolled: 1-line block ×3, first 2 shown]
	s_cbranch_vccnz .LBB143_810
; %bb.809:
	v_mul_hi_u32 v3, s30, v1
	v_add_u32_e32 v3, v1, v3
	v_lshrrev_b32_e32 v3, s31, v3
	v_mul_lo_u32 v3, v3, s19
	v_sub_u32_e32 v5, v1, v3
	v_mad_u64_u32 v[2:3], s[0:1], v5, s23, v[2:3]
	v_mad_u64_u32 v[0:1], s[0:1], v5, s34, v[0:1]
	;; [unrolled: 1-line block ×3, first 2 shown]
.LBB143_810:
	s_waitcnt vmcnt(0)
	v_mov_b32_e32 v1, s11
	s_and_b32 s64, s75, 0xff
	v_add_co_u32_e32 v5, vcc, s10, v0
	s_cmp_lt_i32 s64, 11
	v_addc_co_u32_e32 v6, vcc, 0, v1, vcc
	s_cbranch_scc1 .LBB143_817
; %bb.811:
	s_and_b32 s65, 0xffff, s64
	s_cmp_gt_i32 s65, 25
	s_cbranch_scc0 .LBB143_818
; %bb.812:
	s_cmp_gt_i32 s65, 28
	s_cbranch_scc0 .LBB143_819
; %bb.813:
	;; [unrolled: 3-line block ×4, first 2 shown]
	s_cmp_eq_u32 s65, 46
	s_mov_b64 s[60:61], 0
	s_cbranch_scc0 .LBB143_824
; %bb.816:
	global_load_dword v0, v[5:6], off
	s_mov_b64 s[0:1], -1
	s_mov_b64 s[58:59], 0
	s_waitcnt vmcnt(0)
	v_lshlrev_b32_e32 v0, 16, v0
	v_cvt_f64_f32_e32 v[0:1], v0
	s_branch .LBB143_825
.LBB143_817:
	s_mov_b64 s[60:61], -1
	s_mov_b64 s[0:1], 0
                                        ; implicit-def: $vgpr0_vgpr1
	s_mov_b64 s[58:59], s[48:49]
	s_branch .LBB143_890
.LBB143_818:
	s_mov_b64 s[60:61], -1
	s_mov_b64 s[0:1], 0
	s_mov_b64 s[58:59], s[48:49]
                                        ; implicit-def: $vgpr0_vgpr1
	s_branch .LBB143_856
.LBB143_819:
	s_mov_b64 s[60:61], -1
	s_mov_b64 s[0:1], 0
	s_mov_b64 s[58:59], s[48:49]
                                        ; implicit-def: $vgpr0_vgpr1
	s_branch .LBB143_835
.LBB143_820:
	s_mov_b64 s[60:61], -1
	s_mov_b64 s[0:1], 0
	s_mov_b64 s[58:59], s[48:49]
                                        ; implicit-def: $vgpr0_vgpr1
	s_branch .LBB143_830
.LBB143_821:
	s_mov_b64 s[60:61], -1
	s_mov_b64 s[0:1], 0
	s_mov_b64 s[58:59], s[48:49]
                                        ; implicit-def: $vgpr0_vgpr1
	s_branch .LBB143_825
.LBB143_822:
	s_andn2_saveexec_b64 s[58:59], s[58:59]
	s_cbranch_execz .LBB143_705
.LBB143_823:
	s_mov_b32 s62, 0x46000000
	v_add_f32_e64 v3, |v2|, s62
	v_and_b32_e32 v3, 0xff, v3
	v_cmp_ne_u32_e32 vcc, 0, v3
	s_andn2_b64 s[56:57], s[56:57], exec
	s_and_b64 s[62:63], vcc, exec
	s_or_b64 s[56:57], s[56:57], s[62:63]
	s_or_b64 exec, exec, s[58:59]
	v_mov_b32_e32 v6, 0
	s_and_saveexec_b64 s[58:59], s[56:57]
	s_cbranch_execnz .LBB143_706
	s_branch .LBB143_707
.LBB143_824:
	s_mov_b64 s[58:59], -1
                                        ; implicit-def: $vgpr0_vgpr1
	s_mov_b64 s[0:1], 0
.LBB143_825:
	s_and_b64 vcc, exec, s[60:61]
	s_cbranch_vccz .LBB143_829
; %bb.826:
	s_cmp_eq_u32 s65, 44
	s_cbranch_scc0 .LBB143_828
; %bb.827:
	global_load_ubyte v3, v[5:6], off
	s_movk_i32 s58, 0xff
	v_bfrev_b32_e32 v8, 4
	v_mov_b32_e32 v9, 0x7ff80000
	v_bfrev_b32_e32 v10, 28
	s_mov_b64 s[0:1], -1
	s_waitcnt vmcnt(0)
	v_lshlrev_b32_e32 v0, 23, v3
	v_cvt_f64_f32_e32 v[0:1], v0
	v_cmp_ne_u32_e32 vcc, s58, v3
	s_mov_b64 s[58:59], 0
	v_cndmask_b32_e32 v0, v8, v0, vcc
	v_cndmask_b32_e32 v1, v9, v1, vcc
	v_cmp_ne_u32_e32 vcc, 0, v3
	v_cndmask_b32_e32 v1, v10, v1, vcc
	v_cndmask_b32_e32 v0, 0, v0, vcc
	s_branch .LBB143_829
.LBB143_828:
	s_mov_b64 s[58:59], -1
                                        ; implicit-def: $vgpr0_vgpr1
.LBB143_829:
	s_mov_b64 s[60:61], 0
.LBB143_830:
	s_and_b64 vcc, exec, s[60:61]
	s_cbranch_vccz .LBB143_834
; %bb.831:
	s_cmp_eq_u32 s65, 29
	s_cbranch_scc0 .LBB143_833
; %bb.832:
	global_load_dwordx2 v[0:1], v[5:6], off
	s_mov_b64 s[0:1], -1
	s_mov_b64 s[58:59], 0
	s_mov_b64 s[60:61], 0
	s_waitcnt vmcnt(0)
	v_cvt_f64_u32_e32 v[8:9], v1
	v_cvt_f64_u32_e32 v[0:1], v0
	v_ldexp_f64 v[8:9], v[8:9], 32
	v_add_f64 v[0:1], v[8:9], v[0:1]
	s_branch .LBB143_835
.LBB143_833:
	s_mov_b64 s[58:59], -1
                                        ; implicit-def: $vgpr0_vgpr1
.LBB143_834:
	s_mov_b64 s[60:61], 0
.LBB143_835:
	s_and_b64 vcc, exec, s[60:61]
	s_cbranch_vccz .LBB143_855
; %bb.836:
	s_cmp_lt_i32 s65, 27
	s_cbranch_scc1 .LBB143_839
; %bb.837:
	s_cmp_gt_i32 s65, 27
	s_cbranch_scc0 .LBB143_840
; %bb.838:
	global_load_dword v0, v[5:6], off
	s_mov_b64 s[0:1], 0
	s_waitcnt vmcnt(0)
	v_cvt_f64_u32_e32 v[0:1], v0
	s_branch .LBB143_841
.LBB143_839:
	s_mov_b64 s[0:1], -1
                                        ; implicit-def: $vgpr0_vgpr1
	s_branch .LBB143_844
.LBB143_840:
	s_mov_b64 s[0:1], -1
                                        ; implicit-def: $vgpr0_vgpr1
.LBB143_841:
	s_andn2_b64 vcc, exec, s[0:1]
	s_cbranch_vccnz .LBB143_843
; %bb.842:
	global_load_ushort v0, v[5:6], off
	s_waitcnt vmcnt(0)
	v_cvt_f64_u32_e32 v[0:1], v0
.LBB143_843:
	s_mov_b64 s[0:1], 0
.LBB143_844:
	s_andn2_b64 vcc, exec, s[0:1]
	s_cbranch_vccnz .LBB143_854
; %bb.845:
	global_load_ubyte v3, v[5:6], off
	s_movk_i32 s0, 0x7f
	s_waitcnt vmcnt(0)
	v_cmp_lt_i16_e32 vcc, s0, v3
	s_mov_b64 s[0:1], 0
	s_and_saveexec_b64 s[60:61], vcc
	s_xor_b64 s[60:61], exec, s[60:61]
	s_cbranch_execz .LBB143_849
; %bb.846:
	s_movk_i32 s0, 0x80
	v_cmp_eq_u16_e32 vcc, s0, v3
	s_mov_b64 s[0:1], -1
	s_and_saveexec_b64 s[62:63], vcc
; %bb.847:
	s_xor_b64 s[0:1], exec, -1
; %bb.848:
	s_or_b64 exec, exec, s[62:63]
	s_and_b64 s[0:1], s[0:1], exec
.LBB143_849:
	s_or_saveexec_b64 s[60:61], s[60:61]
	v_bfrev_b32_e32 v0, 4
	v_mov_b32_e32 v1, 0x7ff80000
	s_xor_b64 exec, exec, s[60:61]
; %bb.850:
	v_cmp_ne_u16_e32 vcc, 0, v3
	v_mov_b32_e32 v0, 0
	s_andn2_b64 s[0:1], s[0:1], exec
	s_and_b64 s[62:63], vcc, exec
	v_mov_b32_e32 v1, 0
	s_or_b64 s[0:1], s[0:1], s[62:63]
; %bb.851:
	s_or_b64 exec, exec, s[60:61]
	s_and_saveexec_b64 s[60:61], s[0:1]
	s_cbranch_execz .LBB143_853
; %bb.852:
	v_and_b32_e32 v1, 0xffff, v3
	v_lshlrev_b32_e32 v0, 24, v3
	v_and_b32_e32 v3, 7, v1
	v_ffbh_u32_e32 v9, v3
	v_min_u32_e32 v9, 32, v9
	v_subrev_u32_e32 v10, 28, v9
	v_bfe_u32 v8, v1, 3, 4
	v_lshlrev_b32_e32 v1, v10, v1
	v_sub_u32_e32 v9, 29, v9
	v_and_b32_e32 v1, 7, v1
	v_cmp_eq_u32_e32 vcc, 0, v8
	v_cndmask_b32_e32 v8, v8, v9, vcc
	v_cndmask_b32_e32 v1, v3, v1, vcc
	v_mov_b32_e32 v3, 0x3b800000
	v_lshlrev_b32_e32 v1, 20, v1
	v_and_b32_e32 v0, 0x80000000, v0
	v_lshl_add_u32 v3, v8, 23, v3
	v_or3_b32 v0, v0, v3, v1
	v_cvt_f64_f32_e32 v[0:1], v0
.LBB143_853:
	s_or_b64 exec, exec, s[60:61]
.LBB143_854:
	s_mov_b64 s[0:1], -1
.LBB143_855:
	s_mov_b64 s[60:61], 0
.LBB143_856:
	s_and_b64 vcc, exec, s[60:61]
	s_cbranch_vccz .LBB143_889
; %bb.857:
	s_cmp_gt_i32 s65, 22
	s_cbranch_scc0 .LBB143_869
; %bb.858:
	s_cmp_lt_i32 s65, 24
	s_cbranch_scc1 .LBB143_870
; %bb.859:
	s_cmp_gt_i32 s65, 24
	s_cbranch_scc0 .LBB143_871
; %bb.860:
	global_load_ubyte v3, v[5:6], off
	s_movk_i32 s0, 0x7f
	s_waitcnt vmcnt(0)
	v_cmp_lt_i16_e32 vcc, s0, v3
	s_mov_b64 s[0:1], 0
	s_and_saveexec_b64 s[60:61], vcc
	s_xor_b64 s[60:61], exec, s[60:61]
	s_cbranch_execz .LBB143_864
; %bb.861:
	s_movk_i32 s0, 0x80
	v_cmp_eq_u16_e32 vcc, s0, v3
	s_mov_b64 s[0:1], -1
	s_and_saveexec_b64 s[62:63], vcc
; %bb.862:
	s_xor_b64 s[0:1], exec, -1
; %bb.863:
	s_or_b64 exec, exec, s[62:63]
	s_and_b64 s[0:1], s[0:1], exec
.LBB143_864:
	s_or_saveexec_b64 s[60:61], s[60:61]
	v_bfrev_b32_e32 v0, 4
	v_mov_b32_e32 v1, 0x7ff80000
	s_xor_b64 exec, exec, s[60:61]
; %bb.865:
	v_cmp_ne_u16_e32 vcc, 0, v3
	v_mov_b32_e32 v0, 0
	s_andn2_b64 s[0:1], s[0:1], exec
	s_and_b64 s[62:63], vcc, exec
	v_mov_b32_e32 v1, 0
	s_or_b64 s[0:1], s[0:1], s[62:63]
; %bb.866:
	s_or_b64 exec, exec, s[60:61]
	s_and_saveexec_b64 s[60:61], s[0:1]
	s_cbranch_execz .LBB143_868
; %bb.867:
	v_and_b32_e32 v1, 0xffff, v3
	v_lshlrev_b32_e32 v0, 24, v3
	v_and_b32_e32 v3, 3, v1
	v_ffbh_u32_e32 v9, v3
	v_min_u32_e32 v9, 32, v9
	v_subrev_u32_e32 v10, 29, v9
	v_bfe_u32 v8, v1, 2, 5
	v_lshlrev_b32_e32 v1, v10, v1
	v_sub_u32_e32 v9, 30, v9
	v_and_b32_e32 v1, 3, v1
	v_cmp_eq_u32_e32 vcc, 0, v8
	v_cndmask_b32_e32 v8, v8, v9, vcc
	v_cndmask_b32_e32 v1, v3, v1, vcc
	v_mov_b32_e32 v3, 0x37800000
	v_lshlrev_b32_e32 v1, 21, v1
	v_and_b32_e32 v0, 0x80000000, v0
	v_lshl_add_u32 v3, v8, 23, v3
	v_or3_b32 v0, v0, v3, v1
	v_cvt_f64_f32_e32 v[0:1], v0
.LBB143_868:
	s_or_b64 exec, exec, s[60:61]
	s_mov_b64 s[0:1], 0
	s_branch .LBB143_872
.LBB143_869:
	s_mov_b64 s[60:61], -1
                                        ; implicit-def: $vgpr0_vgpr1
	s_branch .LBB143_878
.LBB143_870:
	s_mov_b64 s[0:1], -1
                                        ; implicit-def: $vgpr0_vgpr1
	s_branch .LBB143_875
.LBB143_871:
	s_mov_b64 s[0:1], -1
                                        ; implicit-def: $vgpr0_vgpr1
.LBB143_872:
	s_and_b64 vcc, exec, s[0:1]
	s_cbranch_vccz .LBB143_874
; %bb.873:
	global_load_ubyte v0, v[5:6], off
	s_mov_b32 s0, 0x7f800000
	s_waitcnt vmcnt(0)
	v_lshlrev_b32_e32 v0, 24, v0
	v_and_b32_e32 v1, 0x7f000000, v0
	v_ffbh_u32_e32 v3, v1
	v_min_u32_e32 v3, 32, v3
	v_sub_u32_e64 v3, v3, 4 clamp
	v_lshlrev_b32_e32 v9, v3, v1
	v_lshlrev_b32_e32 v3, 23, v3
	v_lshrrev_b32_e32 v9, 4, v9
	v_add_u32_e32 v8, 0x1000000, v1
	v_sub_u32_e32 v3, v9, v3
	v_ashrrev_i32_e32 v8, 8, v8
	v_add_u32_e32 v3, 0x3c000000, v3
	v_and_or_b32 v3, v8, s0, v3
	v_cmp_ne_u32_e32 vcc, 0, v1
	v_cndmask_b32_e32 v1, 0, v3, vcc
	s_brev_b32 s0, 1
	v_and_or_b32 v0, v0, s0, v1
	v_cvt_f64_f32_e32 v[0:1], v0
.LBB143_874:
	s_mov_b64 s[0:1], 0
.LBB143_875:
	s_andn2_b64 vcc, exec, s[0:1]
	s_cbranch_vccnz .LBB143_877
; %bb.876:
	global_load_ubyte v0, v[5:6], off
	s_movk_i32 s0, 0x7f00
	s_brev_b32 s1, 16
	s_waitcnt vmcnt(0)
	v_lshlrev_b16_e32 v1, 8, v0
	v_lshlrev_b32_e32 v0, 25, v0
	v_lshrrev_b32_e32 v3, 4, v0
	v_and_or_b32 v8, v1, s0, 0.5
	v_or_b32_e32 v3, 0x70000000, v3
	v_add_f32_e32 v8, -0.5, v8
	v_mul_f32_e32 v3, 0x7800000, v3
	v_cmp_gt_u32_e32 vcc, s1, v0
	v_bfe_i32 v1, v1, 0, 16
	v_cndmask_b32_e32 v0, v3, v8, vcc
	s_brev_b32 s0, 1
	v_and_or_b32 v0, v1, s0, v0
	v_cvt_f64_f32_e32 v[0:1], v0
.LBB143_877:
	s_mov_b64 s[60:61], 0
	s_mov_b64 s[0:1], -1
.LBB143_878:
	s_andn2_b64 vcc, exec, s[60:61]
	s_cbranch_vccnz .LBB143_889
; %bb.879:
	s_cmp_gt_i32 s65, 14
	s_cbranch_scc0 .LBB143_882
; %bb.880:
	s_cmp_eq_u32 s65, 15
	s_cbranch_scc0 .LBB143_883
; %bb.881:
	global_load_ushort v0, v[5:6], off
	s_mov_b64 s[0:1], -1
	s_mov_b64 s[58:59], 0
	s_waitcnt vmcnt(0)
	v_lshlrev_b32_e32 v0, 16, v0
	v_cvt_f64_f32_e32 v[0:1], v0
	s_branch .LBB143_884
.LBB143_882:
	s_mov_b64 s[60:61], -1
                                        ; implicit-def: $vgpr0_vgpr1
	s_branch .LBB143_885
.LBB143_883:
	s_mov_b64 s[58:59], -1
                                        ; implicit-def: $vgpr0_vgpr1
.LBB143_884:
	s_mov_b64 s[60:61], 0
.LBB143_885:
	s_and_b64 vcc, exec, s[60:61]
	s_cbranch_vccz .LBB143_889
; %bb.886:
	s_cmp_eq_u32 s65, 11
	s_cbranch_scc0 .LBB143_888
; %bb.887:
	global_load_ubyte v1, v[5:6], off
	v_mov_b32_e32 v3, 0x3ff00000
	v_mov_b32_e32 v0, 0
	s_mov_b64 s[0:1], -1
	s_mov_b64 s[58:59], 0
	s_waitcnt vmcnt(0)
	v_cmp_ne_u16_e32 vcc, 0, v1
	v_cndmask_b32_e32 v1, 0, v3, vcc
	s_branch .LBB143_889
.LBB143_888:
	s_mov_b64 s[58:59], -1
                                        ; implicit-def: $vgpr0_vgpr1
.LBB143_889:
	s_mov_b64 s[60:61], 0
.LBB143_890:
	s_and_b64 vcc, exec, s[60:61]
	s_cbranch_vccz .LBB143_939
; %bb.891:
	s_and_b32 s60, 0xffff, s64
	s_cmp_lt_i32 s60, 5
	s_cbranch_scc1 .LBB143_896
; %bb.892:
	s_cmp_lt_i32 s60, 8
	s_cbranch_scc1 .LBB143_897
; %bb.893:
	;; [unrolled: 3-line block ×3, first 2 shown]
	s_cmp_gt_i32 s60, 9
	s_cbranch_scc0 .LBB143_899
; %bb.895:
	global_load_dwordx2 v[0:1], v[5:6], off
	s_mov_b64 s[0:1], 0
	s_branch .LBB143_900
.LBB143_896:
	s_mov_b64 s[0:1], -1
                                        ; implicit-def: $vgpr0_vgpr1
	s_branch .LBB143_918
.LBB143_897:
	s_mov_b64 s[0:1], -1
                                        ; implicit-def: $vgpr0_vgpr1
	s_branch .LBB143_906
.LBB143_898:
	s_mov_b64 s[0:1], -1
                                        ; implicit-def: $vgpr0_vgpr1
	s_branch .LBB143_903
.LBB143_899:
	s_mov_b64 s[0:1], -1
                                        ; implicit-def: $vgpr0_vgpr1
.LBB143_900:
	s_andn2_b64 vcc, exec, s[0:1]
	s_cbranch_vccnz .LBB143_902
; %bb.901:
	global_load_dword v0, v[5:6], off
	s_waitcnt vmcnt(0)
	v_cvt_f64_f32_e32 v[0:1], v0
.LBB143_902:
	s_mov_b64 s[0:1], 0
.LBB143_903:
	s_andn2_b64 vcc, exec, s[0:1]
	s_cbranch_vccnz .LBB143_905
; %bb.904:
	global_load_dword v0, v[5:6], off
	s_waitcnt vmcnt(0)
	v_cvt_f32_f16_e32 v0, v0
	v_cvt_f64_f32_e32 v[0:1], v0
.LBB143_905:
	s_mov_b64 s[0:1], 0
.LBB143_906:
	s_andn2_b64 vcc, exec, s[0:1]
	s_cbranch_vccnz .LBB143_917
; %bb.907:
	s_cmp_lt_i32 s60, 6
	s_cbranch_scc1 .LBB143_910
; %bb.908:
	s_cmp_gt_i32 s60, 6
	s_cbranch_scc0 .LBB143_911
; %bb.909:
	global_load_dwordx2 v[0:1], v[5:6], off
	s_mov_b64 s[0:1], 0
	s_branch .LBB143_912
.LBB143_910:
	s_mov_b64 s[0:1], -1
                                        ; implicit-def: $vgpr0_vgpr1
	s_branch .LBB143_915
.LBB143_911:
	s_mov_b64 s[0:1], -1
                                        ; implicit-def: $vgpr0_vgpr1
.LBB143_912:
	s_andn2_b64 vcc, exec, s[0:1]
	s_cbranch_vccnz .LBB143_914
; %bb.913:
	global_load_dword v0, v[5:6], off
	s_waitcnt vmcnt(0)
	v_cvt_f64_f32_e32 v[0:1], v0
.LBB143_914:
	s_mov_b64 s[0:1], 0
.LBB143_915:
	s_andn2_b64 vcc, exec, s[0:1]
	s_cbranch_vccnz .LBB143_917
; %bb.916:
	global_load_ushort v0, v[5:6], off
	s_waitcnt vmcnt(0)
	v_cvt_f32_f16_e32 v0, v0
	v_cvt_f64_f32_e32 v[0:1], v0
.LBB143_917:
	s_mov_b64 s[0:1], 0
.LBB143_918:
	s_andn2_b64 vcc, exec, s[0:1]
	s_cbranch_vccnz .LBB143_938
; %bb.919:
	s_cmp_lt_i32 s60, 2
	s_cbranch_scc1 .LBB143_923
; %bb.920:
	s_cmp_lt_i32 s60, 3
	s_cbranch_scc1 .LBB143_924
; %bb.921:
	s_cmp_gt_i32 s60, 3
	s_cbranch_scc0 .LBB143_925
; %bb.922:
	global_load_dwordx2 v[0:1], v[5:6], off
	s_mov_b64 s[0:1], 0
	s_waitcnt vmcnt(0)
	v_cvt_f64_i32_e32 v[8:9], v1
	v_cvt_f64_u32_e32 v[0:1], v0
	v_ldexp_f64 v[8:9], v[8:9], 32
	v_add_f64 v[0:1], v[8:9], v[0:1]
	s_branch .LBB143_926
.LBB143_923:
	s_mov_b64 s[0:1], -1
                                        ; implicit-def: $vgpr0_vgpr1
	s_branch .LBB143_932
.LBB143_924:
	s_mov_b64 s[0:1], -1
                                        ; implicit-def: $vgpr0_vgpr1
	s_branch .LBB143_929
.LBB143_925:
	s_mov_b64 s[0:1], -1
                                        ; implicit-def: $vgpr0_vgpr1
.LBB143_926:
	s_andn2_b64 vcc, exec, s[0:1]
	s_cbranch_vccnz .LBB143_928
; %bb.927:
	global_load_dword v0, v[5:6], off
	s_waitcnt vmcnt(0)
	v_cvt_f64_i32_e32 v[0:1], v0
.LBB143_928:
	s_mov_b64 s[0:1], 0
.LBB143_929:
	s_andn2_b64 vcc, exec, s[0:1]
	s_cbranch_vccnz .LBB143_931
; %bb.930:
	global_load_sshort v0, v[5:6], off
	s_waitcnt vmcnt(0)
	v_cvt_f64_i32_e32 v[0:1], v0
.LBB143_931:
	s_mov_b64 s[0:1], 0
.LBB143_932:
	s_andn2_b64 vcc, exec, s[0:1]
	s_cbranch_vccnz .LBB143_938
; %bb.933:
	s_cmp_gt_i32 s60, 0
	s_cbranch_scc0 .LBB143_935
; %bb.934:
	global_load_sbyte v0, v[5:6], off
	s_mov_b64 s[0:1], 0
	s_waitcnt vmcnt(0)
	v_cvt_f64_i32_e32 v[0:1], v0
	s_branch .LBB143_936
.LBB143_935:
	s_mov_b64 s[0:1], -1
                                        ; implicit-def: $vgpr0_vgpr1
.LBB143_936:
	s_andn2_b64 vcc, exec, s[0:1]
	s_cbranch_vccnz .LBB143_938
; %bb.937:
	global_load_ubyte v0, v[5:6], off
	s_waitcnt vmcnt(0)
	v_cvt_f64_u32_e32 v[0:1], v0
.LBB143_938:
	s_mov_b64 s[0:1], -1
.LBB143_939:
	s_andn2_b64 vcc, exec, s[0:1]
	s_cbranch_vccnz .LBB143_947
; %bb.940:
	v_mov_b32_e32 v5, s13
	s_and_b32 s66, s74, 0xff
	v_add_co_u32_e32 v3, vcc, s12, v4
	s_cmp_lt_i32 s66, 11
	v_addc_co_u32_e32 v4, vcc, 0, v5, vcc
	s_cbranch_scc1 .LBB143_949
; %bb.941:
	s_and_b32 s67, 0xffff, s66
	s_cmp_gt_i32 s67, 25
	s_cbranch_scc0 .LBB143_950
; %bb.942:
	s_cmp_gt_i32 s67, 28
	s_cbranch_scc0 .LBB143_951
; %bb.943:
	;; [unrolled: 3-line block ×4, first 2 shown]
	s_cmp_eq_u32 s67, 46
	s_mov_b64 s[62:63], 0
	s_cbranch_scc0 .LBB143_956
; %bb.946:
	global_load_dword v5, v[3:4], off
	s_mov_b64 s[0:1], -1
	s_mov_b64 s[60:61], 0
	s_waitcnt vmcnt(0)
	v_lshlrev_b32_e32 v5, 16, v5
	v_cvt_f64_f32_e32 v[5:6], v5
	s_branch .LBB143_957
.LBB143_947:
	s_mov_b64 s[64:65], 0
	s_mov_b64 s[0:1], s[52:53]
	;; [unrolled: 1-line block ×3, first 2 shown]
.LBB143_948:
                                        ; implicit-def: $vgpr7
	s_branch .LBB143_1195
.LBB143_949:
	s_mov_b64 s[62:63], -1
	s_mov_b64 s[0:1], 0
                                        ; implicit-def: $vgpr5_vgpr6
	s_mov_b64 s[60:61], s[50:51]
	s_branch .LBB143_1022
.LBB143_950:
	s_mov_b64 s[62:63], -1
	s_mov_b64 s[0:1], 0
	s_mov_b64 s[60:61], s[50:51]
                                        ; implicit-def: $vgpr5_vgpr6
	s_branch .LBB143_988
.LBB143_951:
	s_mov_b64 s[62:63], -1
	s_mov_b64 s[0:1], 0
	s_mov_b64 s[60:61], s[50:51]
                                        ; implicit-def: $vgpr5_vgpr6
	s_branch .LBB143_967
.LBB143_952:
	s_mov_b64 s[62:63], -1
	s_mov_b64 s[0:1], 0
	s_mov_b64 s[60:61], s[50:51]
                                        ; implicit-def: $vgpr5_vgpr6
	s_branch .LBB143_962
.LBB143_953:
	s_mov_b64 s[62:63], -1
	s_mov_b64 s[0:1], 0
	s_mov_b64 s[60:61], s[50:51]
                                        ; implicit-def: $vgpr5_vgpr6
	s_branch .LBB143_957
.LBB143_954:
	s_andn2_saveexec_b64 s[58:59], s[58:59]
	s_cbranch_execz .LBB143_718
.LBB143_955:
	s_mov_b32 s62, 0x42800000
	v_add_f32_e64 v3, |v2|, s62
	v_and_b32_e32 v3, 0xff, v3
	v_cmp_ne_u32_e32 vcc, 0, v3
	s_andn2_b64 s[56:57], s[56:57], exec
	s_and_b64 s[62:63], vcc, exec
	s_or_b64 s[56:57], s[56:57], s[62:63]
	s_or_b64 exec, exec, s[58:59]
	v_mov_b32_e32 v6, 0
	s_and_saveexec_b64 s[58:59], s[56:57]
	s_cbranch_execnz .LBB143_719
	s_branch .LBB143_720
.LBB143_956:
	s_mov_b64 s[60:61], -1
                                        ; implicit-def: $vgpr5_vgpr6
	s_mov_b64 s[0:1], 0
.LBB143_957:
	s_and_b64 vcc, exec, s[62:63]
	s_cbranch_vccz .LBB143_961
; %bb.958:
	s_cmp_eq_u32 s67, 44
	s_cbranch_scc0 .LBB143_960
; %bb.959:
	global_load_ubyte v8, v[3:4], off
	s_movk_i32 s60, 0xff
	v_bfrev_b32_e32 v9, 4
	v_mov_b32_e32 v10, 0x7ff80000
	v_bfrev_b32_e32 v11, 28
	s_mov_b64 s[0:1], -1
	s_waitcnt vmcnt(0)
	v_lshlrev_b32_e32 v5, 23, v8
	v_cvt_f64_f32_e32 v[5:6], v5
	v_cmp_ne_u32_e32 vcc, s60, v8
	s_mov_b64 s[60:61], 0
	v_cndmask_b32_e32 v5, v9, v5, vcc
	v_cndmask_b32_e32 v6, v10, v6, vcc
	v_cmp_ne_u32_e32 vcc, 0, v8
	v_cndmask_b32_e32 v6, v11, v6, vcc
	v_cndmask_b32_e32 v5, 0, v5, vcc
	s_branch .LBB143_961
.LBB143_960:
	s_mov_b64 s[60:61], -1
                                        ; implicit-def: $vgpr5_vgpr6
.LBB143_961:
	s_mov_b64 s[62:63], 0
.LBB143_962:
	s_and_b64 vcc, exec, s[62:63]
	s_cbranch_vccz .LBB143_966
; %bb.963:
	s_cmp_eq_u32 s67, 29
	s_cbranch_scc0 .LBB143_965
; %bb.964:
	global_load_dwordx2 v[5:6], v[3:4], off
	s_mov_b64 s[0:1], -1
	s_mov_b64 s[60:61], 0
	s_mov_b64 s[62:63], 0
	s_waitcnt vmcnt(0)
	v_cvt_f64_u32_e32 v[8:9], v6
	v_cvt_f64_u32_e32 v[5:6], v5
	v_ldexp_f64 v[8:9], v[8:9], 32
	v_add_f64 v[5:6], v[8:9], v[5:6]
	s_branch .LBB143_967
.LBB143_965:
	s_mov_b64 s[60:61], -1
                                        ; implicit-def: $vgpr5_vgpr6
.LBB143_966:
	s_mov_b64 s[62:63], 0
.LBB143_967:
	s_and_b64 vcc, exec, s[62:63]
	s_cbranch_vccz .LBB143_987
; %bb.968:
	s_cmp_lt_i32 s67, 27
	s_cbranch_scc1 .LBB143_971
; %bb.969:
	s_cmp_gt_i32 s67, 27
	s_cbranch_scc0 .LBB143_972
; %bb.970:
	global_load_dword v5, v[3:4], off
	s_mov_b64 s[0:1], 0
	s_waitcnt vmcnt(0)
	v_cvt_f64_u32_e32 v[5:6], v5
	s_branch .LBB143_973
.LBB143_971:
	s_mov_b64 s[0:1], -1
                                        ; implicit-def: $vgpr5_vgpr6
	s_branch .LBB143_976
.LBB143_972:
	s_mov_b64 s[0:1], -1
                                        ; implicit-def: $vgpr5_vgpr6
.LBB143_973:
	s_andn2_b64 vcc, exec, s[0:1]
	s_cbranch_vccnz .LBB143_975
; %bb.974:
	global_load_ushort v5, v[3:4], off
	s_waitcnt vmcnt(0)
	v_cvt_f64_u32_e32 v[5:6], v5
.LBB143_975:
	s_mov_b64 s[0:1], 0
.LBB143_976:
	s_andn2_b64 vcc, exec, s[0:1]
	s_cbranch_vccnz .LBB143_986
; %bb.977:
	global_load_ubyte v8, v[3:4], off
	s_movk_i32 s0, 0x7f
	s_waitcnt vmcnt(0)
	v_cmp_lt_i16_e32 vcc, s0, v8
	s_mov_b64 s[0:1], 0
	s_and_saveexec_b64 s[62:63], vcc
	s_xor_b64 s[62:63], exec, s[62:63]
	s_cbranch_execz .LBB143_981
; %bb.978:
	s_movk_i32 s0, 0x80
	v_cmp_eq_u16_e32 vcc, s0, v8
	s_mov_b64 s[0:1], -1
	s_and_saveexec_b64 s[64:65], vcc
; %bb.979:
	s_xor_b64 s[0:1], exec, -1
; %bb.980:
	s_or_b64 exec, exec, s[64:65]
	s_and_b64 s[0:1], s[0:1], exec
.LBB143_981:
	s_or_saveexec_b64 s[62:63], s[62:63]
	v_bfrev_b32_e32 v5, 4
	v_mov_b32_e32 v6, 0x7ff80000
	s_xor_b64 exec, exec, s[62:63]
; %bb.982:
	v_cmp_ne_u16_e32 vcc, 0, v8
	v_mov_b32_e32 v5, 0
	s_andn2_b64 s[0:1], s[0:1], exec
	s_and_b64 s[64:65], vcc, exec
	v_mov_b32_e32 v6, 0
	s_or_b64 s[0:1], s[0:1], s[64:65]
; %bb.983:
	s_or_b64 exec, exec, s[62:63]
	s_and_saveexec_b64 s[62:63], s[0:1]
	s_cbranch_execz .LBB143_985
; %bb.984:
	v_and_b32_e32 v6, 0xffff, v8
	v_lshlrev_b32_e32 v5, 24, v8
	v_and_b32_e32 v8, 7, v6
	v_ffbh_u32_e32 v10, v8
	v_min_u32_e32 v10, 32, v10
	v_subrev_u32_e32 v11, 28, v10
	v_bfe_u32 v9, v6, 3, 4
	v_lshlrev_b32_e32 v6, v11, v6
	v_sub_u32_e32 v10, 29, v10
	v_and_b32_e32 v6, 7, v6
	v_cmp_eq_u32_e32 vcc, 0, v9
	v_cndmask_b32_e32 v9, v9, v10, vcc
	v_cndmask_b32_e32 v6, v8, v6, vcc
	v_mov_b32_e32 v8, 0x3b800000
	v_lshlrev_b32_e32 v6, 20, v6
	v_and_b32_e32 v5, 0x80000000, v5
	v_lshl_add_u32 v8, v9, 23, v8
	v_or3_b32 v5, v5, v8, v6
	v_cvt_f64_f32_e32 v[5:6], v5
.LBB143_985:
	s_or_b64 exec, exec, s[62:63]
.LBB143_986:
	s_mov_b64 s[0:1], -1
.LBB143_987:
	s_mov_b64 s[62:63], 0
.LBB143_988:
	s_and_b64 vcc, exec, s[62:63]
	s_cbranch_vccz .LBB143_1021
; %bb.989:
	s_cmp_gt_i32 s67, 22
	s_cbranch_scc0 .LBB143_1001
; %bb.990:
	s_cmp_lt_i32 s67, 24
	s_cbranch_scc1 .LBB143_1002
; %bb.991:
	s_cmp_gt_i32 s67, 24
	s_cbranch_scc0 .LBB143_1003
; %bb.992:
	global_load_ubyte v8, v[3:4], off
	s_movk_i32 s0, 0x7f
	s_waitcnt vmcnt(0)
	v_cmp_lt_i16_e32 vcc, s0, v8
	s_mov_b64 s[0:1], 0
	s_and_saveexec_b64 s[62:63], vcc
	s_xor_b64 s[62:63], exec, s[62:63]
	s_cbranch_execz .LBB143_996
; %bb.993:
	s_movk_i32 s0, 0x80
	v_cmp_eq_u16_e32 vcc, s0, v8
	s_mov_b64 s[0:1], -1
	s_and_saveexec_b64 s[64:65], vcc
; %bb.994:
	s_xor_b64 s[0:1], exec, -1
; %bb.995:
	s_or_b64 exec, exec, s[64:65]
	s_and_b64 s[0:1], s[0:1], exec
.LBB143_996:
	s_or_saveexec_b64 s[62:63], s[62:63]
	v_bfrev_b32_e32 v5, 4
	v_mov_b32_e32 v6, 0x7ff80000
	s_xor_b64 exec, exec, s[62:63]
; %bb.997:
	v_cmp_ne_u16_e32 vcc, 0, v8
	v_mov_b32_e32 v5, 0
	s_andn2_b64 s[0:1], s[0:1], exec
	s_and_b64 s[64:65], vcc, exec
	v_mov_b32_e32 v6, 0
	s_or_b64 s[0:1], s[0:1], s[64:65]
; %bb.998:
	s_or_b64 exec, exec, s[62:63]
	s_and_saveexec_b64 s[62:63], s[0:1]
	s_cbranch_execz .LBB143_1000
; %bb.999:
	v_and_b32_e32 v6, 0xffff, v8
	v_lshlrev_b32_e32 v5, 24, v8
	v_and_b32_e32 v8, 3, v6
	v_ffbh_u32_e32 v10, v8
	v_min_u32_e32 v10, 32, v10
	v_subrev_u32_e32 v11, 29, v10
	v_bfe_u32 v9, v6, 2, 5
	v_lshlrev_b32_e32 v6, v11, v6
	v_sub_u32_e32 v10, 30, v10
	v_and_b32_e32 v6, 3, v6
	v_cmp_eq_u32_e32 vcc, 0, v9
	v_cndmask_b32_e32 v9, v9, v10, vcc
	v_cndmask_b32_e32 v6, v8, v6, vcc
	v_mov_b32_e32 v8, 0x37800000
	v_lshlrev_b32_e32 v6, 21, v6
	v_and_b32_e32 v5, 0x80000000, v5
	v_lshl_add_u32 v8, v9, 23, v8
	v_or3_b32 v5, v5, v8, v6
	v_cvt_f64_f32_e32 v[5:6], v5
.LBB143_1000:
	s_or_b64 exec, exec, s[62:63]
	s_mov_b64 s[0:1], 0
	s_branch .LBB143_1004
.LBB143_1001:
	s_mov_b64 s[62:63], -1
                                        ; implicit-def: $vgpr5_vgpr6
	s_branch .LBB143_1010
.LBB143_1002:
	s_mov_b64 s[0:1], -1
                                        ; implicit-def: $vgpr5_vgpr6
	s_branch .LBB143_1007
.LBB143_1003:
	s_mov_b64 s[0:1], -1
                                        ; implicit-def: $vgpr5_vgpr6
.LBB143_1004:
	s_and_b64 vcc, exec, s[0:1]
	s_cbranch_vccz .LBB143_1006
; %bb.1005:
	global_load_ubyte v5, v[3:4], off
	s_mov_b32 s0, 0x7f800000
	s_waitcnt vmcnt(0)
	v_lshlrev_b32_e32 v5, 24, v5
	v_and_b32_e32 v6, 0x7f000000, v5
	v_ffbh_u32_e32 v8, v6
	v_min_u32_e32 v8, 32, v8
	v_sub_u32_e64 v8, v8, 4 clamp
	v_lshlrev_b32_e32 v10, v8, v6
	v_lshlrev_b32_e32 v8, 23, v8
	v_lshrrev_b32_e32 v10, 4, v10
	v_add_u32_e32 v9, 0x1000000, v6
	v_sub_u32_e32 v8, v10, v8
	v_ashrrev_i32_e32 v9, 8, v9
	v_add_u32_e32 v8, 0x3c000000, v8
	v_and_or_b32 v8, v9, s0, v8
	v_cmp_ne_u32_e32 vcc, 0, v6
	v_cndmask_b32_e32 v6, 0, v8, vcc
	s_brev_b32 s0, 1
	v_and_or_b32 v5, v5, s0, v6
	v_cvt_f64_f32_e32 v[5:6], v5
.LBB143_1006:
	s_mov_b64 s[0:1], 0
.LBB143_1007:
	s_andn2_b64 vcc, exec, s[0:1]
	s_cbranch_vccnz .LBB143_1009
; %bb.1008:
	global_load_ubyte v5, v[3:4], off
	s_movk_i32 s0, 0x7f00
	s_brev_b32 s1, 16
	s_waitcnt vmcnt(0)
	v_lshlrev_b16_e32 v6, 8, v5
	v_lshlrev_b32_e32 v5, 25, v5
	v_lshrrev_b32_e32 v8, 4, v5
	v_and_or_b32 v9, v6, s0, 0.5
	v_or_b32_e32 v8, 0x70000000, v8
	v_add_f32_e32 v9, -0.5, v9
	v_mul_f32_e32 v8, 0x7800000, v8
	v_cmp_gt_u32_e32 vcc, s1, v5
	v_bfe_i32 v6, v6, 0, 16
	v_cndmask_b32_e32 v5, v8, v9, vcc
	s_brev_b32 s0, 1
	v_and_or_b32 v5, v6, s0, v5
	v_cvt_f64_f32_e32 v[5:6], v5
.LBB143_1009:
	s_mov_b64 s[62:63], 0
	s_mov_b64 s[0:1], -1
.LBB143_1010:
	s_andn2_b64 vcc, exec, s[62:63]
	s_cbranch_vccnz .LBB143_1021
; %bb.1011:
	s_cmp_gt_i32 s67, 14
	s_cbranch_scc0 .LBB143_1014
; %bb.1012:
	s_cmp_eq_u32 s67, 15
	s_cbranch_scc0 .LBB143_1015
; %bb.1013:
	global_load_ushort v5, v[3:4], off
	s_mov_b64 s[0:1], -1
	s_mov_b64 s[60:61], 0
	s_waitcnt vmcnt(0)
	v_lshlrev_b32_e32 v5, 16, v5
	v_cvt_f64_f32_e32 v[5:6], v5
	s_branch .LBB143_1016
.LBB143_1014:
	s_mov_b64 s[62:63], -1
                                        ; implicit-def: $vgpr5_vgpr6
	s_branch .LBB143_1017
.LBB143_1015:
	s_mov_b64 s[60:61], -1
                                        ; implicit-def: $vgpr5_vgpr6
.LBB143_1016:
	s_mov_b64 s[62:63], 0
.LBB143_1017:
	s_and_b64 vcc, exec, s[62:63]
	s_cbranch_vccz .LBB143_1021
; %bb.1018:
	s_cmp_eq_u32 s67, 11
	s_cbranch_scc0 .LBB143_1020
; %bb.1019:
	global_load_ubyte v6, v[3:4], off
	v_mov_b32_e32 v8, 0x3ff00000
	v_mov_b32_e32 v5, 0
	s_mov_b64 s[0:1], -1
	s_mov_b64 s[60:61], 0
	s_waitcnt vmcnt(0)
	v_cmp_ne_u16_e32 vcc, 0, v6
	v_cndmask_b32_e32 v6, 0, v8, vcc
	s_branch .LBB143_1021
.LBB143_1020:
	s_mov_b64 s[60:61], -1
                                        ; implicit-def: $vgpr5_vgpr6
.LBB143_1021:
	s_mov_b64 s[62:63], 0
.LBB143_1022:
	s_and_b64 vcc, exec, s[62:63]
	s_cbranch_vccz .LBB143_1071
; %bb.1023:
	s_and_b32 s62, 0xffff, s66
	s_cmp_lt_i32 s62, 5
	s_cbranch_scc1 .LBB143_1028
; %bb.1024:
	s_cmp_lt_i32 s62, 8
	s_cbranch_scc1 .LBB143_1029
; %bb.1025:
	;; [unrolled: 3-line block ×3, first 2 shown]
	s_cmp_gt_i32 s62, 9
	s_cbranch_scc0 .LBB143_1031
; %bb.1027:
	global_load_dwordx2 v[5:6], v[3:4], off
	s_mov_b64 s[0:1], 0
	s_branch .LBB143_1032
.LBB143_1028:
	s_mov_b64 s[0:1], -1
                                        ; implicit-def: $vgpr5_vgpr6
	s_branch .LBB143_1050
.LBB143_1029:
	s_mov_b64 s[0:1], -1
                                        ; implicit-def: $vgpr5_vgpr6
	s_branch .LBB143_1038
.LBB143_1030:
	s_mov_b64 s[0:1], -1
                                        ; implicit-def: $vgpr5_vgpr6
	s_branch .LBB143_1035
.LBB143_1031:
	s_mov_b64 s[0:1], -1
                                        ; implicit-def: $vgpr5_vgpr6
.LBB143_1032:
	s_andn2_b64 vcc, exec, s[0:1]
	s_cbranch_vccnz .LBB143_1034
; %bb.1033:
	global_load_dword v5, v[3:4], off
	s_waitcnt vmcnt(0)
	v_cvt_f64_f32_e32 v[5:6], v5
.LBB143_1034:
	s_mov_b64 s[0:1], 0
.LBB143_1035:
	s_andn2_b64 vcc, exec, s[0:1]
	s_cbranch_vccnz .LBB143_1037
; %bb.1036:
	global_load_dword v5, v[3:4], off
	s_waitcnt vmcnt(0)
	v_cvt_f32_f16_e32 v5, v5
	v_cvt_f64_f32_e32 v[5:6], v5
.LBB143_1037:
	s_mov_b64 s[0:1], 0
.LBB143_1038:
	s_andn2_b64 vcc, exec, s[0:1]
	s_cbranch_vccnz .LBB143_1049
; %bb.1039:
	s_cmp_lt_i32 s62, 6
	s_cbranch_scc1 .LBB143_1042
; %bb.1040:
	s_cmp_gt_i32 s62, 6
	s_cbranch_scc0 .LBB143_1043
; %bb.1041:
	global_load_dwordx2 v[5:6], v[3:4], off
	s_mov_b64 s[0:1], 0
	s_branch .LBB143_1044
.LBB143_1042:
	s_mov_b64 s[0:1], -1
                                        ; implicit-def: $vgpr5_vgpr6
	s_branch .LBB143_1047
.LBB143_1043:
	s_mov_b64 s[0:1], -1
                                        ; implicit-def: $vgpr5_vgpr6
.LBB143_1044:
	s_andn2_b64 vcc, exec, s[0:1]
	s_cbranch_vccnz .LBB143_1046
; %bb.1045:
	global_load_dword v5, v[3:4], off
	s_waitcnt vmcnt(0)
	v_cvt_f64_f32_e32 v[5:6], v5
.LBB143_1046:
	s_mov_b64 s[0:1], 0
.LBB143_1047:
	s_andn2_b64 vcc, exec, s[0:1]
	s_cbranch_vccnz .LBB143_1049
; %bb.1048:
	global_load_ushort v5, v[3:4], off
	s_waitcnt vmcnt(0)
	v_cvt_f32_f16_e32 v5, v5
	v_cvt_f64_f32_e32 v[5:6], v5
.LBB143_1049:
	s_mov_b64 s[0:1], 0
.LBB143_1050:
	s_andn2_b64 vcc, exec, s[0:1]
	s_cbranch_vccnz .LBB143_1070
; %bb.1051:
	s_cmp_lt_i32 s62, 2
	s_cbranch_scc1 .LBB143_1055
; %bb.1052:
	s_cmp_lt_i32 s62, 3
	s_cbranch_scc1 .LBB143_1056
; %bb.1053:
	s_cmp_gt_i32 s62, 3
	s_cbranch_scc0 .LBB143_1057
; %bb.1054:
	global_load_dwordx2 v[5:6], v[3:4], off
	s_mov_b64 s[0:1], 0
	s_waitcnt vmcnt(0)
	v_cvt_f64_i32_e32 v[8:9], v6
	v_cvt_f64_u32_e32 v[5:6], v5
	v_ldexp_f64 v[8:9], v[8:9], 32
	v_add_f64 v[5:6], v[8:9], v[5:6]
	s_branch .LBB143_1058
.LBB143_1055:
	s_mov_b64 s[0:1], -1
                                        ; implicit-def: $vgpr5_vgpr6
	s_branch .LBB143_1064
.LBB143_1056:
	s_mov_b64 s[0:1], -1
                                        ; implicit-def: $vgpr5_vgpr6
	s_branch .LBB143_1061
.LBB143_1057:
	s_mov_b64 s[0:1], -1
                                        ; implicit-def: $vgpr5_vgpr6
.LBB143_1058:
	s_andn2_b64 vcc, exec, s[0:1]
	s_cbranch_vccnz .LBB143_1060
; %bb.1059:
	global_load_dword v5, v[3:4], off
	s_waitcnt vmcnt(0)
	v_cvt_f64_i32_e32 v[5:6], v5
.LBB143_1060:
	s_mov_b64 s[0:1], 0
.LBB143_1061:
	s_andn2_b64 vcc, exec, s[0:1]
	s_cbranch_vccnz .LBB143_1063
; %bb.1062:
	global_load_sshort v5, v[3:4], off
	s_waitcnt vmcnt(0)
	v_cvt_f64_i32_e32 v[5:6], v5
.LBB143_1063:
	s_mov_b64 s[0:1], 0
.LBB143_1064:
	s_andn2_b64 vcc, exec, s[0:1]
	s_cbranch_vccnz .LBB143_1070
; %bb.1065:
	s_cmp_gt_i32 s62, 0
	s_cbranch_scc0 .LBB143_1067
; %bb.1066:
	global_load_sbyte v5, v[3:4], off
	s_mov_b64 s[0:1], 0
	s_waitcnt vmcnt(0)
	v_cvt_f64_i32_e32 v[5:6], v5
	s_branch .LBB143_1068
.LBB143_1067:
	s_mov_b64 s[0:1], -1
                                        ; implicit-def: $vgpr5_vgpr6
.LBB143_1068:
	s_andn2_b64 vcc, exec, s[0:1]
	s_cbranch_vccnz .LBB143_1070
; %bb.1069:
	global_load_ubyte v3, v[3:4], off
	s_waitcnt vmcnt(0)
	v_cvt_f64_u32_e32 v[5:6], v3
.LBB143_1070:
	s_mov_b64 s[0:1], -1
.LBB143_1071:
	s_andn2_b64 vcc, exec, s[0:1]
	s_cbranch_vccnz .LBB143_1079
; %bb.1072:
	s_waitcnt vmcnt(0)
	v_cmp_nge_f64_e32 vcc, s[14:15], v[0:1]
	v_mov_b32_e32 v3, s29
	v_mov_b32_e32 v0, s28
	;; [unrolled: 1-line block ×3, first 2 shown]
	s_and_b32 s68, s73, 0xff
	s_cmp_lt_i32 s68, 11
	v_cndmask_b32_e32 v1, v3, v6, vcc
	v_cndmask_b32_e32 v0, v0, v5, vcc
	v_add_co_u32_e32 v4, vcc, s8, v2
	v_addc_co_u32_e32 v5, vcc, 0, v8, vcc
	s_cbranch_scc1 .LBB143_1080
; %bb.1073:
	s_and_b32 s69, 0xffff, s68
	s_cmp_gt_i32 s69, 25
	s_cbranch_scc0 .LBB143_1081
; %bb.1074:
	s_cmp_gt_i32 s69, 28
	s_cbranch_scc0 .LBB143_1082
; %bb.1075:
	;; [unrolled: 3-line block ×4, first 2 shown]
	s_mov_b64 s[64:65], 0
	s_mov_b64 s[0:1], -1
	s_cmp_eq_u32 s69, 46
	s_mov_b64 s[62:63], 0
	s_cbranch_scc0 .LBB143_1085
; %bb.1078:
	v_cvt_f32_f64_e32 v2, v[0:1]
	s_movk_i32 s0, 0x7fff
	v_mov_b32_e32 v3, 0x7fc0
	s_mov_b64 s[62:63], -1
	v_bfe_u32 v6, v2, 16, 1
	v_cmp_o_f32_e32 vcc, v2, v2
	v_add3_u32 v2, v2, v6, s0
	v_cndmask_b32_sdwa v2, v3, v2, vcc dst_sel:DWORD dst_unused:UNUSED_PAD src0_sel:DWORD src1_sel:WORD_1
	global_store_dword v[4:5], v2, off
	s_mov_b64 s[0:1], 0
	s_branch .LBB143_1085
.LBB143_1079:
	s_mov_b64 s[64:65], 0
                                        ; implicit-def: $vgpr7
	s_mov_b64 s[0:1], s[52:53]
	s_branch .LBB143_1195
.LBB143_1080:
	s_mov_b64 s[64:65], -1
	s_mov_b64 s[62:63], 0
	s_mov_b64 s[0:1], s[52:53]
	s_branch .LBB143_1154
.LBB143_1081:
	s_mov_b64 s[64:65], -1
	s_mov_b64 s[62:63], 0
	s_mov_b64 s[0:1], s[52:53]
	s_branch .LBB143_1112
.LBB143_1082:
	s_mov_b64 s[64:65], -1
	s_mov_b64 s[62:63], 0
	s_mov_b64 s[0:1], s[52:53]
	s_branch .LBB143_1095
.LBB143_1083:
	s_mov_b64 s[64:65], -1
	s_mov_b64 s[62:63], 0
	s_mov_b64 s[0:1], s[52:53]
	s_branch .LBB143_1091
.LBB143_1084:
	s_mov_b64 s[64:65], -1
	s_mov_b64 s[62:63], 0
	s_mov_b64 s[0:1], s[52:53]
.LBB143_1085:
	s_and_b64 vcc, exec, s[64:65]
	s_cbranch_vccz .LBB143_1090
; %bb.1086:
	s_cmp_eq_u32 s69, 44
	s_mov_b64 s[0:1], -1
	s_cbranch_scc0 .LBB143_1090
; %bb.1087:
	v_cvt_f32_f64_e32 v2, v[0:1]
	s_movk_i32 s0, 0xff
	v_mov_b32_e32 v6, 0xff
	v_bfe_u32 v3, v2, 23, 8
	v_cmp_ne_u32_e32 vcc, s0, v3
	s_and_saveexec_b64 s[62:63], vcc
; %bb.1088:
	s_mov_b32 s0, 0x3fffff
	v_lshrrev_b32_e32 v6, 23, v2
	v_and_b32_e32 v8, 0x400000, v2
	v_and_or_b32 v2, v2, s0, v3
	v_cmp_ne_u32_e32 vcc, 0, v8
	v_cmp_ne_u32_e64 s[0:1], 0, v2
	s_and_b64 s[0:1], vcc, s[0:1]
	v_cndmask_b32_e64 v2, 0, 1, s[0:1]
	v_add_u32_e32 v6, v6, v2
; %bb.1089:
	s_or_b64 exec, exec, s[62:63]
	s_mov_b64 s[62:63], -1
	s_mov_b64 s[0:1], 0
	global_store_byte v[4:5], v6, off
.LBB143_1090:
	s_mov_b64 s[64:65], 0
.LBB143_1091:
	s_and_b64 vcc, exec, s[64:65]
	s_cbranch_vccz .LBB143_1094
; %bb.1092:
	s_cmp_eq_u32 s69, 29
	s_mov_b64 s[0:1], -1
	s_cbranch_scc0 .LBB143_1094
; %bb.1093:
	v_trunc_f64_e32 v[2:3], v[0:1]
	s_movk_i32 s0, 0xffe0
	s_mov_b64 s[62:63], -1
	s_mov_b64 s[64:65], 0
	v_ldexp_f64 v[8:9], v[2:3], s0
	s_mov_b32 s0, 0
	s_mov_b32 s1, 0xc1f00000
	v_floor_f64_e32 v[8:9], v[8:9]
	v_fma_f64 v[2:3], v[8:9], s[0:1], v[2:3]
	v_cvt_u32_f64_e32 v9, v[8:9]
	s_mov_b64 s[0:1], 0
	v_cvt_u32_f64_e32 v8, v[2:3]
	global_store_dwordx2 v[4:5], v[8:9], off
	s_branch .LBB143_1095
.LBB143_1094:
	s_mov_b64 s[64:65], 0
.LBB143_1095:
	s_and_b64 vcc, exec, s[64:65]
	s_cbranch_vccz .LBB143_1111
; %bb.1096:
	s_cmp_lt_i32 s69, 27
	s_mov_b64 s[62:63], -1
	s_cbranch_scc1 .LBB143_1102
; %bb.1097:
	s_cmp_gt_i32 s69, 27
	s_cbranch_scc0 .LBB143_1099
; %bb.1098:
	v_cvt_u32_f64_e32 v2, v[0:1]
	s_mov_b64 s[62:63], 0
	global_store_dword v[4:5], v2, off
.LBB143_1099:
	s_andn2_b64 vcc, exec, s[62:63]
	s_cbranch_vccnz .LBB143_1101
; %bb.1100:
	v_cvt_u32_f64_e32 v2, v[0:1]
	global_store_short v[4:5], v2, off
.LBB143_1101:
	s_mov_b64 s[62:63], 0
.LBB143_1102:
	s_andn2_b64 vcc, exec, s[62:63]
	s_cbranch_vccnz .LBB143_1110
; %bb.1103:
	v_cvt_f32_f64_e32 v2, v[0:1]
	s_mov_b32 s62, 0x43800000
	v_mov_b32_e32 v6, 0x80
	v_and_b32_e32 v3, 0x7fffffff, v2
	v_cmp_gt_u32_e32 vcc, s62, v3
	s_and_saveexec_b64 s[62:63], vcc
	s_cbranch_execz .LBB143_1109
; %bb.1104:
	s_mov_b32 s64, 0x3bffffff
	v_cmp_lt_u32_e32 vcc, s64, v3
	s_mov_b64 s[64:65], 0
                                        ; implicit-def: $vgpr3
	s_and_saveexec_b64 s[66:67], vcc
	s_xor_b64 s[66:67], exec, s[66:67]
	s_cbranch_execz .LBB143_1223
; %bb.1105:
	v_bfe_u32 v3, v2, 20, 1
	s_mov_b32 s71, 0x487ffff
	v_add3_u32 v3, v2, v3, s71
	s_mov_b64 s[64:65], exec
	v_lshrrev_b32_e32 v3, 20, v3
	s_andn2_saveexec_b64 s[66:67], s[66:67]
	s_cbranch_execnz .LBB143_1224
.LBB143_1106:
	s_or_b64 exec, exec, s[66:67]
	v_mov_b32_e32 v6, 0
	s_and_saveexec_b64 s[66:67], s[64:65]
.LBB143_1107:
	v_lshrrev_b32_e32 v2, 24, v2
	s_movk_i32 s64, 0x80
	v_and_or_b32 v6, v2, s64, v3
.LBB143_1108:
	s_or_b64 exec, exec, s[66:67]
.LBB143_1109:
	s_or_b64 exec, exec, s[62:63]
	global_store_byte v[4:5], v6, off
.LBB143_1110:
	s_mov_b64 s[62:63], -1
.LBB143_1111:
	s_mov_b64 s[64:65], 0
.LBB143_1112:
	s_and_b64 vcc, exec, s[64:65]
	s_cbranch_vccz .LBB143_1153
; %bb.1113:
	s_cmp_gt_i32 s69, 22
	s_mov_b64 s[64:65], -1
	s_cbranch_scc0 .LBB143_1145
; %bb.1114:
	s_cmp_lt_i32 s69, 24
	s_mov_b64 s[62:63], -1
	s_cbranch_scc1 .LBB143_1134
; %bb.1115:
	s_cmp_gt_i32 s69, 24
	s_cbranch_scc0 .LBB143_1123
; %bb.1116:
	v_cvt_f32_f64_e32 v2, v[0:1]
	s_mov_b32 s62, 0x47800000
	v_mov_b32_e32 v6, 0x80
	v_and_b32_e32 v3, 0x7fffffff, v2
	v_cmp_gt_u32_e32 vcc, s62, v3
	s_and_saveexec_b64 s[62:63], vcc
	s_cbranch_execz .LBB143_1122
; %bb.1117:
	s_mov_b32 s64, 0x37ffffff
	v_cmp_lt_u32_e32 vcc, s64, v3
	s_mov_b64 s[64:65], 0
                                        ; implicit-def: $vgpr3
	s_and_saveexec_b64 s[66:67], vcc
	s_xor_b64 s[66:67], exec, s[66:67]
	s_cbranch_execz .LBB143_2289
; %bb.1118:
	v_bfe_u32 v3, v2, 21, 1
	s_mov_b32 s71, 0x88fffff
	v_add3_u32 v3, v2, v3, s71
	s_mov_b64 s[64:65], exec
	v_lshrrev_b32_e32 v3, 21, v3
	s_andn2_saveexec_b64 s[66:67], s[66:67]
	s_cbranch_execnz .LBB143_2290
.LBB143_1119:
	s_or_b64 exec, exec, s[66:67]
	v_mov_b32_e32 v6, 0
	s_and_saveexec_b64 s[66:67], s[64:65]
.LBB143_1120:
	v_lshrrev_b32_e32 v2, 24, v2
	s_movk_i32 s64, 0x80
	v_and_or_b32 v6, v2, s64, v3
.LBB143_1121:
	s_or_b64 exec, exec, s[66:67]
.LBB143_1122:
	s_or_b64 exec, exec, s[62:63]
	s_mov_b64 s[62:63], 0
	global_store_byte v[4:5], v6, off
.LBB143_1123:
	s_and_b64 vcc, exec, s[62:63]
	s_cbranch_vccz .LBB143_1133
; %bb.1124:
	v_cvt_f32_f64_e32 v2, v[0:1]
	s_mov_b32 s62, 0x43f00000
                                        ; implicit-def: $vgpr3
	v_and_b32_e32 v6, 0x7fffffff, v2
	v_cmp_gt_u32_e32 vcc, s62, v6
	s_and_saveexec_b64 s[62:63], vcc
	s_xor_b64 s[62:63], exec, s[62:63]
	s_cbranch_execz .LBB143_1130
; %bb.1125:
	s_mov_b32 s64, 0x3c7fffff
	v_cmp_lt_u32_e32 vcc, s64, v6
                                        ; implicit-def: $vgpr3
	s_and_saveexec_b64 s[64:65], vcc
	s_xor_b64 s[64:65], exec, s[64:65]
; %bb.1126:
	v_bfe_u32 v3, v2, 20, 1
	s_mov_b32 s66, 0x407ffff
	v_add3_u32 v3, v2, v3, s66
	v_lshrrev_b32_e32 v6, 20, v3
	v_and_b32_e32 v3, 0xff00000, v3
	s_mov_b32 s66, 0x7f00000
	v_mov_b32_e32 v8, 0x7e
	v_cmp_ne_u32_e32 vcc, s66, v3
	v_cndmask_b32_e32 v3, v8, v6, vcc
; %bb.1127:
	s_andn2_saveexec_b64 s[64:65], s[64:65]
; %bb.1128:
	s_mov_b32 s66, 0x46800000
	v_add_f32_e64 v3, |v2|, s66
; %bb.1129:
	s_or_b64 exec, exec, s[64:65]
                                        ; implicit-def: $vgpr6
.LBB143_1130:
	s_andn2_saveexec_b64 s[62:63], s[62:63]
; %bb.1131:
	s_mov_b32 s64, 0x7f800000
	v_mov_b32_e32 v3, 0x7e
	v_mov_b32_e32 v8, 0x7f
	v_cmp_lt_u32_e32 vcc, s64, v6
	v_cndmask_b32_e32 v3, v3, v8, vcc
; %bb.1132:
	s_or_b64 exec, exec, s[62:63]
	v_lshrrev_b32_e32 v2, 24, v2
	s_movk_i32 s62, 0x80
	v_and_or_b32 v2, v2, s62, v3
	global_store_byte v[4:5], v2, off
.LBB143_1133:
	s_mov_b64 s[62:63], 0
.LBB143_1134:
	s_andn2_b64 vcc, exec, s[62:63]
	s_cbranch_vccnz .LBB143_1144
; %bb.1135:
	v_cvt_f32_f64_e32 v2, v[0:1]
	s_mov_b32 s62, 0x47800000
                                        ; implicit-def: $vgpr3
	v_and_b32_e32 v6, 0x7fffffff, v2
	v_cmp_gt_u32_e32 vcc, s62, v6
	s_and_saveexec_b64 s[62:63], vcc
	s_xor_b64 s[62:63], exec, s[62:63]
	s_cbranch_execz .LBB143_1141
; %bb.1136:
	s_mov_b32 s64, 0x387fffff
	v_cmp_lt_u32_e32 vcc, s64, v6
                                        ; implicit-def: $vgpr3
	s_and_saveexec_b64 s[64:65], vcc
	s_xor_b64 s[64:65], exec, s[64:65]
; %bb.1137:
	v_bfe_u32 v3, v2, 21, 1
	s_mov_b32 s66, 0x80fffff
	v_add3_u32 v3, v2, v3, s66
	v_lshrrev_b32_e32 v3, 21, v3
; %bb.1138:
	s_andn2_saveexec_b64 s[64:65], s[64:65]
; %bb.1139:
	s_mov_b32 s66, 0x43000000
	v_add_f32_e64 v3, |v2|, s66
; %bb.1140:
	s_or_b64 exec, exec, s[64:65]
                                        ; implicit-def: $vgpr6
.LBB143_1141:
	s_andn2_saveexec_b64 s[62:63], s[62:63]
; %bb.1142:
	s_mov_b32 s64, 0x7f800000
	v_mov_b32_e32 v3, 0x7c
	v_mov_b32_e32 v8, 0x7f
	v_cmp_lt_u32_e32 vcc, s64, v6
	v_cndmask_b32_e32 v3, v3, v8, vcc
; %bb.1143:
	s_or_b64 exec, exec, s[62:63]
	v_lshrrev_b32_e32 v2, 24, v2
	s_movk_i32 s62, 0x80
	v_and_or_b32 v2, v2, s62, v3
	global_store_byte v[4:5], v2, off
.LBB143_1144:
	s_mov_b64 s[64:65], 0
	s_mov_b64 s[62:63], -1
.LBB143_1145:
	s_andn2_b64 vcc, exec, s[64:65]
	s_cbranch_vccnz .LBB143_1153
; %bb.1146:
	s_cmp_gt_i32 s69, 14
	s_mov_b64 s[64:65], -1
	s_cbranch_scc0 .LBB143_1150
; %bb.1147:
	s_cmp_eq_u32 s69, 15
	s_mov_b64 s[0:1], -1
	s_cbranch_scc0 .LBB143_1149
; %bb.1148:
	v_cvt_f32_f64_e32 v2, v[0:1]
	s_movk_i32 s0, 0x7fff
	v_mov_b32_e32 v3, 0x7fc0
	s_mov_b64 s[62:63], -1
	v_bfe_u32 v6, v2, 16, 1
	v_cmp_o_f32_e32 vcc, v2, v2
	v_add3_u32 v2, v2, v6, s0
	v_cndmask_b32_sdwa v2, v3, v2, vcc dst_sel:DWORD dst_unused:UNUSED_PAD src0_sel:DWORD src1_sel:WORD_1
	global_store_short v[4:5], v2, off
	s_mov_b64 s[0:1], 0
.LBB143_1149:
	s_mov_b64 s[64:65], 0
.LBB143_1150:
	s_and_b64 vcc, exec, s[64:65]
	s_cbranch_vccz .LBB143_1153
; %bb.1151:
	s_cmp_eq_u32 s69, 11
	s_mov_b64 s[0:1], -1
	s_cbranch_scc0 .LBB143_1153
; %bb.1152:
	v_cmp_neq_f64_e32 vcc, 0, v[0:1]
	s_mov_b64 s[0:1], 0
	s_mov_b64 s[62:63], -1
	v_cndmask_b32_e64 v2, 0, 1, vcc
	global_store_byte v[4:5], v2, off
.LBB143_1153:
	s_mov_b64 s[64:65], 0
.LBB143_1154:
	s_and_b64 vcc, exec, s[64:65]
	s_cbranch_vccz .LBB143_1193
; %bb.1155:
	s_and_b32 s64, 0xffff, s68
	s_cmp_lt_i32 s64, 5
	s_mov_b64 s[62:63], -1
	s_cbranch_scc1 .LBB143_1176
; %bb.1156:
	s_cmp_lt_i32 s64, 8
	s_cbranch_scc1 .LBB143_1166
; %bb.1157:
	s_cmp_lt_i32 s64, 9
	s_cbranch_scc1 .LBB143_1163
; %bb.1158:
	s_cmp_gt_i32 s64, 9
	s_cbranch_scc0 .LBB143_1160
; %bb.1159:
	v_mov_b32_e32 v2, 0
	v_mov_b32_e32 v3, v2
	s_mov_b64 s[62:63], 0
	global_store_dwordx4 v[4:5], v[0:3], off
.LBB143_1160:
	s_andn2_b64 vcc, exec, s[62:63]
	s_cbranch_vccnz .LBB143_1162
; %bb.1161:
	v_cvt_f32_f64_e32 v2, v[0:1]
	v_mov_b32_e32 v3, 0
	global_store_dwordx2 v[4:5], v[2:3], off
.LBB143_1162:
	s_mov_b64 s[62:63], 0
.LBB143_1163:
	s_andn2_b64 vcc, exec, s[62:63]
	s_cbranch_vccnz .LBB143_1165
; %bb.1164:
	s_movk_i32 s62, 0x1ff
	v_and_or_b32 v2, v1, s62, v0
	v_cmp_ne_u32_e32 vcc, 0, v2
	v_cndmask_b32_e64 v2, 0, 1, vcc
	v_lshrrev_b32_e32 v3, 8, v1
	s_movk_i32 s62, 0xffe
	v_bfe_u32 v6, v1, 20, 11
	v_and_or_b32 v2, v3, s62, v2
	v_sub_u32_e32 v8, 0x3f1, v6
	v_or_b32_e32 v3, 0x1000, v2
	v_med3_i32 v8, v8, 0, 13
	v_lshrrev_b32_e32 v9, v8, v3
	v_lshlrev_b32_e32 v8, v8, v9
	v_cmp_ne_u32_e32 vcc, v8, v3
	v_cndmask_b32_e64 v3, 0, 1, vcc
	v_add_u32_e32 v6, 0xfffffc10, v6
	v_or_b32_e32 v3, v9, v3
	v_lshl_or_b32 v8, v6, 12, v2
	v_cmp_gt_i32_e32 vcc, 1, v6
	v_cndmask_b32_e32 v3, v8, v3, vcc
	v_and_b32_e32 v8, 7, v3
	v_cmp_lt_i32_e32 vcc, 5, v8
	v_cndmask_b32_e64 v9, 0, 1, vcc
	v_cmp_eq_u32_e32 vcc, 3, v8
	v_cndmask_b32_e64 v8, 0, 1, vcc
	v_or_b32_e32 v8, v8, v9
	v_lshrrev_b32_e32 v3, 2, v3
	v_add_u32_e32 v3, v3, v8
	v_mov_b32_e32 v8, 0x7c00
	v_cmp_gt_i32_e32 vcc, 31, v6
	v_cndmask_b32_e32 v3, v8, v3, vcc
	v_mov_b32_e32 v9, 0x7e00
	v_cmp_ne_u32_e32 vcc, 0, v2
	s_movk_i32 s62, 0x40f
	v_cndmask_b32_e32 v2, v8, v9, vcc
	v_cmp_eq_u32_e32 vcc, s62, v6
	v_cndmask_b32_e32 v2, v3, v2, vcc
	v_lshrrev_b32_e32 v3, 16, v1
	s_mov_b32 s62, 0x8000
	v_and_or_b32 v2, v3, s62, v2
	v_and_b32_e32 v2, 0xffff, v2
	global_store_dword v[4:5], v2, off
.LBB143_1165:
	s_mov_b64 s[62:63], 0
.LBB143_1166:
	s_andn2_b64 vcc, exec, s[62:63]
	s_cbranch_vccnz .LBB143_1175
; %bb.1167:
	s_cmp_lt_i32 s64, 6
	s_mov_b64 s[62:63], -1
	s_cbranch_scc1 .LBB143_1173
; %bb.1168:
	s_cmp_gt_i32 s64, 6
	s_cbranch_scc0 .LBB143_1170
; %bb.1169:
	s_mov_b64 s[62:63], 0
	global_store_dwordx2 v[4:5], v[0:1], off
.LBB143_1170:
	s_andn2_b64 vcc, exec, s[62:63]
	s_cbranch_vccnz .LBB143_1172
; %bb.1171:
	v_cvt_f32_f64_e32 v2, v[0:1]
	global_store_dword v[4:5], v2, off
.LBB143_1172:
	s_mov_b64 s[62:63], 0
.LBB143_1173:
	s_andn2_b64 vcc, exec, s[62:63]
	s_cbranch_vccnz .LBB143_1175
; %bb.1174:
	s_movk_i32 s62, 0x1ff
	v_and_or_b32 v2, v1, s62, v0
	v_cmp_ne_u32_e32 vcc, 0, v2
	v_cndmask_b32_e64 v2, 0, 1, vcc
	v_lshrrev_b32_e32 v3, 8, v1
	s_movk_i32 s62, 0xffe
	v_bfe_u32 v6, v1, 20, 11
	v_and_or_b32 v2, v3, s62, v2
	v_sub_u32_e32 v8, 0x3f1, v6
	v_or_b32_e32 v3, 0x1000, v2
	v_med3_i32 v8, v8, 0, 13
	v_lshrrev_b32_e32 v9, v8, v3
	v_lshlrev_b32_e32 v8, v8, v9
	v_cmp_ne_u32_e32 vcc, v8, v3
	v_cndmask_b32_e64 v3, 0, 1, vcc
	v_add_u32_e32 v6, 0xfffffc10, v6
	v_or_b32_e32 v3, v9, v3
	v_lshl_or_b32 v8, v6, 12, v2
	v_cmp_gt_i32_e32 vcc, 1, v6
	v_cndmask_b32_e32 v3, v8, v3, vcc
	v_and_b32_e32 v8, 7, v3
	v_cmp_lt_i32_e32 vcc, 5, v8
	v_cndmask_b32_e64 v9, 0, 1, vcc
	v_cmp_eq_u32_e32 vcc, 3, v8
	v_cndmask_b32_e64 v8, 0, 1, vcc
	v_or_b32_e32 v8, v8, v9
	v_lshrrev_b32_e32 v3, 2, v3
	v_add_u32_e32 v3, v3, v8
	v_mov_b32_e32 v8, 0x7c00
	v_cmp_gt_i32_e32 vcc, 31, v6
	v_cndmask_b32_e32 v3, v8, v3, vcc
	v_mov_b32_e32 v9, 0x7e00
	v_cmp_ne_u32_e32 vcc, 0, v2
	s_movk_i32 s62, 0x40f
	v_cndmask_b32_e32 v2, v8, v9, vcc
	v_cmp_eq_u32_e32 vcc, s62, v6
	v_cndmask_b32_e32 v2, v3, v2, vcc
	v_lshrrev_b32_e32 v3, 16, v1
	s_mov_b32 s62, 0x8000
	v_and_or_b32 v2, v3, s62, v2
	global_store_short v[4:5], v2, off
.LBB143_1175:
	s_mov_b64 s[62:63], 0
.LBB143_1176:
	s_andn2_b64 vcc, exec, s[62:63]
	s_cbranch_vccnz .LBB143_1192
; %bb.1177:
	s_cmp_lt_i32 s64, 2
	s_mov_b64 s[62:63], -1
	s_cbranch_scc1 .LBB143_1187
; %bb.1178:
	s_cmp_lt_i32 s64, 3
	s_cbranch_scc1 .LBB143_1184
; %bb.1179:
	s_cmp_gt_i32 s64, 3
	s_cbranch_scc0 .LBB143_1181
; %bb.1180:
	v_trunc_f64_e32 v[2:3], v[0:1]
	s_movk_i32 s62, 0xffe0
	v_ldexp_f64 v[8:9], v[2:3], s62
	s_mov_b32 s62, 0
	s_mov_b32 s63, 0xc1f00000
	v_floor_f64_e32 v[8:9], v[8:9]
	v_fma_f64 v[2:3], v[8:9], s[62:63], v[2:3]
	v_cvt_i32_f64_e32 v9, v[8:9]
	s_mov_b64 s[62:63], 0
	v_cvt_u32_f64_e32 v8, v[2:3]
	global_store_dwordx2 v[4:5], v[8:9], off
.LBB143_1181:
	s_andn2_b64 vcc, exec, s[62:63]
	s_cbranch_vccnz .LBB143_1183
; %bb.1182:
	v_cvt_i32_f64_e32 v2, v[0:1]
	global_store_dword v[4:5], v2, off
.LBB143_1183:
	s_mov_b64 s[62:63], 0
.LBB143_1184:
	s_andn2_b64 vcc, exec, s[62:63]
	s_cbranch_vccnz .LBB143_1186
; %bb.1185:
	v_cvt_i32_f64_e32 v2, v[0:1]
	global_store_short v[4:5], v2, off
.LBB143_1186:
	s_mov_b64 s[62:63], 0
.LBB143_1187:
	s_andn2_b64 vcc, exec, s[62:63]
	s_cbranch_vccnz .LBB143_1192
; %bb.1188:
	s_cmp_gt_i32 s64, 0
	s_mov_b64 s[62:63], -1
	s_cbranch_scc0 .LBB143_1190
; %bb.1189:
	v_cvt_i32_f64_e32 v2, v[0:1]
	s_mov_b64 s[62:63], 0
	global_store_byte v[4:5], v2, off
.LBB143_1190:
	s_andn2_b64 vcc, exec, s[62:63]
	s_cbranch_vccnz .LBB143_1192
; %bb.1191:
	v_trunc_f64_e32 v[0:1], v[0:1]
	s_movk_i32 s62, 0xffe0
	v_ldexp_f64 v[2:3], v[0:1], s62
	s_mov_b32 s62, 0
	s_mov_b32 s63, 0xc1f00000
	v_floor_f64_e32 v[2:3], v[2:3]
	v_fma_f64 v[0:1], v[2:3], s[62:63], v[0:1]
	v_cvt_u32_f64_e32 v0, v[0:1]
	global_store_byte v[4:5], v0, off
.LBB143_1192:
	s_mov_b64 s[62:63], -1
.LBB143_1193:
	s_andn2_b64 vcc, exec, s[62:63]
	s_cbranch_vccnz .LBB143_1205
; %bb.1194:
	v_add_u32_e32 v7, 0x80, v7
	s_mov_b64 s[64:65], -1
.LBB143_1195:
	s_andn2_b64 s[62:63], s[52:53], exec
	s_and_b64 s[0:1], s[0:1], exec
	s_or_b64 s[62:63], s[62:63], s[0:1]
	s_andn2_b64 s[0:1], s[50:51], exec
	s_and_b64 s[60:61], s[60:61], exec
	s_or_b64 s[60:61], s[0:1], s[60:61]
	;; [unrolled: 3-line block ×3, first 2 shown]
	s_orn2_b64 s[68:69], s[64:65], exec
.LBB143_1196:
	s_or_b64 exec, exec, s[56:57]
	s_mov_b64 s[64:65], 0
	s_mov_b64 s[58:59], 0
	;; [unrolled: 1-line block ×3, first 2 shown]
                                        ; implicit-def: $sgpr77
                                        ; implicit-def: $vgpr5_vgpr6
                                        ; implicit-def: $vgpr2
                                        ; implicit-def: $vgpr0
                                        ; implicit-def: $vgpr3_vgpr4
	s_and_saveexec_b64 s[56:57], s[68:69]
	s_cbranch_execz .LBB143_1291
; %bb.1197:
	v_cmp_gt_i32_e32 vcc, s70, v7
	s_mov_b64 s[68:69], s[0:1]
	s_mov_b64 s[70:71], 0
                                        ; implicit-def: $sgpr77
                                        ; implicit-def: $vgpr5_vgpr6
                                        ; implicit-def: $vgpr2
                                        ; implicit-def: $vgpr0
                                        ; implicit-def: $vgpr3_vgpr4
	s_and_saveexec_b64 s[58:59], vcc
	s_cbranch_execz .LBB143_1290
; %bb.1198:
	s_andn2_b64 vcc, exec, s[24:25]
	s_cbranch_vccnz .LBB143_1204
; %bb.1199:
	s_andn2_b64 vcc, exec, s[38:39]
	s_cbranch_vccnz .LBB143_1206
; %bb.1200:
	s_add_i32 s38, s76, 1
	s_and_b32 s64, s38, 30
	s_add_u32 s38, s2, 0xffffffe8
	s_addc_u32 s39, s3, -1
	s_waitcnt vmcnt(0)
	v_mov_b32_e32 v0, 0
	v_mov_b32_e32 v4, 0
	;; [unrolled: 1-line block ×4, first 2 shown]
.LBB143_1201:                           ; =>This Inner Loop Header: Depth=1
	s_load_dwordx4 s[68:71], s[38:39], 0x1c
	s_load_dwordx2 s[66:67], s[38:39], 0x2c
	s_load_dwordx2 s[78:79], s[38:39], 0xec
	s_load_dwordx4 s[80:83], s[38:39], 0xdc
	s_add_u32 s38, s38, 24
	s_waitcnt lgkmcnt(0)
	v_mul_hi_u32 v3, s69, v1
	s_addc_u32 s39, s39, 0
	s_add_i32 s64, s64, -2
	s_cmp_eq_u32 s64, 0
	v_add_u32_e32 v3, v1, v3
	v_lshrrev_b32_e32 v3, s70, v3
	v_mul_lo_u32 v5, v3, s68
	v_mul_hi_u32 v6, s66, v3
	v_sub_u32_e32 v5, v1, v5
	v_add_u32_e32 v1, v3, v6
	v_lshrrev_b32_e32 v1, s67, v1
	v_mul_lo_u32 v9, v1, s71
	v_mul_lo_u32 v6, v5, s80
	;; [unrolled: 1-line block ×4, first 2 shown]
	v_sub_u32_e32 v3, v3, v9
	v_mul_lo_u32 v9, v3, s83
	v_mul_lo_u32 v10, v3, s78
	;; [unrolled: 1-line block ×3, first 2 shown]
	v_add3_u32 v2, v6, v2, v9
	v_add3_u32 v4, v8, v4, v10
	;; [unrolled: 1-line block ×3, first 2 shown]
	s_cbranch_scc0 .LBB143_1201
; %bb.1202:
	s_bitcmp1_b32 s76, 0
	s_cselect_b64 s[64:65], -1, 0
	s_and_b64 vcc, exec, s[64:65]
	s_cbranch_vccnz .LBB143_1207
; %bb.1203:
	s_load_dwordx2 s[64:65], s[38:39], 0x1c
	s_load_dword s68, s[38:39], 0x24
	s_load_dwordx2 s[66:67], s[38:39], 0xdc
	s_waitcnt lgkmcnt(0)
	v_mul_hi_u32 v3, s65, v1
	v_add_u32_e32 v3, v1, v3
	v_lshrrev_b32_e32 v3, s68, v3
	v_mul_lo_u32 v3, v3, s64
	s_load_dword s64, s[38:39], 0xe4
	v_sub_u32_e32 v1, v1, v3
	v_mad_u64_u32 v[2:3], s[38:39], v1, s66, v[2:3]
	v_mad_u64_u32 v[4:5], s[38:39], v1, s67, v[4:5]
	s_waitcnt lgkmcnt(0)
	v_mad_u64_u32 v[0:1], s[38:39], v1, s64, v[0:1]
	s_branch .LBB143_1207
.LBB143_1204:
	s_mov_b64 s[38:39], -1
                                        ; implicit-def: $vgpr2
                                        ; implicit-def: $vgpr4
                                        ; implicit-def: $vgpr0
	s_branch .LBB143_1208
.LBB143_1205:
	s_mov_b64 s[64:65], 0
	s_branch .LBB143_948
.LBB143_1206:
	v_mov_b32_e32 v2, 0
	v_mov_b32_e32 v4, 0
	s_waitcnt vmcnt(0)
	v_mov_b32_e32 v0, 0
.LBB143_1207:
	s_mov_b64 s[38:39], 0
.LBB143_1208:
	s_andn2_b64 vcc, exec, s[38:39]
	s_cbranch_vccnz .LBB143_1211
; %bb.1209:
	s_waitcnt vmcnt(0)
	v_mul_hi_u32 v0, s17, v7
	s_andn2_b64 vcc, exec, s[36:37]
	v_add_u32_e32 v0, v7, v0
	v_lshrrev_b32_e32 v1, s18, v0
	v_mul_lo_u32 v0, v1, s16
	v_sub_u32_e32 v0, v7, v0
	v_mul_lo_u32 v2, v0, s20
	v_mul_lo_u32 v4, v0, s21
	;; [unrolled: 1-line block ×3, first 2 shown]
	s_cbranch_vccnz .LBB143_1211
; %bb.1210:
	v_mul_hi_u32 v3, s30, v1
	v_add_u32_e32 v3, v1, v3
	v_lshrrev_b32_e32 v3, s31, v3
	v_mul_lo_u32 v3, v3, s19
	v_sub_u32_e32 v1, v1, v3
	v_mad_u64_u32 v[2:3], s[16:17], v1, s23, v[2:3]
	v_mad_u64_u32 v[4:5], s[16:17], v1, s34, v[4:5]
	;; [unrolled: 1-line block ×3, first 2 shown]
.LBB143_1211:
	s_waitcnt vmcnt(0)
	v_mov_b32_e32 v1, s11
	s_and_b32 s77, s75, 0xff
	v_add_co_u32_e32 v5, vcc, s10, v4
	s_cmp_lt_i32 s77, 11
	v_addc_co_u32_e32 v6, vcc, 0, v1, vcc
	s_cbranch_scc1 .LBB143_1218
; %bb.1212:
	s_and_b32 s30, 0xffff, s77
	s_cmp_gt_i32 s30, 25
	s_mov_b64 s[16:17], 0
	s_cbranch_scc0 .LBB143_1219
; %bb.1213:
	s_cmp_gt_i32 s30, 28
	s_cbranch_scc0 .LBB143_1220
; %bb.1214:
	s_cmp_gt_i32 s30, 43
	;; [unrolled: 3-line block ×3, first 2 shown]
	s_cbranch_scc0 .LBB143_1222
; %bb.1216:
	s_cmp_eq_u32 s30, 46
	s_mov_b64 s[20:21], 0
	s_cbranch_scc0 .LBB143_1225
; %bb.1217:
	global_load_dword v1, v[5:6], off
	s_mov_b64 s[10:11], 0
	s_mov_b64 s[18:19], -1
	s_waitcnt vmcnt(0)
	v_lshlrev_b32_e32 v1, 16, v1
	v_cvt_f64_f32_e32 v[3:4], v1
	s_branch .LBB143_1226
.LBB143_1218:
	s_mov_b64 s[20:21], -1
	s_mov_b64 s[18:19], 0
	s_mov_b64 s[16:17], 0
	;; [unrolled: 1-line block ×3, first 2 shown]
                                        ; implicit-def: $vgpr3_vgpr4
	s_branch .LBB143_1289
.LBB143_1219:
	s_mov_b64 s[20:21], -1
	s_mov_b64 s[18:19], 0
	s_mov_b64 s[10:11], s[0:1]
                                        ; implicit-def: $vgpr3_vgpr4
	s_branch .LBB143_1257
.LBB143_1220:
	s_mov_b64 s[20:21], -1
	s_mov_b64 s[18:19], 0
	s_mov_b64 s[10:11], s[0:1]
                                        ; implicit-def: $vgpr3_vgpr4
	s_branch .LBB143_1236
.LBB143_1221:
	s_mov_b64 s[20:21], -1
	s_mov_b64 s[18:19], 0
	s_mov_b64 s[10:11], s[0:1]
                                        ; implicit-def: $vgpr3_vgpr4
	s_branch .LBB143_1231
.LBB143_1222:
	s_mov_b64 s[20:21], -1
	s_mov_b64 s[18:19], 0
	s_mov_b64 s[10:11], s[0:1]
                                        ; implicit-def: $vgpr3_vgpr4
	s_branch .LBB143_1226
.LBB143_1223:
	s_andn2_saveexec_b64 s[66:67], s[66:67]
	s_cbranch_execz .LBB143_1106
.LBB143_1224:
	s_mov_b32 s71, 0x46000000
	v_add_f32_e64 v3, |v2|, s71
	v_and_b32_e32 v3, 0xff, v3
	v_cmp_ne_u32_e32 vcc, 0, v3
	s_andn2_b64 s[64:65], s[64:65], exec
	s_and_b64 s[78:79], vcc, exec
	s_or_b64 s[64:65], s[64:65], s[78:79]
	s_or_b64 exec, exec, s[66:67]
	v_mov_b32_e32 v6, 0
	s_and_saveexec_b64 s[66:67], s[64:65]
	s_cbranch_execnz .LBB143_1107
	s_branch .LBB143_1108
.LBB143_1225:
	s_mov_b64 s[10:11], -1
                                        ; implicit-def: $vgpr3_vgpr4
	s_mov_b64 s[18:19], 0
.LBB143_1226:
	s_and_b64 vcc, exec, s[20:21]
	s_cbranch_vccz .LBB143_1230
; %bb.1227:
	s_cmp_eq_u32 s30, 44
	s_cbranch_scc0 .LBB143_1229
; %bb.1228:
	global_load_ubyte v1, v[5:6], off
	s_movk_i32 s18, 0xff
	v_bfrev_b32_e32 v7, 4
	v_mov_b32_e32 v8, 0x7ff80000
	v_bfrev_b32_e32 v9, 28
	s_mov_b64 s[10:11], 0
	s_waitcnt vmcnt(0)
	v_lshlrev_b32_e32 v3, 23, v1
	v_cvt_f64_f32_e32 v[3:4], v3
	v_cmp_ne_u32_e32 vcc, s18, v1
	s_mov_b64 s[18:19], -1
	v_cndmask_b32_e32 v3, v7, v3, vcc
	v_cndmask_b32_e32 v4, v8, v4, vcc
	v_cmp_ne_u32_e32 vcc, 0, v1
	v_cndmask_b32_e32 v4, v9, v4, vcc
	v_cndmask_b32_e32 v3, 0, v3, vcc
	s_branch .LBB143_1230
.LBB143_1229:
	s_mov_b64 s[10:11], -1
                                        ; implicit-def: $vgpr3_vgpr4
.LBB143_1230:
	s_mov_b64 s[20:21], 0
.LBB143_1231:
	s_and_b64 vcc, exec, s[20:21]
	s_cbranch_vccz .LBB143_1235
; %bb.1232:
	s_cmp_eq_u32 s30, 29
	s_cbranch_scc0 .LBB143_1234
; %bb.1233:
	global_load_dwordx2 v[3:4], v[5:6], off
	s_mov_b64 s[10:11], 0
	s_mov_b64 s[18:19], -1
	s_mov_b64 s[20:21], 0
	s_waitcnt vmcnt(0)
	v_cvt_f64_u32_e32 v[7:8], v4
	v_cvt_f64_u32_e32 v[3:4], v3
	v_ldexp_f64 v[7:8], v[7:8], 32
	v_add_f64 v[3:4], v[7:8], v[3:4]
	s_branch .LBB143_1236
.LBB143_1234:
	s_mov_b64 s[10:11], -1
                                        ; implicit-def: $vgpr3_vgpr4
.LBB143_1235:
	s_mov_b64 s[20:21], 0
.LBB143_1236:
	s_and_b64 vcc, exec, s[20:21]
	s_cbranch_vccz .LBB143_1256
; %bb.1237:
	s_cmp_lt_i32 s30, 27
	s_cbranch_scc1 .LBB143_1240
; %bb.1238:
	s_cmp_gt_i32 s30, 27
	s_cbranch_scc0 .LBB143_1241
; %bb.1239:
	global_load_dword v1, v[5:6], off
	s_mov_b64 s[18:19], 0
	s_waitcnt vmcnt(0)
	v_cvt_f64_u32_e32 v[3:4], v1
	s_branch .LBB143_1242
.LBB143_1240:
	s_mov_b64 s[18:19], -1
                                        ; implicit-def: $vgpr3_vgpr4
	s_branch .LBB143_1245
.LBB143_1241:
	s_mov_b64 s[18:19], -1
                                        ; implicit-def: $vgpr3_vgpr4
.LBB143_1242:
	s_andn2_b64 vcc, exec, s[18:19]
	s_cbranch_vccnz .LBB143_1244
; %bb.1243:
	global_load_ushort v1, v[5:6], off
	s_waitcnt vmcnt(0)
	v_cvt_f64_u32_e32 v[3:4], v1
.LBB143_1244:
	s_mov_b64 s[18:19], 0
.LBB143_1245:
	s_andn2_b64 vcc, exec, s[18:19]
	s_cbranch_vccnz .LBB143_1255
; %bb.1246:
	global_load_ubyte v1, v[5:6], off
	s_movk_i32 s18, 0x7f
	s_waitcnt vmcnt(0)
	v_cmp_lt_i16_e32 vcc, s18, v1
	s_mov_b64 s[18:19], 0
	s_and_saveexec_b64 s[20:21], vcc
	s_xor_b64 s[20:21], exec, s[20:21]
	s_cbranch_execz .LBB143_1250
; %bb.1247:
	s_movk_i32 s18, 0x80
	v_cmp_eq_u16_e32 vcc, s18, v1
	s_mov_b64 s[18:19], -1
	s_and_saveexec_b64 s[22:23], vcc
; %bb.1248:
	s_xor_b64 s[18:19], exec, -1
; %bb.1249:
	s_or_b64 exec, exec, s[22:23]
	s_and_b64 s[18:19], s[18:19], exec
.LBB143_1250:
	s_or_saveexec_b64 s[20:21], s[20:21]
	v_bfrev_b32_e32 v3, 4
	v_mov_b32_e32 v4, 0x7ff80000
	s_xor_b64 exec, exec, s[20:21]
; %bb.1251:
	v_cmp_ne_u16_e32 vcc, 0, v1
	v_mov_b32_e32 v3, 0
	s_andn2_b64 s[18:19], s[18:19], exec
	s_and_b64 s[22:23], vcc, exec
	v_mov_b32_e32 v4, 0
	s_or_b64 s[18:19], s[18:19], s[22:23]
; %bb.1252:
	s_or_b64 exec, exec, s[20:21]
	s_and_saveexec_b64 s[20:21], s[18:19]
	s_cbranch_execz .LBB143_1254
; %bb.1253:
	v_lshlrev_b32_e32 v3, 24, v1
	v_and_b32_e32 v1, 0xffff, v1
	v_and_b32_e32 v4, 7, v1
	v_ffbh_u32_e32 v8, v4
	v_min_u32_e32 v8, 32, v8
	v_subrev_u32_e32 v9, 28, v8
	v_bfe_u32 v7, v1, 3, 4
	v_lshlrev_b32_e32 v1, v9, v1
	v_sub_u32_e32 v8, 29, v8
	v_and_b32_e32 v1, 7, v1
	v_cmp_eq_u32_e32 vcc, 0, v7
	v_cndmask_b32_e32 v7, v7, v8, vcc
	v_cndmask_b32_e32 v1, v4, v1, vcc
	v_mov_b32_e32 v4, 0x3b800000
	v_lshlrev_b32_e32 v1, 20, v1
	v_and_b32_e32 v3, 0x80000000, v3
	v_lshl_add_u32 v4, v7, 23, v4
	v_or3_b32 v1, v3, v4, v1
	v_cvt_f64_f32_e32 v[3:4], v1
.LBB143_1254:
	s_or_b64 exec, exec, s[20:21]
.LBB143_1255:
	s_mov_b64 s[18:19], -1
.LBB143_1256:
	s_mov_b64 s[20:21], 0
.LBB143_1257:
	s_and_b64 vcc, exec, s[20:21]
	s_cbranch_vccz .LBB143_1288
; %bb.1258:
	s_cmp_gt_i32 s30, 22
	s_cbranch_scc0 .LBB143_1270
; %bb.1259:
	s_cmp_lt_i32 s30, 24
	s_cbranch_scc1 .LBB143_1271
; %bb.1260:
	s_cmp_gt_i32 s30, 24
	s_cbranch_scc0 .LBB143_1272
; %bb.1261:
	global_load_ubyte v1, v[5:6], off
	s_movk_i32 s16, 0x7f
	s_waitcnt vmcnt(0)
	v_cmp_lt_i16_e32 vcc, s16, v1
	s_mov_b64 s[16:17], 0
	s_and_saveexec_b64 s[18:19], vcc
	s_xor_b64 s[18:19], exec, s[18:19]
	s_cbranch_execz .LBB143_1265
; %bb.1262:
	s_movk_i32 s16, 0x80
	v_cmp_eq_u16_e32 vcc, s16, v1
	s_mov_b64 s[16:17], -1
	s_and_saveexec_b64 s[20:21], vcc
; %bb.1263:
	s_xor_b64 s[16:17], exec, -1
; %bb.1264:
	s_or_b64 exec, exec, s[20:21]
	s_and_b64 s[16:17], s[16:17], exec
.LBB143_1265:
	s_or_saveexec_b64 s[18:19], s[18:19]
	v_bfrev_b32_e32 v3, 4
	v_mov_b32_e32 v4, 0x7ff80000
	s_xor_b64 exec, exec, s[18:19]
; %bb.1266:
	v_cmp_ne_u16_e32 vcc, 0, v1
	v_mov_b32_e32 v3, 0
	s_andn2_b64 s[16:17], s[16:17], exec
	s_and_b64 s[20:21], vcc, exec
	v_mov_b32_e32 v4, 0
	s_or_b64 s[16:17], s[16:17], s[20:21]
; %bb.1267:
	s_or_b64 exec, exec, s[18:19]
	s_and_saveexec_b64 s[18:19], s[16:17]
	s_cbranch_execz .LBB143_1269
; %bb.1268:
	v_lshlrev_b32_e32 v3, 24, v1
	v_and_b32_e32 v1, 0xffff, v1
	v_and_b32_e32 v4, 3, v1
	v_ffbh_u32_e32 v8, v4
	v_min_u32_e32 v8, 32, v8
	v_subrev_u32_e32 v9, 29, v8
	v_bfe_u32 v7, v1, 2, 5
	v_lshlrev_b32_e32 v1, v9, v1
	v_sub_u32_e32 v8, 30, v8
	v_and_b32_e32 v1, 3, v1
	v_cmp_eq_u32_e32 vcc, 0, v7
	v_cndmask_b32_e32 v7, v7, v8, vcc
	v_cndmask_b32_e32 v1, v4, v1, vcc
	v_mov_b32_e32 v4, 0x37800000
	v_lshlrev_b32_e32 v1, 21, v1
	v_and_b32_e32 v3, 0x80000000, v3
	v_lshl_add_u32 v4, v7, 23, v4
	v_or3_b32 v1, v3, v4, v1
	v_cvt_f64_f32_e32 v[3:4], v1
.LBB143_1269:
	s_or_b64 exec, exec, s[18:19]
	s_mov_b64 s[16:17], 0
	s_branch .LBB143_1273
.LBB143_1270:
	s_mov_b64 s[16:17], -1
                                        ; implicit-def: $vgpr3_vgpr4
	s_branch .LBB143_1279
.LBB143_1271:
	s_mov_b64 s[16:17], -1
                                        ; implicit-def: $vgpr3_vgpr4
	s_branch .LBB143_1276
.LBB143_1272:
	s_mov_b64 s[16:17], -1
                                        ; implicit-def: $vgpr3_vgpr4
.LBB143_1273:
	s_and_b64 vcc, exec, s[16:17]
	s_cbranch_vccz .LBB143_1275
; %bb.1274:
	global_load_ubyte v1, v[5:6], off
	s_mov_b32 s16, 0x7f800000
	s_waitcnt vmcnt(0)
	v_lshlrev_b32_e32 v1, 24, v1
	v_and_b32_e32 v3, 0x7f000000, v1
	v_ffbh_u32_e32 v4, v3
	v_min_u32_e32 v4, 32, v4
	v_sub_u32_e64 v4, v4, 4 clamp
	v_lshlrev_b32_e32 v8, v4, v3
	v_lshlrev_b32_e32 v4, 23, v4
	v_lshrrev_b32_e32 v8, 4, v8
	v_add_u32_e32 v7, 0x1000000, v3
	v_sub_u32_e32 v4, v8, v4
	v_ashrrev_i32_e32 v7, 8, v7
	v_add_u32_e32 v4, 0x3c000000, v4
	v_and_or_b32 v4, v7, s16, v4
	v_cmp_ne_u32_e32 vcc, 0, v3
	v_cndmask_b32_e32 v3, 0, v4, vcc
	s_brev_b32 s16, 1
	v_and_or_b32 v1, v1, s16, v3
	v_cvt_f64_f32_e32 v[3:4], v1
.LBB143_1275:
	s_mov_b64 s[16:17], 0
.LBB143_1276:
	s_andn2_b64 vcc, exec, s[16:17]
	s_cbranch_vccnz .LBB143_1278
; %bb.1277:
	global_load_ubyte v1, v[5:6], off
	s_movk_i32 s16, 0x7f00
	s_brev_b32 s17, 16
	s_waitcnt vmcnt(0)
	v_lshlrev_b16_e32 v3, 8, v1
	v_lshlrev_b32_e32 v1, 25, v1
	v_lshrrev_b32_e32 v4, 4, v1
	v_and_or_b32 v7, v3, s16, 0.5
	v_or_b32_e32 v4, 0x70000000, v4
	v_add_f32_e32 v7, -0.5, v7
	v_mul_f32_e32 v4, 0x7800000, v4
	v_cmp_gt_u32_e32 vcc, s17, v1
	v_bfe_i32 v3, v3, 0, 16
	v_cndmask_b32_e32 v1, v4, v7, vcc
	s_brev_b32 s16, 1
	v_and_or_b32 v1, v3, s16, v1
	v_cvt_f64_f32_e32 v[3:4], v1
.LBB143_1278:
	s_mov_b64 s[16:17], 0
	s_mov_b64 s[18:19], -1
.LBB143_1279:
	s_andn2_b64 vcc, exec, s[16:17]
	s_mov_b64 s[16:17], 0
	s_cbranch_vccnz .LBB143_1288
; %bb.1280:
	s_cmp_gt_i32 s30, 14
	s_cbranch_scc0 .LBB143_1283
; %bb.1281:
	s_cmp_eq_u32 s30, 15
	s_cbranch_scc0 .LBB143_1284
; %bb.1282:
	global_load_ushort v1, v[5:6], off
	s_mov_b64 s[10:11], 0
	s_mov_b64 s[18:19], -1
	s_waitcnt vmcnt(0)
	v_lshlrev_b32_e32 v1, 16, v1
	v_cvt_f64_f32_e32 v[3:4], v1
	s_branch .LBB143_1285
.LBB143_1283:
	s_mov_b64 s[20:21], -1
                                        ; implicit-def: $vgpr3_vgpr4
	s_branch .LBB143_1286
.LBB143_1284:
	s_mov_b64 s[10:11], -1
                                        ; implicit-def: $vgpr3_vgpr4
.LBB143_1285:
	s_mov_b64 s[20:21], 0
.LBB143_1286:
	s_and_b64 vcc, exec, s[20:21]
	s_cbranch_vccz .LBB143_1288
; %bb.1287:
	s_cmp_lg_u32 s30, 11
	s_cselect_b64 s[20:21], -1, 0
	s_andn2_b64 s[10:11], s[10:11], exec
	s_and_b64 s[20:21], s[20:21], exec
	s_mov_b64 s[16:17], -1
	s_or_b64 s[10:11], s[10:11], s[20:21]
.LBB143_1288:
	s_mov_b64 s[20:21], 0
.LBB143_1289:
	s_and_b64 s[64:65], s[16:17], exec
	s_andn2_b64 s[16:17], s[0:1], exec
	s_and_b64 s[10:11], s[10:11], exec
	s_and_b64 s[66:67], s[18:19], exec
	;; [unrolled: 1-line block ×3, first 2 shown]
	s_or_b64 s[68:69], s[16:17], s[10:11]
.LBB143_1290:
	s_or_b64 exec, exec, s[58:59]
	s_andn2_b64 s[0:1], s[0:1], exec
	s_and_b64 s[10:11], s[68:69], exec
	s_and_b64 s[66:67], s[66:67], exec
	;; [unrolled: 1-line block ×4, first 2 shown]
	s_or_b64 s[0:1], s[0:1], s[10:11]
.LBB143_1291:
	s_or_b64 exec, exec, s[56:57]
	s_andn2_b64 s[10:11], s[52:53], exec
	s_and_b64 s[16:17], s[62:63], exec
	s_or_b64 s[52:53], s[10:11], s[16:17]
	s_andn2_b64 s[10:11], s[50:51], exec
	s_and_b64 s[16:17], s[60:61], exec
	s_or_b64 s[50:51], s[10:11], s[16:17]
	s_andn2_b64 s[10:11], s[48:49], exec
	s_and_b64 s[0:1], s[0:1], exec
	s_and_b64 s[60:61], s[66:67], exec
	;; [unrolled: 1-line block ×4, first 2 shown]
	s_or_b64 s[48:49], s[10:11], s[0:1]
.LBB143_1292:
	s_or_b64 exec, exec, s[54:55]
	s_andn2_b64 s[0:1], s[40:41], exec
	s_and_b64 s[10:11], s[52:53], exec
	s_or_b64 s[40:41], s[0:1], s[10:11]
	s_andn2_b64 s[0:1], s[42:43], exec
	s_and_b64 s[10:11], s[50:51], exec
	s_or_b64 s[42:43], s[0:1], s[10:11]
	s_andn2_b64 s[0:1], s[44:45], exec
	s_and_b64 s[10:11], s[48:49], exec
	s_and_b64 s[52:53], s[60:61], exec
	;; [unrolled: 1-line block ×4, first 2 shown]
	s_or_b64 s[44:45], s[0:1], s[10:11]
	s_or_b64 exec, exec, s[46:47]
	s_mov_b64 s[10:11], 0
	s_and_saveexec_b64 s[0:1], s[44:45]
	s_cbranch_execz .LBB143_403
.LBB143_1293:
	s_mov_b64 s[10:11], exec
	s_andn2_b64 s[50:51], s[50:51], exec
	s_trap 2
	s_or_b64 exec, exec, s[0:1]
	s_and_saveexec_b64 s[0:1], s[50:51]
	s_xor_b64 s[0:1], exec, s[0:1]
	s_cbranch_execnz .LBB143_404
.LBB143_1294:
	s_or_b64 exec, exec, s[0:1]
	s_and_saveexec_b64 s[0:1], s[54:55]
	s_cbranch_execz .LBB143_1340
.LBB143_1295:
	s_sext_i32_i16 s16, s77
	s_cmp_lt_i32 s16, 5
	s_cbranch_scc1 .LBB143_1300
; %bb.1296:
	s_cmp_lt_i32 s16, 8
	s_cbranch_scc1 .LBB143_1301
; %bb.1297:
	;; [unrolled: 3-line block ×3, first 2 shown]
	s_cmp_gt_i32 s16, 9
	s_cbranch_scc0 .LBB143_1303
; %bb.1299:
	s_waitcnt vmcnt(0)
	global_load_dwordx2 v[3:4], v[5:6], off
	s_mov_b64 s[16:17], 0
	s_branch .LBB143_1304
.LBB143_1300:
                                        ; implicit-def: $vgpr3_vgpr4
	s_branch .LBB143_1321
.LBB143_1301:
                                        ; implicit-def: $vgpr3_vgpr4
	s_branch .LBB143_1310
.LBB143_1302:
	s_mov_b64 s[16:17], -1
                                        ; implicit-def: $vgpr3_vgpr4
	s_branch .LBB143_1307
.LBB143_1303:
	s_mov_b64 s[16:17], -1
                                        ; implicit-def: $vgpr3_vgpr4
.LBB143_1304:
	s_andn2_b64 vcc, exec, s[16:17]
	s_cbranch_vccnz .LBB143_1306
; %bb.1305:
	s_waitcnt vmcnt(0)
	global_load_dword v1, v[5:6], off
	s_waitcnt vmcnt(0)
	v_cvt_f64_f32_e32 v[3:4], v1
.LBB143_1306:
	s_mov_b64 s[16:17], 0
.LBB143_1307:
	s_andn2_b64 vcc, exec, s[16:17]
	s_cbranch_vccnz .LBB143_1309
; %bb.1308:
	s_waitcnt vmcnt(0)
	global_load_dword v1, v[5:6], off
	s_waitcnt vmcnt(0)
	v_cvt_f32_f16_e32 v1, v1
	v_cvt_f64_f32_e32 v[3:4], v1
.LBB143_1309:
	s_cbranch_execnz .LBB143_1320
.LBB143_1310:
	s_sext_i32_i16 s16, s77
	s_cmp_lt_i32 s16, 6
	s_cbranch_scc1 .LBB143_1313
; %bb.1311:
	s_cmp_gt_i32 s16, 6
	s_cbranch_scc0 .LBB143_1314
; %bb.1312:
	s_waitcnt vmcnt(0)
	global_load_dwordx2 v[3:4], v[5:6], off
	s_mov_b64 s[16:17], 0
	s_branch .LBB143_1315
.LBB143_1313:
	s_mov_b64 s[16:17], -1
                                        ; implicit-def: $vgpr3_vgpr4
	s_branch .LBB143_1318
.LBB143_1314:
	s_mov_b64 s[16:17], -1
                                        ; implicit-def: $vgpr3_vgpr4
.LBB143_1315:
	s_andn2_b64 vcc, exec, s[16:17]
	s_cbranch_vccnz .LBB143_1317
; %bb.1316:
	s_waitcnt vmcnt(0)
	global_load_dword v1, v[5:6], off
	s_waitcnt vmcnt(0)
	v_cvt_f64_f32_e32 v[3:4], v1
.LBB143_1317:
	s_mov_b64 s[16:17], 0
.LBB143_1318:
	s_andn2_b64 vcc, exec, s[16:17]
	s_cbranch_vccnz .LBB143_1320
; %bb.1319:
	s_waitcnt vmcnt(0)
	global_load_ushort v1, v[5:6], off
	s_waitcnt vmcnt(0)
	v_cvt_f32_f16_e32 v1, v1
	v_cvt_f64_f32_e32 v[3:4], v1
.LBB143_1320:
	s_cbranch_execnz .LBB143_1339
.LBB143_1321:
	s_sext_i32_i16 s16, s77
	s_cmp_lt_i32 s16, 2
	s_cbranch_scc1 .LBB143_1325
; %bb.1322:
	s_cmp_lt_i32 s16, 3
	s_cbranch_scc1 .LBB143_1326
; %bb.1323:
	s_cmp_gt_i32 s16, 3
	s_cbranch_scc0 .LBB143_1327
; %bb.1324:
	s_waitcnt vmcnt(0)
	global_load_dwordx2 v[3:4], v[5:6], off
	s_mov_b64 s[16:17], 0
	s_waitcnt vmcnt(0)
	v_cvt_f64_i32_e32 v[7:8], v4
	v_cvt_f64_u32_e32 v[3:4], v3
	v_ldexp_f64 v[7:8], v[7:8], 32
	v_add_f64 v[3:4], v[7:8], v[3:4]
	s_branch .LBB143_1328
.LBB143_1325:
                                        ; implicit-def: $vgpr3_vgpr4
	s_branch .LBB143_1334
.LBB143_1326:
	s_mov_b64 s[16:17], -1
                                        ; implicit-def: $vgpr3_vgpr4
	s_branch .LBB143_1331
.LBB143_1327:
	s_mov_b64 s[16:17], -1
                                        ; implicit-def: $vgpr3_vgpr4
.LBB143_1328:
	s_andn2_b64 vcc, exec, s[16:17]
	s_cbranch_vccnz .LBB143_1330
; %bb.1329:
	s_waitcnt vmcnt(0)
	global_load_dword v1, v[5:6], off
	s_waitcnt vmcnt(0)
	v_cvt_f64_i32_e32 v[3:4], v1
.LBB143_1330:
	s_mov_b64 s[16:17], 0
.LBB143_1331:
	s_andn2_b64 vcc, exec, s[16:17]
	s_cbranch_vccnz .LBB143_1333
; %bb.1332:
	s_waitcnt vmcnt(0)
	global_load_sshort v1, v[5:6], off
	s_waitcnt vmcnt(0)
	v_cvt_f64_i32_e32 v[3:4], v1
.LBB143_1333:
	s_cbranch_execnz .LBB143_1339
.LBB143_1334:
	s_sext_i32_i16 s16, s77
	s_cmp_gt_i32 s16, 0
	s_cbranch_scc0 .LBB143_1336
; %bb.1335:
	s_waitcnt vmcnt(0)
	global_load_sbyte v1, v[5:6], off
	s_mov_b64 s[16:17], 0
	s_waitcnt vmcnt(0)
	v_cvt_f64_i32_e32 v[3:4], v1
	s_branch .LBB143_1337
.LBB143_1336:
	s_mov_b64 s[16:17], -1
                                        ; implicit-def: $vgpr3_vgpr4
.LBB143_1337:
	s_andn2_b64 vcc, exec, s[16:17]
	s_cbranch_vccnz .LBB143_1339
; %bb.1338:
	s_waitcnt vmcnt(0)
	global_load_ubyte v1, v[5:6], off
	s_waitcnt vmcnt(0)
	v_cvt_f64_u32_e32 v[3:4], v1
.LBB143_1339:
	s_or_b64 s[52:53], s[52:53], exec
.LBB143_1340:
	s_or_b64 exec, exec, s[0:1]
	s_mov_b64 s[16:17], 0
	s_mov_b64 s[20:21], 0
	;; [unrolled: 1-line block ×3, first 2 shown]
                                        ; implicit-def: $sgpr30
                                        ; implicit-def: $vgpr5_vgpr6
                                        ; implicit-def: $vgpr7_vgpr8
	s_and_saveexec_b64 s[0:1], s[52:53]
	s_cbranch_execz .LBB143_1348
; %bb.1341:
	s_waitcnt vmcnt(0)
	v_mov_b32_e32 v1, s13
	s_and_b32 s30, s74, 0xff
	v_add_co_u32_e32 v5, vcc, s12, v0
	s_cmp_lt_i32 s30, 11
	v_addc_co_u32_e32 v6, vcc, 0, v1, vcc
	s_cbranch_scc1 .LBB143_1351
; %bb.1342:
	s_and_b32 s31, 0xffff, s30
	s_cmp_gt_i32 s31, 25
	s_cbranch_scc0 .LBB143_1352
; %bb.1343:
	s_cmp_gt_i32 s31, 28
	s_cbranch_scc0 .LBB143_1353
; %bb.1344:
	;; [unrolled: 3-line block ×4, first 2 shown]
	s_cmp_eq_u32 s31, 46
	s_cbranch_scc0 .LBB143_1356
; %bb.1347:
	global_load_dword v0, v[5:6], off
	s_mov_b64 s[12:13], 0
	s_mov_b64 s[18:19], -1
	s_waitcnt vmcnt(0)
	v_lshlrev_b32_e32 v0, 16, v0
	v_cvt_f64_f32_e32 v[7:8], v0
	s_branch .LBB143_1358
.LBB143_1348:
	s_or_b64 exec, exec, s[0:1]
	s_and_saveexec_b64 s[0:1], s[42:43]
	s_cbranch_execnz .LBB143_1421
.LBB143_1349:
	s_or_b64 exec, exec, s[0:1]
	s_and_saveexec_b64 s[0:1], s[16:17]
	s_xor_b64 s[0:1], exec, s[0:1]
	s_cbranch_execz .LBB143_1422
.LBB143_1350:
	s_waitcnt vmcnt(0)
	global_load_ubyte v0, v[5:6], off
	v_mov_b32_e32 v1, 0x3ff00000
	v_mov_b32_e32 v7, 0
	s_or_b64 s[18:19], s[18:19], exec
	s_waitcnt vmcnt(0)
	v_cmp_ne_u16_e32 vcc, 0, v0
	v_cndmask_b32_e32 v8, 0, v1, vcc
	s_or_b64 exec, exec, s[0:1]
	s_and_saveexec_b64 s[0:1], s[20:21]
	s_cbranch_execz .LBB143_1468
	s_branch .LBB143_1423
.LBB143_1351:
	s_mov_b64 s[20:21], -1
                                        ; implicit-def: $vgpr7_vgpr8
	s_mov_b64 s[12:13], s[42:43]
	s_branch .LBB143_1420
.LBB143_1352:
	s_mov_b64 s[12:13], s[42:43]
                                        ; implicit-def: $vgpr7_vgpr8
	s_cbranch_execnz .LBB143_1389
	s_branch .LBB143_1419
.LBB143_1353:
	s_mov_b64 s[20:21], -1
	s_mov_b64 s[12:13], s[42:43]
                                        ; implicit-def: $vgpr7_vgpr8
	s_branch .LBB143_1368
.LBB143_1354:
	s_mov_b64 s[20:21], -1
	s_mov_b64 s[12:13], s[42:43]
                                        ; implicit-def: $vgpr7_vgpr8
	s_branch .LBB143_1363
.LBB143_1355:
	s_mov_b64 s[20:21], -1
	s_mov_b64 s[12:13], s[42:43]
	s_branch .LBB143_1357
.LBB143_1356:
	s_mov_b64 s[12:13], -1
.LBB143_1357:
                                        ; implicit-def: $vgpr7_vgpr8
.LBB143_1358:
	s_and_b64 vcc, exec, s[20:21]
	s_cbranch_vccz .LBB143_1362
; %bb.1359:
	s_cmp_eq_u32 s31, 44
	s_cbranch_scc0 .LBB143_1361
; %bb.1360:
	global_load_ubyte v7, v[5:6], off
	s_movk_i32 s18, 0xff
	v_bfrev_b32_e32 v8, 4
	v_mov_b32_e32 v9, 0x7ff80000
	v_bfrev_b32_e32 v10, 28
	s_mov_b64 s[12:13], 0
	s_waitcnt vmcnt(0)
	v_lshlrev_b32_e32 v0, 23, v7
	v_cvt_f64_f32_e32 v[0:1], v0
	v_cmp_ne_u32_e32 vcc, s18, v7
	s_mov_b64 s[18:19], -1
	v_cndmask_b32_e32 v0, v8, v0, vcc
	v_cndmask_b32_e32 v1, v9, v1, vcc
	v_cmp_ne_u32_e32 vcc, 0, v7
	v_cndmask_b32_e32 v8, v10, v1, vcc
	v_cndmask_b32_e32 v7, 0, v0, vcc
	s_branch .LBB143_1362
.LBB143_1361:
	s_mov_b64 s[12:13], -1
                                        ; implicit-def: $vgpr7_vgpr8
.LBB143_1362:
	s_mov_b64 s[20:21], 0
.LBB143_1363:
	s_and_b64 vcc, exec, s[20:21]
	s_cbranch_vccz .LBB143_1367
; %bb.1364:
	s_cmp_eq_u32 s31, 29
	s_cbranch_scc0 .LBB143_1366
; %bb.1365:
	global_load_dwordx2 v[0:1], v[5:6], off
	s_mov_b64 s[12:13], 0
	s_mov_b64 s[18:19], -1
	s_mov_b64 s[20:21], 0
	s_waitcnt vmcnt(0)
	v_cvt_f64_u32_e32 v[7:8], v1
	v_cvt_f64_u32_e32 v[0:1], v0
	v_ldexp_f64 v[7:8], v[7:8], 32
	v_add_f64 v[7:8], v[7:8], v[0:1]
	s_branch .LBB143_1368
.LBB143_1366:
	s_mov_b64 s[12:13], -1
                                        ; implicit-def: $vgpr7_vgpr8
.LBB143_1367:
	s_mov_b64 s[20:21], 0
.LBB143_1368:
	s_and_b64 vcc, exec, s[20:21]
	s_cbranch_vccz .LBB143_1388
; %bb.1369:
	s_cmp_lt_i32 s31, 27
	s_cbranch_scc1 .LBB143_1372
; %bb.1370:
	s_cmp_gt_i32 s31, 27
	s_cbranch_scc0 .LBB143_1373
; %bb.1371:
	global_load_dword v0, v[5:6], off
	s_mov_b64 s[18:19], 0
	s_waitcnt vmcnt(0)
	v_cvt_f64_u32_e32 v[7:8], v0
	s_branch .LBB143_1374
.LBB143_1372:
	s_mov_b64 s[18:19], -1
                                        ; implicit-def: $vgpr7_vgpr8
	s_branch .LBB143_1377
.LBB143_1373:
	s_mov_b64 s[18:19], -1
                                        ; implicit-def: $vgpr7_vgpr8
.LBB143_1374:
	s_andn2_b64 vcc, exec, s[18:19]
	s_cbranch_vccnz .LBB143_1376
; %bb.1375:
	global_load_ushort v0, v[5:6], off
	s_waitcnt vmcnt(0)
	v_cvt_f64_u32_e32 v[7:8], v0
.LBB143_1376:
	s_mov_b64 s[18:19], 0
.LBB143_1377:
	s_andn2_b64 vcc, exec, s[18:19]
	s_cbranch_vccnz .LBB143_1387
; %bb.1378:
	global_load_ubyte v0, v[5:6], off
	s_movk_i32 s18, 0x7f
	s_waitcnt vmcnt(0)
	v_cmp_lt_i16_e32 vcc, s18, v0
	s_mov_b64 s[18:19], 0
	s_and_saveexec_b64 s[20:21], vcc
	s_xor_b64 s[20:21], exec, s[20:21]
	s_cbranch_execz .LBB143_1382
; %bb.1379:
	s_movk_i32 s18, 0x80
	v_cmp_eq_u16_e32 vcc, s18, v0
	s_mov_b64 s[18:19], -1
	s_and_saveexec_b64 s[22:23], vcc
; %bb.1380:
	s_xor_b64 s[18:19], exec, -1
; %bb.1381:
	s_or_b64 exec, exec, s[22:23]
	s_and_b64 s[18:19], s[18:19], exec
.LBB143_1382:
	s_or_saveexec_b64 s[20:21], s[20:21]
	v_bfrev_b32_e32 v7, 4
	v_mov_b32_e32 v8, 0x7ff80000
	s_xor_b64 exec, exec, s[20:21]
; %bb.1383:
	v_cmp_ne_u16_e32 vcc, 0, v0
	v_mov_b32_e32 v7, 0
	s_andn2_b64 s[18:19], s[18:19], exec
	s_and_b64 s[22:23], vcc, exec
	v_mov_b32_e32 v8, 0
	s_or_b64 s[18:19], s[18:19], s[22:23]
; %bb.1384:
	s_or_b64 exec, exec, s[20:21]
	s_and_saveexec_b64 s[20:21], s[18:19]
	s_cbranch_execz .LBB143_1386
; %bb.1385:
	v_lshlrev_b32_e32 v1, 24, v0
	v_and_b32_e32 v0, 0xffff, v0
	v_and_b32_e32 v7, 7, v0
	v_ffbh_u32_e32 v9, v7
	v_min_u32_e32 v9, 32, v9
	v_subrev_u32_e32 v10, 28, v9
	v_bfe_u32 v8, v0, 3, 4
	v_lshlrev_b32_e32 v0, v10, v0
	v_sub_u32_e32 v9, 29, v9
	v_and_b32_e32 v0, 7, v0
	v_cmp_eq_u32_e32 vcc, 0, v8
	v_cndmask_b32_e32 v8, v8, v9, vcc
	v_cndmask_b32_e32 v0, v7, v0, vcc
	v_mov_b32_e32 v7, 0x3b800000
	v_lshlrev_b32_e32 v0, 20, v0
	v_and_b32_e32 v1, 0x80000000, v1
	v_lshl_add_u32 v7, v8, 23, v7
	v_or3_b32 v0, v1, v7, v0
	v_cvt_f64_f32_e32 v[7:8], v0
.LBB143_1386:
	s_or_b64 exec, exec, s[20:21]
.LBB143_1387:
	s_mov_b64 s[18:19], -1
.LBB143_1388:
	s_branch .LBB143_1419
.LBB143_1389:
	s_cmp_gt_i32 s31, 22
	s_cbranch_scc0 .LBB143_1401
; %bb.1390:
	s_cmp_lt_i32 s31, 24
	s_cbranch_scc1 .LBB143_1402
; %bb.1391:
	s_cmp_gt_i32 s31, 24
	s_cbranch_scc0 .LBB143_1403
; %bb.1392:
	global_load_ubyte v0, v[5:6], off
	s_movk_i32 s16, 0x7f
	s_waitcnt vmcnt(0)
	v_cmp_lt_i16_e32 vcc, s16, v0
	s_mov_b64 s[16:17], 0
	s_and_saveexec_b64 s[18:19], vcc
	s_xor_b64 s[18:19], exec, s[18:19]
	s_cbranch_execz .LBB143_1396
; %bb.1393:
	s_movk_i32 s16, 0x80
	v_cmp_eq_u16_e32 vcc, s16, v0
	s_mov_b64 s[16:17], -1
	s_and_saveexec_b64 s[20:21], vcc
; %bb.1394:
	s_xor_b64 s[16:17], exec, -1
; %bb.1395:
	s_or_b64 exec, exec, s[20:21]
	s_and_b64 s[16:17], s[16:17], exec
.LBB143_1396:
	s_or_saveexec_b64 s[18:19], s[18:19]
	v_bfrev_b32_e32 v7, 4
	v_mov_b32_e32 v8, 0x7ff80000
	s_xor_b64 exec, exec, s[18:19]
; %bb.1397:
	v_cmp_ne_u16_e32 vcc, 0, v0
	v_mov_b32_e32 v7, 0
	s_andn2_b64 s[16:17], s[16:17], exec
	s_and_b64 s[20:21], vcc, exec
	v_mov_b32_e32 v8, 0
	s_or_b64 s[16:17], s[16:17], s[20:21]
; %bb.1398:
	s_or_b64 exec, exec, s[18:19]
	s_and_saveexec_b64 s[18:19], s[16:17]
	s_cbranch_execz .LBB143_1400
; %bb.1399:
	v_lshlrev_b32_e32 v1, 24, v0
	v_and_b32_e32 v0, 0xffff, v0
	v_and_b32_e32 v7, 3, v0
	v_ffbh_u32_e32 v9, v7
	v_min_u32_e32 v9, 32, v9
	v_subrev_u32_e32 v10, 29, v9
	v_bfe_u32 v8, v0, 2, 5
	v_lshlrev_b32_e32 v0, v10, v0
	v_sub_u32_e32 v9, 30, v9
	v_and_b32_e32 v0, 3, v0
	v_cmp_eq_u32_e32 vcc, 0, v8
	v_cndmask_b32_e32 v8, v8, v9, vcc
	v_cndmask_b32_e32 v0, v7, v0, vcc
	v_mov_b32_e32 v7, 0x37800000
	v_lshlrev_b32_e32 v0, 21, v0
	v_and_b32_e32 v1, 0x80000000, v1
	v_lshl_add_u32 v7, v8, 23, v7
	v_or3_b32 v0, v1, v7, v0
	v_cvt_f64_f32_e32 v[7:8], v0
.LBB143_1400:
	s_or_b64 exec, exec, s[18:19]
	s_mov_b64 s[16:17], 0
	s_branch .LBB143_1404
.LBB143_1401:
	s_mov_b64 s[16:17], -1
                                        ; implicit-def: $vgpr7_vgpr8
	s_branch .LBB143_1410
.LBB143_1402:
	s_mov_b64 s[16:17], -1
                                        ; implicit-def: $vgpr7_vgpr8
	s_branch .LBB143_1407
.LBB143_1403:
	s_mov_b64 s[16:17], -1
                                        ; implicit-def: $vgpr7_vgpr8
.LBB143_1404:
	s_and_b64 vcc, exec, s[16:17]
	s_cbranch_vccz .LBB143_1406
; %bb.1405:
	global_load_ubyte v0, v[5:6], off
	s_mov_b32 s16, 0x7f800000
	s_waitcnt vmcnt(0)
	v_lshlrev_b32_e32 v0, 24, v0
	v_and_b32_e32 v1, 0x7f000000, v0
	v_ffbh_u32_e32 v7, v1
	v_min_u32_e32 v7, 32, v7
	v_sub_u32_e64 v7, v7, 4 clamp
	v_lshlrev_b32_e32 v9, v7, v1
	v_lshlrev_b32_e32 v7, 23, v7
	v_lshrrev_b32_e32 v9, 4, v9
	v_add_u32_e32 v8, 0x1000000, v1
	v_sub_u32_e32 v7, v9, v7
	v_ashrrev_i32_e32 v8, 8, v8
	v_add_u32_e32 v7, 0x3c000000, v7
	v_and_or_b32 v7, v8, s16, v7
	v_cmp_ne_u32_e32 vcc, 0, v1
	v_cndmask_b32_e32 v1, 0, v7, vcc
	s_brev_b32 s16, 1
	v_and_or_b32 v0, v0, s16, v1
	v_cvt_f64_f32_e32 v[7:8], v0
.LBB143_1406:
	s_mov_b64 s[16:17], 0
.LBB143_1407:
	s_andn2_b64 vcc, exec, s[16:17]
	s_cbranch_vccnz .LBB143_1409
; %bb.1408:
	global_load_ubyte v0, v[5:6], off
	s_movk_i32 s16, 0x7f00
	s_brev_b32 s17, 16
	s_waitcnt vmcnt(0)
	v_lshlrev_b16_e32 v1, 8, v0
	v_lshlrev_b32_e32 v0, 25, v0
	v_lshrrev_b32_e32 v7, 4, v0
	v_and_or_b32 v8, v1, s16, 0.5
	v_or_b32_e32 v7, 0x70000000, v7
	v_add_f32_e32 v8, -0.5, v8
	v_mul_f32_e32 v7, 0x7800000, v7
	v_cmp_gt_u32_e32 vcc, s17, v0
	v_bfe_i32 v1, v1, 0, 16
	v_cndmask_b32_e32 v0, v7, v8, vcc
	s_brev_b32 s16, 1
	v_and_or_b32 v0, v1, s16, v0
	v_cvt_f64_f32_e32 v[7:8], v0
.LBB143_1409:
	s_mov_b64 s[16:17], 0
	s_mov_b64 s[18:19], -1
.LBB143_1410:
	s_andn2_b64 vcc, exec, s[16:17]
	s_mov_b64 s[16:17], 0
	s_cbranch_vccnz .LBB143_1419
; %bb.1411:
	s_cmp_gt_i32 s31, 14
	s_cbranch_scc0 .LBB143_1414
; %bb.1412:
	s_cmp_eq_u32 s31, 15
	s_cbranch_scc0 .LBB143_1415
; %bb.1413:
	global_load_ushort v0, v[5:6], off
	s_mov_b64 s[12:13], 0
	s_mov_b64 s[18:19], -1
	s_waitcnt vmcnt(0)
	v_lshlrev_b32_e32 v0, 16, v0
	v_cvt_f64_f32_e32 v[7:8], v0
	s_branch .LBB143_1416
.LBB143_1414:
	s_mov_b64 s[20:21], -1
                                        ; implicit-def: $vgpr7_vgpr8
	s_branch .LBB143_1417
.LBB143_1415:
	s_mov_b64 s[12:13], -1
                                        ; implicit-def: $vgpr7_vgpr8
.LBB143_1416:
	s_mov_b64 s[20:21], 0
.LBB143_1417:
	s_and_b64 vcc, exec, s[20:21]
	s_cbranch_vccz .LBB143_1419
; %bb.1418:
	s_cmp_lg_u32 s31, 11
	s_cselect_b64 s[20:21], -1, 0
	s_andn2_b64 s[12:13], s[12:13], exec
	s_and_b64 s[20:21], s[20:21], exec
	s_mov_b64 s[16:17], -1
	s_or_b64 s[12:13], s[12:13], s[20:21]
.LBB143_1419:
	s_mov_b64 s[20:21], 0
.LBB143_1420:
	s_andn2_b64 s[22:23], s[42:43], exec
	s_and_b64 s[12:13], s[12:13], exec
	s_and_b64 s[18:19], s[18:19], exec
	;; [unrolled: 1-line block ×4, first 2 shown]
	s_or_b64 s[42:43], s[22:23], s[12:13]
	s_or_b64 exec, exec, s[0:1]
	s_and_saveexec_b64 s[0:1], s[42:43]
	s_cbranch_execz .LBB143_1349
.LBB143_1421:
	s_or_b64 s[10:11], s[10:11], exec
	s_andn2_b64 s[16:17], s[16:17], exec
	s_trap 2
	s_or_b64 exec, exec, s[0:1]
	s_and_saveexec_b64 s[0:1], s[16:17]
	s_xor_b64 s[0:1], exec, s[0:1]
	s_cbranch_execnz .LBB143_1350
.LBB143_1422:
	s_or_b64 exec, exec, s[0:1]
	s_and_saveexec_b64 s[0:1], s[20:21]
	s_cbranch_execz .LBB143_1468
.LBB143_1423:
	s_sext_i32_i16 s12, s30
	s_cmp_lt_i32 s12, 5
	s_cbranch_scc1 .LBB143_1428
; %bb.1424:
	s_cmp_lt_i32 s12, 8
	s_cbranch_scc1 .LBB143_1429
; %bb.1425:
	;; [unrolled: 3-line block ×3, first 2 shown]
	s_cmp_gt_i32 s12, 9
	s_cbranch_scc0 .LBB143_1431
; %bb.1427:
	s_waitcnt vmcnt(0)
	global_load_dwordx2 v[7:8], v[5:6], off
	s_mov_b64 s[12:13], 0
	s_branch .LBB143_1432
.LBB143_1428:
                                        ; implicit-def: $vgpr7_vgpr8
	s_branch .LBB143_1449
.LBB143_1429:
                                        ; implicit-def: $vgpr7_vgpr8
	s_branch .LBB143_1438
.LBB143_1430:
	s_mov_b64 s[12:13], -1
                                        ; implicit-def: $vgpr7_vgpr8
	s_branch .LBB143_1435
.LBB143_1431:
	s_mov_b64 s[12:13], -1
                                        ; implicit-def: $vgpr7_vgpr8
.LBB143_1432:
	s_andn2_b64 vcc, exec, s[12:13]
	s_cbranch_vccnz .LBB143_1434
; %bb.1433:
	s_waitcnt vmcnt(0)
	global_load_dword v0, v[5:6], off
	s_waitcnt vmcnt(0)
	v_cvt_f64_f32_e32 v[7:8], v0
.LBB143_1434:
	s_mov_b64 s[12:13], 0
.LBB143_1435:
	s_andn2_b64 vcc, exec, s[12:13]
	s_cbranch_vccnz .LBB143_1437
; %bb.1436:
	s_waitcnt vmcnt(0)
	global_load_dword v0, v[5:6], off
	s_waitcnt vmcnt(0)
	v_cvt_f32_f16_e32 v0, v0
	v_cvt_f64_f32_e32 v[7:8], v0
.LBB143_1437:
	s_cbranch_execnz .LBB143_1448
.LBB143_1438:
	s_sext_i32_i16 s12, s30
	s_cmp_lt_i32 s12, 6
	s_cbranch_scc1 .LBB143_1441
; %bb.1439:
	s_cmp_gt_i32 s12, 6
	s_cbranch_scc0 .LBB143_1442
; %bb.1440:
	s_waitcnt vmcnt(0)
	global_load_dwordx2 v[7:8], v[5:6], off
	s_mov_b64 s[12:13], 0
	s_branch .LBB143_1443
.LBB143_1441:
	s_mov_b64 s[12:13], -1
                                        ; implicit-def: $vgpr7_vgpr8
	s_branch .LBB143_1446
.LBB143_1442:
	s_mov_b64 s[12:13], -1
                                        ; implicit-def: $vgpr7_vgpr8
.LBB143_1443:
	s_andn2_b64 vcc, exec, s[12:13]
	s_cbranch_vccnz .LBB143_1445
; %bb.1444:
	s_waitcnt vmcnt(0)
	global_load_dword v0, v[5:6], off
	s_waitcnt vmcnt(0)
	v_cvt_f64_f32_e32 v[7:8], v0
.LBB143_1445:
	s_mov_b64 s[12:13], 0
.LBB143_1446:
	s_andn2_b64 vcc, exec, s[12:13]
	s_cbranch_vccnz .LBB143_1448
; %bb.1447:
	s_waitcnt vmcnt(0)
	global_load_ushort v0, v[5:6], off
	s_waitcnt vmcnt(0)
	v_cvt_f32_f16_e32 v0, v0
	v_cvt_f64_f32_e32 v[7:8], v0
.LBB143_1448:
	s_cbranch_execnz .LBB143_1467
.LBB143_1449:
	s_sext_i32_i16 s12, s30
	s_cmp_lt_i32 s12, 2
	s_cbranch_scc1 .LBB143_1453
; %bb.1450:
	s_cmp_lt_i32 s12, 3
	s_cbranch_scc1 .LBB143_1454
; %bb.1451:
	s_cmp_gt_i32 s12, 3
	s_cbranch_scc0 .LBB143_1455
; %bb.1452:
	s_waitcnt vmcnt(0)
	global_load_dwordx2 v[0:1], v[5:6], off
	s_mov_b64 s[12:13], 0
	s_waitcnt vmcnt(0)
	v_cvt_f64_i32_e32 v[7:8], v1
	v_cvt_f64_u32_e32 v[0:1], v0
	v_ldexp_f64 v[7:8], v[7:8], 32
	v_add_f64 v[7:8], v[7:8], v[0:1]
	s_branch .LBB143_1456
.LBB143_1453:
                                        ; implicit-def: $vgpr7_vgpr8
	s_branch .LBB143_1462
.LBB143_1454:
	s_mov_b64 s[12:13], -1
                                        ; implicit-def: $vgpr7_vgpr8
	s_branch .LBB143_1459
.LBB143_1455:
	s_mov_b64 s[12:13], -1
                                        ; implicit-def: $vgpr7_vgpr8
.LBB143_1456:
	s_andn2_b64 vcc, exec, s[12:13]
	s_cbranch_vccnz .LBB143_1458
; %bb.1457:
	s_waitcnt vmcnt(0)
	global_load_dword v0, v[5:6], off
	s_waitcnt vmcnt(0)
	v_cvt_f64_i32_e32 v[7:8], v0
.LBB143_1458:
	s_mov_b64 s[12:13], 0
.LBB143_1459:
	s_andn2_b64 vcc, exec, s[12:13]
	s_cbranch_vccnz .LBB143_1461
; %bb.1460:
	s_waitcnt vmcnt(0)
	global_load_sshort v0, v[5:6], off
	s_waitcnt vmcnt(0)
	v_cvt_f64_i32_e32 v[7:8], v0
.LBB143_1461:
	s_cbranch_execnz .LBB143_1467
.LBB143_1462:
	s_sext_i32_i16 s12, s30
	s_cmp_gt_i32 s12, 0
	s_cbranch_scc0 .LBB143_1464
; %bb.1463:
	s_waitcnt vmcnt(0)
	global_load_sbyte v0, v[5:6], off
	s_mov_b64 s[12:13], 0
	s_waitcnt vmcnt(0)
	v_cvt_f64_i32_e32 v[7:8], v0
	s_branch .LBB143_1465
.LBB143_1464:
	s_mov_b64 s[12:13], -1
                                        ; implicit-def: $vgpr7_vgpr8
.LBB143_1465:
	s_andn2_b64 vcc, exec, s[12:13]
	s_cbranch_vccnz .LBB143_1467
; %bb.1466:
	s_waitcnt vmcnt(0)
	global_load_ubyte v0, v[5:6], off
	s_waitcnt vmcnt(0)
	v_cvt_f64_u32_e32 v[7:8], v0
.LBB143_1467:
	s_or_b64 s[18:19], s[18:19], exec
.LBB143_1468:
	s_or_b64 exec, exec, s[0:1]
	s_mov_b64 s[20:21], 0
	s_mov_b64 s[16:17], 0
                                        ; implicit-def: $sgpr22
                                        ; implicit-def: $vgpr5_vgpr6
                                        ; implicit-def: $vgpr0_vgpr1
	s_and_saveexec_b64 s[12:13], s[18:19]
	s_cbranch_execz .LBB143_1476
; %bb.1469:
	s_waitcnt vmcnt(0)
	v_cmp_nge_f64_e32 vcc, s[14:15], v[3:4]
	v_mov_b32_e32 v0, s29
	v_mov_b32_e32 v3, s28
	;; [unrolled: 1-line block ×3, first 2 shown]
	s_and_b32 s22, s73, 0xff
	s_cmp_lt_i32 s22, 11
	v_cndmask_b32_e32 v1, v0, v8, vcc
	v_cndmask_b32_e32 v0, v3, v7, vcc
	v_add_co_u32_e32 v5, vcc, s8, v2
	v_addc_co_u32_e32 v6, vcc, 0, v4, vcc
	s_cbranch_scc1 .LBB143_1479
; %bb.1470:
	s_and_b32 s20, 0xffff, s22
	s_mov_b64 s[14:15], -1
	s_cmp_gt_i32 s20, 25
	s_mov_b64 s[0:1], s[40:41]
	s_cbranch_scc0 .LBB143_1507
; %bb.1471:
	s_mov_b64 s[8:9], -1
	s_cmp_gt_i32 s20, 28
	s_mov_b64 s[0:1], s[40:41]
	s_cbranch_scc0 .LBB143_1491
; %bb.1472:
	s_cmp_gt_i32 s20, 43
	s_mov_b64 s[0:1], s[40:41]
	s_cbranch_scc0 .LBB143_1487
; %bb.1473:
	s_cmp_gt_i32 s20, 45
	s_mov_b64 s[0:1], s[40:41]
	s_cbranch_scc0 .LBB143_1481
; %bb.1474:
	s_cmp_eq_u32 s20, 46
	s_mov_b64 s[0:1], -1
	s_cbranch_scc0 .LBB143_1480
; %bb.1475:
	v_cvt_f32_f64_e32 v2, v[0:1]
	s_movk_i32 s0, 0x7fff
	v_mov_b32_e32 v3, 0x7fc0
	s_mov_b64 s[8:9], 0
	v_bfe_u32 v4, v2, 16, 1
	v_cmp_o_f32_e32 vcc, v2, v2
	v_add3_u32 v2, v2, v4, s0
	v_cndmask_b32_sdwa v2, v3, v2, vcc dst_sel:DWORD dst_unused:UNUSED_PAD src0_sel:DWORD src1_sel:WORD_1
	global_store_dword v[5:6], v2, off
	s_mov_b64 s[0:1], 0
	s_branch .LBB143_1481
.LBB143_1476:
	s_or_b64 exec, exec, s[12:13]
	s_and_saveexec_b64 s[0:1], s[40:41]
	s_cbranch_execnz .LBB143_1549
.LBB143_1477:
	s_or_b64 exec, exec, s[0:1]
	s_and_saveexec_b64 s[0:1], s[20:21]
	s_xor_b64 s[0:1], exec, s[0:1]
	s_cbranch_execz .LBB143_1550
.LBB143_1478:
	s_waitcnt vmcnt(0)
	v_cmp_neq_f64_e32 vcc, 0, v[0:1]
	v_cndmask_b32_e64 v2, 0, 1, vcc
	global_store_byte v[5:6], v2, off
	s_or_b64 exec, exec, s[0:1]
	s_and_saveexec_b64 s[0:1], s[16:17]
	s_xor_b64 s[0:1], exec, s[0:1]
	s_cbranch_execz .LBB143_1588
	s_branch .LBB143_1551
.LBB143_1479:
	s_mov_b64 s[14:15], 0
	s_mov_b64 s[8:9], -1
	s_mov_b64 s[0:1], s[40:41]
	s_branch .LBB143_1548
.LBB143_1480:
	s_mov_b64 s[8:9], 0
.LBB143_1481:
	s_and_b64 vcc, exec, s[8:9]
	s_cbranch_vccz .LBB143_1486
; %bb.1482:
	s_cmp_eq_u32 s20, 44
	s_mov_b64 s[0:1], -1
	s_cbranch_scc0 .LBB143_1486
; %bb.1483:
	v_cvt_f32_f64_e32 v2, v[0:1]
	s_movk_i32 s0, 0xff
	v_mov_b32_e32 v4, 0xff
	v_bfe_u32 v3, v2, 23, 8
	v_cmp_ne_u32_e32 vcc, s0, v3
	s_and_saveexec_b64 s[8:9], vcc
; %bb.1484:
	s_mov_b32 s0, 0x3fffff
	v_lshrrev_b32_e32 v4, 23, v2
	v_and_b32_e32 v7, 0x400000, v2
	v_and_or_b32 v2, v2, s0, v3
	v_cmp_ne_u32_e32 vcc, 0, v7
	v_cmp_ne_u32_e64 s[0:1], 0, v2
	s_and_b64 s[0:1], vcc, s[0:1]
	v_cndmask_b32_e64 v2, 0, 1, s[0:1]
	v_add_u32_e32 v4, v4, v2
; %bb.1485:
	s_or_b64 exec, exec, s[8:9]
	s_mov_b64 s[0:1], 0
	global_store_byte v[5:6], v4, off
.LBB143_1486:
	s_mov_b64 s[8:9], 0
.LBB143_1487:
	s_and_b64 vcc, exec, s[8:9]
	s_cbranch_vccz .LBB143_1490
; %bb.1488:
	s_cmp_eq_u32 s20, 29
	s_mov_b64 s[0:1], -1
	s_cbranch_scc0 .LBB143_1490
; %bb.1489:
	v_trunc_f64_e32 v[2:3], v[0:1]
	s_movk_i32 s0, 0xffe0
	s_mov_b64 s[8:9], 0
	v_ldexp_f64 v[7:8], v[2:3], s0
	s_mov_b32 s0, 0
	s_mov_b32 s1, 0xc1f00000
	v_floor_f64_e32 v[7:8], v[7:8]
	v_fma_f64 v[2:3], v[7:8], s[0:1], v[2:3]
	v_cvt_u32_f64_e32 v4, v[7:8]
	s_mov_b64 s[0:1], 0
	v_cvt_u32_f64_e32 v3, v[2:3]
	global_store_dwordx2 v[5:6], v[3:4], off
	s_branch .LBB143_1491
.LBB143_1490:
	s_mov_b64 s[8:9], 0
.LBB143_1491:
	s_and_b64 vcc, exec, s[8:9]
	s_cbranch_vccz .LBB143_1506
; %bb.1492:
	s_cmp_lt_i32 s20, 27
	s_mov_b64 s[8:9], -1
	s_cbranch_scc1 .LBB143_1498
; %bb.1493:
	s_cmp_gt_i32 s20, 27
	s_cbranch_scc0 .LBB143_1495
; %bb.1494:
	v_cvt_u32_f64_e32 v2, v[0:1]
	s_mov_b64 s[8:9], 0
	global_store_dword v[5:6], v2, off
.LBB143_1495:
	s_andn2_b64 vcc, exec, s[8:9]
	s_cbranch_vccnz .LBB143_1497
; %bb.1496:
	v_cvt_u32_f64_e32 v2, v[0:1]
	global_store_short v[5:6], v2, off
.LBB143_1497:
	s_mov_b64 s[8:9], 0
.LBB143_1498:
	s_andn2_b64 vcc, exec, s[8:9]
	s_cbranch_vccnz .LBB143_1506
; %bb.1499:
	v_cvt_f32_f64_e32 v2, v[0:1]
	s_mov_b32 s8, 0x43800000
	v_mov_b32_e32 v4, 0x80
	v_and_b32_e32 v3, 0x7fffffff, v2
	v_cmp_gt_u32_e32 vcc, s8, v3
	s_and_saveexec_b64 s[8:9], vcc
	s_cbranch_execz .LBB143_1505
; %bb.1500:
	s_mov_b32 s14, 0x3bffffff
	v_cmp_lt_u32_e32 vcc, s14, v3
	s_mov_b64 s[14:15], 0
                                        ; implicit-def: $vgpr3
	s_and_saveexec_b64 s[16:17], vcc
	s_xor_b64 s[16:17], exec, s[16:17]
	s_cbranch_execz .LBB143_1647
; %bb.1501:
	v_bfe_u32 v3, v2, 20, 1
	s_mov_b32 s18, 0x487ffff
	v_add3_u32 v3, v2, v3, s18
	s_mov_b64 s[14:15], exec
	v_lshrrev_b32_e32 v3, 20, v3
	s_andn2_saveexec_b64 s[16:17], s[16:17]
	s_cbranch_execnz .LBB143_1648
.LBB143_1502:
	s_or_b64 exec, exec, s[16:17]
	v_mov_b32_e32 v4, 0
	s_and_saveexec_b64 s[16:17], s[14:15]
.LBB143_1503:
	v_lshrrev_b32_e32 v2, 24, v2
	s_movk_i32 s14, 0x80
	v_and_or_b32 v4, v2, s14, v3
.LBB143_1504:
	s_or_b64 exec, exec, s[16:17]
.LBB143_1505:
	s_or_b64 exec, exec, s[8:9]
	global_store_byte v[5:6], v4, off
.LBB143_1506:
	s_mov_b64 s[14:15], 0
.LBB143_1507:
	s_mov_b64 s[8:9], 0
	s_and_b64 vcc, exec, s[14:15]
	s_cbranch_vccz .LBB143_1547
; %bb.1508:
	s_cmp_gt_i32 s20, 22
	s_mov_b64 s[14:15], -1
	s_cbranch_scc0 .LBB143_1540
; %bb.1509:
	s_cmp_lt_i32 s20, 24
	s_cbranch_scc1 .LBB143_1529
; %bb.1510:
	s_cmp_gt_i32 s20, 24
	s_cbranch_scc0 .LBB143_1518
; %bb.1511:
	v_cvt_f32_f64_e32 v2, v[0:1]
	s_mov_b32 s14, 0x47800000
	v_mov_b32_e32 v4, 0x80
	v_and_b32_e32 v3, 0x7fffffff, v2
	v_cmp_gt_u32_e32 vcc, s14, v3
	s_and_saveexec_b64 s[14:15], vcc
	s_cbranch_execz .LBB143_1517
; %bb.1512:
	s_mov_b32 s16, 0x37ffffff
	v_cmp_lt_u32_e32 vcc, s16, v3
	s_mov_b64 s[16:17], 0
                                        ; implicit-def: $vgpr3
	s_and_saveexec_b64 s[18:19], vcc
	s_xor_b64 s[18:19], exec, s[18:19]
	s_cbranch_execz .LBB143_1772
; %bb.1513:
	v_bfe_u32 v3, v2, 21, 1
	s_mov_b32 s21, 0x88fffff
	v_add3_u32 v3, v2, v3, s21
	s_mov_b64 s[16:17], exec
	v_lshrrev_b32_e32 v3, 21, v3
	s_andn2_saveexec_b64 s[18:19], s[18:19]
	s_cbranch_execnz .LBB143_1773
.LBB143_1514:
	s_or_b64 exec, exec, s[18:19]
	v_mov_b32_e32 v4, 0
	s_and_saveexec_b64 s[18:19], s[16:17]
.LBB143_1515:
	v_lshrrev_b32_e32 v2, 24, v2
	s_movk_i32 s16, 0x80
	v_and_or_b32 v4, v2, s16, v3
.LBB143_1516:
	s_or_b64 exec, exec, s[18:19]
.LBB143_1517:
	s_or_b64 exec, exec, s[14:15]
	s_mov_b64 s[14:15], 0
	global_store_byte v[5:6], v4, off
.LBB143_1518:
	s_and_b64 vcc, exec, s[14:15]
	s_cbranch_vccz .LBB143_1528
; %bb.1519:
	v_cvt_f32_f64_e32 v2, v[0:1]
	s_mov_b32 s14, 0x43f00000
                                        ; implicit-def: $vgpr3
	v_and_b32_e32 v4, 0x7fffffff, v2
	v_cmp_gt_u32_e32 vcc, s14, v4
	s_and_saveexec_b64 s[14:15], vcc
	s_xor_b64 s[14:15], exec, s[14:15]
	s_cbranch_execz .LBB143_1525
; %bb.1520:
	s_mov_b32 s16, 0x3c7fffff
	v_cmp_lt_u32_e32 vcc, s16, v4
                                        ; implicit-def: $vgpr3
	s_and_saveexec_b64 s[16:17], vcc
	s_xor_b64 s[16:17], exec, s[16:17]
; %bb.1521:
	v_bfe_u32 v3, v2, 20, 1
	s_mov_b32 s18, 0x407ffff
	v_add3_u32 v3, v2, v3, s18
	v_lshrrev_b32_e32 v4, 20, v3
	v_and_b32_e32 v3, 0xff00000, v3
	s_mov_b32 s18, 0x7f00000
	v_mov_b32_e32 v7, 0x7e
	v_cmp_ne_u32_e32 vcc, s18, v3
	v_cndmask_b32_e32 v3, v7, v4, vcc
; %bb.1522:
	s_andn2_saveexec_b64 s[16:17], s[16:17]
; %bb.1523:
	s_mov_b32 s18, 0x46800000
	v_add_f32_e64 v3, |v2|, s18
; %bb.1524:
	s_or_b64 exec, exec, s[16:17]
                                        ; implicit-def: $vgpr4
.LBB143_1525:
	s_andn2_saveexec_b64 s[14:15], s[14:15]
; %bb.1526:
	s_mov_b32 s16, 0x7f800000
	v_mov_b32_e32 v3, 0x7e
	v_mov_b32_e32 v7, 0x7f
	v_cmp_lt_u32_e32 vcc, s16, v4
	v_cndmask_b32_e32 v3, v3, v7, vcc
; %bb.1527:
	s_or_b64 exec, exec, s[14:15]
	v_lshrrev_b32_e32 v2, 24, v2
	s_movk_i32 s14, 0x80
	v_and_or_b32 v2, v2, s14, v3
	global_store_byte v[5:6], v2, off
.LBB143_1528:
	s_mov_b64 s[14:15], 0
.LBB143_1529:
	s_andn2_b64 vcc, exec, s[14:15]
	s_cbranch_vccnz .LBB143_1539
; %bb.1530:
	v_cvt_f32_f64_e32 v2, v[0:1]
	s_mov_b32 s14, 0x47800000
                                        ; implicit-def: $vgpr3
	v_and_b32_e32 v4, 0x7fffffff, v2
	v_cmp_gt_u32_e32 vcc, s14, v4
	s_and_saveexec_b64 s[14:15], vcc
	s_xor_b64 s[14:15], exec, s[14:15]
	s_cbranch_execz .LBB143_1536
; %bb.1531:
	s_mov_b32 s16, 0x387fffff
	v_cmp_lt_u32_e32 vcc, s16, v4
                                        ; implicit-def: $vgpr3
	s_and_saveexec_b64 s[16:17], vcc
	s_xor_b64 s[16:17], exec, s[16:17]
; %bb.1532:
	v_bfe_u32 v3, v2, 21, 1
	s_mov_b32 s18, 0x80fffff
	v_add3_u32 v3, v2, v3, s18
	v_lshrrev_b32_e32 v3, 21, v3
; %bb.1533:
	s_andn2_saveexec_b64 s[16:17], s[16:17]
; %bb.1534:
	s_mov_b32 s18, 0x43000000
	v_add_f32_e64 v3, |v2|, s18
; %bb.1535:
	s_or_b64 exec, exec, s[16:17]
                                        ; implicit-def: $vgpr4
.LBB143_1536:
	s_andn2_saveexec_b64 s[14:15], s[14:15]
; %bb.1537:
	s_mov_b32 s16, 0x7f800000
	v_mov_b32_e32 v3, 0x7c
	v_mov_b32_e32 v7, 0x7f
	v_cmp_lt_u32_e32 vcc, s16, v4
	v_cndmask_b32_e32 v3, v3, v7, vcc
; %bb.1538:
	s_or_b64 exec, exec, s[14:15]
	v_lshrrev_b32_e32 v2, 24, v2
	s_movk_i32 s14, 0x80
	v_and_or_b32 v2, v2, s14, v3
	global_store_byte v[5:6], v2, off
.LBB143_1539:
	s_mov_b64 s[14:15], 0
.LBB143_1540:
	s_andn2_b64 vcc, exec, s[14:15]
	s_mov_b64 s[14:15], 0
	s_cbranch_vccnz .LBB143_1548
; %bb.1541:
	s_cmp_gt_i32 s20, 14
	s_mov_b64 s[16:17], -1
	s_cbranch_scc0 .LBB143_1545
; %bb.1542:
	s_cmp_eq_u32 s20, 15
	s_mov_b64 s[0:1], -1
	s_cbranch_scc0 .LBB143_1544
; %bb.1543:
	v_cvt_f32_f64_e32 v2, v[0:1]
	s_movk_i32 s0, 0x7fff
	v_mov_b32_e32 v3, 0x7fc0
	v_bfe_u32 v4, v2, 16, 1
	v_cmp_o_f32_e32 vcc, v2, v2
	v_add3_u32 v2, v2, v4, s0
	v_cndmask_b32_sdwa v2, v3, v2, vcc dst_sel:DWORD dst_unused:UNUSED_PAD src0_sel:DWORD src1_sel:WORD_1
	global_store_short v[5:6], v2, off
	s_mov_b64 s[0:1], 0
.LBB143_1544:
	s_mov_b64 s[16:17], 0
.LBB143_1545:
	s_and_b64 vcc, exec, s[16:17]
	s_cbranch_vccz .LBB143_1548
; %bb.1546:
	s_cmp_lg_u32 s20, 11
	s_cselect_b64 s[16:17], -1, 0
	s_andn2_b64 s[0:1], s[0:1], exec
	s_and_b64 s[16:17], s[16:17], exec
	s_mov_b64 s[14:15], -1
	s_or_b64 s[0:1], s[0:1], s[16:17]
	s_branch .LBB143_1548
.LBB143_1547:
	s_mov_b64 s[14:15], 0
.LBB143_1548:
	s_and_b64 s[16:17], s[8:9], exec
	s_andn2_b64 s[8:9], s[40:41], exec
	s_and_b64 s[0:1], s[0:1], exec
	s_and_b64 s[20:21], s[14:15], exec
	s_or_b64 s[40:41], s[8:9], s[0:1]
	s_or_b64 exec, exec, s[12:13]
	s_and_saveexec_b64 s[0:1], s[40:41]
	s_cbranch_execz .LBB143_1477
.LBB143_1549:
	s_or_b64 s[10:11], s[10:11], exec
	s_andn2_b64 s[20:21], s[20:21], exec
	s_trap 2
	s_or_b64 exec, exec, s[0:1]
	s_and_saveexec_b64 s[0:1], s[20:21]
	s_xor_b64 s[0:1], exec, s[0:1]
	s_cbranch_execnz .LBB143_1478
.LBB143_1550:
	s_or_b64 exec, exec, s[0:1]
	s_and_saveexec_b64 s[0:1], s[16:17]
	s_xor_b64 s[0:1], exec, s[0:1]
	s_cbranch_execz .LBB143_1588
.LBB143_1551:
	s_sext_i32_i16 s12, s22
	s_cmp_lt_i32 s12, 5
	s_mov_b64 s[8:9], -1
	s_cbranch_scc1 .LBB143_1572
; %bb.1552:
	s_cmp_lt_i32 s12, 8
	s_cbranch_scc1 .LBB143_1562
; %bb.1553:
	s_cmp_lt_i32 s12, 9
	s_cbranch_scc1 .LBB143_1559
; %bb.1554:
	s_cmp_gt_i32 s12, 9
	s_cbranch_scc0 .LBB143_1556
; %bb.1555:
	v_mov_b32_e32 v2, 0
	s_waitcnt vmcnt(0)
	v_mov_b32_e32 v3, v2
	s_mov_b64 s[8:9], 0
	global_store_dwordx4 v[5:6], v[0:3], off
.LBB143_1556:
	s_andn2_b64 vcc, exec, s[8:9]
	s_cbranch_vccnz .LBB143_1558
; %bb.1557:
	s_waitcnt vmcnt(0)
	v_cvt_f32_f64_e32 v2, v[0:1]
	v_mov_b32_e32 v3, 0
	global_store_dwordx2 v[5:6], v[2:3], off
.LBB143_1558:
	s_mov_b64 s[8:9], 0
.LBB143_1559:
	s_andn2_b64 vcc, exec, s[8:9]
	s_cbranch_vccnz .LBB143_1561
; %bb.1560:
	s_movk_i32 s8, 0x1ff
	s_waitcnt vmcnt(0)
	v_and_or_b32 v2, v1, s8, v0
	v_cmp_ne_u32_e32 vcc, 0, v2
	v_cndmask_b32_e64 v2, 0, 1, vcc
	v_lshrrev_b32_e32 v3, 8, v1
	s_movk_i32 s8, 0xffe
	v_bfe_u32 v4, v1, 20, 11
	v_and_or_b32 v2, v3, s8, v2
	v_sub_u32_e32 v7, 0x3f1, v4
	v_or_b32_e32 v3, 0x1000, v2
	v_med3_i32 v7, v7, 0, 13
	v_lshrrev_b32_e32 v8, v7, v3
	v_lshlrev_b32_e32 v7, v7, v8
	v_cmp_ne_u32_e32 vcc, v7, v3
	v_cndmask_b32_e64 v3, 0, 1, vcc
	v_add_u32_e32 v4, 0xfffffc10, v4
	v_or_b32_e32 v3, v8, v3
	v_lshl_or_b32 v7, v4, 12, v2
	v_cmp_gt_i32_e32 vcc, 1, v4
	v_cndmask_b32_e32 v3, v7, v3, vcc
	v_and_b32_e32 v7, 7, v3
	v_cmp_lt_i32_e32 vcc, 5, v7
	v_cndmask_b32_e64 v8, 0, 1, vcc
	v_cmp_eq_u32_e32 vcc, 3, v7
	v_cndmask_b32_e64 v7, 0, 1, vcc
	v_or_b32_e32 v7, v7, v8
	v_lshrrev_b32_e32 v3, 2, v3
	v_add_u32_e32 v3, v3, v7
	v_mov_b32_e32 v7, 0x7c00
	v_cmp_gt_i32_e32 vcc, 31, v4
	v_cndmask_b32_e32 v3, v7, v3, vcc
	v_mov_b32_e32 v8, 0x7e00
	v_cmp_ne_u32_e32 vcc, 0, v2
	s_movk_i32 s8, 0x40f
	v_cndmask_b32_e32 v2, v7, v8, vcc
	v_cmp_eq_u32_e32 vcc, s8, v4
	v_cndmask_b32_e32 v2, v3, v2, vcc
	v_lshrrev_b32_e32 v3, 16, v1
	s_mov_b32 s8, 0x8000
	v_and_or_b32 v2, v3, s8, v2
	v_and_b32_e32 v2, 0xffff, v2
	global_store_dword v[5:6], v2, off
.LBB143_1561:
	s_mov_b64 s[8:9], 0
.LBB143_1562:
	s_andn2_b64 vcc, exec, s[8:9]
	s_cbranch_vccnz .LBB143_1571
; %bb.1563:
	s_sext_i32_i16 s12, s22
	s_cmp_lt_i32 s12, 6
	s_mov_b64 s[8:9], -1
	s_cbranch_scc1 .LBB143_1569
; %bb.1564:
	s_cmp_gt_i32 s12, 6
	s_cbranch_scc0 .LBB143_1566
; %bb.1565:
	s_mov_b64 s[8:9], 0
	s_waitcnt vmcnt(0)
	global_store_dwordx2 v[5:6], v[0:1], off
.LBB143_1566:
	s_andn2_b64 vcc, exec, s[8:9]
	s_cbranch_vccnz .LBB143_1568
; %bb.1567:
	s_waitcnt vmcnt(0)
	v_cvt_f32_f64_e32 v2, v[0:1]
	global_store_dword v[5:6], v2, off
.LBB143_1568:
	s_mov_b64 s[8:9], 0
.LBB143_1569:
	s_andn2_b64 vcc, exec, s[8:9]
	s_cbranch_vccnz .LBB143_1571
; %bb.1570:
	s_movk_i32 s8, 0x1ff
	s_waitcnt vmcnt(0)
	v_and_or_b32 v2, v1, s8, v0
	v_cmp_ne_u32_e32 vcc, 0, v2
	v_cndmask_b32_e64 v2, 0, 1, vcc
	v_lshrrev_b32_e32 v3, 8, v1
	s_movk_i32 s8, 0xffe
	v_bfe_u32 v4, v1, 20, 11
	v_and_or_b32 v2, v3, s8, v2
	v_sub_u32_e32 v7, 0x3f1, v4
	v_or_b32_e32 v3, 0x1000, v2
	v_med3_i32 v7, v7, 0, 13
	v_lshrrev_b32_e32 v8, v7, v3
	v_lshlrev_b32_e32 v7, v7, v8
	v_cmp_ne_u32_e32 vcc, v7, v3
	v_cndmask_b32_e64 v3, 0, 1, vcc
	v_add_u32_e32 v4, 0xfffffc10, v4
	v_or_b32_e32 v3, v8, v3
	v_lshl_or_b32 v7, v4, 12, v2
	v_cmp_gt_i32_e32 vcc, 1, v4
	v_cndmask_b32_e32 v3, v7, v3, vcc
	v_and_b32_e32 v7, 7, v3
	v_cmp_lt_i32_e32 vcc, 5, v7
	v_cndmask_b32_e64 v8, 0, 1, vcc
	v_cmp_eq_u32_e32 vcc, 3, v7
	v_cndmask_b32_e64 v7, 0, 1, vcc
	v_or_b32_e32 v7, v7, v8
	v_lshrrev_b32_e32 v3, 2, v3
	v_add_u32_e32 v3, v3, v7
	v_mov_b32_e32 v7, 0x7c00
	v_cmp_gt_i32_e32 vcc, 31, v4
	v_cndmask_b32_e32 v3, v7, v3, vcc
	v_mov_b32_e32 v8, 0x7e00
	v_cmp_ne_u32_e32 vcc, 0, v2
	s_movk_i32 s8, 0x40f
	v_cndmask_b32_e32 v2, v7, v8, vcc
	v_cmp_eq_u32_e32 vcc, s8, v4
	v_cndmask_b32_e32 v2, v3, v2, vcc
	v_lshrrev_b32_e32 v3, 16, v1
	s_mov_b32 s8, 0x8000
	v_and_or_b32 v2, v3, s8, v2
	global_store_short v[5:6], v2, off
.LBB143_1571:
	s_mov_b64 s[8:9], 0
.LBB143_1572:
	s_andn2_b64 vcc, exec, s[8:9]
	s_cbranch_vccnz .LBB143_1588
; %bb.1573:
	s_sext_i32_i16 s12, s22
	s_cmp_lt_i32 s12, 2
	s_mov_b64 s[8:9], -1
	s_cbranch_scc1 .LBB143_1583
; %bb.1574:
	s_cmp_lt_i32 s12, 3
	s_cbranch_scc1 .LBB143_1580
; %bb.1575:
	s_cmp_gt_i32 s12, 3
	s_cbranch_scc0 .LBB143_1577
; %bb.1576:
	s_waitcnt vmcnt(0)
	v_trunc_f64_e32 v[2:3], v[0:1]
	s_movk_i32 s8, 0xffe0
	v_ldexp_f64 v[7:8], v[2:3], s8
	s_mov_b32 s8, 0
	s_mov_b32 s9, 0xc1f00000
	v_floor_f64_e32 v[7:8], v[7:8]
	v_fma_f64 v[2:3], v[7:8], s[8:9], v[2:3]
	v_cvt_i32_f64_e32 v4, v[7:8]
	s_mov_b64 s[8:9], 0
	v_cvt_u32_f64_e32 v3, v[2:3]
	global_store_dwordx2 v[5:6], v[3:4], off
.LBB143_1577:
	s_andn2_b64 vcc, exec, s[8:9]
	s_cbranch_vccnz .LBB143_1579
; %bb.1578:
	s_waitcnt vmcnt(0)
	v_cvt_i32_f64_e32 v2, v[0:1]
	global_store_dword v[5:6], v2, off
.LBB143_1579:
	s_mov_b64 s[8:9], 0
.LBB143_1580:
	s_andn2_b64 vcc, exec, s[8:9]
	s_cbranch_vccnz .LBB143_1582
; %bb.1581:
	s_waitcnt vmcnt(0)
	v_cvt_i32_f64_e32 v2, v[0:1]
	global_store_short v[5:6], v2, off
.LBB143_1582:
	s_mov_b64 s[8:9], 0
.LBB143_1583:
	s_andn2_b64 vcc, exec, s[8:9]
	s_cbranch_vccnz .LBB143_1588
; %bb.1584:
	s_sext_i32_i16 s8, s22
	s_cmp_gt_i32 s8, 0
	s_mov_b64 s[8:9], -1
	s_cbranch_scc0 .LBB143_1586
; %bb.1585:
	s_waitcnt vmcnt(0)
	v_cvt_i32_f64_e32 v2, v[0:1]
	s_mov_b64 s[8:9], 0
	global_store_byte v[5:6], v2, off
.LBB143_1586:
	s_andn2_b64 vcc, exec, s[8:9]
	s_cbranch_vccnz .LBB143_1588
; %bb.1587:
	s_waitcnt vmcnt(0)
	v_trunc_f64_e32 v[0:1], v[0:1]
	s_movk_i32 s8, 0xffe0
	v_ldexp_f64 v[2:3], v[0:1], s8
	s_mov_b32 s8, 0
	s_mov_b32 s9, 0xc1f00000
	v_floor_f64_e32 v[2:3], v[2:3]
	v_fma_f64 v[0:1], v[2:3], s[8:9], v[0:1]
	v_cvt_u32_f64_e32 v0, v[0:1]
	global_store_byte v[5:6], v0, off
.LBB143_1588:
	s_or_b64 exec, exec, s[0:1]
	s_and_b64 s[12:13], s[10:11], exec
                                        ; implicit-def: $vgpr20
                                        ; implicit-def: $vgpr7
.LBB143_1589:
	s_or_saveexec_b64 s[14:15], s[26:27]
	s_mov_b64 s[0:1], 0
                                        ; implicit-def: $vgpr4_vgpr5
                                        ; implicit-def: $sgpr22
                                        ; implicit-def: $vgpr0_vgpr1
	s_xor_b64 exec, exec, s[14:15]
	s_cbranch_execz .LBB143_3103
; %bb.1590:
	s_waitcnt vmcnt(0)
	v_cndmask_b32_e64 v0, 0, 1, s[24:25]
	v_cmp_ne_u32_e64 s[0:1], 1, v0
	s_andn2_b64 vcc, exec, s[24:25]
	s_cbranch_vccnz .LBB143_1596
; %bb.1591:
	s_cmp_lg_u32 s33, 0
	s_cbranch_scc0 .LBB143_1597
; %bb.1592:
	s_min_u32 s8, s72, 15
	s_add_i32 s6, s8, 1
	s_and_b32 s9, s6, 30
	s_add_u32 s6, s2, 0xffffffe8
	s_addc_u32 s7, s3, -1
	v_mov_b32_e32 v13, 0
	v_mov_b32_e32 v0, 0
	;; [unrolled: 1-line block ×4, first 2 shown]
.LBB143_1593:                           ; =>This Inner Loop Header: Depth=1
	s_load_dwordx4 s[16:19], s[6:7], 0x1c
	s_load_dwordx2 s[10:11], s[6:7], 0x2c
	s_load_dwordx2 s[24:25], s[6:7], 0xec
	s_load_dwordx4 s[20:23], s[6:7], 0xdc
	s_add_u32 s6, s6, 24
	s_waitcnt lgkmcnt(0)
	v_mul_hi_u32 v3, s17, v1
	s_addc_u32 s7, s7, 0
	s_add_i32 s9, s9, -2
	s_cmp_lg_u32 s9, 0
	v_add_u32_e32 v3, v1, v3
	v_lshrrev_b32_e32 v3, s18, v3
	v_mul_lo_u32 v4, v3, s16
	v_mul_hi_u32 v5, s10, v3
	v_sub_u32_e32 v4, v1, v4
	v_add_u32_e32 v1, v3, v5
	v_lshrrev_b32_e32 v1, s11, v1
	v_mul_lo_u32 v8, v1, s19
	v_mul_lo_u32 v5, v4, s20
	;; [unrolled: 1-line block ×4, first 2 shown]
	v_sub_u32_e32 v3, v3, v8
	v_mul_lo_u32 v8, v3, s23
	v_mul_lo_u32 v9, v3, s24
	;; [unrolled: 1-line block ×3, first 2 shown]
	v_add3_u32 v2, v5, v2, v8
	v_add3_u32 v0, v6, v0, v9
	;; [unrolled: 1-line block ×3, first 2 shown]
	s_cbranch_scc1 .LBB143_1593
; %bb.1594:
	s_bitcmp1_b32 s8, 0
	s_cselect_b64 s[8:9], -1, 0
	s_and_b64 vcc, exec, s[8:9]
	s_cbranch_vccnz .LBB143_1598
; %bb.1595:
	s_load_dwordx2 s[8:9], s[6:7], 0x1c
	s_load_dword s16, s[6:7], 0x24
	s_load_dwordx2 s[10:11], s[6:7], 0xdc
	s_waitcnt lgkmcnt(0)
	v_mul_hi_u32 v3, s9, v1
	v_add_u32_e32 v3, v1, v3
	v_lshrrev_b32_e32 v3, s16, v3
	v_mul_lo_u32 v3, v3, s8
	s_load_dword s8, s[6:7], 0xe4
	v_sub_u32_e32 v4, v1, v3
	v_mad_u64_u32 v[2:3], s[6:7], v4, s10, v[2:3]
	v_mad_u64_u32 v[0:1], s[6:7], v4, s11, v[0:1]
	s_waitcnt lgkmcnt(0)
	v_mad_u64_u32 v[13:14], s[6:7], v4, s8, v[13:14]
	s_cbranch_execz .LBB143_1599
	s_branch .LBB143_1601
.LBB143_1596:
                                        ; implicit-def: $vgpr2
                                        ; implicit-def: $vgpr0
                                        ; implicit-def: $vgpr13
	s_branch .LBB143_1599
.LBB143_1597:
	v_mov_b32_e32 v2, 0
	v_mov_b32_e32 v0, 0
	;; [unrolled: 1-line block ×3, first 2 shown]
.LBB143_1598:
	s_cbranch_execnz .LBB143_1601
.LBB143_1599:
	s_load_dwordx4 s[8:11], s[2:3], 0x4
	s_load_dwordx4 s[16:19], s[2:3], 0xc4
	s_cmp_lt_u32 s33, 2
	s_waitcnt lgkmcnt(0)
	v_mul_hi_u32 v0, s9, v7
	v_add_u32_e32 v0, v7, v0
	v_lshrrev_b32_e32 v1, s10, v0
	v_mul_lo_u32 v0, v1, s8
	v_sub_u32_e32 v3, v7, v0
	v_mul_lo_u32 v2, v3, s16
	v_mul_lo_u32 v0, v3, s17
	;; [unrolled: 1-line block ×3, first 2 shown]
	s_cbranch_scc1 .LBB143_1601
; %bb.1600:
	s_load_dwordx4 s[8:11], s[2:3], 0x10
	s_load_dwordx4 s[16:19], s[2:3], 0xd0
	s_waitcnt lgkmcnt(0)
	v_mul_hi_u32 v3, s9, v1
	v_add_u32_e32 v3, v1, v3
	v_lshrrev_b32_e32 v3, s10, v3
	v_mul_lo_u32 v3, v3, s8
	v_sub_u32_e32 v4, v1, v3
	v_mad_u64_u32 v[2:3], s[6:7], v4, s16, v[2:3]
	v_mad_u64_u32 v[0:1], s[6:7], v4, s17, v[0:1]
	;; [unrolled: 1-line block ×3, first 2 shown]
.LBB143_1601:
	s_and_b64 vcc, exec, s[0:1]
	v_add_u32_e32 v1, 0x80, v7
	s_cbranch_vccnz .LBB143_1607
; %bb.1602:
	s_cmp_lg_u32 s33, 0
	s_cbranch_scc0 .LBB143_1608
; %bb.1603:
	s_min_u32 s8, s72, 15
	s_add_i32 s6, s8, 1
	s_and_b32 s9, s6, 30
	s_add_u32 s6, s2, 0xffffffe8
	s_addc_u32 s7, s3, -1
	v_mov_b32_e32 v18, 0
	v_mov_b32_e32 v11, 0
	;; [unrolled: 1-line block ×4, first 2 shown]
.LBB143_1604:                           ; =>This Inner Loop Header: Depth=1
	s_load_dwordx4 s[16:19], s[6:7], 0x1c
	s_load_dwordx2 s[10:11], s[6:7], 0x2c
	s_load_dwordx2 s[24:25], s[6:7], 0xec
	s_load_dwordx4 s[20:23], s[6:7], 0xdc
	s_add_u32 s6, s6, 24
	s_waitcnt lgkmcnt(0)
	v_mul_hi_u32 v4, s17, v3
	s_addc_u32 s7, s7, 0
	s_add_i32 s9, s9, -2
	s_cmp_lg_u32 s9, 0
	v_add_u32_e32 v4, v3, v4
	v_lshrrev_b32_e32 v4, s18, v4
	v_mul_lo_u32 v5, v4, s16
	v_mul_hi_u32 v6, s10, v4
	v_sub_u32_e32 v5, v3, v5
	v_add_u32_e32 v3, v4, v6
	v_lshrrev_b32_e32 v3, s11, v3
	v_mul_lo_u32 v10, v3, s19
	v_mul_lo_u32 v6, v5, s20
	;; [unrolled: 1-line block ×4, first 2 shown]
	v_sub_u32_e32 v4, v4, v10
	v_mul_lo_u32 v10, v4, s23
	v_mul_lo_u32 v12, v4, s24
	;; [unrolled: 1-line block ×3, first 2 shown]
	v_add3_u32 v8, v6, v8, v10
	v_add3_u32 v11, v9, v11, v12
	;; [unrolled: 1-line block ×3, first 2 shown]
	s_cbranch_scc1 .LBB143_1604
; %bb.1605:
	s_bitcmp1_b32 s8, 0
	s_cselect_b64 s[8:9], -1, 0
	s_and_b64 vcc, exec, s[8:9]
	s_cbranch_vccnz .LBB143_1609
; %bb.1606:
	s_load_dwordx2 s[8:9], s[6:7], 0x1c
	s_load_dword s16, s[6:7], 0x24
	s_load_dwordx2 s[10:11], s[6:7], 0xdc
	s_waitcnt lgkmcnt(0)
	v_mul_hi_u32 v4, s9, v3
	v_add_u32_e32 v4, v3, v4
	v_lshrrev_b32_e32 v4, s16, v4
	v_mul_lo_u32 v4, v4, s8
	s_load_dword s8, s[6:7], 0xe4
	v_sub_u32_e32 v3, v3, v4
	v_mad_u64_u32 v[8:9], s[6:7], v3, s10, v[8:9]
	v_mad_u64_u32 v[11:12], s[6:7], v3, s11, v[11:12]
	s_waitcnt lgkmcnt(0)
	v_mad_u64_u32 v[18:19], s[6:7], v3, s8, v[18:19]
	s_cbranch_execz .LBB143_1610
	s_branch .LBB143_1612
.LBB143_1607:
                                        ; implicit-def: $vgpr8
                                        ; implicit-def: $vgpr11
                                        ; implicit-def: $vgpr18
	s_branch .LBB143_1610
.LBB143_1608:
	v_mov_b32_e32 v8, 0
	v_mov_b32_e32 v11, 0
	;; [unrolled: 1-line block ×3, first 2 shown]
.LBB143_1609:
	s_cbranch_execnz .LBB143_1612
.LBB143_1610:
	s_load_dwordx4 s[8:11], s[2:3], 0x4
	s_load_dwordx4 s[16:19], s[2:3], 0xc4
	s_cmp_lt_u32 s33, 2
	s_waitcnt lgkmcnt(0)
	v_mul_hi_u32 v3, s9, v1
	v_add_u32_e32 v3, v1, v3
	v_lshrrev_b32_e32 v3, s10, v3
	v_mul_lo_u32 v4, v3, s8
	v_sub_u32_e32 v1, v1, v4
	v_mul_lo_u32 v8, v1, s16
	v_mul_lo_u32 v11, v1, s17
	;; [unrolled: 1-line block ×3, first 2 shown]
	s_cbranch_scc1 .LBB143_1612
; %bb.1611:
	s_load_dwordx4 s[8:11], s[2:3], 0x10
	s_load_dwordx4 s[16:19], s[2:3], 0xd0
	s_waitcnt lgkmcnt(0)
	v_mul_hi_u32 v1, s9, v3
	v_add_u32_e32 v1, v3, v1
	v_lshrrev_b32_e32 v1, s10, v1
	v_mul_lo_u32 v1, v1, s8
	v_sub_u32_e32 v1, v3, v1
	v_mad_u64_u32 v[8:9], s[6:7], v1, s16, v[8:9]
	v_mad_u64_u32 v[11:12], s[6:7], v1, s17, v[11:12]
	;; [unrolled: 1-line block ×3, first 2 shown]
.LBB143_1612:
	s_and_b64 vcc, exec, s[0:1]
	v_add_u32_e32 v1, 0x100, v7
	s_cbranch_vccnz .LBB143_1618
; %bb.1613:
	s_cmp_lg_u32 s33, 0
	s_cbranch_scc0 .LBB143_1619
; %bb.1614:
	s_min_u32 s8, s72, 15
	s_add_i32 s6, s8, 1
	s_and_b32 s9, s6, 30
	s_add_u32 s6, s2, 0xffffffe8
	s_addc_u32 s7, s3, -1
	v_mov_b32_e32 v3, 0
	v_mov_b32_e32 v16, 0
	v_mov_b32_e32 v6, 0
	v_mov_b32_e32 v4, v1
.LBB143_1615:                           ; =>This Inner Loop Header: Depth=1
	s_load_dwordx4 s[16:19], s[6:7], 0x1c
	s_load_dwordx2 s[10:11], s[6:7], 0x2c
	s_load_dwordx2 s[24:25], s[6:7], 0xec
	s_load_dwordx4 s[20:23], s[6:7], 0xdc
	s_add_u32 s6, s6, 24
	s_waitcnt lgkmcnt(0)
	v_mul_hi_u32 v5, s17, v4
	s_addc_u32 s7, s7, 0
	s_add_i32 s9, s9, -2
	s_cmp_lg_u32 s9, 0
	v_add_u32_e32 v5, v4, v5
	v_lshrrev_b32_e32 v5, s18, v5
	v_mul_lo_u32 v7, v5, s16
	v_mul_hi_u32 v9, s10, v5
	v_sub_u32_e32 v7, v4, v7
	v_add_u32_e32 v4, v5, v9
	v_lshrrev_b32_e32 v4, s11, v4
	v_mul_lo_u32 v12, v4, s19
	v_mul_lo_u32 v9, v7, s20
	;; [unrolled: 1-line block ×4, first 2 shown]
	v_sub_u32_e32 v5, v5, v12
	v_mul_lo_u32 v12, v5, s23
	v_mul_lo_u32 v14, v5, s24
	;; [unrolled: 1-line block ×3, first 2 shown]
	v_add3_u32 v6, v9, v6, v12
	v_add3_u32 v16, v10, v16, v14
	;; [unrolled: 1-line block ×3, first 2 shown]
	s_cbranch_scc1 .LBB143_1615
; %bb.1616:
	s_bitcmp1_b32 s8, 0
	s_cselect_b64 s[8:9], -1, 0
	s_and_b64 vcc, exec, s[8:9]
	s_cbranch_vccnz .LBB143_1620
; %bb.1617:
	s_load_dwordx2 s[8:9], s[6:7], 0x1c
	s_load_dword s16, s[6:7], 0x24
	s_load_dwordx2 s[10:11], s[6:7], 0xdc
	s_waitcnt lgkmcnt(0)
	v_mul_hi_u32 v5, s9, v4
	v_add_u32_e32 v5, v4, v5
	v_lshrrev_b32_e32 v5, s16, v5
	v_mul_lo_u32 v5, v5, s8
	s_load_dword s8, s[6:7], 0xe4
	v_sub_u32_e32 v4, v4, v5
	v_mad_u64_u32 v[6:7], s[6:7], v4, s10, v[6:7]
	v_mad_u64_u32 v[16:17], s[6:7], v4, s11, v[16:17]
	s_waitcnt lgkmcnt(0)
	v_mad_u64_u32 v[3:4], s[6:7], v4, s8, v[3:4]
	s_cbranch_execz .LBB143_1621
	s_branch .LBB143_1623
.LBB143_1618:
                                        ; implicit-def: $vgpr6
                                        ; implicit-def: $vgpr16
                                        ; implicit-def: $vgpr3
	s_branch .LBB143_1621
.LBB143_1619:
	v_mov_b32_e32 v6, 0
	v_mov_b32_e32 v16, 0
	;; [unrolled: 1-line block ×3, first 2 shown]
.LBB143_1620:
	s_cbranch_execnz .LBB143_1623
.LBB143_1621:
	s_load_dwordx4 s[8:11], s[2:3], 0x4
	s_load_dwordx4 s[16:19], s[2:3], 0xc4
	s_cmp_lt_u32 s33, 2
	s_waitcnt lgkmcnt(0)
	v_mul_hi_u32 v3, s9, v1
	v_add_u32_e32 v3, v1, v3
	v_lshrrev_b32_e32 v4, s10, v3
	v_mul_lo_u32 v3, v4, s8
	v_sub_u32_e32 v1, v1, v3
	v_mul_lo_u32 v6, v1, s16
	v_mul_lo_u32 v16, v1, s17
	;; [unrolled: 1-line block ×3, first 2 shown]
	s_cbranch_scc1 .LBB143_1623
; %bb.1622:
	s_load_dwordx4 s[8:11], s[2:3], 0x10
	s_load_dwordx4 s[16:19], s[2:3], 0xd0
	s_waitcnt lgkmcnt(0)
	v_mul_hi_u32 v1, s9, v4
	v_add_u32_e32 v1, v4, v1
	v_lshrrev_b32_e32 v1, s10, v1
	v_mul_lo_u32 v1, v1, s8
	v_sub_u32_e32 v1, v4, v1
	v_mad_u64_u32 v[6:7], s[6:7], v1, s16, v[6:7]
	v_mad_u64_u32 v[16:17], s[6:7], v1, s17, v[16:17]
	;; [unrolled: 1-line block ×3, first 2 shown]
.LBB143_1623:
	s_and_b64 vcc, exec, s[0:1]
	s_cbranch_vccnz .LBB143_1629
; %bb.1624:
	s_cmp_lg_u32 s33, 0
	s_cbranch_scc0 .LBB143_1630
; %bb.1625:
	s_min_u32 s6, s72, 15
	s_add_i32 s0, s6, 1
	s_and_b32 s7, s0, 30
	s_add_u32 s0, s2, 0xffffffe8
	s_addc_u32 s1, s3, -1
	v_mov_b32_e32 v9, 0
	v_mov_b32_e32 v14, 0
	;; [unrolled: 1-line block ×4, first 2 shown]
.LBB143_1626:                           ; =>This Inner Loop Header: Depth=1
	s_load_dwordx4 s[8:11], s[0:1], 0x1c
	s_load_dwordx2 s[20:21], s[0:1], 0x2c
	s_load_dwordx2 s[22:23], s[0:1], 0xec
	s_load_dwordx4 s[16:19], s[0:1], 0xdc
	s_add_u32 s0, s0, 24
	s_waitcnt lgkmcnt(0)
	v_mul_hi_u32 v5, s9, v1
	s_addc_u32 s1, s1, 0
	s_add_i32 s7, s7, -2
	s_cmp_lg_u32 s7, 0
	v_add_u32_e32 v5, v1, v5
	v_lshrrev_b32_e32 v5, s10, v5
	v_mul_lo_u32 v7, v5, s8
	v_mul_hi_u32 v10, s20, v5
	v_sub_u32_e32 v7, v1, v7
	v_add_u32_e32 v1, v5, v10
	v_lshrrev_b32_e32 v1, s21, v1
	v_mul_lo_u32 v15, v1, s11
	v_mul_lo_u32 v10, v7, s16
	;; [unrolled: 1-line block ×4, first 2 shown]
	v_sub_u32_e32 v5, v5, v15
	v_mul_lo_u32 v15, v5, s19
	v_mul_lo_u32 v17, v5, s22
	;; [unrolled: 1-line block ×3, first 2 shown]
	v_add3_u32 v4, v10, v4, v15
	v_add3_u32 v14, v12, v14, v17
	;; [unrolled: 1-line block ×3, first 2 shown]
	s_cbranch_scc1 .LBB143_1626
; %bb.1627:
	s_bitcmp1_b32 s6, 0
	s_cselect_b64 s[6:7], -1, 0
	s_and_b64 vcc, exec, s[6:7]
	s_cbranch_vccnz .LBB143_1631
; %bb.1628:
	s_load_dwordx2 s[6:7], s[0:1], 0x1c
	s_load_dword s10, s[0:1], 0x24
	s_load_dwordx2 s[8:9], s[0:1], 0xdc
	s_waitcnt lgkmcnt(0)
	v_mul_hi_u32 v5, s7, v1
	v_add_u32_e32 v5, v1, v5
	v_lshrrev_b32_e32 v5, s10, v5
	v_mul_lo_u32 v5, v5, s6
	s_load_dword s6, s[0:1], 0xe4
	v_sub_u32_e32 v1, v1, v5
	v_mad_u64_u32 v[4:5], s[0:1], v1, s8, v[4:5]
	v_mad_u64_u32 v[14:15], s[0:1], v1, s9, v[14:15]
	s_waitcnt lgkmcnt(0)
	v_mad_u64_u32 v[9:10], s[0:1], v1, s6, v[9:10]
	s_cbranch_execz .LBB143_1632
	s_branch .LBB143_1634
.LBB143_1629:
                                        ; implicit-def: $vgpr4
                                        ; implicit-def: $vgpr14
                                        ; implicit-def: $vgpr9
	s_branch .LBB143_1632
.LBB143_1630:
	v_mov_b32_e32 v4, 0
	v_mov_b32_e32 v14, 0
	;; [unrolled: 1-line block ×3, first 2 shown]
.LBB143_1631:
	s_cbranch_execnz .LBB143_1634
.LBB143_1632:
	s_load_dwordx4 s[8:11], s[2:3], 0x4
	s_load_dwordx4 s[16:19], s[2:3], 0xc4
	s_cmp_lt_u32 s33, 2
	s_waitcnt lgkmcnt(0)
	v_mul_hi_u32 v1, s9, v20
	v_add_u32_e32 v1, v20, v1
	v_lshrrev_b32_e32 v1, s10, v1
	v_mul_lo_u32 v4, v1, s8
	v_sub_u32_e32 v5, v20, v4
	v_mul_lo_u32 v4, v5, s16
	v_mul_lo_u32 v14, v5, s17
	;; [unrolled: 1-line block ×3, first 2 shown]
	s_cbranch_scc1 .LBB143_1634
; %bb.1633:
	s_load_dwordx4 s[8:11], s[2:3], 0x10
	s_load_dwordx4 s[16:19], s[2:3], 0xd0
	s_waitcnt lgkmcnt(0)
	v_mul_hi_u32 v5, s9, v1
	v_add_u32_e32 v5, v1, v5
	v_lshrrev_b32_e32 v5, s10, v5
	v_mul_lo_u32 v5, v5, s8
	v_sub_u32_e32 v1, v1, v5
	v_mad_u64_u32 v[4:5], s[0:1], v1, s16, v[4:5]
	v_mad_u64_u32 v[14:15], s[0:1], v1, s17, v[14:15]
	;; [unrolled: 1-line block ×3, first 2 shown]
.LBB143_1634:
	s_load_dwordx4 s[8:11], s[2:3], 0x188
	s_load_dword s25, s[4:5], 0x1b8
	s_waitcnt lgkmcnt(0)
	v_mov_b32_e32 v1, s11
	s_bfe_u32 s20, s25, 0x80008
	v_add_co_u32_e32 v19, vcc, s10, v0
	s_cmp_lt_i32 s20, 11
	v_addc_co_u32_e32 v20, vcc, 0, v1, vcc
	s_cbranch_scc1 .LBB143_1641
; %bb.1635:
	s_and_b32 s21, 0xffff, s20
	s_cmp_gt_i32 s21, 25
	s_mov_b64 s[4:5], 0
	s_cbranch_scc0 .LBB143_1643
; %bb.1636:
	s_cmp_gt_i32 s21, 28
	s_cbranch_scc0 .LBB143_1644
; %bb.1637:
	s_cmp_gt_i32 s21, 43
	;; [unrolled: 3-line block ×3, first 2 shown]
	s_cbranch_scc0 .LBB143_1646
; %bb.1639:
	s_cmp_eq_u32 s21, 46
	s_mov_b64 s[16:17], 0
	s_cbranch_scc0 .LBB143_1649
; %bb.1640:
	global_load_dword v0, v[19:20], off
	s_mov_b64 s[0:1], 0
	s_mov_b64 s[6:7], -1
	s_waitcnt vmcnt(0)
	v_lshlrev_b32_e32 v0, 16, v0
	v_cvt_f64_f32_e32 v[0:1], v0
	s_branch .LBB143_1650
.LBB143_1641:
	s_mov_b64 s[6:7], 0
                                        ; implicit-def: $vgpr0_vgpr1
	s_mov_b64 s[16:17], s[12:13]
	s_cbranch_execnz .LBB143_1713
.LBB143_1642:
	s_andn2_b64 vcc, exec, s[6:7]
	s_cbranch_vccz .LBB143_1758
	s_branch .LBB143_3101
.LBB143_1643:
	s_mov_b64 s[6:7], 0
	s_mov_b64 s[0:1], 0
                                        ; implicit-def: $vgpr0_vgpr1
	s_cbranch_execnz .LBB143_1680
	s_branch .LBB143_1709
.LBB143_1644:
	s_mov_b64 s[16:17], -1
	s_mov_b64 s[6:7], 0
	s_mov_b64 s[0:1], 0
                                        ; implicit-def: $vgpr0_vgpr1
	s_branch .LBB143_1659
.LBB143_1645:
	s_mov_b64 s[6:7], 0
	s_mov_b64 s[0:1], 0
                                        ; implicit-def: $vgpr0_vgpr1
	s_cbranch_execnz .LBB143_1655
	s_branch .LBB143_1658
.LBB143_1646:
	s_mov_b64 s[16:17], -1
	s_mov_b64 s[6:7], 0
	s_mov_b64 s[0:1], 0
                                        ; implicit-def: $vgpr0_vgpr1
	s_branch .LBB143_1650
.LBB143_1647:
	s_andn2_saveexec_b64 s[16:17], s[16:17]
	s_cbranch_execz .LBB143_1502
.LBB143_1648:
	s_mov_b32 s18, 0x46000000
	v_add_f32_e64 v3, |v2|, s18
	v_and_b32_e32 v3, 0xff, v3
	v_cmp_ne_u32_e32 vcc, 0, v3
	s_andn2_b64 s[14:15], s[14:15], exec
	s_and_b64 s[18:19], vcc, exec
	s_or_b64 s[14:15], s[14:15], s[18:19]
	s_or_b64 exec, exec, s[16:17]
	v_mov_b32_e32 v4, 0
	s_and_saveexec_b64 s[16:17], s[14:15]
	s_cbranch_execnz .LBB143_1503
	s_branch .LBB143_1504
.LBB143_1649:
	s_mov_b64 s[0:1], -1
                                        ; implicit-def: $vgpr0_vgpr1
	s_mov_b64 s[6:7], 0
.LBB143_1650:
	s_and_b64 vcc, exec, s[16:17]
	s_cbranch_vccz .LBB143_1653
; %bb.1651:
	s_cmp_eq_u32 s21, 44
	s_cbranch_scc0 .LBB143_1654
; %bb.1652:
	global_load_ubyte v5, v[19:20], off
	s_movk_i32 s6, 0xff
	v_bfrev_b32_e32 v7, 4
	v_mov_b32_e32 v10, 0x7ff80000
	v_bfrev_b32_e32 v12, 28
	s_mov_b64 s[0:1], 0
	s_waitcnt vmcnt(0)
	v_lshlrev_b32_e32 v0, 23, v5
	v_cvt_f64_f32_e32 v[0:1], v0
	v_cmp_ne_u32_e32 vcc, s6, v5
	s_mov_b64 s[6:7], -1
	v_cndmask_b32_e32 v0, v7, v0, vcc
	v_cndmask_b32_e32 v1, v10, v1, vcc
	v_cmp_ne_u32_e32 vcc, 0, v5
	v_cndmask_b32_e32 v1, v12, v1, vcc
	v_cndmask_b32_e32 v0, 0, v0, vcc
.LBB143_1653:
	s_branch .LBB143_1658
.LBB143_1654:
	s_mov_b64 s[0:1], -1
                                        ; implicit-def: $vgpr0_vgpr1
	s_branch .LBB143_1658
.LBB143_1655:
	s_cmp_eq_u32 s21, 29
	s_cbranch_scc0 .LBB143_1657
; %bb.1656:
	global_load_dwordx2 v[0:1], v[19:20], off
	s_mov_b64 s[0:1], 0
	s_mov_b64 s[6:7], -1
	s_mov_b64 s[16:17], 0
	s_waitcnt vmcnt(0)
	v_cvt_f64_u32_e32 v[21:22], v1
	v_cvt_f64_u32_e32 v[0:1], v0
	v_ldexp_f64 v[21:22], v[21:22], 32
	v_add_f64 v[0:1], v[21:22], v[0:1]
	s_branch .LBB143_1659
.LBB143_1657:
	s_mov_b64 s[0:1], -1
                                        ; implicit-def: $vgpr0_vgpr1
.LBB143_1658:
	s_mov_b64 s[16:17], 0
.LBB143_1659:
	s_and_b64 vcc, exec, s[16:17]
	s_cbranch_vccz .LBB143_1679
; %bb.1660:
	s_cmp_lt_i32 s21, 27
	s_cbranch_scc1 .LBB143_1663
; %bb.1661:
	s_cmp_gt_i32 s21, 27
	s_cbranch_scc0 .LBB143_1664
; %bb.1662:
	global_load_dword v0, v[19:20], off
	s_mov_b64 s[6:7], 0
	s_waitcnt vmcnt(0)
	v_cvt_f64_u32_e32 v[0:1], v0
	s_branch .LBB143_1665
.LBB143_1663:
	s_mov_b64 s[6:7], -1
                                        ; implicit-def: $vgpr0_vgpr1
	s_branch .LBB143_1668
.LBB143_1664:
	s_mov_b64 s[6:7], -1
                                        ; implicit-def: $vgpr0_vgpr1
.LBB143_1665:
	s_andn2_b64 vcc, exec, s[6:7]
	s_cbranch_vccnz .LBB143_1667
; %bb.1666:
	global_load_ushort v0, v[19:20], off
	s_waitcnt vmcnt(0)
	v_cvt_f64_u32_e32 v[0:1], v0
.LBB143_1667:
	s_mov_b64 s[6:7], 0
.LBB143_1668:
	s_andn2_b64 vcc, exec, s[6:7]
	s_cbranch_vccnz .LBB143_1678
; %bb.1669:
	global_load_ubyte v5, v[19:20], off
	s_movk_i32 s6, 0x7f
	s_waitcnt vmcnt(0)
	v_cmp_lt_i16_e32 vcc, s6, v5
	s_mov_b64 s[6:7], 0
	s_and_saveexec_b64 s[16:17], vcc
	s_xor_b64 s[16:17], exec, s[16:17]
	s_cbranch_execz .LBB143_1673
; %bb.1670:
	s_movk_i32 s6, 0x80
	v_cmp_eq_u16_e32 vcc, s6, v5
	s_mov_b64 s[6:7], -1
	s_and_saveexec_b64 s[18:19], vcc
; %bb.1671:
	s_xor_b64 s[6:7], exec, -1
; %bb.1672:
	s_or_b64 exec, exec, s[18:19]
	s_and_b64 s[6:7], s[6:7], exec
.LBB143_1673:
	s_or_saveexec_b64 s[16:17], s[16:17]
	v_bfrev_b32_e32 v0, 4
	v_mov_b32_e32 v1, 0x7ff80000
	s_xor_b64 exec, exec, s[16:17]
; %bb.1674:
	v_cmp_ne_u16_e32 vcc, 0, v5
	v_mov_b32_e32 v0, 0
	s_andn2_b64 s[6:7], s[6:7], exec
	s_and_b64 s[18:19], vcc, exec
	v_mov_b32_e32 v1, 0
	s_or_b64 s[6:7], s[6:7], s[18:19]
; %bb.1675:
	s_or_b64 exec, exec, s[16:17]
	s_and_saveexec_b64 s[16:17], s[6:7]
	s_cbranch_execz .LBB143_1677
; %bb.1676:
	v_and_b32_e32 v1, 0xffff, v5
	v_lshlrev_b32_e32 v0, 24, v5
	v_and_b32_e32 v5, 7, v1
	v_ffbh_u32_e32 v10, v5
	v_min_u32_e32 v10, 32, v10
	v_subrev_u32_e32 v12, 28, v10
	v_bfe_u32 v7, v1, 3, 4
	v_lshlrev_b32_e32 v1, v12, v1
	v_sub_u32_e32 v10, 29, v10
	v_and_b32_e32 v1, 7, v1
	v_cmp_eq_u32_e32 vcc, 0, v7
	v_cndmask_b32_e32 v7, v7, v10, vcc
	v_cndmask_b32_e32 v1, v5, v1, vcc
	v_mov_b32_e32 v5, 0x3b800000
	v_lshlrev_b32_e32 v1, 20, v1
	v_and_b32_e32 v0, 0x80000000, v0
	v_lshl_add_u32 v5, v7, 23, v5
	v_or3_b32 v0, v0, v5, v1
	v_cvt_f64_f32_e32 v[0:1], v0
.LBB143_1677:
	s_or_b64 exec, exec, s[16:17]
.LBB143_1678:
	s_mov_b64 s[6:7], -1
.LBB143_1679:
	s_branch .LBB143_1709
.LBB143_1680:
	s_cmp_gt_i32 s21, 22
	s_cbranch_scc0 .LBB143_1692
; %bb.1681:
	s_cmp_lt_i32 s21, 24
	s_cbranch_scc1 .LBB143_1693
; %bb.1682:
	s_cmp_gt_i32 s21, 24
	s_cbranch_scc0 .LBB143_1694
; %bb.1683:
	global_load_ubyte v5, v[19:20], off
	s_movk_i32 s4, 0x7f
	s_waitcnt vmcnt(0)
	v_cmp_lt_i16_e32 vcc, s4, v5
	s_mov_b64 s[4:5], 0
	s_and_saveexec_b64 s[6:7], vcc
	s_xor_b64 s[6:7], exec, s[6:7]
	s_cbranch_execz .LBB143_1687
; %bb.1684:
	s_movk_i32 s4, 0x80
	v_cmp_eq_u16_e32 vcc, s4, v5
	s_mov_b64 s[4:5], -1
	s_and_saveexec_b64 s[16:17], vcc
; %bb.1685:
	s_xor_b64 s[4:5], exec, -1
; %bb.1686:
	s_or_b64 exec, exec, s[16:17]
	s_and_b64 s[4:5], s[4:5], exec
.LBB143_1687:
	s_or_saveexec_b64 s[6:7], s[6:7]
	v_bfrev_b32_e32 v0, 4
	v_mov_b32_e32 v1, 0x7ff80000
	s_xor_b64 exec, exec, s[6:7]
; %bb.1688:
	v_cmp_ne_u16_e32 vcc, 0, v5
	v_mov_b32_e32 v0, 0
	s_andn2_b64 s[4:5], s[4:5], exec
	s_and_b64 s[16:17], vcc, exec
	v_mov_b32_e32 v1, 0
	s_or_b64 s[4:5], s[4:5], s[16:17]
; %bb.1689:
	s_or_b64 exec, exec, s[6:7]
	s_and_saveexec_b64 s[6:7], s[4:5]
	s_cbranch_execz .LBB143_1691
; %bb.1690:
	v_and_b32_e32 v1, 0xffff, v5
	v_lshlrev_b32_e32 v0, 24, v5
	v_and_b32_e32 v5, 3, v1
	v_ffbh_u32_e32 v10, v5
	v_min_u32_e32 v10, 32, v10
	v_subrev_u32_e32 v12, 29, v10
	v_bfe_u32 v7, v1, 2, 5
	v_lshlrev_b32_e32 v1, v12, v1
	v_sub_u32_e32 v10, 30, v10
	v_and_b32_e32 v1, 3, v1
	v_cmp_eq_u32_e32 vcc, 0, v7
	v_cndmask_b32_e32 v7, v7, v10, vcc
	v_cndmask_b32_e32 v1, v5, v1, vcc
	v_mov_b32_e32 v5, 0x37800000
	v_lshlrev_b32_e32 v1, 21, v1
	v_and_b32_e32 v0, 0x80000000, v0
	v_lshl_add_u32 v5, v7, 23, v5
	v_or3_b32 v0, v0, v5, v1
	v_cvt_f64_f32_e32 v[0:1], v0
.LBB143_1691:
	s_or_b64 exec, exec, s[6:7]
	s_mov_b64 s[4:5], 0
	s_branch .LBB143_1695
.LBB143_1692:
                                        ; implicit-def: $vgpr0_vgpr1
	s_mov_b64 s[4:5], 0
	s_branch .LBB143_1701
.LBB143_1693:
	s_mov_b64 s[4:5], -1
                                        ; implicit-def: $vgpr0_vgpr1
	s_branch .LBB143_1698
.LBB143_1694:
	s_mov_b64 s[4:5], -1
                                        ; implicit-def: $vgpr0_vgpr1
.LBB143_1695:
	s_and_b64 vcc, exec, s[4:5]
	s_cbranch_vccz .LBB143_1697
; %bb.1696:
	global_load_ubyte v0, v[19:20], off
	s_mov_b32 s4, 0x7f800000
	s_waitcnt vmcnt(0)
	v_lshlrev_b32_e32 v0, 24, v0
	v_and_b32_e32 v1, 0x7f000000, v0
	v_ffbh_u32_e32 v5, v1
	v_min_u32_e32 v5, 32, v5
	v_sub_u32_e64 v5, v5, 4 clamp
	v_lshlrev_b32_e32 v10, v5, v1
	v_lshlrev_b32_e32 v5, 23, v5
	v_lshrrev_b32_e32 v10, 4, v10
	v_add_u32_e32 v7, 0x1000000, v1
	v_sub_u32_e32 v5, v10, v5
	v_ashrrev_i32_e32 v7, 8, v7
	v_add_u32_e32 v5, 0x3c000000, v5
	v_and_or_b32 v5, v7, s4, v5
	v_cmp_ne_u32_e32 vcc, 0, v1
	v_cndmask_b32_e32 v1, 0, v5, vcc
	s_brev_b32 s4, 1
	v_and_or_b32 v0, v0, s4, v1
	v_cvt_f64_f32_e32 v[0:1], v0
.LBB143_1697:
	s_mov_b64 s[4:5], 0
.LBB143_1698:
	s_andn2_b64 vcc, exec, s[4:5]
	s_cbranch_vccnz .LBB143_1700
; %bb.1699:
	global_load_ubyte v0, v[19:20], off
	s_movk_i32 s4, 0x7f00
	s_brev_b32 s5, 16
	s_waitcnt vmcnt(0)
	v_lshlrev_b16_e32 v1, 8, v0
	v_lshlrev_b32_e32 v0, 25, v0
	v_lshrrev_b32_e32 v5, 4, v0
	v_and_or_b32 v7, v1, s4, 0.5
	v_or_b32_e32 v5, 0x70000000, v5
	v_add_f32_e32 v7, -0.5, v7
	v_mul_f32_e32 v5, 0x7800000, v5
	v_cmp_gt_u32_e32 vcc, s5, v0
	v_bfe_i32 v1, v1, 0, 16
	v_cndmask_b32_e32 v0, v5, v7, vcc
	s_brev_b32 s4, 1
	v_and_or_b32 v0, v1, s4, v0
	v_cvt_f64_f32_e32 v[0:1], v0
.LBB143_1700:
	s_mov_b64 s[6:7], -1
	s_mov_b64 s[4:5], 0
	s_cbranch_execnz .LBB143_1709
.LBB143_1701:
	s_cmp_gt_i32 s21, 14
	s_cbranch_scc0 .LBB143_1704
; %bb.1702:
	s_cmp_eq_u32 s21, 15
	s_cbranch_scc0 .LBB143_1705
; %bb.1703:
	global_load_ushort v0, v[19:20], off
	s_mov_b64 s[0:1], 0
	s_mov_b64 s[6:7], -1
	s_waitcnt vmcnt(0)
	v_lshlrev_b32_e32 v0, 16, v0
	v_cvt_f64_f32_e32 v[0:1], v0
	s_branch .LBB143_1706
.LBB143_1704:
	s_mov_b64 s[16:17], -1
                                        ; implicit-def: $vgpr0_vgpr1
	s_branch .LBB143_1707
.LBB143_1705:
	s_mov_b64 s[0:1], -1
                                        ; implicit-def: $vgpr0_vgpr1
.LBB143_1706:
	s_mov_b64 s[16:17], 0
.LBB143_1707:
	s_and_b64 vcc, exec, s[16:17]
	s_cbranch_vccz .LBB143_1709
; %bb.1708:
	s_cmp_lg_u32 s21, 11
	s_mov_b64 s[4:5], -1
	s_cselect_b64 s[0:1], -1, 0
.LBB143_1709:
	s_and_b64 vcc, exec, s[0:1]
	s_mov_b64 s[16:17], s[12:13]
	s_cbranch_vccnz .LBB143_1770
; %bb.1710:
	s_andn2_b64 vcc, exec, s[4:5]
	s_cbranch_vccnz .LBB143_1712
.LBB143_1711:
	global_load_ubyte v1, v[19:20], off
	v_mov_b32_e32 v5, 0x3ff00000
	v_mov_b32_e32 v0, 0
	s_mov_b64 s[6:7], -1
	s_waitcnt vmcnt(0)
	v_cmp_ne_u16_e32 vcc, 0, v1
	v_cndmask_b32_e32 v1, 0, v5, vcc
.LBB143_1712:
	s_branch .LBB143_1642
.LBB143_1713:
	s_and_b32 s4, 0xffff, s20
	s_cmp_lt_i32 s4, 5
	s_cbranch_scc1 .LBB143_1718
; %bb.1714:
	s_cmp_lt_i32 s4, 8
	s_cbranch_scc1 .LBB143_1719
; %bb.1715:
	;; [unrolled: 3-line block ×3, first 2 shown]
	s_cmp_gt_i32 s4, 9
	s_cbranch_scc0 .LBB143_1721
; %bb.1717:
	global_load_dwordx2 v[0:1], v[19:20], off
	s_mov_b64 s[0:1], 0
	s_branch .LBB143_1722
.LBB143_1718:
                                        ; implicit-def: $vgpr0_vgpr1
	s_branch .LBB143_1739
.LBB143_1719:
                                        ; implicit-def: $vgpr0_vgpr1
	s_branch .LBB143_1728
.LBB143_1720:
	s_mov_b64 s[0:1], -1
                                        ; implicit-def: $vgpr0_vgpr1
	s_branch .LBB143_1725
.LBB143_1721:
	s_mov_b64 s[0:1], -1
                                        ; implicit-def: $vgpr0_vgpr1
.LBB143_1722:
	s_andn2_b64 vcc, exec, s[0:1]
	s_cbranch_vccnz .LBB143_1724
; %bb.1723:
	global_load_dword v0, v[19:20], off
	s_waitcnt vmcnt(0)
	v_cvt_f64_f32_e32 v[0:1], v0
.LBB143_1724:
	s_mov_b64 s[0:1], 0
.LBB143_1725:
	s_andn2_b64 vcc, exec, s[0:1]
	s_cbranch_vccnz .LBB143_1727
; %bb.1726:
	global_load_dword v0, v[19:20], off
	s_waitcnt vmcnt(0)
	v_cvt_f32_f16_e32 v0, v0
	v_cvt_f64_f32_e32 v[0:1], v0
.LBB143_1727:
	s_cbranch_execnz .LBB143_1738
.LBB143_1728:
	s_cmp_lt_i32 s4, 6
	s_cbranch_scc1 .LBB143_1731
; %bb.1729:
	s_cmp_gt_i32 s4, 6
	s_cbranch_scc0 .LBB143_1732
; %bb.1730:
	global_load_dwordx2 v[0:1], v[19:20], off
	s_mov_b64 s[0:1], 0
	s_branch .LBB143_1733
.LBB143_1731:
	s_mov_b64 s[0:1], -1
                                        ; implicit-def: $vgpr0_vgpr1
	s_branch .LBB143_1736
.LBB143_1732:
	s_mov_b64 s[0:1], -1
                                        ; implicit-def: $vgpr0_vgpr1
.LBB143_1733:
	s_andn2_b64 vcc, exec, s[0:1]
	s_cbranch_vccnz .LBB143_1735
; %bb.1734:
	global_load_dword v0, v[19:20], off
	s_waitcnt vmcnt(0)
	v_cvt_f64_f32_e32 v[0:1], v0
.LBB143_1735:
	s_mov_b64 s[0:1], 0
.LBB143_1736:
	s_andn2_b64 vcc, exec, s[0:1]
	s_cbranch_vccnz .LBB143_1738
; %bb.1737:
	global_load_ushort v0, v[19:20], off
	s_waitcnt vmcnt(0)
	v_cvt_f32_f16_e32 v0, v0
	v_cvt_f64_f32_e32 v[0:1], v0
.LBB143_1738:
	s_cbranch_execnz .LBB143_1757
.LBB143_1739:
	s_cmp_lt_i32 s4, 2
	s_cbranch_scc1 .LBB143_1743
; %bb.1740:
	s_cmp_lt_i32 s4, 3
	s_cbranch_scc1 .LBB143_1744
; %bb.1741:
	s_cmp_gt_i32 s4, 3
	s_cbranch_scc0 .LBB143_1745
; %bb.1742:
	global_load_dwordx2 v[0:1], v[19:20], off
	s_mov_b64 s[0:1], 0
	s_waitcnt vmcnt(0)
	v_cvt_f64_i32_e32 v[21:22], v1
	v_cvt_f64_u32_e32 v[0:1], v0
	v_ldexp_f64 v[21:22], v[21:22], 32
	v_add_f64 v[0:1], v[21:22], v[0:1]
	s_branch .LBB143_1746
.LBB143_1743:
                                        ; implicit-def: $vgpr0_vgpr1
	s_branch .LBB143_1752
.LBB143_1744:
	s_mov_b64 s[0:1], -1
                                        ; implicit-def: $vgpr0_vgpr1
	s_branch .LBB143_1749
.LBB143_1745:
	s_mov_b64 s[0:1], -1
                                        ; implicit-def: $vgpr0_vgpr1
.LBB143_1746:
	s_andn2_b64 vcc, exec, s[0:1]
	s_cbranch_vccnz .LBB143_1748
; %bb.1747:
	global_load_dword v0, v[19:20], off
	s_waitcnt vmcnt(0)
	v_cvt_f64_i32_e32 v[0:1], v0
.LBB143_1748:
	s_mov_b64 s[0:1], 0
.LBB143_1749:
	s_andn2_b64 vcc, exec, s[0:1]
	s_cbranch_vccnz .LBB143_1751
; %bb.1750:
	global_load_sshort v0, v[19:20], off
	s_waitcnt vmcnt(0)
	v_cvt_f64_i32_e32 v[0:1], v0
.LBB143_1751:
	s_cbranch_execnz .LBB143_1757
.LBB143_1752:
	s_cmp_gt_i32 s4, 0
	s_cbranch_scc0 .LBB143_1754
; %bb.1753:
	global_load_sbyte v0, v[19:20], off
	s_mov_b64 s[0:1], 0
	s_waitcnt vmcnt(0)
	v_cvt_f64_i32_e32 v[0:1], v0
	s_branch .LBB143_1755
.LBB143_1754:
	s_mov_b64 s[0:1], -1
                                        ; implicit-def: $vgpr0_vgpr1
.LBB143_1755:
	s_andn2_b64 vcc, exec, s[0:1]
	s_cbranch_vccnz .LBB143_1757
; %bb.1756:
	global_load_ubyte v0, v[19:20], off
	s_waitcnt vmcnt(0)
	v_cvt_f64_u32_e32 v[0:1], v0
.LBB143_1757:
.LBB143_1758:
	s_load_dwordx2 s[0:1], s[2:3], 0x198
	s_bfe_u32 s24, s25, 0x80010
	s_cmp_lt_i32 s24, 11
	s_waitcnt lgkmcnt(0)
	v_mov_b32_e32 v5, s1
	v_add_co_u32_e32 v19, vcc, s0, v13
	v_addc_co_u32_e32 v20, vcc, 0, v5, vcc
	s_cbranch_scc1 .LBB143_1765
; %bb.1759:
	s_and_b32 s26, 0xffff, s24
	s_cmp_gt_i32 s26, 25
	s_mov_b64 s[6:7], 0
	s_cbranch_scc0 .LBB143_1767
; %bb.1760:
	s_cmp_gt_i32 s26, 28
	s_cbranch_scc0 .LBB143_1768
; %bb.1761:
	s_cmp_gt_i32 s26, 43
	;; [unrolled: 3-line block ×3, first 2 shown]
	s_cbranch_scc0 .LBB143_1771
; %bb.1763:
	s_cmp_eq_u32 s26, 46
	s_mov_b64 s[20:21], 0
	s_cbranch_scc0 .LBB143_1774
; %bb.1764:
	global_load_dword v5, v[19:20], off
	s_mov_b64 s[4:5], 0
	s_mov_b64 s[18:19], -1
	s_waitcnt vmcnt(0)
	v_lshlrev_b32_e32 v5, 16, v5
	v_cvt_f64_f32_e32 v[12:13], v5
	s_branch .LBB143_1775
.LBB143_1765:
	s_mov_b64 s[18:19], 0
                                        ; implicit-def: $vgpr12_vgpr13
	s_cbranch_execnz .LBB143_1840
.LBB143_1766:
	s_andn2_b64 vcc, exec, s[18:19]
	s_cbranch_vccnz .LBB143_3101
	s_branch .LBB143_1887
.LBB143_1767:
	s_mov_b64 s[18:19], 0
	s_mov_b64 s[4:5], 0
                                        ; implicit-def: $vgpr12_vgpr13
	s_cbranch_execnz .LBB143_1806
	s_branch .LBB143_1836
.LBB143_1768:
	s_mov_b64 s[20:21], -1
	s_mov_b64 s[18:19], 0
	s_mov_b64 s[4:5], 0
                                        ; implicit-def: $vgpr12_vgpr13
	s_branch .LBB143_1785
.LBB143_1769:
	s_mov_b64 s[20:21], -1
	s_mov_b64 s[18:19], 0
	s_mov_b64 s[4:5], 0
                                        ; implicit-def: $vgpr12_vgpr13
	s_branch .LBB143_1780
.LBB143_1770:
	s_or_b64 s[16:17], s[12:13], exec
	s_trap 2
	s_cbranch_execz .LBB143_1711
	s_branch .LBB143_1712
.LBB143_1771:
	s_mov_b64 s[20:21], -1
	s_mov_b64 s[18:19], 0
	s_mov_b64 s[4:5], 0
                                        ; implicit-def: $vgpr12_vgpr13
	s_branch .LBB143_1775
.LBB143_1772:
	s_andn2_saveexec_b64 s[18:19], s[18:19]
	s_cbranch_execz .LBB143_1514
.LBB143_1773:
	s_mov_b32 s21, 0x42800000
	v_add_f32_e64 v3, |v2|, s21
	v_and_b32_e32 v3, 0xff, v3
	v_cmp_ne_u32_e32 vcc, 0, v3
	s_andn2_b64 s[16:17], s[16:17], exec
	s_and_b64 s[28:29], vcc, exec
	s_or_b64 s[16:17], s[16:17], s[28:29]
	s_or_b64 exec, exec, s[18:19]
	v_mov_b32_e32 v4, 0
	s_and_saveexec_b64 s[18:19], s[16:17]
	s_cbranch_execnz .LBB143_1515
	s_branch .LBB143_1516
.LBB143_1774:
	s_mov_b64 s[4:5], -1
                                        ; implicit-def: $vgpr12_vgpr13
	s_mov_b64 s[18:19], 0
.LBB143_1775:
	s_and_b64 vcc, exec, s[20:21]
	s_cbranch_vccz .LBB143_1779
; %bb.1776:
	s_cmp_eq_u32 s26, 44
	s_cbranch_scc0 .LBB143_1778
; %bb.1777:
	global_load_ubyte v5, v[19:20], off
	s_movk_i32 s18, 0xff
	v_bfrev_b32_e32 v7, 4
	v_mov_b32_e32 v10, 0x7ff80000
	v_bfrev_b32_e32 v15, 28
	s_mov_b64 s[4:5], 0
	s_waitcnt vmcnt(0)
	v_lshlrev_b32_e32 v12, 23, v5
	v_cvt_f64_f32_e32 v[12:13], v12
	v_cmp_ne_u32_e32 vcc, s18, v5
	s_mov_b64 s[18:19], -1
	v_cndmask_b32_e32 v7, v7, v12, vcc
	v_cndmask_b32_e32 v10, v10, v13, vcc
	v_cmp_ne_u32_e32 vcc, 0, v5
	v_cndmask_b32_e32 v13, v15, v10, vcc
	v_cndmask_b32_e32 v12, 0, v7, vcc
	s_branch .LBB143_1779
.LBB143_1778:
	s_mov_b64 s[4:5], -1
                                        ; implicit-def: $vgpr12_vgpr13
.LBB143_1779:
	s_mov_b64 s[20:21], 0
.LBB143_1780:
	s_and_b64 vcc, exec, s[20:21]
	s_cbranch_vccz .LBB143_1784
; %bb.1781:
	s_cmp_eq_u32 s26, 29
	s_cbranch_scc0 .LBB143_1783
; %bb.1782:
	global_load_dwordx2 v[12:13], v[19:20], off
	s_mov_b64 s[4:5], 0
	s_mov_b64 s[18:19], -1
	s_mov_b64 s[20:21], 0
	s_waitcnt vmcnt(0)
	v_cvt_f64_u32_e32 v[21:22], v13
	v_cvt_f64_u32_e32 v[12:13], v12
	v_ldexp_f64 v[21:22], v[21:22], 32
	v_add_f64 v[12:13], v[21:22], v[12:13]
	s_branch .LBB143_1785
.LBB143_1783:
	s_mov_b64 s[4:5], -1
                                        ; implicit-def: $vgpr12_vgpr13
.LBB143_1784:
	s_mov_b64 s[20:21], 0
.LBB143_1785:
	s_and_b64 vcc, exec, s[20:21]
	s_cbranch_vccz .LBB143_1805
; %bb.1786:
	s_cmp_lt_i32 s26, 27
	s_cbranch_scc1 .LBB143_1789
; %bb.1787:
	s_cmp_gt_i32 s26, 27
	s_cbranch_scc0 .LBB143_1790
; %bb.1788:
	global_load_dword v5, v[19:20], off
	s_mov_b64 s[18:19], 0
	s_waitcnt vmcnt(0)
	v_cvt_f64_u32_e32 v[12:13], v5
	s_branch .LBB143_1791
.LBB143_1789:
	s_mov_b64 s[18:19], -1
                                        ; implicit-def: $vgpr12_vgpr13
	s_branch .LBB143_1794
.LBB143_1790:
	s_mov_b64 s[18:19], -1
                                        ; implicit-def: $vgpr12_vgpr13
.LBB143_1791:
	s_andn2_b64 vcc, exec, s[18:19]
	s_cbranch_vccnz .LBB143_1793
; %bb.1792:
	global_load_ushort v5, v[19:20], off
	s_waitcnt vmcnt(0)
	v_cvt_f64_u32_e32 v[12:13], v5
.LBB143_1793:
	s_mov_b64 s[18:19], 0
.LBB143_1794:
	s_andn2_b64 vcc, exec, s[18:19]
	s_cbranch_vccnz .LBB143_1804
; %bb.1795:
	global_load_ubyte v5, v[19:20], off
	s_movk_i32 s18, 0x7f
	s_waitcnt vmcnt(0)
	v_cmp_lt_i16_e32 vcc, s18, v5
	s_mov_b64 s[18:19], 0
	s_and_saveexec_b64 s[20:21], vcc
	s_xor_b64 s[20:21], exec, s[20:21]
	s_cbranch_execz .LBB143_1799
; %bb.1796:
	s_movk_i32 s18, 0x80
	v_cmp_eq_u16_e32 vcc, s18, v5
	s_mov_b64 s[18:19], -1
	s_and_saveexec_b64 s[22:23], vcc
; %bb.1797:
	s_xor_b64 s[18:19], exec, -1
; %bb.1798:
	s_or_b64 exec, exec, s[22:23]
	s_and_b64 s[18:19], s[18:19], exec
.LBB143_1799:
	s_or_saveexec_b64 s[20:21], s[20:21]
	v_bfrev_b32_e32 v12, 4
	v_mov_b32_e32 v13, 0x7ff80000
	s_xor_b64 exec, exec, s[20:21]
; %bb.1800:
	v_cmp_ne_u16_e32 vcc, 0, v5
	v_mov_b32_e32 v12, 0
	s_andn2_b64 s[18:19], s[18:19], exec
	s_and_b64 s[22:23], vcc, exec
	v_mov_b32_e32 v13, 0
	s_or_b64 s[18:19], s[18:19], s[22:23]
; %bb.1801:
	s_or_b64 exec, exec, s[20:21]
	s_and_saveexec_b64 s[20:21], s[18:19]
	s_cbranch_execz .LBB143_1803
; %bb.1802:
	v_lshlrev_b32_e32 v7, 24, v5
	v_and_b32_e32 v5, 0xffff, v5
	v_and_b32_e32 v10, 7, v5
	v_ffbh_u32_e32 v13, v10
	v_min_u32_e32 v13, 32, v13
	v_subrev_u32_e32 v15, 28, v13
	v_bfe_u32 v12, v5, 3, 4
	v_lshlrev_b32_e32 v5, v15, v5
	v_sub_u32_e32 v13, 29, v13
	v_and_b32_e32 v5, 7, v5
	v_cmp_eq_u32_e32 vcc, 0, v12
	v_cndmask_b32_e32 v12, v12, v13, vcc
	v_cndmask_b32_e32 v5, v10, v5, vcc
	v_mov_b32_e32 v10, 0x3b800000
	v_lshlrev_b32_e32 v5, 20, v5
	v_and_b32_e32 v7, 0x80000000, v7
	v_lshl_add_u32 v10, v12, 23, v10
	v_or3_b32 v5, v7, v10, v5
	v_cvt_f64_f32_e32 v[12:13], v5
.LBB143_1803:
	s_or_b64 exec, exec, s[20:21]
.LBB143_1804:
	s_mov_b64 s[18:19], -1
.LBB143_1805:
	s_branch .LBB143_1836
.LBB143_1806:
	s_cmp_gt_i32 s26, 22
	s_cbranch_scc0 .LBB143_1818
; %bb.1807:
	s_cmp_lt_i32 s26, 24
	s_cbranch_scc1 .LBB143_1819
; %bb.1808:
	s_cmp_gt_i32 s26, 24
	s_cbranch_scc0 .LBB143_1820
; %bb.1809:
	global_load_ubyte v5, v[19:20], off
	s_movk_i32 s6, 0x7f
	s_waitcnt vmcnt(0)
	v_cmp_lt_i16_e32 vcc, s6, v5
	s_mov_b64 s[6:7], 0
	s_and_saveexec_b64 s[18:19], vcc
	s_xor_b64 s[18:19], exec, s[18:19]
	s_cbranch_execz .LBB143_1813
; %bb.1810:
	s_movk_i32 s6, 0x80
	v_cmp_eq_u16_e32 vcc, s6, v5
	s_mov_b64 s[6:7], -1
	s_and_saveexec_b64 s[20:21], vcc
; %bb.1811:
	s_xor_b64 s[6:7], exec, -1
; %bb.1812:
	s_or_b64 exec, exec, s[20:21]
	s_and_b64 s[6:7], s[6:7], exec
.LBB143_1813:
	s_or_saveexec_b64 s[18:19], s[18:19]
	v_bfrev_b32_e32 v12, 4
	v_mov_b32_e32 v13, 0x7ff80000
	s_xor_b64 exec, exec, s[18:19]
; %bb.1814:
	v_cmp_ne_u16_e32 vcc, 0, v5
	v_mov_b32_e32 v12, 0
	s_andn2_b64 s[6:7], s[6:7], exec
	s_and_b64 s[20:21], vcc, exec
	v_mov_b32_e32 v13, 0
	s_or_b64 s[6:7], s[6:7], s[20:21]
; %bb.1815:
	s_or_b64 exec, exec, s[18:19]
	s_and_saveexec_b64 s[18:19], s[6:7]
	s_cbranch_execz .LBB143_1817
; %bb.1816:
	v_lshlrev_b32_e32 v7, 24, v5
	v_and_b32_e32 v5, 0xffff, v5
	v_and_b32_e32 v10, 3, v5
	v_ffbh_u32_e32 v13, v10
	v_min_u32_e32 v13, 32, v13
	v_subrev_u32_e32 v15, 29, v13
	v_bfe_u32 v12, v5, 2, 5
	v_lshlrev_b32_e32 v5, v15, v5
	v_sub_u32_e32 v13, 30, v13
	v_and_b32_e32 v5, 3, v5
	v_cmp_eq_u32_e32 vcc, 0, v12
	v_cndmask_b32_e32 v12, v12, v13, vcc
	v_cndmask_b32_e32 v5, v10, v5, vcc
	v_mov_b32_e32 v10, 0x37800000
	v_lshlrev_b32_e32 v5, 21, v5
	v_and_b32_e32 v7, 0x80000000, v7
	v_lshl_add_u32 v10, v12, 23, v10
	v_or3_b32 v5, v7, v10, v5
	v_cvt_f64_f32_e32 v[12:13], v5
.LBB143_1817:
	s_or_b64 exec, exec, s[18:19]
	s_mov_b64 s[6:7], 0
	s_branch .LBB143_1821
.LBB143_1818:
	s_mov_b64 s[6:7], -1
                                        ; implicit-def: $vgpr12_vgpr13
	s_branch .LBB143_1827
.LBB143_1819:
	s_mov_b64 s[6:7], -1
                                        ; implicit-def: $vgpr12_vgpr13
	s_branch .LBB143_1824
.LBB143_1820:
	s_mov_b64 s[6:7], -1
                                        ; implicit-def: $vgpr12_vgpr13
.LBB143_1821:
	s_and_b64 vcc, exec, s[6:7]
	s_cbranch_vccz .LBB143_1823
; %bb.1822:
	global_load_ubyte v5, v[19:20], off
	s_mov_b32 s6, 0x7f800000
	s_waitcnt vmcnt(0)
	v_lshlrev_b32_e32 v5, 24, v5
	v_and_b32_e32 v7, 0x7f000000, v5
	v_ffbh_u32_e32 v10, v7
	v_min_u32_e32 v10, 32, v10
	v_sub_u32_e64 v10, v10, 4 clamp
	v_lshlrev_b32_e32 v13, v10, v7
	v_lshlrev_b32_e32 v10, 23, v10
	v_lshrrev_b32_e32 v13, 4, v13
	v_add_u32_e32 v12, 0x1000000, v7
	v_sub_u32_e32 v10, v13, v10
	v_ashrrev_i32_e32 v12, 8, v12
	v_add_u32_e32 v10, 0x3c000000, v10
	v_and_or_b32 v10, v12, s6, v10
	v_cmp_ne_u32_e32 vcc, 0, v7
	v_cndmask_b32_e32 v7, 0, v10, vcc
	s_brev_b32 s6, 1
	v_and_or_b32 v5, v5, s6, v7
	v_cvt_f64_f32_e32 v[12:13], v5
.LBB143_1823:
	s_mov_b64 s[6:7], 0
.LBB143_1824:
	s_andn2_b64 vcc, exec, s[6:7]
	s_cbranch_vccnz .LBB143_1826
; %bb.1825:
	global_load_ubyte v5, v[19:20], off
	s_movk_i32 s6, 0x7f00
	s_brev_b32 s7, 16
	s_waitcnt vmcnt(0)
	v_lshlrev_b16_e32 v7, 8, v5
	v_lshlrev_b32_e32 v5, 25, v5
	v_lshrrev_b32_e32 v10, 4, v5
	v_and_or_b32 v12, v7, s6, 0.5
	v_or_b32_e32 v10, 0x70000000, v10
	v_add_f32_e32 v12, -0.5, v12
	v_mul_f32_e32 v10, 0x7800000, v10
	v_cmp_gt_u32_e32 vcc, s7, v5
	v_bfe_i32 v7, v7, 0, 16
	v_cndmask_b32_e32 v5, v10, v12, vcc
	s_brev_b32 s6, 1
	v_and_or_b32 v5, v7, s6, v5
	v_cvt_f64_f32_e32 v[12:13], v5
.LBB143_1826:
	s_mov_b64 s[6:7], 0
	s_mov_b64 s[18:19], -1
.LBB143_1827:
	s_andn2_b64 vcc, exec, s[6:7]
	s_mov_b64 s[6:7], 0
	s_cbranch_vccnz .LBB143_1836
; %bb.1828:
	s_cmp_gt_i32 s26, 14
	s_cbranch_scc0 .LBB143_1831
; %bb.1829:
	s_cmp_eq_u32 s26, 15
	s_cbranch_scc0 .LBB143_1832
; %bb.1830:
	global_load_ushort v5, v[19:20], off
	s_mov_b64 s[4:5], 0
	s_mov_b64 s[18:19], -1
	s_waitcnt vmcnt(0)
	v_lshlrev_b32_e32 v5, 16, v5
	v_cvt_f64_f32_e32 v[12:13], v5
	s_branch .LBB143_1833
.LBB143_1831:
	s_mov_b64 s[20:21], -1
                                        ; implicit-def: $vgpr12_vgpr13
	s_branch .LBB143_1834
.LBB143_1832:
	s_mov_b64 s[4:5], -1
                                        ; implicit-def: $vgpr12_vgpr13
.LBB143_1833:
	s_mov_b64 s[20:21], 0
.LBB143_1834:
	s_and_b64 vcc, exec, s[20:21]
	s_cbranch_vccz .LBB143_1836
; %bb.1835:
	s_cmp_lg_u32 s26, 11
	s_mov_b64 s[6:7], -1
	s_cselect_b64 s[4:5], -1, 0
.LBB143_1836:
	s_and_b64 vcc, exec, s[4:5]
	s_cbranch_vccnz .LBB143_1899
; %bb.1837:
	s_andn2_b64 vcc, exec, s[6:7]
	s_cbranch_vccnz .LBB143_1839
.LBB143_1838:
	global_load_ubyte v5, v[19:20], off
	v_mov_b32_e32 v7, 0x3ff00000
	v_mov_b32_e32 v12, 0
	s_mov_b64 s[18:19], -1
	s_waitcnt vmcnt(0)
	v_cmp_ne_u16_e32 vcc, 0, v5
	v_cndmask_b32_e32 v13, 0, v7, vcc
.LBB143_1839:
	s_branch .LBB143_1766
.LBB143_1840:
	s_and_b32 s6, 0xffff, s24
	s_cmp_lt_i32 s6, 5
	s_cbranch_scc1 .LBB143_1845
; %bb.1841:
	s_cmp_lt_i32 s6, 8
	s_cbranch_scc1 .LBB143_1846
; %bb.1842:
	;; [unrolled: 3-line block ×3, first 2 shown]
	s_cmp_gt_i32 s6, 9
	s_cbranch_scc0 .LBB143_1848
; %bb.1844:
	global_load_dwordx2 v[12:13], v[19:20], off
	s_mov_b64 s[4:5], 0
	s_branch .LBB143_1849
.LBB143_1845:
                                        ; implicit-def: $vgpr12_vgpr13
	s_branch .LBB143_1867
.LBB143_1846:
	s_mov_b64 s[4:5], -1
                                        ; implicit-def: $vgpr12_vgpr13
	s_branch .LBB143_1855
.LBB143_1847:
	s_mov_b64 s[4:5], -1
                                        ; implicit-def: $vgpr12_vgpr13
	s_branch .LBB143_1852
.LBB143_1848:
	s_mov_b64 s[4:5], -1
                                        ; implicit-def: $vgpr12_vgpr13
.LBB143_1849:
	s_andn2_b64 vcc, exec, s[4:5]
	s_cbranch_vccnz .LBB143_1851
; %bb.1850:
	global_load_dword v5, v[19:20], off
	s_waitcnt vmcnt(0)
	v_cvt_f64_f32_e32 v[12:13], v5
.LBB143_1851:
	s_mov_b64 s[4:5], 0
.LBB143_1852:
	s_andn2_b64 vcc, exec, s[4:5]
	s_cbranch_vccnz .LBB143_1854
; %bb.1853:
	global_load_dword v5, v[19:20], off
	s_waitcnt vmcnt(0)
	v_cvt_f32_f16_e32 v5, v5
	v_cvt_f64_f32_e32 v[12:13], v5
.LBB143_1854:
	s_mov_b64 s[4:5], 0
.LBB143_1855:
	s_andn2_b64 vcc, exec, s[4:5]
	s_cbranch_vccnz .LBB143_1866
; %bb.1856:
	s_cmp_lt_i32 s6, 6
	s_cbranch_scc1 .LBB143_1859
; %bb.1857:
	s_cmp_gt_i32 s6, 6
	s_cbranch_scc0 .LBB143_1860
; %bb.1858:
	global_load_dwordx2 v[12:13], v[19:20], off
	s_mov_b64 s[4:5], 0
	s_branch .LBB143_1861
.LBB143_1859:
	s_mov_b64 s[4:5], -1
                                        ; implicit-def: $vgpr12_vgpr13
	s_branch .LBB143_1864
.LBB143_1860:
	s_mov_b64 s[4:5], -1
                                        ; implicit-def: $vgpr12_vgpr13
.LBB143_1861:
	s_andn2_b64 vcc, exec, s[4:5]
	s_cbranch_vccnz .LBB143_1863
; %bb.1862:
	global_load_dword v5, v[19:20], off
	s_waitcnt vmcnt(0)
	v_cvt_f64_f32_e32 v[12:13], v5
.LBB143_1863:
	s_mov_b64 s[4:5], 0
.LBB143_1864:
	s_andn2_b64 vcc, exec, s[4:5]
	s_cbranch_vccnz .LBB143_1866
; %bb.1865:
	global_load_ushort v5, v[19:20], off
	s_waitcnt vmcnt(0)
	v_cvt_f32_f16_e32 v5, v5
	v_cvt_f64_f32_e32 v[12:13], v5
.LBB143_1866:
	s_cbranch_execnz .LBB143_1886
.LBB143_1867:
	s_cmp_lt_i32 s6, 2
	s_cbranch_scc1 .LBB143_1871
; %bb.1868:
	s_cmp_lt_i32 s6, 3
	s_cbranch_scc1 .LBB143_1872
; %bb.1869:
	s_cmp_gt_i32 s6, 3
	s_cbranch_scc0 .LBB143_1873
; %bb.1870:
	global_load_dwordx2 v[12:13], v[19:20], off
	s_mov_b64 s[4:5], 0
	s_waitcnt vmcnt(0)
	v_cvt_f64_i32_e32 v[21:22], v13
	v_cvt_f64_u32_e32 v[12:13], v12
	v_ldexp_f64 v[21:22], v[21:22], 32
	v_add_f64 v[12:13], v[21:22], v[12:13]
	s_branch .LBB143_1874
.LBB143_1871:
	s_mov_b64 s[4:5], -1
                                        ; implicit-def: $vgpr12_vgpr13
	s_branch .LBB143_1880
.LBB143_1872:
	s_mov_b64 s[4:5], -1
                                        ; implicit-def: $vgpr12_vgpr13
	s_branch .LBB143_1877
.LBB143_1873:
	s_mov_b64 s[4:5], -1
                                        ; implicit-def: $vgpr12_vgpr13
.LBB143_1874:
	s_andn2_b64 vcc, exec, s[4:5]
	s_cbranch_vccnz .LBB143_1876
; %bb.1875:
	global_load_dword v5, v[19:20], off
	s_waitcnt vmcnt(0)
	v_cvt_f64_i32_e32 v[12:13], v5
.LBB143_1876:
	s_mov_b64 s[4:5], 0
.LBB143_1877:
	s_andn2_b64 vcc, exec, s[4:5]
	s_cbranch_vccnz .LBB143_1879
; %bb.1878:
	global_load_sshort v5, v[19:20], off
	s_waitcnt vmcnt(0)
	v_cvt_f64_i32_e32 v[12:13], v5
.LBB143_1879:
	s_mov_b64 s[4:5], 0
.LBB143_1880:
	s_andn2_b64 vcc, exec, s[4:5]
	s_cbranch_vccnz .LBB143_1886
; %bb.1881:
	s_cmp_gt_i32 s6, 0
	s_cbranch_scc0 .LBB143_1883
; %bb.1882:
	global_load_sbyte v5, v[19:20], off
	s_mov_b64 s[4:5], 0
	s_waitcnt vmcnt(0)
	v_cvt_f64_i32_e32 v[12:13], v5
	s_branch .LBB143_1884
.LBB143_1883:
	s_mov_b64 s[4:5], -1
                                        ; implicit-def: $vgpr12_vgpr13
.LBB143_1884:
	s_andn2_b64 vcc, exec, s[4:5]
	s_cbranch_vccnz .LBB143_1886
; %bb.1885:
	global_load_ubyte v5, v[19:20], off
	s_waitcnt vmcnt(0)
	v_cvt_f64_u32_e32 v[12:13], v5
.LBB143_1886:
.LBB143_1887:
	s_lshr_b32 s4, s25, 8
	v_mov_b32_e32 v5, s11
	s_and_b32 s24, s4, 0xff
	v_add_co_u32_e32 v19, vcc, s10, v11
	s_cmp_lt_i32 s24, 11
	v_addc_co_u32_e32 v20, vcc, 0, v5, vcc
	s_cbranch_scc1 .LBB143_1894
; %bb.1888:
	s_and_b32 s26, 0xffff, s24
	s_cmp_gt_i32 s26, 25
	s_mov_b64 s[6:7], 0
	s_cbranch_scc0 .LBB143_1896
; %bb.1889:
	s_cmp_gt_i32 s26, 28
	s_cbranch_scc0 .LBB143_1897
; %bb.1890:
	s_cmp_gt_i32 s26, 43
	;; [unrolled: 3-line block ×3, first 2 shown]
	s_cbranch_scc0 .LBB143_1900
; %bb.1892:
	s_cmp_eq_u32 s26, 46
	s_mov_b64 s[20:21], 0
	s_cbranch_scc0 .LBB143_1901
; %bb.1893:
	global_load_dword v5, v[19:20], off
	s_mov_b64 s[4:5], 0
	s_mov_b64 s[18:19], -1
	s_waitcnt vmcnt(0)
	v_lshlrev_b32_e32 v5, 16, v5
	v_cvt_f64_f32_e32 v[10:11], v5
	s_branch .LBB143_1902
.LBB143_1894:
	s_mov_b64 s[18:19], 0
                                        ; implicit-def: $vgpr10_vgpr11
	s_cbranch_execnz .LBB143_1968
.LBB143_1895:
	s_andn2_b64 vcc, exec, s[18:19]
	s_cbranch_vccnz .LBB143_3101
	s_branch .LBB143_2016
.LBB143_1896:
	s_mov_b64 s[20:21], -1
	s_mov_b64 s[18:19], 0
	s_mov_b64 s[4:5], 0
                                        ; implicit-def: $vgpr10_vgpr11
	s_branch .LBB143_1933
.LBB143_1897:
	s_mov_b64 s[20:21], -1
	s_mov_b64 s[18:19], 0
	s_mov_b64 s[4:5], 0
                                        ; implicit-def: $vgpr10_vgpr11
	s_branch .LBB143_1912
.LBB143_1898:
	s_mov_b64 s[20:21], -1
	s_mov_b64 s[18:19], 0
	s_mov_b64 s[4:5], 0
                                        ; implicit-def: $vgpr10_vgpr11
	s_branch .LBB143_1907
.LBB143_1899:
	s_trap 2
	s_or_b64 s[16:17], s[16:17], exec
	s_cbranch_execz .LBB143_1838
	s_branch .LBB143_1839
.LBB143_1900:
	s_mov_b64 s[20:21], -1
	s_mov_b64 s[18:19], 0
	s_mov_b64 s[4:5], 0
                                        ; implicit-def: $vgpr10_vgpr11
	s_branch .LBB143_1902
.LBB143_1901:
	s_mov_b64 s[4:5], -1
                                        ; implicit-def: $vgpr10_vgpr11
	s_mov_b64 s[18:19], 0
.LBB143_1902:
	s_and_b64 vcc, exec, s[20:21]
	s_cbranch_vccz .LBB143_1906
; %bb.1903:
	s_cmp_eq_u32 s26, 44
	s_cbranch_scc0 .LBB143_1905
; %bb.1904:
	global_load_ubyte v5, v[19:20], off
	s_movk_i32 s18, 0xff
	v_bfrev_b32_e32 v7, 4
	v_mov_b32_e32 v15, 0x7ff80000
	v_bfrev_b32_e32 v17, 28
	s_mov_b64 s[4:5], 0
	s_waitcnt vmcnt(0)
	v_lshlrev_b32_e32 v10, 23, v5
	v_cvt_f64_f32_e32 v[10:11], v10
	v_cmp_ne_u32_e32 vcc, s18, v5
	s_mov_b64 s[18:19], -1
	v_cndmask_b32_e32 v7, v7, v10, vcc
	v_cndmask_b32_e32 v10, v15, v11, vcc
	v_cmp_ne_u32_e32 vcc, 0, v5
	v_cndmask_b32_e32 v11, v17, v10, vcc
	v_cndmask_b32_e32 v10, 0, v7, vcc
	s_branch .LBB143_1906
.LBB143_1905:
	s_mov_b64 s[4:5], -1
                                        ; implicit-def: $vgpr10_vgpr11
.LBB143_1906:
	s_mov_b64 s[20:21], 0
.LBB143_1907:
	s_and_b64 vcc, exec, s[20:21]
	s_cbranch_vccz .LBB143_1911
; %bb.1908:
	s_cmp_eq_u32 s26, 29
	s_cbranch_scc0 .LBB143_1910
; %bb.1909:
	global_load_dwordx2 v[10:11], v[19:20], off
	s_mov_b64 s[4:5], 0
	s_mov_b64 s[18:19], -1
	s_mov_b64 s[20:21], 0
	s_waitcnt vmcnt(0)
	v_cvt_f64_u32_e32 v[21:22], v11
	v_cvt_f64_u32_e32 v[10:11], v10
	v_ldexp_f64 v[21:22], v[21:22], 32
	v_add_f64 v[10:11], v[21:22], v[10:11]
	s_branch .LBB143_1912
.LBB143_1910:
	s_mov_b64 s[4:5], -1
                                        ; implicit-def: $vgpr10_vgpr11
.LBB143_1911:
	s_mov_b64 s[20:21], 0
.LBB143_1912:
	s_and_b64 vcc, exec, s[20:21]
	s_cbranch_vccz .LBB143_1932
; %bb.1913:
	s_cmp_lt_i32 s26, 27
	s_cbranch_scc1 .LBB143_1916
; %bb.1914:
	s_cmp_gt_i32 s26, 27
	s_cbranch_scc0 .LBB143_1917
; %bb.1915:
	global_load_dword v5, v[19:20], off
	s_mov_b64 s[18:19], 0
	s_waitcnt vmcnt(0)
	v_cvt_f64_u32_e32 v[10:11], v5
	s_branch .LBB143_1918
.LBB143_1916:
	s_mov_b64 s[18:19], -1
                                        ; implicit-def: $vgpr10_vgpr11
	s_branch .LBB143_1921
.LBB143_1917:
	s_mov_b64 s[18:19], -1
                                        ; implicit-def: $vgpr10_vgpr11
.LBB143_1918:
	s_andn2_b64 vcc, exec, s[18:19]
	s_cbranch_vccnz .LBB143_1920
; %bb.1919:
	global_load_ushort v5, v[19:20], off
	s_waitcnt vmcnt(0)
	v_cvt_f64_u32_e32 v[10:11], v5
.LBB143_1920:
	s_mov_b64 s[18:19], 0
.LBB143_1921:
	s_andn2_b64 vcc, exec, s[18:19]
	s_cbranch_vccnz .LBB143_1931
; %bb.1922:
	global_load_ubyte v5, v[19:20], off
	s_movk_i32 s18, 0x7f
	s_waitcnt vmcnt(0)
	v_cmp_lt_i16_e32 vcc, s18, v5
	s_mov_b64 s[18:19], 0
	s_and_saveexec_b64 s[20:21], vcc
	s_xor_b64 s[20:21], exec, s[20:21]
	s_cbranch_execz .LBB143_1926
; %bb.1923:
	s_movk_i32 s18, 0x80
	v_cmp_eq_u16_e32 vcc, s18, v5
	s_mov_b64 s[18:19], -1
	s_and_saveexec_b64 s[22:23], vcc
; %bb.1924:
	s_xor_b64 s[18:19], exec, -1
; %bb.1925:
	s_or_b64 exec, exec, s[22:23]
	s_and_b64 s[18:19], s[18:19], exec
.LBB143_1926:
	s_or_saveexec_b64 s[20:21], s[20:21]
	v_bfrev_b32_e32 v10, 4
	v_mov_b32_e32 v11, 0x7ff80000
	s_xor_b64 exec, exec, s[20:21]
; %bb.1927:
	v_cmp_ne_u16_e32 vcc, 0, v5
	v_mov_b32_e32 v10, 0
	s_andn2_b64 s[18:19], s[18:19], exec
	s_and_b64 s[22:23], vcc, exec
	v_mov_b32_e32 v11, 0
	s_or_b64 s[18:19], s[18:19], s[22:23]
; %bb.1928:
	s_or_b64 exec, exec, s[20:21]
	s_and_saveexec_b64 s[20:21], s[18:19]
	s_cbranch_execz .LBB143_1930
; %bb.1929:
	v_lshlrev_b32_e32 v7, 24, v5
	v_and_b32_e32 v5, 0xffff, v5
	v_and_b32_e32 v10, 7, v5
	v_ffbh_u32_e32 v15, v10
	v_min_u32_e32 v15, 32, v15
	v_subrev_u32_e32 v17, 28, v15
	v_bfe_u32 v11, v5, 3, 4
	v_lshlrev_b32_e32 v5, v17, v5
	v_sub_u32_e32 v15, 29, v15
	v_and_b32_e32 v5, 7, v5
	v_cmp_eq_u32_e32 vcc, 0, v11
	v_cndmask_b32_e32 v11, v11, v15, vcc
	v_cndmask_b32_e32 v5, v10, v5, vcc
	v_mov_b32_e32 v10, 0x3b800000
	v_lshlrev_b32_e32 v5, 20, v5
	v_and_b32_e32 v7, 0x80000000, v7
	v_lshl_add_u32 v10, v11, 23, v10
	v_or3_b32 v5, v7, v10, v5
	v_cvt_f64_f32_e32 v[10:11], v5
.LBB143_1930:
	s_or_b64 exec, exec, s[20:21]
.LBB143_1931:
	s_mov_b64 s[18:19], -1
.LBB143_1932:
	s_mov_b64 s[20:21], 0
.LBB143_1933:
	s_and_b64 vcc, exec, s[20:21]
	s_cbranch_vccz .LBB143_1964
; %bb.1934:
	s_cmp_gt_i32 s26, 22
	s_cbranch_scc0 .LBB143_1946
; %bb.1935:
	s_cmp_lt_i32 s26, 24
	s_cbranch_scc1 .LBB143_1947
; %bb.1936:
	s_cmp_gt_i32 s26, 24
	s_cbranch_scc0 .LBB143_1948
; %bb.1937:
	global_load_ubyte v5, v[19:20], off
	s_movk_i32 s6, 0x7f
	s_waitcnt vmcnt(0)
	v_cmp_lt_i16_e32 vcc, s6, v5
	s_mov_b64 s[6:7], 0
	s_and_saveexec_b64 s[18:19], vcc
	s_xor_b64 s[18:19], exec, s[18:19]
	s_cbranch_execz .LBB143_1941
; %bb.1938:
	s_movk_i32 s6, 0x80
	v_cmp_eq_u16_e32 vcc, s6, v5
	s_mov_b64 s[6:7], -1
	s_and_saveexec_b64 s[20:21], vcc
; %bb.1939:
	s_xor_b64 s[6:7], exec, -1
; %bb.1940:
	s_or_b64 exec, exec, s[20:21]
	s_and_b64 s[6:7], s[6:7], exec
.LBB143_1941:
	s_or_saveexec_b64 s[18:19], s[18:19]
	v_bfrev_b32_e32 v10, 4
	v_mov_b32_e32 v11, 0x7ff80000
	s_xor_b64 exec, exec, s[18:19]
; %bb.1942:
	v_cmp_ne_u16_e32 vcc, 0, v5
	v_mov_b32_e32 v10, 0
	s_andn2_b64 s[6:7], s[6:7], exec
	s_and_b64 s[20:21], vcc, exec
	v_mov_b32_e32 v11, 0
	s_or_b64 s[6:7], s[6:7], s[20:21]
; %bb.1943:
	s_or_b64 exec, exec, s[18:19]
	s_and_saveexec_b64 s[18:19], s[6:7]
	s_cbranch_execz .LBB143_1945
; %bb.1944:
	v_lshlrev_b32_e32 v7, 24, v5
	v_and_b32_e32 v5, 0xffff, v5
	v_and_b32_e32 v10, 3, v5
	v_ffbh_u32_e32 v15, v10
	v_min_u32_e32 v15, 32, v15
	v_subrev_u32_e32 v17, 29, v15
	v_bfe_u32 v11, v5, 2, 5
	v_lshlrev_b32_e32 v5, v17, v5
	v_sub_u32_e32 v15, 30, v15
	v_and_b32_e32 v5, 3, v5
	v_cmp_eq_u32_e32 vcc, 0, v11
	v_cndmask_b32_e32 v11, v11, v15, vcc
	v_cndmask_b32_e32 v5, v10, v5, vcc
	v_mov_b32_e32 v10, 0x37800000
	v_lshlrev_b32_e32 v5, 21, v5
	v_and_b32_e32 v7, 0x80000000, v7
	v_lshl_add_u32 v10, v11, 23, v10
	v_or3_b32 v5, v7, v10, v5
	v_cvt_f64_f32_e32 v[10:11], v5
.LBB143_1945:
	s_or_b64 exec, exec, s[18:19]
	s_mov_b64 s[6:7], 0
	s_branch .LBB143_1949
.LBB143_1946:
	s_mov_b64 s[6:7], -1
                                        ; implicit-def: $vgpr10_vgpr11
	s_branch .LBB143_1955
.LBB143_1947:
	s_mov_b64 s[6:7], -1
                                        ; implicit-def: $vgpr10_vgpr11
	s_branch .LBB143_1952
.LBB143_1948:
	s_mov_b64 s[6:7], -1
                                        ; implicit-def: $vgpr10_vgpr11
.LBB143_1949:
	s_and_b64 vcc, exec, s[6:7]
	s_cbranch_vccz .LBB143_1951
; %bb.1950:
	global_load_ubyte v5, v[19:20], off
	s_mov_b32 s6, 0x7f800000
	s_waitcnt vmcnt(0)
	v_lshlrev_b32_e32 v5, 24, v5
	v_and_b32_e32 v7, 0x7f000000, v5
	v_ffbh_u32_e32 v10, v7
	v_min_u32_e32 v10, 32, v10
	v_sub_u32_e64 v10, v10, 4 clamp
	v_lshlrev_b32_e32 v15, v10, v7
	v_lshlrev_b32_e32 v10, 23, v10
	v_lshrrev_b32_e32 v15, 4, v15
	v_add_u32_e32 v11, 0x1000000, v7
	v_sub_u32_e32 v10, v15, v10
	v_ashrrev_i32_e32 v11, 8, v11
	v_add_u32_e32 v10, 0x3c000000, v10
	v_and_or_b32 v10, v11, s6, v10
	v_cmp_ne_u32_e32 vcc, 0, v7
	v_cndmask_b32_e32 v7, 0, v10, vcc
	s_brev_b32 s6, 1
	v_and_or_b32 v5, v5, s6, v7
	v_cvt_f64_f32_e32 v[10:11], v5
.LBB143_1951:
	s_mov_b64 s[6:7], 0
.LBB143_1952:
	s_andn2_b64 vcc, exec, s[6:7]
	s_cbranch_vccnz .LBB143_1954
; %bb.1953:
	global_load_ubyte v5, v[19:20], off
	s_movk_i32 s6, 0x7f00
	s_brev_b32 s7, 16
	s_waitcnt vmcnt(0)
	v_lshlrev_b16_e32 v7, 8, v5
	v_lshlrev_b32_e32 v5, 25, v5
	v_lshrrev_b32_e32 v10, 4, v5
	v_and_or_b32 v11, v7, s6, 0.5
	v_or_b32_e32 v10, 0x70000000, v10
	v_add_f32_e32 v11, -0.5, v11
	v_mul_f32_e32 v10, 0x7800000, v10
	v_cmp_gt_u32_e32 vcc, s7, v5
	v_bfe_i32 v7, v7, 0, 16
	v_cndmask_b32_e32 v5, v10, v11, vcc
	s_brev_b32 s6, 1
	v_and_or_b32 v5, v7, s6, v5
	v_cvt_f64_f32_e32 v[10:11], v5
.LBB143_1954:
	s_mov_b64 s[6:7], 0
	s_mov_b64 s[18:19], -1
.LBB143_1955:
	s_andn2_b64 vcc, exec, s[6:7]
	s_mov_b64 s[6:7], 0
	s_cbranch_vccnz .LBB143_1964
; %bb.1956:
	s_cmp_gt_i32 s26, 14
	s_cbranch_scc0 .LBB143_1959
; %bb.1957:
	s_cmp_eq_u32 s26, 15
	s_cbranch_scc0 .LBB143_1960
; %bb.1958:
	global_load_ushort v5, v[19:20], off
	s_mov_b64 s[4:5], 0
	s_mov_b64 s[18:19], -1
	s_waitcnt vmcnt(0)
	v_lshlrev_b32_e32 v5, 16, v5
	v_cvt_f64_f32_e32 v[10:11], v5
	s_branch .LBB143_1961
.LBB143_1959:
	s_mov_b64 s[20:21], -1
                                        ; implicit-def: $vgpr10_vgpr11
	s_branch .LBB143_1962
.LBB143_1960:
	s_mov_b64 s[4:5], -1
                                        ; implicit-def: $vgpr10_vgpr11
.LBB143_1961:
	s_mov_b64 s[20:21], 0
.LBB143_1962:
	s_and_b64 vcc, exec, s[20:21]
	s_cbranch_vccz .LBB143_1964
; %bb.1963:
	s_cmp_lg_u32 s26, 11
	s_mov_b64 s[6:7], -1
	s_cselect_b64 s[4:5], -1, 0
.LBB143_1964:
	s_and_b64 vcc, exec, s[4:5]
	s_cbranch_vccnz .LBB143_2027
; %bb.1965:
	s_andn2_b64 vcc, exec, s[6:7]
	s_cbranch_vccnz .LBB143_1967
.LBB143_1966:
	global_load_ubyte v5, v[19:20], off
	v_mov_b32_e32 v7, 0x3ff00000
	v_mov_b32_e32 v10, 0
	s_mov_b64 s[18:19], -1
	s_waitcnt vmcnt(0)
	v_cmp_ne_u16_e32 vcc, 0, v5
	v_cndmask_b32_e32 v11, 0, v7, vcc
.LBB143_1967:
	s_branch .LBB143_1895
.LBB143_1968:
	s_and_b32 s6, 0xffff, s24
	s_cmp_lt_i32 s6, 5
	s_cbranch_scc1 .LBB143_1973
; %bb.1969:
	s_cmp_lt_i32 s6, 8
	s_cbranch_scc1 .LBB143_1974
; %bb.1970:
	;; [unrolled: 3-line block ×3, first 2 shown]
	s_cmp_gt_i32 s6, 9
	s_cbranch_scc0 .LBB143_1976
; %bb.1972:
	global_load_dwordx2 v[10:11], v[19:20], off
	s_mov_b64 s[4:5], 0
	s_branch .LBB143_1977
.LBB143_1973:
	s_mov_b64 s[4:5], -1
                                        ; implicit-def: $vgpr10_vgpr11
	s_branch .LBB143_1995
.LBB143_1974:
	s_mov_b64 s[4:5], -1
                                        ; implicit-def: $vgpr10_vgpr11
	s_branch .LBB143_1983
.LBB143_1975:
	s_mov_b64 s[4:5], -1
                                        ; implicit-def: $vgpr10_vgpr11
	s_branch .LBB143_1980
.LBB143_1976:
	s_mov_b64 s[4:5], -1
                                        ; implicit-def: $vgpr10_vgpr11
.LBB143_1977:
	s_andn2_b64 vcc, exec, s[4:5]
	s_cbranch_vccnz .LBB143_1979
; %bb.1978:
	global_load_dword v5, v[19:20], off
	s_waitcnt vmcnt(0)
	v_cvt_f64_f32_e32 v[10:11], v5
.LBB143_1979:
	s_mov_b64 s[4:5], 0
.LBB143_1980:
	s_andn2_b64 vcc, exec, s[4:5]
	s_cbranch_vccnz .LBB143_1982
; %bb.1981:
	global_load_dword v5, v[19:20], off
	s_waitcnt vmcnt(0)
	v_cvt_f32_f16_e32 v5, v5
	v_cvt_f64_f32_e32 v[10:11], v5
.LBB143_1982:
	s_mov_b64 s[4:5], 0
.LBB143_1983:
	s_andn2_b64 vcc, exec, s[4:5]
	s_cbranch_vccnz .LBB143_1994
; %bb.1984:
	s_cmp_lt_i32 s6, 6
	s_cbranch_scc1 .LBB143_1987
; %bb.1985:
	s_cmp_gt_i32 s6, 6
	s_cbranch_scc0 .LBB143_1988
; %bb.1986:
	global_load_dwordx2 v[10:11], v[19:20], off
	s_mov_b64 s[4:5], 0
	s_branch .LBB143_1989
.LBB143_1987:
	s_mov_b64 s[4:5], -1
                                        ; implicit-def: $vgpr10_vgpr11
	s_branch .LBB143_1992
.LBB143_1988:
	s_mov_b64 s[4:5], -1
                                        ; implicit-def: $vgpr10_vgpr11
.LBB143_1989:
	s_andn2_b64 vcc, exec, s[4:5]
	s_cbranch_vccnz .LBB143_1991
; %bb.1990:
	global_load_dword v5, v[19:20], off
	s_waitcnt vmcnt(0)
	v_cvt_f64_f32_e32 v[10:11], v5
.LBB143_1991:
	s_mov_b64 s[4:5], 0
.LBB143_1992:
	s_andn2_b64 vcc, exec, s[4:5]
	s_cbranch_vccnz .LBB143_1994
; %bb.1993:
	global_load_ushort v5, v[19:20], off
	s_waitcnt vmcnt(0)
	v_cvt_f32_f16_e32 v5, v5
	v_cvt_f64_f32_e32 v[10:11], v5
.LBB143_1994:
	s_mov_b64 s[4:5], 0
.LBB143_1995:
	s_andn2_b64 vcc, exec, s[4:5]
	s_cbranch_vccnz .LBB143_2015
; %bb.1996:
	s_cmp_lt_i32 s6, 2
	s_cbranch_scc1 .LBB143_2000
; %bb.1997:
	s_cmp_lt_i32 s6, 3
	s_cbranch_scc1 .LBB143_2001
; %bb.1998:
	s_cmp_gt_i32 s6, 3
	s_cbranch_scc0 .LBB143_2002
; %bb.1999:
	global_load_dwordx2 v[10:11], v[19:20], off
	s_mov_b64 s[4:5], 0
	s_waitcnt vmcnt(0)
	v_cvt_f64_i32_e32 v[21:22], v11
	v_cvt_f64_u32_e32 v[10:11], v10
	v_ldexp_f64 v[21:22], v[21:22], 32
	v_add_f64 v[10:11], v[21:22], v[10:11]
	s_branch .LBB143_2003
.LBB143_2000:
	s_mov_b64 s[4:5], -1
                                        ; implicit-def: $vgpr10_vgpr11
	s_branch .LBB143_2009
.LBB143_2001:
	s_mov_b64 s[4:5], -1
                                        ; implicit-def: $vgpr10_vgpr11
	s_branch .LBB143_2006
.LBB143_2002:
	s_mov_b64 s[4:5], -1
                                        ; implicit-def: $vgpr10_vgpr11
.LBB143_2003:
	s_andn2_b64 vcc, exec, s[4:5]
	s_cbranch_vccnz .LBB143_2005
; %bb.2004:
	global_load_dword v5, v[19:20], off
	s_waitcnt vmcnt(0)
	v_cvt_f64_i32_e32 v[10:11], v5
.LBB143_2005:
	s_mov_b64 s[4:5], 0
.LBB143_2006:
	s_andn2_b64 vcc, exec, s[4:5]
	s_cbranch_vccnz .LBB143_2008
; %bb.2007:
	global_load_sshort v5, v[19:20], off
	s_waitcnt vmcnt(0)
	v_cvt_f64_i32_e32 v[10:11], v5
.LBB143_2008:
	s_mov_b64 s[4:5], 0
.LBB143_2009:
	s_andn2_b64 vcc, exec, s[4:5]
	s_cbranch_vccnz .LBB143_2015
; %bb.2010:
	s_cmp_gt_i32 s6, 0
	s_cbranch_scc0 .LBB143_2012
; %bb.2011:
	global_load_sbyte v5, v[19:20], off
	s_mov_b64 s[4:5], 0
	s_waitcnt vmcnt(0)
	v_cvt_f64_i32_e32 v[10:11], v5
	s_branch .LBB143_2013
.LBB143_2012:
	s_mov_b64 s[4:5], -1
                                        ; implicit-def: $vgpr10_vgpr11
.LBB143_2013:
	s_andn2_b64 vcc, exec, s[4:5]
	s_cbranch_vccnz .LBB143_2015
; %bb.2014:
	global_load_ubyte v5, v[19:20], off
	s_waitcnt vmcnt(0)
	v_cvt_f64_u32_e32 v[10:11], v5
.LBB143_2015:
.LBB143_2016:
	s_lshr_b32 s4, s25, 16
	v_mov_b32_e32 v5, s1
	s_and_b32 s25, s4, 0xff
	v_add_co_u32_e32 v19, vcc, s0, v18
	s_cmp_lt_i32 s25, 11
	v_addc_co_u32_e32 v20, vcc, 0, v5, vcc
	s_cbranch_scc1 .LBB143_2023
; %bb.2017:
	s_and_b32 s26, 0xffff, s25
	s_cmp_gt_i32 s26, 25
	s_mov_b64 s[6:7], 0
	s_cbranch_scc0 .LBB143_2024
; %bb.2018:
	s_cmp_gt_i32 s26, 28
	s_cbranch_scc0 .LBB143_2025
; %bb.2019:
	s_cmp_gt_i32 s26, 43
	;; [unrolled: 3-line block ×3, first 2 shown]
	s_cbranch_scc0 .LBB143_2028
; %bb.2021:
	s_cmp_eq_u32 s26, 46
	s_mov_b64 s[20:21], 0
	s_cbranch_scc0 .LBB143_2029
; %bb.2022:
	global_load_dword v5, v[19:20], off
	s_mov_b64 s[4:5], 0
	s_mov_b64 s[18:19], -1
	s_waitcnt vmcnt(0)
	v_lshlrev_b32_e32 v5, 16, v5
	v_cvt_f64_f32_e32 v[17:18], v5
	s_branch .LBB143_2030
.LBB143_2023:
	s_mov_b64 s[4:5], -1
	s_mov_b64 s[18:19], 0
                                        ; implicit-def: $vgpr17_vgpr18
	s_branch .LBB143_2096
.LBB143_2024:
	s_mov_b64 s[20:21], -1
	s_mov_b64 s[18:19], 0
	s_mov_b64 s[4:5], 0
                                        ; implicit-def: $vgpr17_vgpr18
	s_branch .LBB143_2061
.LBB143_2025:
	s_mov_b64 s[20:21], -1
	s_mov_b64 s[18:19], 0
	s_mov_b64 s[4:5], 0
                                        ; implicit-def: $vgpr17_vgpr18
	s_branch .LBB143_2040
.LBB143_2026:
	s_mov_b64 s[20:21], -1
	s_mov_b64 s[18:19], 0
	s_mov_b64 s[4:5], 0
                                        ; implicit-def: $vgpr17_vgpr18
	s_branch .LBB143_2035
.LBB143_2027:
	s_trap 2
	s_or_b64 s[16:17], s[16:17], exec
	s_cbranch_execz .LBB143_1966
	s_branch .LBB143_1967
.LBB143_2028:
	s_mov_b64 s[20:21], -1
	s_mov_b64 s[18:19], 0
	s_mov_b64 s[4:5], 0
                                        ; implicit-def: $vgpr17_vgpr18
	s_branch .LBB143_2030
.LBB143_2029:
	s_mov_b64 s[4:5], -1
                                        ; implicit-def: $vgpr17_vgpr18
	s_mov_b64 s[18:19], 0
.LBB143_2030:
	s_and_b64 vcc, exec, s[20:21]
	s_cbranch_vccz .LBB143_2034
; %bb.2031:
	s_cmp_eq_u32 s26, 44
	s_cbranch_scc0 .LBB143_2033
; %bb.2032:
	global_load_ubyte v5, v[19:20], off
	s_movk_i32 s18, 0xff
	v_bfrev_b32_e32 v7, 4
	v_mov_b32_e32 v15, 0x7ff80000
	v_bfrev_b32_e32 v21, 28
	s_mov_b64 s[4:5], 0
	s_waitcnt vmcnt(0)
	v_lshlrev_b32_e32 v17, 23, v5
	v_cvt_f64_f32_e32 v[17:18], v17
	v_cmp_ne_u32_e32 vcc, s18, v5
	s_mov_b64 s[18:19], -1
	v_cndmask_b32_e32 v7, v7, v17, vcc
	v_cndmask_b32_e32 v15, v15, v18, vcc
	v_cmp_ne_u32_e32 vcc, 0, v5
	v_cndmask_b32_e32 v18, v21, v15, vcc
	v_cndmask_b32_e32 v17, 0, v7, vcc
	s_branch .LBB143_2034
.LBB143_2033:
	s_mov_b64 s[4:5], -1
                                        ; implicit-def: $vgpr17_vgpr18
.LBB143_2034:
	s_mov_b64 s[20:21], 0
.LBB143_2035:
	s_and_b64 vcc, exec, s[20:21]
	s_cbranch_vccz .LBB143_2039
; %bb.2036:
	s_cmp_eq_u32 s26, 29
	s_cbranch_scc0 .LBB143_2038
; %bb.2037:
	global_load_dwordx2 v[17:18], v[19:20], off
	s_mov_b64 s[4:5], 0
	s_mov_b64 s[18:19], -1
	s_mov_b64 s[20:21], 0
	s_waitcnt vmcnt(0)
	v_cvt_f64_u32_e32 v[21:22], v18
	v_cvt_f64_u32_e32 v[17:18], v17
	v_ldexp_f64 v[21:22], v[21:22], 32
	v_add_f64 v[17:18], v[21:22], v[17:18]
	s_branch .LBB143_2040
.LBB143_2038:
	s_mov_b64 s[4:5], -1
                                        ; implicit-def: $vgpr17_vgpr18
.LBB143_2039:
	s_mov_b64 s[20:21], 0
.LBB143_2040:
	s_and_b64 vcc, exec, s[20:21]
	s_cbranch_vccz .LBB143_2060
; %bb.2041:
	s_cmp_lt_i32 s26, 27
	s_cbranch_scc1 .LBB143_2044
; %bb.2042:
	s_cmp_gt_i32 s26, 27
	s_cbranch_scc0 .LBB143_2045
; %bb.2043:
	global_load_dword v5, v[19:20], off
	s_mov_b64 s[18:19], 0
	s_waitcnt vmcnt(0)
	v_cvt_f64_u32_e32 v[17:18], v5
	s_branch .LBB143_2046
.LBB143_2044:
	s_mov_b64 s[18:19], -1
                                        ; implicit-def: $vgpr17_vgpr18
	s_branch .LBB143_2049
.LBB143_2045:
	s_mov_b64 s[18:19], -1
                                        ; implicit-def: $vgpr17_vgpr18
.LBB143_2046:
	s_andn2_b64 vcc, exec, s[18:19]
	s_cbranch_vccnz .LBB143_2048
; %bb.2047:
	global_load_ushort v5, v[19:20], off
	s_waitcnt vmcnt(0)
	v_cvt_f64_u32_e32 v[17:18], v5
.LBB143_2048:
	s_mov_b64 s[18:19], 0
.LBB143_2049:
	s_andn2_b64 vcc, exec, s[18:19]
	s_cbranch_vccnz .LBB143_2059
; %bb.2050:
	global_load_ubyte v5, v[19:20], off
	s_movk_i32 s18, 0x7f
	s_waitcnt vmcnt(0)
	v_cmp_lt_i16_e32 vcc, s18, v5
	s_mov_b64 s[18:19], 0
	s_and_saveexec_b64 s[20:21], vcc
	s_xor_b64 s[20:21], exec, s[20:21]
	s_cbranch_execz .LBB143_2054
; %bb.2051:
	s_movk_i32 s18, 0x80
	v_cmp_eq_u16_e32 vcc, s18, v5
	s_mov_b64 s[18:19], -1
	s_and_saveexec_b64 s[22:23], vcc
; %bb.2052:
	s_xor_b64 s[18:19], exec, -1
; %bb.2053:
	s_or_b64 exec, exec, s[22:23]
	s_and_b64 s[18:19], s[18:19], exec
.LBB143_2054:
	s_or_saveexec_b64 s[20:21], s[20:21]
	v_bfrev_b32_e32 v17, 4
	v_mov_b32_e32 v18, 0x7ff80000
	s_xor_b64 exec, exec, s[20:21]
; %bb.2055:
	v_cmp_ne_u16_e32 vcc, 0, v5
	v_mov_b32_e32 v17, 0
	s_andn2_b64 s[18:19], s[18:19], exec
	s_and_b64 s[22:23], vcc, exec
	v_mov_b32_e32 v18, 0
	s_or_b64 s[18:19], s[18:19], s[22:23]
; %bb.2056:
	s_or_b64 exec, exec, s[20:21]
	s_and_saveexec_b64 s[20:21], s[18:19]
	s_cbranch_execz .LBB143_2058
; %bb.2057:
	v_lshlrev_b32_e32 v7, 24, v5
	v_and_b32_e32 v5, 0xffff, v5
	v_and_b32_e32 v15, 7, v5
	v_ffbh_u32_e32 v18, v15
	v_min_u32_e32 v18, 32, v18
	v_subrev_u32_e32 v21, 28, v18
	v_bfe_u32 v17, v5, 3, 4
	v_lshlrev_b32_e32 v5, v21, v5
	v_sub_u32_e32 v18, 29, v18
	v_and_b32_e32 v5, 7, v5
	v_cmp_eq_u32_e32 vcc, 0, v17
	v_cndmask_b32_e32 v17, v17, v18, vcc
	v_cndmask_b32_e32 v5, v15, v5, vcc
	v_mov_b32_e32 v15, 0x3b800000
	v_lshlrev_b32_e32 v5, 20, v5
	v_and_b32_e32 v7, 0x80000000, v7
	v_lshl_add_u32 v15, v17, 23, v15
	v_or3_b32 v5, v7, v15, v5
	v_cvt_f64_f32_e32 v[17:18], v5
.LBB143_2058:
	s_or_b64 exec, exec, s[20:21]
.LBB143_2059:
	s_mov_b64 s[18:19], -1
.LBB143_2060:
	s_mov_b64 s[20:21], 0
.LBB143_2061:
	s_and_b64 vcc, exec, s[20:21]
	s_cbranch_vccz .LBB143_2092
; %bb.2062:
	s_cmp_gt_i32 s26, 22
	s_cbranch_scc0 .LBB143_2074
; %bb.2063:
	s_cmp_lt_i32 s26, 24
	s_cbranch_scc1 .LBB143_2075
; %bb.2064:
	s_cmp_gt_i32 s26, 24
	s_cbranch_scc0 .LBB143_2076
; %bb.2065:
	global_load_ubyte v5, v[19:20], off
	s_movk_i32 s6, 0x7f
	s_waitcnt vmcnt(0)
	v_cmp_lt_i16_e32 vcc, s6, v5
	s_mov_b64 s[6:7], 0
	s_and_saveexec_b64 s[18:19], vcc
	s_xor_b64 s[18:19], exec, s[18:19]
	s_cbranch_execz .LBB143_2069
; %bb.2066:
	s_movk_i32 s6, 0x80
	v_cmp_eq_u16_e32 vcc, s6, v5
	s_mov_b64 s[6:7], -1
	s_and_saveexec_b64 s[20:21], vcc
; %bb.2067:
	s_xor_b64 s[6:7], exec, -1
; %bb.2068:
	s_or_b64 exec, exec, s[20:21]
	s_and_b64 s[6:7], s[6:7], exec
.LBB143_2069:
	s_or_saveexec_b64 s[18:19], s[18:19]
	v_bfrev_b32_e32 v17, 4
	v_mov_b32_e32 v18, 0x7ff80000
	s_xor_b64 exec, exec, s[18:19]
; %bb.2070:
	v_cmp_ne_u16_e32 vcc, 0, v5
	v_mov_b32_e32 v17, 0
	s_andn2_b64 s[6:7], s[6:7], exec
	s_and_b64 s[20:21], vcc, exec
	v_mov_b32_e32 v18, 0
	s_or_b64 s[6:7], s[6:7], s[20:21]
; %bb.2071:
	s_or_b64 exec, exec, s[18:19]
	s_and_saveexec_b64 s[18:19], s[6:7]
	s_cbranch_execz .LBB143_2073
; %bb.2072:
	v_lshlrev_b32_e32 v7, 24, v5
	v_and_b32_e32 v5, 0xffff, v5
	v_and_b32_e32 v15, 3, v5
	v_ffbh_u32_e32 v18, v15
	v_min_u32_e32 v18, 32, v18
	v_subrev_u32_e32 v21, 29, v18
	v_bfe_u32 v17, v5, 2, 5
	v_lshlrev_b32_e32 v5, v21, v5
	v_sub_u32_e32 v18, 30, v18
	v_and_b32_e32 v5, 3, v5
	v_cmp_eq_u32_e32 vcc, 0, v17
	v_cndmask_b32_e32 v17, v17, v18, vcc
	v_cndmask_b32_e32 v5, v15, v5, vcc
	v_mov_b32_e32 v15, 0x37800000
	v_lshlrev_b32_e32 v5, 21, v5
	v_and_b32_e32 v7, 0x80000000, v7
	v_lshl_add_u32 v15, v17, 23, v15
	v_or3_b32 v5, v7, v15, v5
	v_cvt_f64_f32_e32 v[17:18], v5
.LBB143_2073:
	s_or_b64 exec, exec, s[18:19]
	s_mov_b64 s[6:7], 0
	s_branch .LBB143_2077
.LBB143_2074:
	s_mov_b64 s[6:7], -1
                                        ; implicit-def: $vgpr17_vgpr18
	s_branch .LBB143_2083
.LBB143_2075:
	s_mov_b64 s[6:7], -1
                                        ; implicit-def: $vgpr17_vgpr18
	s_branch .LBB143_2080
.LBB143_2076:
	s_mov_b64 s[6:7], -1
                                        ; implicit-def: $vgpr17_vgpr18
.LBB143_2077:
	s_and_b64 vcc, exec, s[6:7]
	s_cbranch_vccz .LBB143_2079
; %bb.2078:
	global_load_ubyte v5, v[19:20], off
	s_mov_b32 s6, 0x7f800000
	s_waitcnt vmcnt(0)
	v_lshlrev_b32_e32 v5, 24, v5
	v_and_b32_e32 v7, 0x7f000000, v5
	v_ffbh_u32_e32 v15, v7
	v_min_u32_e32 v15, 32, v15
	v_sub_u32_e64 v15, v15, 4 clamp
	v_lshlrev_b32_e32 v18, v15, v7
	v_lshlrev_b32_e32 v15, 23, v15
	v_lshrrev_b32_e32 v18, 4, v18
	v_add_u32_e32 v17, 0x1000000, v7
	v_sub_u32_e32 v15, v18, v15
	v_ashrrev_i32_e32 v17, 8, v17
	v_add_u32_e32 v15, 0x3c000000, v15
	v_and_or_b32 v15, v17, s6, v15
	v_cmp_ne_u32_e32 vcc, 0, v7
	v_cndmask_b32_e32 v7, 0, v15, vcc
	s_brev_b32 s6, 1
	v_and_or_b32 v5, v5, s6, v7
	v_cvt_f64_f32_e32 v[17:18], v5
.LBB143_2079:
	s_mov_b64 s[6:7], 0
.LBB143_2080:
	s_andn2_b64 vcc, exec, s[6:7]
	s_cbranch_vccnz .LBB143_2082
; %bb.2081:
	global_load_ubyte v5, v[19:20], off
	s_movk_i32 s6, 0x7f00
	s_brev_b32 s7, 16
	s_waitcnt vmcnt(0)
	v_lshlrev_b16_e32 v7, 8, v5
	v_lshlrev_b32_e32 v5, 25, v5
	v_lshrrev_b32_e32 v15, 4, v5
	v_and_or_b32 v17, v7, s6, 0.5
	v_or_b32_e32 v15, 0x70000000, v15
	v_add_f32_e32 v17, -0.5, v17
	v_mul_f32_e32 v15, 0x7800000, v15
	v_cmp_gt_u32_e32 vcc, s7, v5
	v_bfe_i32 v7, v7, 0, 16
	v_cndmask_b32_e32 v5, v15, v17, vcc
	s_brev_b32 s6, 1
	v_and_or_b32 v5, v7, s6, v5
	v_cvt_f64_f32_e32 v[17:18], v5
.LBB143_2082:
	s_mov_b64 s[6:7], 0
	s_mov_b64 s[18:19], -1
.LBB143_2083:
	s_andn2_b64 vcc, exec, s[6:7]
	s_mov_b64 s[6:7], 0
	s_cbranch_vccnz .LBB143_2092
; %bb.2084:
	s_cmp_gt_i32 s26, 14
	s_cbranch_scc0 .LBB143_2087
; %bb.2085:
	s_cmp_eq_u32 s26, 15
	s_cbranch_scc0 .LBB143_2088
; %bb.2086:
	global_load_ushort v5, v[19:20], off
	s_mov_b64 s[4:5], 0
	s_mov_b64 s[18:19], -1
	s_waitcnt vmcnt(0)
	v_lshlrev_b32_e32 v5, 16, v5
	v_cvt_f64_f32_e32 v[17:18], v5
	s_branch .LBB143_2089
.LBB143_2087:
	s_mov_b64 s[20:21], -1
                                        ; implicit-def: $vgpr17_vgpr18
	s_branch .LBB143_2090
.LBB143_2088:
	s_mov_b64 s[4:5], -1
                                        ; implicit-def: $vgpr17_vgpr18
.LBB143_2089:
	s_mov_b64 s[20:21], 0
.LBB143_2090:
	s_and_b64 vcc, exec, s[20:21]
	s_cbranch_vccz .LBB143_2092
; %bb.2091:
	s_cmp_lg_u32 s26, 11
	s_mov_b64 s[6:7], -1
	s_cselect_b64 s[4:5], -1, 0
.LBB143_2092:
	s_and_b64 vcc, exec, s[4:5]
	s_cbranch_vccnz .LBB143_2157
; %bb.2093:
	s_andn2_b64 vcc, exec, s[6:7]
	s_cbranch_vccnz .LBB143_2095
.LBB143_2094:
	global_load_ubyte v5, v[19:20], off
	v_mov_b32_e32 v7, 0x3ff00000
	v_mov_b32_e32 v17, 0
	s_mov_b64 s[18:19], -1
	s_waitcnt vmcnt(0)
	v_cmp_ne_u16_e32 vcc, 0, v5
	v_cndmask_b32_e32 v18, 0, v7, vcc
.LBB143_2095:
	s_mov_b64 s[4:5], 0
.LBB143_2096:
	s_and_b64 vcc, exec, s[4:5]
	s_cbranch_vccz .LBB143_2145
; %bb.2097:
	s_and_b32 s6, 0xffff, s25
	s_cmp_lt_i32 s6, 5
	s_cbranch_scc1 .LBB143_2102
; %bb.2098:
	s_cmp_lt_i32 s6, 8
	s_cbranch_scc1 .LBB143_2103
; %bb.2099:
	;; [unrolled: 3-line block ×3, first 2 shown]
	s_cmp_gt_i32 s6, 9
	s_cbranch_scc0 .LBB143_2105
; %bb.2101:
	global_load_dwordx2 v[17:18], v[19:20], off
	s_mov_b64 s[4:5], 0
	s_branch .LBB143_2106
.LBB143_2102:
	s_mov_b64 s[4:5], -1
                                        ; implicit-def: $vgpr17_vgpr18
	s_branch .LBB143_2124
.LBB143_2103:
	s_mov_b64 s[4:5], -1
                                        ; implicit-def: $vgpr17_vgpr18
	s_branch .LBB143_2112
.LBB143_2104:
	s_mov_b64 s[4:5], -1
                                        ; implicit-def: $vgpr17_vgpr18
	s_branch .LBB143_2109
.LBB143_2105:
	s_mov_b64 s[4:5], -1
                                        ; implicit-def: $vgpr17_vgpr18
.LBB143_2106:
	s_andn2_b64 vcc, exec, s[4:5]
	s_cbranch_vccnz .LBB143_2108
; %bb.2107:
	global_load_dword v5, v[19:20], off
	s_waitcnt vmcnt(0)
	v_cvt_f64_f32_e32 v[17:18], v5
.LBB143_2108:
	s_mov_b64 s[4:5], 0
.LBB143_2109:
	s_andn2_b64 vcc, exec, s[4:5]
	s_cbranch_vccnz .LBB143_2111
; %bb.2110:
	global_load_dword v5, v[19:20], off
	s_waitcnt vmcnt(0)
	v_cvt_f32_f16_e32 v5, v5
	v_cvt_f64_f32_e32 v[17:18], v5
.LBB143_2111:
	s_mov_b64 s[4:5], 0
.LBB143_2112:
	s_andn2_b64 vcc, exec, s[4:5]
	s_cbranch_vccnz .LBB143_2123
; %bb.2113:
	s_cmp_lt_i32 s6, 6
	s_cbranch_scc1 .LBB143_2116
; %bb.2114:
	s_cmp_gt_i32 s6, 6
	s_cbranch_scc0 .LBB143_2117
; %bb.2115:
	global_load_dwordx2 v[17:18], v[19:20], off
	s_mov_b64 s[4:5], 0
	s_branch .LBB143_2118
.LBB143_2116:
	s_mov_b64 s[4:5], -1
                                        ; implicit-def: $vgpr17_vgpr18
	s_branch .LBB143_2121
.LBB143_2117:
	s_mov_b64 s[4:5], -1
                                        ; implicit-def: $vgpr17_vgpr18
.LBB143_2118:
	s_andn2_b64 vcc, exec, s[4:5]
	s_cbranch_vccnz .LBB143_2120
; %bb.2119:
	global_load_dword v5, v[19:20], off
	s_waitcnt vmcnt(0)
	v_cvt_f64_f32_e32 v[17:18], v5
.LBB143_2120:
	s_mov_b64 s[4:5], 0
.LBB143_2121:
	s_andn2_b64 vcc, exec, s[4:5]
	s_cbranch_vccnz .LBB143_2123
; %bb.2122:
	global_load_ushort v5, v[19:20], off
	s_waitcnt vmcnt(0)
	v_cvt_f32_f16_e32 v5, v5
	v_cvt_f64_f32_e32 v[17:18], v5
.LBB143_2123:
	s_mov_b64 s[4:5], 0
.LBB143_2124:
	s_andn2_b64 vcc, exec, s[4:5]
	s_cbranch_vccnz .LBB143_2144
; %bb.2125:
	s_cmp_lt_i32 s6, 2
	s_cbranch_scc1 .LBB143_2129
; %bb.2126:
	s_cmp_lt_i32 s6, 3
	s_cbranch_scc1 .LBB143_2130
; %bb.2127:
	s_cmp_gt_i32 s6, 3
	s_cbranch_scc0 .LBB143_2131
; %bb.2128:
	global_load_dwordx2 v[17:18], v[19:20], off
	s_mov_b64 s[4:5], 0
	s_waitcnt vmcnt(0)
	v_cvt_f64_i32_e32 v[21:22], v18
	v_cvt_f64_u32_e32 v[17:18], v17
	v_ldexp_f64 v[21:22], v[21:22], 32
	v_add_f64 v[17:18], v[21:22], v[17:18]
	s_branch .LBB143_2132
.LBB143_2129:
	s_mov_b64 s[4:5], -1
                                        ; implicit-def: $vgpr17_vgpr18
	s_branch .LBB143_2138
.LBB143_2130:
	s_mov_b64 s[4:5], -1
                                        ; implicit-def: $vgpr17_vgpr18
	s_branch .LBB143_2135
.LBB143_2131:
	s_mov_b64 s[4:5], -1
                                        ; implicit-def: $vgpr17_vgpr18
.LBB143_2132:
	s_andn2_b64 vcc, exec, s[4:5]
	s_cbranch_vccnz .LBB143_2134
; %bb.2133:
	global_load_dword v5, v[19:20], off
	s_waitcnt vmcnt(0)
	v_cvt_f64_i32_e32 v[17:18], v5
.LBB143_2134:
	s_mov_b64 s[4:5], 0
.LBB143_2135:
	s_andn2_b64 vcc, exec, s[4:5]
	s_cbranch_vccnz .LBB143_2137
; %bb.2136:
	global_load_sshort v5, v[19:20], off
	s_waitcnt vmcnt(0)
	v_cvt_f64_i32_e32 v[17:18], v5
.LBB143_2137:
	s_mov_b64 s[4:5], 0
.LBB143_2138:
	s_andn2_b64 vcc, exec, s[4:5]
	s_cbranch_vccnz .LBB143_2144
; %bb.2139:
	s_cmp_gt_i32 s6, 0
	s_cbranch_scc0 .LBB143_2141
; %bb.2140:
	global_load_sbyte v5, v[19:20], off
	s_mov_b64 s[4:5], 0
	s_waitcnt vmcnt(0)
	v_cvt_f64_i32_e32 v[17:18], v5
	s_branch .LBB143_2142
.LBB143_2141:
	s_mov_b64 s[4:5], -1
                                        ; implicit-def: $vgpr17_vgpr18
.LBB143_2142:
	s_andn2_b64 vcc, exec, s[4:5]
	s_cbranch_vccnz .LBB143_2144
; %bb.2143:
	global_load_ubyte v5, v[19:20], off
	s_waitcnt vmcnt(0)
	v_cvt_f64_u32_e32 v[17:18], v5
.LBB143_2144:
	s_mov_b64 s[18:19], -1
.LBB143_2145:
	s_andn2_b64 vcc, exec, s[18:19]
	s_cbranch_vccnz .LBB143_3101
; %bb.2146:
	v_mov_b32_e32 v5, s11
	v_add_co_u32_e32 v19, vcc, s10, v16
	s_cmp_lt_i32 s24, 11
	v_addc_co_u32_e32 v20, vcc, 0, v5, vcc
	s_cbranch_scc1 .LBB143_2153
; %bb.2147:
	s_and_b32 s26, 0xffff, s24
	s_cmp_gt_i32 s26, 25
	s_mov_b64 s[6:7], 0
	s_cbranch_scc0 .LBB143_2154
; %bb.2148:
	s_cmp_gt_i32 s26, 28
	s_cbranch_scc0 .LBB143_2155
; %bb.2149:
	s_cmp_gt_i32 s26, 43
	;; [unrolled: 3-line block ×3, first 2 shown]
	s_cbranch_scc0 .LBB143_2158
; %bb.2151:
	s_cmp_eq_u32 s26, 46
	s_mov_b64 s[20:21], 0
	s_cbranch_scc0 .LBB143_2159
; %bb.2152:
	global_load_dword v5, v[19:20], off
	s_mov_b64 s[4:5], 0
	s_mov_b64 s[18:19], -1
	s_waitcnt vmcnt(0)
	v_lshlrev_b32_e32 v5, 16, v5
	v_cvt_f64_f32_e32 v[15:16], v5
	s_branch .LBB143_2160
.LBB143_2153:
	s_mov_b64 s[4:5], -1
	s_mov_b64 s[18:19], 0
                                        ; implicit-def: $vgpr15_vgpr16
	s_branch .LBB143_2226
.LBB143_2154:
	s_mov_b64 s[20:21], -1
	s_mov_b64 s[18:19], 0
	s_mov_b64 s[4:5], 0
                                        ; implicit-def: $vgpr15_vgpr16
	s_branch .LBB143_2191
.LBB143_2155:
	s_mov_b64 s[20:21], -1
	s_mov_b64 s[18:19], 0
	s_mov_b64 s[4:5], 0
                                        ; implicit-def: $vgpr15_vgpr16
	s_branch .LBB143_2170
.LBB143_2156:
	s_mov_b64 s[20:21], -1
	s_mov_b64 s[18:19], 0
	s_mov_b64 s[4:5], 0
                                        ; implicit-def: $vgpr15_vgpr16
	s_branch .LBB143_2165
.LBB143_2157:
	s_trap 2
	s_or_b64 s[16:17], s[16:17], exec
	s_cbranch_execz .LBB143_2094
	s_branch .LBB143_2095
.LBB143_2158:
	s_mov_b64 s[20:21], -1
	s_mov_b64 s[18:19], 0
	s_mov_b64 s[4:5], 0
                                        ; implicit-def: $vgpr15_vgpr16
	s_branch .LBB143_2160
.LBB143_2159:
	s_mov_b64 s[4:5], -1
                                        ; implicit-def: $vgpr15_vgpr16
	s_mov_b64 s[18:19], 0
.LBB143_2160:
	s_and_b64 vcc, exec, s[20:21]
	s_cbranch_vccz .LBB143_2164
; %bb.2161:
	s_cmp_eq_u32 s26, 44
	s_cbranch_scc0 .LBB143_2163
; %bb.2162:
	global_load_ubyte v5, v[19:20], off
	s_movk_i32 s18, 0xff
	v_bfrev_b32_e32 v7, 4
	v_mov_b32_e32 v21, 0x7ff80000
	v_bfrev_b32_e32 v22, 28
	s_mov_b64 s[4:5], 0
	s_waitcnt vmcnt(0)
	v_lshlrev_b32_e32 v15, 23, v5
	v_cvt_f64_f32_e32 v[15:16], v15
	v_cmp_ne_u32_e32 vcc, s18, v5
	s_mov_b64 s[18:19], -1
	v_cndmask_b32_e32 v7, v7, v15, vcc
	v_cndmask_b32_e32 v15, v21, v16, vcc
	v_cmp_ne_u32_e32 vcc, 0, v5
	v_cndmask_b32_e32 v16, v22, v15, vcc
	v_cndmask_b32_e32 v15, 0, v7, vcc
	s_branch .LBB143_2164
.LBB143_2163:
	s_mov_b64 s[4:5], -1
                                        ; implicit-def: $vgpr15_vgpr16
.LBB143_2164:
	s_mov_b64 s[20:21], 0
.LBB143_2165:
	s_and_b64 vcc, exec, s[20:21]
	s_cbranch_vccz .LBB143_2169
; %bb.2166:
	s_cmp_eq_u32 s26, 29
	s_cbranch_scc0 .LBB143_2168
; %bb.2167:
	global_load_dwordx2 v[15:16], v[19:20], off
	s_mov_b64 s[4:5], 0
	s_mov_b64 s[18:19], -1
	s_mov_b64 s[20:21], 0
	s_waitcnt vmcnt(0)
	v_cvt_f64_u32_e32 v[21:22], v16
	v_cvt_f64_u32_e32 v[15:16], v15
	v_ldexp_f64 v[21:22], v[21:22], 32
	v_add_f64 v[15:16], v[21:22], v[15:16]
	s_branch .LBB143_2170
.LBB143_2168:
	s_mov_b64 s[4:5], -1
                                        ; implicit-def: $vgpr15_vgpr16
.LBB143_2169:
	s_mov_b64 s[20:21], 0
.LBB143_2170:
	s_and_b64 vcc, exec, s[20:21]
	s_cbranch_vccz .LBB143_2190
; %bb.2171:
	s_cmp_lt_i32 s26, 27
	s_cbranch_scc1 .LBB143_2174
; %bb.2172:
	s_cmp_gt_i32 s26, 27
	s_cbranch_scc0 .LBB143_2175
; %bb.2173:
	global_load_dword v5, v[19:20], off
	s_mov_b64 s[18:19], 0
	s_waitcnt vmcnt(0)
	v_cvt_f64_u32_e32 v[15:16], v5
	s_branch .LBB143_2176
.LBB143_2174:
	s_mov_b64 s[18:19], -1
                                        ; implicit-def: $vgpr15_vgpr16
	s_branch .LBB143_2179
.LBB143_2175:
	s_mov_b64 s[18:19], -1
                                        ; implicit-def: $vgpr15_vgpr16
.LBB143_2176:
	s_andn2_b64 vcc, exec, s[18:19]
	s_cbranch_vccnz .LBB143_2178
; %bb.2177:
	global_load_ushort v5, v[19:20], off
	s_waitcnt vmcnt(0)
	v_cvt_f64_u32_e32 v[15:16], v5
.LBB143_2178:
	s_mov_b64 s[18:19], 0
.LBB143_2179:
	s_andn2_b64 vcc, exec, s[18:19]
	s_cbranch_vccnz .LBB143_2189
; %bb.2180:
	global_load_ubyte v5, v[19:20], off
	s_movk_i32 s18, 0x7f
	s_waitcnt vmcnt(0)
	v_cmp_lt_i16_e32 vcc, s18, v5
	s_mov_b64 s[18:19], 0
	s_and_saveexec_b64 s[20:21], vcc
	s_xor_b64 s[20:21], exec, s[20:21]
	s_cbranch_execz .LBB143_2184
; %bb.2181:
	s_movk_i32 s18, 0x80
	v_cmp_eq_u16_e32 vcc, s18, v5
	s_mov_b64 s[18:19], -1
	s_and_saveexec_b64 s[22:23], vcc
; %bb.2182:
	s_xor_b64 s[18:19], exec, -1
; %bb.2183:
	s_or_b64 exec, exec, s[22:23]
	s_and_b64 s[18:19], s[18:19], exec
.LBB143_2184:
	s_or_saveexec_b64 s[20:21], s[20:21]
	v_bfrev_b32_e32 v15, 4
	v_mov_b32_e32 v16, 0x7ff80000
	s_xor_b64 exec, exec, s[20:21]
; %bb.2185:
	v_cmp_ne_u16_e32 vcc, 0, v5
	v_mov_b32_e32 v15, 0
	s_andn2_b64 s[18:19], s[18:19], exec
	s_and_b64 s[22:23], vcc, exec
	v_mov_b32_e32 v16, 0
	s_or_b64 s[18:19], s[18:19], s[22:23]
; %bb.2186:
	s_or_b64 exec, exec, s[20:21]
	s_and_saveexec_b64 s[20:21], s[18:19]
	s_cbranch_execz .LBB143_2188
; %bb.2187:
	v_lshlrev_b32_e32 v7, 24, v5
	v_and_b32_e32 v5, 0xffff, v5
	v_and_b32_e32 v15, 7, v5
	v_ffbh_u32_e32 v21, v15
	v_min_u32_e32 v21, 32, v21
	v_subrev_u32_e32 v22, 28, v21
	v_bfe_u32 v16, v5, 3, 4
	v_lshlrev_b32_e32 v5, v22, v5
	v_sub_u32_e32 v21, 29, v21
	v_and_b32_e32 v5, 7, v5
	v_cmp_eq_u32_e32 vcc, 0, v16
	v_cndmask_b32_e32 v16, v16, v21, vcc
	v_cndmask_b32_e32 v5, v15, v5, vcc
	v_mov_b32_e32 v15, 0x3b800000
	v_lshlrev_b32_e32 v5, 20, v5
	v_and_b32_e32 v7, 0x80000000, v7
	v_lshl_add_u32 v15, v16, 23, v15
	v_or3_b32 v5, v7, v15, v5
	v_cvt_f64_f32_e32 v[15:16], v5
.LBB143_2188:
	s_or_b64 exec, exec, s[20:21]
.LBB143_2189:
	s_mov_b64 s[18:19], -1
.LBB143_2190:
	s_mov_b64 s[20:21], 0
.LBB143_2191:
	s_and_b64 vcc, exec, s[20:21]
	s_cbranch_vccz .LBB143_2222
; %bb.2192:
	s_cmp_gt_i32 s26, 22
	s_cbranch_scc0 .LBB143_2204
; %bb.2193:
	s_cmp_lt_i32 s26, 24
	s_cbranch_scc1 .LBB143_2205
; %bb.2194:
	s_cmp_gt_i32 s26, 24
	s_cbranch_scc0 .LBB143_2206
; %bb.2195:
	global_load_ubyte v5, v[19:20], off
	s_movk_i32 s6, 0x7f
	s_waitcnt vmcnt(0)
	v_cmp_lt_i16_e32 vcc, s6, v5
	s_mov_b64 s[6:7], 0
	s_and_saveexec_b64 s[18:19], vcc
	s_xor_b64 s[18:19], exec, s[18:19]
	s_cbranch_execz .LBB143_2199
; %bb.2196:
	s_movk_i32 s6, 0x80
	v_cmp_eq_u16_e32 vcc, s6, v5
	s_mov_b64 s[6:7], -1
	s_and_saveexec_b64 s[20:21], vcc
; %bb.2197:
	s_xor_b64 s[6:7], exec, -1
; %bb.2198:
	s_or_b64 exec, exec, s[20:21]
	s_and_b64 s[6:7], s[6:7], exec
.LBB143_2199:
	s_or_saveexec_b64 s[18:19], s[18:19]
	v_bfrev_b32_e32 v15, 4
	v_mov_b32_e32 v16, 0x7ff80000
	s_xor_b64 exec, exec, s[18:19]
; %bb.2200:
	v_cmp_ne_u16_e32 vcc, 0, v5
	v_mov_b32_e32 v15, 0
	s_andn2_b64 s[6:7], s[6:7], exec
	s_and_b64 s[20:21], vcc, exec
	v_mov_b32_e32 v16, 0
	s_or_b64 s[6:7], s[6:7], s[20:21]
; %bb.2201:
	s_or_b64 exec, exec, s[18:19]
	s_and_saveexec_b64 s[18:19], s[6:7]
	s_cbranch_execz .LBB143_2203
; %bb.2202:
	v_lshlrev_b32_e32 v7, 24, v5
	v_and_b32_e32 v5, 0xffff, v5
	v_and_b32_e32 v15, 3, v5
	v_ffbh_u32_e32 v21, v15
	v_min_u32_e32 v21, 32, v21
	v_subrev_u32_e32 v22, 29, v21
	v_bfe_u32 v16, v5, 2, 5
	v_lshlrev_b32_e32 v5, v22, v5
	v_sub_u32_e32 v21, 30, v21
	v_and_b32_e32 v5, 3, v5
	v_cmp_eq_u32_e32 vcc, 0, v16
	v_cndmask_b32_e32 v16, v16, v21, vcc
	v_cndmask_b32_e32 v5, v15, v5, vcc
	v_mov_b32_e32 v15, 0x37800000
	v_lshlrev_b32_e32 v5, 21, v5
	v_and_b32_e32 v7, 0x80000000, v7
	v_lshl_add_u32 v15, v16, 23, v15
	v_or3_b32 v5, v7, v15, v5
	v_cvt_f64_f32_e32 v[15:16], v5
.LBB143_2203:
	s_or_b64 exec, exec, s[18:19]
	s_mov_b64 s[6:7], 0
	s_branch .LBB143_2207
.LBB143_2204:
	s_mov_b64 s[6:7], -1
                                        ; implicit-def: $vgpr15_vgpr16
	s_branch .LBB143_2213
.LBB143_2205:
	s_mov_b64 s[6:7], -1
                                        ; implicit-def: $vgpr15_vgpr16
	s_branch .LBB143_2210
.LBB143_2206:
	s_mov_b64 s[6:7], -1
                                        ; implicit-def: $vgpr15_vgpr16
.LBB143_2207:
	s_and_b64 vcc, exec, s[6:7]
	s_cbranch_vccz .LBB143_2209
; %bb.2208:
	global_load_ubyte v5, v[19:20], off
	s_mov_b32 s6, 0x7f800000
	s_waitcnt vmcnt(0)
	v_lshlrev_b32_e32 v5, 24, v5
	v_and_b32_e32 v7, 0x7f000000, v5
	v_ffbh_u32_e32 v15, v7
	v_min_u32_e32 v15, 32, v15
	v_sub_u32_e64 v15, v15, 4 clamp
	v_lshlrev_b32_e32 v21, v15, v7
	v_lshlrev_b32_e32 v15, 23, v15
	v_lshrrev_b32_e32 v21, 4, v21
	v_add_u32_e32 v16, 0x1000000, v7
	v_sub_u32_e32 v15, v21, v15
	v_ashrrev_i32_e32 v16, 8, v16
	v_add_u32_e32 v15, 0x3c000000, v15
	v_and_or_b32 v15, v16, s6, v15
	v_cmp_ne_u32_e32 vcc, 0, v7
	v_cndmask_b32_e32 v7, 0, v15, vcc
	s_brev_b32 s6, 1
	v_and_or_b32 v5, v5, s6, v7
	v_cvt_f64_f32_e32 v[15:16], v5
.LBB143_2209:
	s_mov_b64 s[6:7], 0
.LBB143_2210:
	s_andn2_b64 vcc, exec, s[6:7]
	s_cbranch_vccnz .LBB143_2212
; %bb.2211:
	global_load_ubyte v5, v[19:20], off
	s_movk_i32 s6, 0x7f00
	s_brev_b32 s7, 16
	s_waitcnt vmcnt(0)
	v_lshlrev_b16_e32 v7, 8, v5
	v_lshlrev_b32_e32 v5, 25, v5
	v_lshrrev_b32_e32 v15, 4, v5
	v_and_or_b32 v16, v7, s6, 0.5
	v_or_b32_e32 v15, 0x70000000, v15
	v_add_f32_e32 v16, -0.5, v16
	v_mul_f32_e32 v15, 0x7800000, v15
	v_cmp_gt_u32_e32 vcc, s7, v5
	v_bfe_i32 v7, v7, 0, 16
	v_cndmask_b32_e32 v5, v15, v16, vcc
	s_brev_b32 s6, 1
	v_and_or_b32 v5, v7, s6, v5
	v_cvt_f64_f32_e32 v[15:16], v5
.LBB143_2212:
	s_mov_b64 s[6:7], 0
	s_mov_b64 s[18:19], -1
.LBB143_2213:
	s_andn2_b64 vcc, exec, s[6:7]
	s_mov_b64 s[6:7], 0
	s_cbranch_vccnz .LBB143_2222
; %bb.2214:
	s_cmp_gt_i32 s26, 14
	s_cbranch_scc0 .LBB143_2217
; %bb.2215:
	s_cmp_eq_u32 s26, 15
	s_cbranch_scc0 .LBB143_2218
; %bb.2216:
	global_load_ushort v5, v[19:20], off
	s_mov_b64 s[4:5], 0
	s_mov_b64 s[18:19], -1
	s_waitcnt vmcnt(0)
	v_lshlrev_b32_e32 v5, 16, v5
	v_cvt_f64_f32_e32 v[15:16], v5
	s_branch .LBB143_2219
.LBB143_2217:
	s_mov_b64 s[20:21], -1
                                        ; implicit-def: $vgpr15_vgpr16
	s_branch .LBB143_2220
.LBB143_2218:
	s_mov_b64 s[4:5], -1
                                        ; implicit-def: $vgpr15_vgpr16
.LBB143_2219:
	s_mov_b64 s[20:21], 0
.LBB143_2220:
	s_and_b64 vcc, exec, s[20:21]
	s_cbranch_vccz .LBB143_2222
; %bb.2221:
	s_cmp_lg_u32 s26, 11
	s_mov_b64 s[6:7], -1
	s_cselect_b64 s[4:5], -1, 0
.LBB143_2222:
	s_and_b64 vcc, exec, s[4:5]
	s_cbranch_vccnz .LBB143_2287
; %bb.2223:
	s_andn2_b64 vcc, exec, s[6:7]
	s_cbranch_vccnz .LBB143_2225
.LBB143_2224:
	global_load_ubyte v5, v[19:20], off
	v_mov_b32_e32 v7, 0x3ff00000
	v_mov_b32_e32 v15, 0
	s_mov_b64 s[18:19], -1
	s_waitcnt vmcnt(0)
	v_cmp_ne_u16_e32 vcc, 0, v5
	v_cndmask_b32_e32 v16, 0, v7, vcc
.LBB143_2225:
	s_mov_b64 s[4:5], 0
.LBB143_2226:
	s_and_b64 vcc, exec, s[4:5]
	s_cbranch_vccz .LBB143_2275
; %bb.2227:
	s_and_b32 s6, 0xffff, s24
	s_cmp_lt_i32 s6, 5
	s_cbranch_scc1 .LBB143_2232
; %bb.2228:
	s_cmp_lt_i32 s6, 8
	s_cbranch_scc1 .LBB143_2233
; %bb.2229:
	;; [unrolled: 3-line block ×3, first 2 shown]
	s_cmp_gt_i32 s6, 9
	s_cbranch_scc0 .LBB143_2235
; %bb.2231:
	global_load_dwordx2 v[15:16], v[19:20], off
	s_mov_b64 s[4:5], 0
	s_branch .LBB143_2236
.LBB143_2232:
	s_mov_b64 s[4:5], -1
                                        ; implicit-def: $vgpr15_vgpr16
	s_branch .LBB143_2254
.LBB143_2233:
	s_mov_b64 s[4:5], -1
                                        ; implicit-def: $vgpr15_vgpr16
	s_branch .LBB143_2242
.LBB143_2234:
	s_mov_b64 s[4:5], -1
                                        ; implicit-def: $vgpr15_vgpr16
	s_branch .LBB143_2239
.LBB143_2235:
	s_mov_b64 s[4:5], -1
                                        ; implicit-def: $vgpr15_vgpr16
.LBB143_2236:
	s_andn2_b64 vcc, exec, s[4:5]
	s_cbranch_vccnz .LBB143_2238
; %bb.2237:
	global_load_dword v5, v[19:20], off
	s_waitcnt vmcnt(0)
	v_cvt_f64_f32_e32 v[15:16], v5
.LBB143_2238:
	s_mov_b64 s[4:5], 0
.LBB143_2239:
	s_andn2_b64 vcc, exec, s[4:5]
	s_cbranch_vccnz .LBB143_2241
; %bb.2240:
	global_load_dword v5, v[19:20], off
	s_waitcnt vmcnt(0)
	v_cvt_f32_f16_e32 v5, v5
	v_cvt_f64_f32_e32 v[15:16], v5
.LBB143_2241:
	s_mov_b64 s[4:5], 0
.LBB143_2242:
	s_andn2_b64 vcc, exec, s[4:5]
	s_cbranch_vccnz .LBB143_2253
; %bb.2243:
	s_cmp_lt_i32 s6, 6
	s_cbranch_scc1 .LBB143_2246
; %bb.2244:
	s_cmp_gt_i32 s6, 6
	s_cbranch_scc0 .LBB143_2247
; %bb.2245:
	global_load_dwordx2 v[15:16], v[19:20], off
	s_mov_b64 s[4:5], 0
	s_branch .LBB143_2248
.LBB143_2246:
	s_mov_b64 s[4:5], -1
                                        ; implicit-def: $vgpr15_vgpr16
	s_branch .LBB143_2251
.LBB143_2247:
	s_mov_b64 s[4:5], -1
                                        ; implicit-def: $vgpr15_vgpr16
.LBB143_2248:
	s_andn2_b64 vcc, exec, s[4:5]
	s_cbranch_vccnz .LBB143_2250
; %bb.2249:
	global_load_dword v5, v[19:20], off
	s_waitcnt vmcnt(0)
	v_cvt_f64_f32_e32 v[15:16], v5
.LBB143_2250:
	s_mov_b64 s[4:5], 0
.LBB143_2251:
	s_andn2_b64 vcc, exec, s[4:5]
	s_cbranch_vccnz .LBB143_2253
; %bb.2252:
	global_load_ushort v5, v[19:20], off
	s_waitcnt vmcnt(0)
	v_cvt_f32_f16_e32 v5, v5
	v_cvt_f64_f32_e32 v[15:16], v5
.LBB143_2253:
	s_mov_b64 s[4:5], 0
.LBB143_2254:
	s_andn2_b64 vcc, exec, s[4:5]
	s_cbranch_vccnz .LBB143_2274
; %bb.2255:
	s_cmp_lt_i32 s6, 2
	s_cbranch_scc1 .LBB143_2259
; %bb.2256:
	s_cmp_lt_i32 s6, 3
	s_cbranch_scc1 .LBB143_2260
; %bb.2257:
	s_cmp_gt_i32 s6, 3
	s_cbranch_scc0 .LBB143_2261
; %bb.2258:
	global_load_dwordx2 v[15:16], v[19:20], off
	s_mov_b64 s[4:5], 0
	s_waitcnt vmcnt(0)
	v_cvt_f64_i32_e32 v[21:22], v16
	v_cvt_f64_u32_e32 v[15:16], v15
	v_ldexp_f64 v[21:22], v[21:22], 32
	v_add_f64 v[15:16], v[21:22], v[15:16]
	s_branch .LBB143_2262
.LBB143_2259:
	s_mov_b64 s[4:5], -1
                                        ; implicit-def: $vgpr15_vgpr16
	s_branch .LBB143_2268
.LBB143_2260:
	s_mov_b64 s[4:5], -1
                                        ; implicit-def: $vgpr15_vgpr16
	s_branch .LBB143_2265
.LBB143_2261:
	s_mov_b64 s[4:5], -1
                                        ; implicit-def: $vgpr15_vgpr16
.LBB143_2262:
	s_andn2_b64 vcc, exec, s[4:5]
	s_cbranch_vccnz .LBB143_2264
; %bb.2263:
	global_load_dword v5, v[19:20], off
	s_waitcnt vmcnt(0)
	v_cvt_f64_i32_e32 v[15:16], v5
.LBB143_2264:
	s_mov_b64 s[4:5], 0
.LBB143_2265:
	s_andn2_b64 vcc, exec, s[4:5]
	s_cbranch_vccnz .LBB143_2267
; %bb.2266:
	global_load_sshort v5, v[19:20], off
	s_waitcnt vmcnt(0)
	v_cvt_f64_i32_e32 v[15:16], v5
.LBB143_2267:
	s_mov_b64 s[4:5], 0
.LBB143_2268:
	s_andn2_b64 vcc, exec, s[4:5]
	s_cbranch_vccnz .LBB143_2274
; %bb.2269:
	s_cmp_gt_i32 s6, 0
	s_cbranch_scc0 .LBB143_2271
; %bb.2270:
	global_load_sbyte v5, v[19:20], off
	s_mov_b64 s[4:5], 0
	s_waitcnt vmcnt(0)
	v_cvt_f64_i32_e32 v[15:16], v5
	s_branch .LBB143_2272
.LBB143_2271:
	s_mov_b64 s[4:5], -1
                                        ; implicit-def: $vgpr15_vgpr16
.LBB143_2272:
	s_andn2_b64 vcc, exec, s[4:5]
	s_cbranch_vccnz .LBB143_2274
; %bb.2273:
	global_load_ubyte v5, v[19:20], off
	s_waitcnt vmcnt(0)
	v_cvt_f64_u32_e32 v[15:16], v5
.LBB143_2274:
	s_mov_b64 s[18:19], -1
.LBB143_2275:
	s_andn2_b64 vcc, exec, s[18:19]
	s_cbranch_vccnz .LBB143_3101
; %bb.2276:
	v_mov_b32_e32 v5, s1
	v_add_co_u32_e32 v19, vcc, s0, v3
	s_cmp_lt_i32 s25, 11
	v_addc_co_u32_e32 v20, vcc, 0, v5, vcc
	s_cbranch_scc1 .LBB143_2283
; %bb.2277:
	s_and_b32 s26, 0xffff, s25
	s_cmp_gt_i32 s26, 25
	s_mov_b64 s[6:7], 0
	s_cbranch_scc0 .LBB143_2284
; %bb.2278:
	s_cmp_gt_i32 s26, 28
	s_cbranch_scc0 .LBB143_2285
; %bb.2279:
	s_cmp_gt_i32 s26, 43
	;; [unrolled: 3-line block ×3, first 2 shown]
	s_cbranch_scc0 .LBB143_2288
; %bb.2281:
	s_cmp_eq_u32 s26, 46
	s_mov_b64 s[20:21], 0
	s_cbranch_scc0 .LBB143_2291
; %bb.2282:
	global_load_dword v3, v[19:20], off
	s_mov_b64 s[4:5], 0
	s_mov_b64 s[18:19], -1
	s_waitcnt vmcnt(0)
	v_lshlrev_b32_e32 v3, 16, v3
	v_cvt_f64_f32_e32 v[21:22], v3
	s_branch .LBB143_2292
.LBB143_2283:
	s_mov_b64 s[4:5], -1
	s_mov_b64 s[18:19], 0
                                        ; implicit-def: $vgpr21_vgpr22
	s_branch .LBB143_2358
.LBB143_2284:
	s_mov_b64 s[20:21], -1
	s_mov_b64 s[18:19], 0
	s_mov_b64 s[4:5], 0
                                        ; implicit-def: $vgpr21_vgpr22
	s_branch .LBB143_2323
.LBB143_2285:
	s_mov_b64 s[20:21], -1
	s_mov_b64 s[18:19], 0
	s_mov_b64 s[4:5], 0
                                        ; implicit-def: $vgpr21_vgpr22
	s_branch .LBB143_2302
.LBB143_2286:
	s_mov_b64 s[20:21], -1
	s_mov_b64 s[18:19], 0
	s_mov_b64 s[4:5], 0
                                        ; implicit-def: $vgpr21_vgpr22
	s_branch .LBB143_2297
.LBB143_2287:
	s_trap 2
	s_or_b64 s[16:17], s[16:17], exec
	s_cbranch_execz .LBB143_2224
	s_branch .LBB143_2225
.LBB143_2288:
	s_mov_b64 s[20:21], -1
	s_mov_b64 s[18:19], 0
	s_mov_b64 s[4:5], 0
                                        ; implicit-def: $vgpr21_vgpr22
	s_branch .LBB143_2292
.LBB143_2289:
	s_andn2_saveexec_b64 s[66:67], s[66:67]
	s_cbranch_execz .LBB143_1119
.LBB143_2290:
	s_mov_b32 s71, 0x42800000
	v_add_f32_e64 v3, |v2|, s71
	v_and_b32_e32 v3, 0xff, v3
	v_cmp_ne_u32_e32 vcc, 0, v3
	s_andn2_b64 s[64:65], s[64:65], exec
	s_and_b64 s[78:79], vcc, exec
	s_or_b64 s[64:65], s[64:65], s[78:79]
	s_or_b64 exec, exec, s[66:67]
	v_mov_b32_e32 v6, 0
	s_and_saveexec_b64 s[66:67], s[64:65]
	s_cbranch_execnz .LBB143_1120
	s_branch .LBB143_1121
.LBB143_2291:
	s_mov_b64 s[4:5], -1
                                        ; implicit-def: $vgpr21_vgpr22
	s_mov_b64 s[18:19], 0
.LBB143_2292:
	s_and_b64 vcc, exec, s[20:21]
	s_cbranch_vccz .LBB143_2296
; %bb.2293:
	s_cmp_eq_u32 s26, 44
	s_cbranch_scc0 .LBB143_2295
; %bb.2294:
	global_load_ubyte v3, v[19:20], off
	s_movk_i32 s18, 0xff
	v_bfrev_b32_e32 v5, 4
	v_mov_b32_e32 v7, 0x7ff80000
	v_bfrev_b32_e32 v23, 28
	s_mov_b64 s[4:5], 0
	s_waitcnt vmcnt(0)
	v_lshlrev_b32_e32 v21, 23, v3
	v_cvt_f64_f32_e32 v[21:22], v21
	v_cmp_ne_u32_e32 vcc, s18, v3
	s_mov_b64 s[18:19], -1
	v_cndmask_b32_e32 v5, v5, v21, vcc
	v_cndmask_b32_e32 v7, v7, v22, vcc
	v_cmp_ne_u32_e32 vcc, 0, v3
	v_cndmask_b32_e32 v22, v23, v7, vcc
	v_cndmask_b32_e32 v21, 0, v5, vcc
	s_branch .LBB143_2296
.LBB143_2295:
	s_mov_b64 s[4:5], -1
                                        ; implicit-def: $vgpr21_vgpr22
.LBB143_2296:
	s_mov_b64 s[20:21], 0
.LBB143_2297:
	s_and_b64 vcc, exec, s[20:21]
	s_cbranch_vccz .LBB143_2301
; %bb.2298:
	s_cmp_eq_u32 s26, 29
	s_cbranch_scc0 .LBB143_2300
; %bb.2299:
	global_load_dwordx2 v[21:22], v[19:20], off
	s_mov_b64 s[4:5], 0
	s_mov_b64 s[18:19], -1
	s_mov_b64 s[20:21], 0
	s_waitcnt vmcnt(0)
	v_cvt_f64_u32_e32 v[22:23], v22
	v_cvt_f64_u32_e32 v[24:25], v21
	v_ldexp_f64 v[22:23], v[22:23], 32
	v_add_f64 v[21:22], v[22:23], v[24:25]
	s_branch .LBB143_2302
.LBB143_2300:
	s_mov_b64 s[4:5], -1
                                        ; implicit-def: $vgpr21_vgpr22
.LBB143_2301:
	s_mov_b64 s[20:21], 0
.LBB143_2302:
	s_and_b64 vcc, exec, s[20:21]
	s_cbranch_vccz .LBB143_2322
; %bb.2303:
	s_cmp_lt_i32 s26, 27
	s_cbranch_scc1 .LBB143_2306
; %bb.2304:
	s_cmp_gt_i32 s26, 27
	s_cbranch_scc0 .LBB143_2307
; %bb.2305:
	global_load_dword v3, v[19:20], off
	s_mov_b64 s[18:19], 0
	s_waitcnt vmcnt(0)
	v_cvt_f64_u32_e32 v[21:22], v3
	s_branch .LBB143_2308
.LBB143_2306:
	s_mov_b64 s[18:19], -1
                                        ; implicit-def: $vgpr21_vgpr22
	s_branch .LBB143_2311
.LBB143_2307:
	s_mov_b64 s[18:19], -1
                                        ; implicit-def: $vgpr21_vgpr22
.LBB143_2308:
	s_andn2_b64 vcc, exec, s[18:19]
	s_cbranch_vccnz .LBB143_2310
; %bb.2309:
	global_load_ushort v3, v[19:20], off
	s_waitcnt vmcnt(0)
	v_cvt_f64_u32_e32 v[21:22], v3
.LBB143_2310:
	s_mov_b64 s[18:19], 0
.LBB143_2311:
	s_andn2_b64 vcc, exec, s[18:19]
	s_cbranch_vccnz .LBB143_2321
; %bb.2312:
	global_load_ubyte v3, v[19:20], off
	s_movk_i32 s18, 0x7f
	s_waitcnt vmcnt(0)
	v_cmp_lt_i16_e32 vcc, s18, v3
	s_mov_b64 s[18:19], 0
	s_and_saveexec_b64 s[20:21], vcc
	s_xor_b64 s[20:21], exec, s[20:21]
	s_cbranch_execz .LBB143_2316
; %bb.2313:
	s_movk_i32 s18, 0x80
	v_cmp_eq_u16_e32 vcc, s18, v3
	s_mov_b64 s[18:19], -1
	s_and_saveexec_b64 s[22:23], vcc
; %bb.2314:
	s_xor_b64 s[18:19], exec, -1
; %bb.2315:
	s_or_b64 exec, exec, s[22:23]
	s_and_b64 s[18:19], s[18:19], exec
.LBB143_2316:
	s_or_saveexec_b64 s[20:21], s[20:21]
	v_bfrev_b32_e32 v21, 4
	v_mov_b32_e32 v22, 0x7ff80000
	s_xor_b64 exec, exec, s[20:21]
; %bb.2317:
	v_cmp_ne_u16_e32 vcc, 0, v3
	v_mov_b32_e32 v21, 0
	s_andn2_b64 s[18:19], s[18:19], exec
	s_and_b64 s[22:23], vcc, exec
	v_mov_b32_e32 v22, 0
	s_or_b64 s[18:19], s[18:19], s[22:23]
; %bb.2318:
	s_or_b64 exec, exec, s[20:21]
	s_and_saveexec_b64 s[20:21], s[18:19]
	s_cbranch_execz .LBB143_2320
; %bb.2319:
	v_lshlrev_b32_e32 v5, 24, v3
	v_and_b32_e32 v3, 0xffff, v3
	v_and_b32_e32 v7, 7, v3
	v_ffbh_u32_e32 v22, v7
	v_min_u32_e32 v22, 32, v22
	v_subrev_u32_e32 v23, 28, v22
	v_bfe_u32 v21, v3, 3, 4
	v_lshlrev_b32_e32 v3, v23, v3
	v_sub_u32_e32 v22, 29, v22
	v_and_b32_e32 v3, 7, v3
	v_cmp_eq_u32_e32 vcc, 0, v21
	v_cndmask_b32_e32 v21, v21, v22, vcc
	v_cndmask_b32_e32 v3, v7, v3, vcc
	v_mov_b32_e32 v7, 0x3b800000
	v_lshlrev_b32_e32 v3, 20, v3
	v_and_b32_e32 v5, 0x80000000, v5
	v_lshl_add_u32 v7, v21, 23, v7
	v_or3_b32 v3, v5, v7, v3
	v_cvt_f64_f32_e32 v[21:22], v3
.LBB143_2320:
	s_or_b64 exec, exec, s[20:21]
.LBB143_2321:
	s_mov_b64 s[18:19], -1
.LBB143_2322:
	s_mov_b64 s[20:21], 0
.LBB143_2323:
	s_and_b64 vcc, exec, s[20:21]
	s_cbranch_vccz .LBB143_2354
; %bb.2324:
	s_cmp_gt_i32 s26, 22
	s_cbranch_scc0 .LBB143_2336
; %bb.2325:
	s_cmp_lt_i32 s26, 24
	s_cbranch_scc1 .LBB143_2337
; %bb.2326:
	s_cmp_gt_i32 s26, 24
	s_cbranch_scc0 .LBB143_2338
; %bb.2327:
	global_load_ubyte v3, v[19:20], off
	s_movk_i32 s6, 0x7f
	s_waitcnt vmcnt(0)
	v_cmp_lt_i16_e32 vcc, s6, v3
	s_mov_b64 s[6:7], 0
	s_and_saveexec_b64 s[18:19], vcc
	s_xor_b64 s[18:19], exec, s[18:19]
	s_cbranch_execz .LBB143_2331
; %bb.2328:
	s_movk_i32 s6, 0x80
	v_cmp_eq_u16_e32 vcc, s6, v3
	s_mov_b64 s[6:7], -1
	s_and_saveexec_b64 s[20:21], vcc
; %bb.2329:
	s_xor_b64 s[6:7], exec, -1
; %bb.2330:
	s_or_b64 exec, exec, s[20:21]
	s_and_b64 s[6:7], s[6:7], exec
.LBB143_2331:
	s_or_saveexec_b64 s[18:19], s[18:19]
	v_bfrev_b32_e32 v21, 4
	v_mov_b32_e32 v22, 0x7ff80000
	s_xor_b64 exec, exec, s[18:19]
; %bb.2332:
	v_cmp_ne_u16_e32 vcc, 0, v3
	v_mov_b32_e32 v21, 0
	s_andn2_b64 s[6:7], s[6:7], exec
	s_and_b64 s[20:21], vcc, exec
	v_mov_b32_e32 v22, 0
	s_or_b64 s[6:7], s[6:7], s[20:21]
; %bb.2333:
	s_or_b64 exec, exec, s[18:19]
	s_and_saveexec_b64 s[18:19], s[6:7]
	s_cbranch_execz .LBB143_2335
; %bb.2334:
	v_lshlrev_b32_e32 v5, 24, v3
	v_and_b32_e32 v3, 0xffff, v3
	v_and_b32_e32 v7, 3, v3
	v_ffbh_u32_e32 v22, v7
	v_min_u32_e32 v22, 32, v22
	v_subrev_u32_e32 v23, 29, v22
	v_bfe_u32 v21, v3, 2, 5
	v_lshlrev_b32_e32 v3, v23, v3
	v_sub_u32_e32 v22, 30, v22
	v_and_b32_e32 v3, 3, v3
	v_cmp_eq_u32_e32 vcc, 0, v21
	v_cndmask_b32_e32 v21, v21, v22, vcc
	v_cndmask_b32_e32 v3, v7, v3, vcc
	v_mov_b32_e32 v7, 0x37800000
	v_lshlrev_b32_e32 v3, 21, v3
	v_and_b32_e32 v5, 0x80000000, v5
	v_lshl_add_u32 v7, v21, 23, v7
	v_or3_b32 v3, v5, v7, v3
	v_cvt_f64_f32_e32 v[21:22], v3
.LBB143_2335:
	s_or_b64 exec, exec, s[18:19]
	s_mov_b64 s[6:7], 0
	s_branch .LBB143_2339
.LBB143_2336:
	s_mov_b64 s[6:7], -1
                                        ; implicit-def: $vgpr21_vgpr22
	s_branch .LBB143_2345
.LBB143_2337:
	s_mov_b64 s[6:7], -1
                                        ; implicit-def: $vgpr21_vgpr22
	s_branch .LBB143_2342
.LBB143_2338:
	s_mov_b64 s[6:7], -1
                                        ; implicit-def: $vgpr21_vgpr22
.LBB143_2339:
	s_and_b64 vcc, exec, s[6:7]
	s_cbranch_vccz .LBB143_2341
; %bb.2340:
	global_load_ubyte v3, v[19:20], off
	s_mov_b32 s6, 0x7f800000
	s_waitcnt vmcnt(0)
	v_lshlrev_b32_e32 v3, 24, v3
	v_and_b32_e32 v5, 0x7f000000, v3
	v_ffbh_u32_e32 v7, v5
	v_min_u32_e32 v7, 32, v7
	v_sub_u32_e64 v7, v7, 4 clamp
	v_lshlrev_b32_e32 v22, v7, v5
	v_lshlrev_b32_e32 v7, 23, v7
	v_lshrrev_b32_e32 v22, 4, v22
	v_add_u32_e32 v21, 0x1000000, v5
	v_sub_u32_e32 v7, v22, v7
	v_ashrrev_i32_e32 v21, 8, v21
	v_add_u32_e32 v7, 0x3c000000, v7
	v_and_or_b32 v7, v21, s6, v7
	v_cmp_ne_u32_e32 vcc, 0, v5
	v_cndmask_b32_e32 v5, 0, v7, vcc
	s_brev_b32 s6, 1
	v_and_or_b32 v3, v3, s6, v5
	v_cvt_f64_f32_e32 v[21:22], v3
.LBB143_2341:
	s_mov_b64 s[6:7], 0
.LBB143_2342:
	s_andn2_b64 vcc, exec, s[6:7]
	s_cbranch_vccnz .LBB143_2344
; %bb.2343:
	global_load_ubyte v3, v[19:20], off
	s_movk_i32 s6, 0x7f00
	s_brev_b32 s7, 16
	s_waitcnt vmcnt(0)
	v_lshlrev_b16_e32 v5, 8, v3
	v_lshlrev_b32_e32 v3, 25, v3
	v_lshrrev_b32_e32 v7, 4, v3
	v_and_or_b32 v21, v5, s6, 0.5
	v_or_b32_e32 v7, 0x70000000, v7
	v_add_f32_e32 v21, -0.5, v21
	v_mul_f32_e32 v7, 0x7800000, v7
	v_cmp_gt_u32_e32 vcc, s7, v3
	v_bfe_i32 v5, v5, 0, 16
	v_cndmask_b32_e32 v3, v7, v21, vcc
	s_brev_b32 s6, 1
	v_and_or_b32 v3, v5, s6, v3
	v_cvt_f64_f32_e32 v[21:22], v3
.LBB143_2344:
	s_mov_b64 s[6:7], 0
	s_mov_b64 s[18:19], -1
.LBB143_2345:
	s_andn2_b64 vcc, exec, s[6:7]
	s_mov_b64 s[6:7], 0
	s_cbranch_vccnz .LBB143_2354
; %bb.2346:
	s_cmp_gt_i32 s26, 14
	s_cbranch_scc0 .LBB143_2349
; %bb.2347:
	s_cmp_eq_u32 s26, 15
	s_cbranch_scc0 .LBB143_2350
; %bb.2348:
	global_load_ushort v3, v[19:20], off
	s_mov_b64 s[4:5], 0
	s_mov_b64 s[18:19], -1
	s_waitcnt vmcnt(0)
	v_lshlrev_b32_e32 v3, 16, v3
	v_cvt_f64_f32_e32 v[21:22], v3
	s_branch .LBB143_2351
.LBB143_2349:
	s_mov_b64 s[20:21], -1
                                        ; implicit-def: $vgpr21_vgpr22
	s_branch .LBB143_2352
.LBB143_2350:
	s_mov_b64 s[4:5], -1
                                        ; implicit-def: $vgpr21_vgpr22
.LBB143_2351:
	s_mov_b64 s[20:21], 0
.LBB143_2352:
	s_and_b64 vcc, exec, s[20:21]
	s_cbranch_vccz .LBB143_2354
; %bb.2353:
	s_cmp_lg_u32 s26, 11
	s_mov_b64 s[6:7], -1
	s_cselect_b64 s[4:5], -1, 0
.LBB143_2354:
	s_and_b64 vcc, exec, s[4:5]
	s_cbranch_vccnz .LBB143_2419
; %bb.2355:
	s_andn2_b64 vcc, exec, s[6:7]
	s_cbranch_vccnz .LBB143_2357
.LBB143_2356:
	global_load_ubyte v3, v[19:20], off
	v_mov_b32_e32 v5, 0x3ff00000
	v_mov_b32_e32 v21, 0
	s_mov_b64 s[18:19], -1
	s_waitcnt vmcnt(0)
	v_cmp_ne_u16_e32 vcc, 0, v3
	v_cndmask_b32_e32 v22, 0, v5, vcc
.LBB143_2357:
	s_mov_b64 s[4:5], 0
.LBB143_2358:
	s_and_b64 vcc, exec, s[4:5]
	s_cbranch_vccz .LBB143_2407
; %bb.2359:
	s_and_b32 s6, 0xffff, s25
	s_cmp_lt_i32 s6, 5
	s_cbranch_scc1 .LBB143_2364
; %bb.2360:
	s_cmp_lt_i32 s6, 8
	s_cbranch_scc1 .LBB143_2365
; %bb.2361:
	;; [unrolled: 3-line block ×3, first 2 shown]
	s_cmp_gt_i32 s6, 9
	s_cbranch_scc0 .LBB143_2367
; %bb.2363:
	global_load_dwordx2 v[21:22], v[19:20], off
	s_mov_b64 s[4:5], 0
	s_branch .LBB143_2368
.LBB143_2364:
	s_mov_b64 s[4:5], -1
                                        ; implicit-def: $vgpr21_vgpr22
	s_branch .LBB143_2386
.LBB143_2365:
	s_mov_b64 s[4:5], -1
                                        ; implicit-def: $vgpr21_vgpr22
	s_branch .LBB143_2374
.LBB143_2366:
	s_mov_b64 s[4:5], -1
                                        ; implicit-def: $vgpr21_vgpr22
	s_branch .LBB143_2371
.LBB143_2367:
	s_mov_b64 s[4:5], -1
                                        ; implicit-def: $vgpr21_vgpr22
.LBB143_2368:
	s_andn2_b64 vcc, exec, s[4:5]
	s_cbranch_vccnz .LBB143_2370
; %bb.2369:
	global_load_dword v3, v[19:20], off
	s_waitcnt vmcnt(0)
	v_cvt_f64_f32_e32 v[21:22], v3
.LBB143_2370:
	s_mov_b64 s[4:5], 0
.LBB143_2371:
	s_andn2_b64 vcc, exec, s[4:5]
	s_cbranch_vccnz .LBB143_2373
; %bb.2372:
	global_load_dword v3, v[19:20], off
	s_waitcnt vmcnt(0)
	v_cvt_f32_f16_e32 v3, v3
	v_cvt_f64_f32_e32 v[21:22], v3
.LBB143_2373:
	s_mov_b64 s[4:5], 0
.LBB143_2374:
	s_andn2_b64 vcc, exec, s[4:5]
	s_cbranch_vccnz .LBB143_2385
; %bb.2375:
	s_cmp_lt_i32 s6, 6
	s_cbranch_scc1 .LBB143_2378
; %bb.2376:
	s_cmp_gt_i32 s6, 6
	s_cbranch_scc0 .LBB143_2379
; %bb.2377:
	global_load_dwordx2 v[21:22], v[19:20], off
	s_mov_b64 s[4:5], 0
	s_branch .LBB143_2380
.LBB143_2378:
	s_mov_b64 s[4:5], -1
                                        ; implicit-def: $vgpr21_vgpr22
	s_branch .LBB143_2383
.LBB143_2379:
	s_mov_b64 s[4:5], -1
                                        ; implicit-def: $vgpr21_vgpr22
.LBB143_2380:
	s_andn2_b64 vcc, exec, s[4:5]
	s_cbranch_vccnz .LBB143_2382
; %bb.2381:
	global_load_dword v3, v[19:20], off
	s_waitcnt vmcnt(0)
	v_cvt_f64_f32_e32 v[21:22], v3
.LBB143_2382:
	s_mov_b64 s[4:5], 0
.LBB143_2383:
	s_andn2_b64 vcc, exec, s[4:5]
	s_cbranch_vccnz .LBB143_2385
; %bb.2384:
	global_load_ushort v3, v[19:20], off
	s_waitcnt vmcnt(0)
	v_cvt_f32_f16_e32 v3, v3
	v_cvt_f64_f32_e32 v[21:22], v3
.LBB143_2385:
	s_mov_b64 s[4:5], 0
.LBB143_2386:
	s_andn2_b64 vcc, exec, s[4:5]
	s_cbranch_vccnz .LBB143_2406
; %bb.2387:
	s_cmp_lt_i32 s6, 2
	s_cbranch_scc1 .LBB143_2391
; %bb.2388:
	s_cmp_lt_i32 s6, 3
	s_cbranch_scc1 .LBB143_2392
; %bb.2389:
	s_cmp_gt_i32 s6, 3
	s_cbranch_scc0 .LBB143_2393
; %bb.2390:
	global_load_dwordx2 v[21:22], v[19:20], off
	s_mov_b64 s[4:5], 0
	s_waitcnt vmcnt(0)
	v_cvt_f64_i32_e32 v[22:23], v22
	v_cvt_f64_u32_e32 v[24:25], v21
	v_ldexp_f64 v[22:23], v[22:23], 32
	v_add_f64 v[21:22], v[22:23], v[24:25]
	s_branch .LBB143_2394
.LBB143_2391:
	s_mov_b64 s[4:5], -1
                                        ; implicit-def: $vgpr21_vgpr22
	s_branch .LBB143_2400
.LBB143_2392:
	s_mov_b64 s[4:5], -1
                                        ; implicit-def: $vgpr21_vgpr22
	s_branch .LBB143_2397
.LBB143_2393:
	s_mov_b64 s[4:5], -1
                                        ; implicit-def: $vgpr21_vgpr22
.LBB143_2394:
	s_andn2_b64 vcc, exec, s[4:5]
	s_cbranch_vccnz .LBB143_2396
; %bb.2395:
	global_load_dword v3, v[19:20], off
	s_waitcnt vmcnt(0)
	v_cvt_f64_i32_e32 v[21:22], v3
.LBB143_2396:
	s_mov_b64 s[4:5], 0
.LBB143_2397:
	s_andn2_b64 vcc, exec, s[4:5]
	s_cbranch_vccnz .LBB143_2399
; %bb.2398:
	global_load_sshort v3, v[19:20], off
	s_waitcnt vmcnt(0)
	v_cvt_f64_i32_e32 v[21:22], v3
.LBB143_2399:
	s_mov_b64 s[4:5], 0
.LBB143_2400:
	s_andn2_b64 vcc, exec, s[4:5]
	s_cbranch_vccnz .LBB143_2406
; %bb.2401:
	s_cmp_gt_i32 s6, 0
	s_cbranch_scc0 .LBB143_2403
; %bb.2402:
	global_load_sbyte v3, v[19:20], off
	s_mov_b64 s[4:5], 0
	s_waitcnt vmcnt(0)
	v_cvt_f64_i32_e32 v[21:22], v3
	s_branch .LBB143_2404
.LBB143_2403:
	s_mov_b64 s[4:5], -1
                                        ; implicit-def: $vgpr21_vgpr22
.LBB143_2404:
	s_andn2_b64 vcc, exec, s[4:5]
	s_cbranch_vccnz .LBB143_2406
; %bb.2405:
	global_load_ubyte v3, v[19:20], off
	s_waitcnt vmcnt(0)
	v_cvt_f64_u32_e32 v[21:22], v3
.LBB143_2406:
	s_mov_b64 s[18:19], -1
.LBB143_2407:
	s_andn2_b64 vcc, exec, s[18:19]
	s_cbranch_vccnz .LBB143_3101
; %bb.2408:
	v_mov_b32_e32 v3, s11
	v_add_co_u32_e32 v23, vcc, s10, v14
	s_cmp_lt_i32 s24, 11
	v_addc_co_u32_e32 v24, vcc, 0, v3, vcc
	s_cbranch_scc1 .LBB143_2415
; %bb.2409:
	s_and_b32 s22, 0xffff, s24
	s_cmp_gt_i32 s22, 25
	s_mov_b64 s[6:7], 0
	s_cbranch_scc0 .LBB143_2416
; %bb.2410:
	s_cmp_gt_i32 s22, 28
	s_cbranch_scc0 .LBB143_2417
; %bb.2411:
	s_cmp_gt_i32 s22, 43
	;; [unrolled: 3-line block ×3, first 2 shown]
	s_cbranch_scc0 .LBB143_2420
; %bb.2413:
	s_cmp_eq_u32 s22, 46
	s_mov_b64 s[18:19], 0
	s_cbranch_scc0 .LBB143_2421
; %bb.2414:
	global_load_dword v3, v[23:24], off
	s_mov_b64 s[4:5], 0
	s_mov_b64 s[10:11], -1
	s_waitcnt vmcnt(0)
	v_lshlrev_b32_e32 v3, 16, v3
	v_cvt_f64_f32_e32 v[19:20], v3
	s_branch .LBB143_2422
.LBB143_2415:
	s_mov_b64 s[4:5], -1
	s_mov_b64 s[10:11], 0
                                        ; implicit-def: $vgpr19_vgpr20
	s_branch .LBB143_2488
.LBB143_2416:
	s_mov_b64 s[18:19], -1
	s_mov_b64 s[10:11], 0
	s_mov_b64 s[4:5], 0
                                        ; implicit-def: $vgpr19_vgpr20
	s_branch .LBB143_2453
.LBB143_2417:
	s_mov_b64 s[18:19], -1
	s_mov_b64 s[10:11], 0
	s_mov_b64 s[4:5], 0
                                        ; implicit-def: $vgpr19_vgpr20
	s_branch .LBB143_2432
.LBB143_2418:
	s_mov_b64 s[18:19], -1
	s_mov_b64 s[10:11], 0
	s_mov_b64 s[4:5], 0
                                        ; implicit-def: $vgpr19_vgpr20
	s_branch .LBB143_2427
.LBB143_2419:
	s_trap 2
	s_or_b64 s[16:17], s[16:17], exec
	s_cbranch_execz .LBB143_2356
	s_branch .LBB143_2357
.LBB143_2420:
	s_mov_b64 s[18:19], -1
	s_mov_b64 s[10:11], 0
	s_mov_b64 s[4:5], 0
                                        ; implicit-def: $vgpr19_vgpr20
	s_branch .LBB143_2422
.LBB143_2421:
	s_mov_b64 s[4:5], -1
                                        ; implicit-def: $vgpr19_vgpr20
	s_mov_b64 s[10:11], 0
.LBB143_2422:
	s_and_b64 vcc, exec, s[18:19]
	s_cbranch_vccz .LBB143_2426
; %bb.2423:
	s_cmp_eq_u32 s22, 44
	s_cbranch_scc0 .LBB143_2425
; %bb.2424:
	global_load_ubyte v3, v[23:24], off
	s_movk_i32 s10, 0xff
	v_bfrev_b32_e32 v5, 4
	v_mov_b32_e32 v7, 0x7ff80000
	s_mov_b64 s[4:5], 0
	s_waitcnt vmcnt(0)
	v_lshlrev_b32_e32 v14, 23, v3
	v_cvt_f64_f32_e32 v[19:20], v14
	v_cmp_ne_u32_e32 vcc, s10, v3
	v_bfrev_b32_e32 v14, 28
	s_mov_b64 s[10:11], -1
	v_cndmask_b32_e32 v5, v5, v19, vcc
	v_cndmask_b32_e32 v7, v7, v20, vcc
	v_cmp_ne_u32_e32 vcc, 0, v3
	v_cndmask_b32_e32 v20, v14, v7, vcc
	v_cndmask_b32_e32 v19, 0, v5, vcc
	s_branch .LBB143_2426
.LBB143_2425:
	s_mov_b64 s[4:5], -1
                                        ; implicit-def: $vgpr19_vgpr20
.LBB143_2426:
	s_mov_b64 s[18:19], 0
.LBB143_2427:
	s_and_b64 vcc, exec, s[18:19]
	s_cbranch_vccz .LBB143_2431
; %bb.2428:
	s_cmp_eq_u32 s22, 29
	s_cbranch_scc0 .LBB143_2430
; %bb.2429:
	global_load_dwordx2 v[19:20], v[23:24], off
	s_mov_b64 s[4:5], 0
	s_mov_b64 s[10:11], -1
	s_mov_b64 s[18:19], 0
	s_waitcnt vmcnt(0)
	v_cvt_f64_u32_e32 v[25:26], v20
	v_cvt_f64_u32_e32 v[19:20], v19
	v_ldexp_f64 v[25:26], v[25:26], 32
	v_add_f64 v[19:20], v[25:26], v[19:20]
	s_branch .LBB143_2432
.LBB143_2430:
	s_mov_b64 s[4:5], -1
                                        ; implicit-def: $vgpr19_vgpr20
.LBB143_2431:
	s_mov_b64 s[18:19], 0
.LBB143_2432:
	s_and_b64 vcc, exec, s[18:19]
	s_cbranch_vccz .LBB143_2452
; %bb.2433:
	s_cmp_lt_i32 s22, 27
	s_cbranch_scc1 .LBB143_2436
; %bb.2434:
	s_cmp_gt_i32 s22, 27
	s_cbranch_scc0 .LBB143_2437
; %bb.2435:
	global_load_dword v3, v[23:24], off
	s_mov_b64 s[10:11], 0
	s_waitcnt vmcnt(0)
	v_cvt_f64_u32_e32 v[19:20], v3
	s_branch .LBB143_2438
.LBB143_2436:
	s_mov_b64 s[10:11], -1
                                        ; implicit-def: $vgpr19_vgpr20
	s_branch .LBB143_2441
.LBB143_2437:
	s_mov_b64 s[10:11], -1
                                        ; implicit-def: $vgpr19_vgpr20
.LBB143_2438:
	s_andn2_b64 vcc, exec, s[10:11]
	s_cbranch_vccnz .LBB143_2440
; %bb.2439:
	global_load_ushort v3, v[23:24], off
	s_waitcnt vmcnt(0)
	v_cvt_f64_u32_e32 v[19:20], v3
.LBB143_2440:
	s_mov_b64 s[10:11], 0
.LBB143_2441:
	s_andn2_b64 vcc, exec, s[10:11]
	s_cbranch_vccnz .LBB143_2451
; %bb.2442:
	global_load_ubyte v3, v[23:24], off
	s_movk_i32 s10, 0x7f
	s_waitcnt vmcnt(0)
	v_cmp_lt_i16_e32 vcc, s10, v3
	s_mov_b64 s[10:11], 0
	s_and_saveexec_b64 s[18:19], vcc
	s_xor_b64 s[18:19], exec, s[18:19]
	s_cbranch_execz .LBB143_2446
; %bb.2443:
	s_movk_i32 s10, 0x80
	v_cmp_eq_u16_e32 vcc, s10, v3
	s_mov_b64 s[10:11], -1
	s_and_saveexec_b64 s[20:21], vcc
; %bb.2444:
	s_xor_b64 s[10:11], exec, -1
; %bb.2445:
	s_or_b64 exec, exec, s[20:21]
	s_and_b64 s[10:11], s[10:11], exec
.LBB143_2446:
	s_or_saveexec_b64 s[18:19], s[18:19]
	v_bfrev_b32_e32 v19, 4
	v_mov_b32_e32 v20, 0x7ff80000
	s_xor_b64 exec, exec, s[18:19]
; %bb.2447:
	v_cmp_ne_u16_e32 vcc, 0, v3
	v_mov_b32_e32 v19, 0
	s_andn2_b64 s[10:11], s[10:11], exec
	s_and_b64 s[20:21], vcc, exec
	v_mov_b32_e32 v20, 0
	s_or_b64 s[10:11], s[10:11], s[20:21]
; %bb.2448:
	s_or_b64 exec, exec, s[18:19]
	s_and_saveexec_b64 s[18:19], s[10:11]
	s_cbranch_execz .LBB143_2450
; %bb.2449:
	v_lshlrev_b32_e32 v5, 24, v3
	v_and_b32_e32 v3, 0xffff, v3
	v_and_b32_e32 v7, 7, v3
	v_ffbh_u32_e32 v19, v7
	v_min_u32_e32 v19, 32, v19
	v_subrev_u32_e32 v20, 28, v19
	v_bfe_u32 v14, v3, 3, 4
	v_lshlrev_b32_e32 v3, v20, v3
	v_sub_u32_e32 v19, 29, v19
	v_and_b32_e32 v3, 7, v3
	v_cmp_eq_u32_e32 vcc, 0, v14
	v_cndmask_b32_e32 v14, v14, v19, vcc
	v_cndmask_b32_e32 v3, v7, v3, vcc
	v_mov_b32_e32 v7, 0x3b800000
	v_lshlrev_b32_e32 v3, 20, v3
	v_and_b32_e32 v5, 0x80000000, v5
	v_lshl_add_u32 v7, v14, 23, v7
	v_or3_b32 v3, v5, v7, v3
	v_cvt_f64_f32_e32 v[19:20], v3
.LBB143_2450:
	s_or_b64 exec, exec, s[18:19]
.LBB143_2451:
	s_mov_b64 s[10:11], -1
.LBB143_2452:
	s_mov_b64 s[18:19], 0
.LBB143_2453:
	s_and_b64 vcc, exec, s[18:19]
	s_cbranch_vccz .LBB143_2484
; %bb.2454:
	s_cmp_gt_i32 s22, 22
	s_cbranch_scc0 .LBB143_2466
; %bb.2455:
	s_cmp_lt_i32 s22, 24
	s_cbranch_scc1 .LBB143_2467
; %bb.2456:
	s_cmp_gt_i32 s22, 24
	s_cbranch_scc0 .LBB143_2468
; %bb.2457:
	global_load_ubyte v3, v[23:24], off
	s_movk_i32 s6, 0x7f
	s_waitcnt vmcnt(0)
	v_cmp_lt_i16_e32 vcc, s6, v3
	s_mov_b64 s[6:7], 0
	s_and_saveexec_b64 s[10:11], vcc
	s_xor_b64 s[10:11], exec, s[10:11]
	s_cbranch_execz .LBB143_2461
; %bb.2458:
	s_movk_i32 s6, 0x80
	v_cmp_eq_u16_e32 vcc, s6, v3
	s_mov_b64 s[6:7], -1
	s_and_saveexec_b64 s[18:19], vcc
; %bb.2459:
	s_xor_b64 s[6:7], exec, -1
; %bb.2460:
	s_or_b64 exec, exec, s[18:19]
	s_and_b64 s[6:7], s[6:7], exec
.LBB143_2461:
	s_or_saveexec_b64 s[10:11], s[10:11]
	v_bfrev_b32_e32 v19, 4
	v_mov_b32_e32 v20, 0x7ff80000
	s_xor_b64 exec, exec, s[10:11]
; %bb.2462:
	v_cmp_ne_u16_e32 vcc, 0, v3
	v_mov_b32_e32 v19, 0
	s_andn2_b64 s[6:7], s[6:7], exec
	s_and_b64 s[18:19], vcc, exec
	v_mov_b32_e32 v20, 0
	s_or_b64 s[6:7], s[6:7], s[18:19]
; %bb.2463:
	s_or_b64 exec, exec, s[10:11]
	s_and_saveexec_b64 s[10:11], s[6:7]
	s_cbranch_execz .LBB143_2465
; %bb.2464:
	v_lshlrev_b32_e32 v5, 24, v3
	v_and_b32_e32 v3, 0xffff, v3
	v_and_b32_e32 v7, 3, v3
	v_ffbh_u32_e32 v19, v7
	v_min_u32_e32 v19, 32, v19
	v_subrev_u32_e32 v20, 29, v19
	v_bfe_u32 v14, v3, 2, 5
	v_lshlrev_b32_e32 v3, v20, v3
	v_sub_u32_e32 v19, 30, v19
	v_and_b32_e32 v3, 3, v3
	v_cmp_eq_u32_e32 vcc, 0, v14
	v_cndmask_b32_e32 v14, v14, v19, vcc
	v_cndmask_b32_e32 v3, v7, v3, vcc
	v_mov_b32_e32 v7, 0x37800000
	v_lshlrev_b32_e32 v3, 21, v3
	v_and_b32_e32 v5, 0x80000000, v5
	v_lshl_add_u32 v7, v14, 23, v7
	v_or3_b32 v3, v5, v7, v3
	v_cvt_f64_f32_e32 v[19:20], v3
.LBB143_2465:
	s_or_b64 exec, exec, s[10:11]
	s_mov_b64 s[6:7], 0
	s_branch .LBB143_2469
.LBB143_2466:
	s_mov_b64 s[6:7], -1
                                        ; implicit-def: $vgpr19_vgpr20
	s_branch .LBB143_2475
.LBB143_2467:
	s_mov_b64 s[6:7], -1
                                        ; implicit-def: $vgpr19_vgpr20
	s_branch .LBB143_2472
.LBB143_2468:
	s_mov_b64 s[6:7], -1
                                        ; implicit-def: $vgpr19_vgpr20
.LBB143_2469:
	s_and_b64 vcc, exec, s[6:7]
	s_cbranch_vccz .LBB143_2471
; %bb.2470:
	global_load_ubyte v3, v[23:24], off
	s_mov_b32 s6, 0x7f800000
	s_waitcnt vmcnt(0)
	v_lshlrev_b32_e32 v3, 24, v3
	v_and_b32_e32 v5, 0x7f000000, v3
	v_ffbh_u32_e32 v7, v5
	v_min_u32_e32 v7, 32, v7
	v_sub_u32_e64 v7, v7, 4 clamp
	v_lshlrev_b32_e32 v19, v7, v5
	v_lshlrev_b32_e32 v7, 23, v7
	v_lshrrev_b32_e32 v19, 4, v19
	v_add_u32_e32 v14, 0x1000000, v5
	v_sub_u32_e32 v7, v19, v7
	v_ashrrev_i32_e32 v14, 8, v14
	v_add_u32_e32 v7, 0x3c000000, v7
	v_and_or_b32 v7, v14, s6, v7
	v_cmp_ne_u32_e32 vcc, 0, v5
	v_cndmask_b32_e32 v5, 0, v7, vcc
	s_brev_b32 s6, 1
	v_and_or_b32 v3, v3, s6, v5
	v_cvt_f64_f32_e32 v[19:20], v3
.LBB143_2471:
	s_mov_b64 s[6:7], 0
.LBB143_2472:
	s_andn2_b64 vcc, exec, s[6:7]
	s_cbranch_vccnz .LBB143_2474
; %bb.2473:
	global_load_ubyte v3, v[23:24], off
	s_movk_i32 s6, 0x7f00
	s_brev_b32 s7, 16
	s_waitcnt vmcnt(0)
	v_lshlrev_b16_e32 v5, 8, v3
	v_lshlrev_b32_e32 v3, 25, v3
	v_lshrrev_b32_e32 v7, 4, v3
	v_and_or_b32 v14, v5, s6, 0.5
	v_or_b32_e32 v7, 0x70000000, v7
	v_add_f32_e32 v14, -0.5, v14
	v_mul_f32_e32 v7, 0x7800000, v7
	v_cmp_gt_u32_e32 vcc, s7, v3
	v_bfe_i32 v5, v5, 0, 16
	v_cndmask_b32_e32 v3, v7, v14, vcc
	s_brev_b32 s6, 1
	v_and_or_b32 v3, v5, s6, v3
	v_cvt_f64_f32_e32 v[19:20], v3
.LBB143_2474:
	s_mov_b64 s[6:7], 0
	s_mov_b64 s[10:11], -1
.LBB143_2475:
	s_andn2_b64 vcc, exec, s[6:7]
	s_mov_b64 s[6:7], 0
	s_cbranch_vccnz .LBB143_2484
; %bb.2476:
	s_cmp_gt_i32 s22, 14
	s_cbranch_scc0 .LBB143_2479
; %bb.2477:
	s_cmp_eq_u32 s22, 15
	s_cbranch_scc0 .LBB143_2480
; %bb.2478:
	global_load_ushort v3, v[23:24], off
	s_mov_b64 s[4:5], 0
	s_mov_b64 s[10:11], -1
	s_waitcnt vmcnt(0)
	v_lshlrev_b32_e32 v3, 16, v3
	v_cvt_f64_f32_e32 v[19:20], v3
	s_branch .LBB143_2481
.LBB143_2479:
	s_mov_b64 s[18:19], -1
                                        ; implicit-def: $vgpr19_vgpr20
	s_branch .LBB143_2482
.LBB143_2480:
	s_mov_b64 s[4:5], -1
                                        ; implicit-def: $vgpr19_vgpr20
.LBB143_2481:
	s_mov_b64 s[18:19], 0
.LBB143_2482:
	s_and_b64 vcc, exec, s[18:19]
	s_cbranch_vccz .LBB143_2484
; %bb.2483:
	s_cmp_lg_u32 s22, 11
	s_mov_b64 s[6:7], -1
	s_cselect_b64 s[4:5], -1, 0
.LBB143_2484:
	s_and_b64 vcc, exec, s[4:5]
	s_cbranch_vccnz .LBB143_2549
; %bb.2485:
	s_andn2_b64 vcc, exec, s[6:7]
	s_cbranch_vccnz .LBB143_2487
.LBB143_2486:
	global_load_ubyte v3, v[23:24], off
	v_mov_b32_e32 v5, 0x3ff00000
	v_mov_b32_e32 v19, 0
	s_mov_b64 s[10:11], -1
	s_waitcnt vmcnt(0)
	v_cmp_ne_u16_e32 vcc, 0, v3
	v_cndmask_b32_e32 v20, 0, v5, vcc
.LBB143_2487:
	s_mov_b64 s[4:5], 0
.LBB143_2488:
	s_and_b64 vcc, exec, s[4:5]
	s_cbranch_vccz .LBB143_2537
; %bb.2489:
	s_and_b32 s6, 0xffff, s24
	s_cmp_lt_i32 s6, 5
	s_cbranch_scc1 .LBB143_2494
; %bb.2490:
	s_cmp_lt_i32 s6, 8
	s_cbranch_scc1 .LBB143_2495
; %bb.2491:
	;; [unrolled: 3-line block ×3, first 2 shown]
	s_cmp_gt_i32 s6, 9
	s_cbranch_scc0 .LBB143_2497
; %bb.2493:
	global_load_dwordx2 v[19:20], v[23:24], off
	s_mov_b64 s[4:5], 0
	s_branch .LBB143_2498
.LBB143_2494:
	s_mov_b64 s[4:5], -1
                                        ; implicit-def: $vgpr19_vgpr20
	s_branch .LBB143_2516
.LBB143_2495:
	s_mov_b64 s[4:5], -1
                                        ; implicit-def: $vgpr19_vgpr20
	s_branch .LBB143_2504
.LBB143_2496:
	s_mov_b64 s[4:5], -1
                                        ; implicit-def: $vgpr19_vgpr20
	s_branch .LBB143_2501
.LBB143_2497:
	s_mov_b64 s[4:5], -1
                                        ; implicit-def: $vgpr19_vgpr20
.LBB143_2498:
	s_andn2_b64 vcc, exec, s[4:5]
	s_cbranch_vccnz .LBB143_2500
; %bb.2499:
	global_load_dword v3, v[23:24], off
	s_waitcnt vmcnt(0)
	v_cvt_f64_f32_e32 v[19:20], v3
.LBB143_2500:
	s_mov_b64 s[4:5], 0
.LBB143_2501:
	s_andn2_b64 vcc, exec, s[4:5]
	s_cbranch_vccnz .LBB143_2503
; %bb.2502:
	global_load_dword v3, v[23:24], off
	s_waitcnt vmcnt(0)
	v_cvt_f32_f16_e32 v3, v3
	v_cvt_f64_f32_e32 v[19:20], v3
.LBB143_2503:
	s_mov_b64 s[4:5], 0
.LBB143_2504:
	s_andn2_b64 vcc, exec, s[4:5]
	s_cbranch_vccnz .LBB143_2515
; %bb.2505:
	s_cmp_lt_i32 s6, 6
	s_cbranch_scc1 .LBB143_2508
; %bb.2506:
	s_cmp_gt_i32 s6, 6
	s_cbranch_scc0 .LBB143_2509
; %bb.2507:
	global_load_dwordx2 v[19:20], v[23:24], off
	s_mov_b64 s[4:5], 0
	s_branch .LBB143_2510
.LBB143_2508:
	s_mov_b64 s[4:5], -1
                                        ; implicit-def: $vgpr19_vgpr20
	s_branch .LBB143_2513
.LBB143_2509:
	s_mov_b64 s[4:5], -1
                                        ; implicit-def: $vgpr19_vgpr20
.LBB143_2510:
	s_andn2_b64 vcc, exec, s[4:5]
	s_cbranch_vccnz .LBB143_2512
; %bb.2511:
	global_load_dword v3, v[23:24], off
	s_waitcnt vmcnt(0)
	v_cvt_f64_f32_e32 v[19:20], v3
.LBB143_2512:
	s_mov_b64 s[4:5], 0
.LBB143_2513:
	s_andn2_b64 vcc, exec, s[4:5]
	s_cbranch_vccnz .LBB143_2515
; %bb.2514:
	global_load_ushort v3, v[23:24], off
	s_waitcnt vmcnt(0)
	v_cvt_f32_f16_e32 v3, v3
	v_cvt_f64_f32_e32 v[19:20], v3
.LBB143_2515:
	s_mov_b64 s[4:5], 0
.LBB143_2516:
	s_andn2_b64 vcc, exec, s[4:5]
	s_cbranch_vccnz .LBB143_2536
; %bb.2517:
	s_cmp_lt_i32 s6, 2
	s_cbranch_scc1 .LBB143_2521
; %bb.2518:
	s_cmp_lt_i32 s6, 3
	s_cbranch_scc1 .LBB143_2522
; %bb.2519:
	s_cmp_gt_i32 s6, 3
	s_cbranch_scc0 .LBB143_2523
; %bb.2520:
	global_load_dwordx2 v[19:20], v[23:24], off
	s_mov_b64 s[4:5], 0
	s_waitcnt vmcnt(0)
	v_cvt_f64_i32_e32 v[25:26], v20
	v_cvt_f64_u32_e32 v[19:20], v19
	v_ldexp_f64 v[25:26], v[25:26], 32
	v_add_f64 v[19:20], v[25:26], v[19:20]
	s_branch .LBB143_2524
.LBB143_2521:
	s_mov_b64 s[4:5], -1
                                        ; implicit-def: $vgpr19_vgpr20
	s_branch .LBB143_2530
.LBB143_2522:
	s_mov_b64 s[4:5], -1
                                        ; implicit-def: $vgpr19_vgpr20
	s_branch .LBB143_2527
.LBB143_2523:
	s_mov_b64 s[4:5], -1
                                        ; implicit-def: $vgpr19_vgpr20
.LBB143_2524:
	s_andn2_b64 vcc, exec, s[4:5]
	s_cbranch_vccnz .LBB143_2526
; %bb.2525:
	global_load_dword v3, v[23:24], off
	s_waitcnt vmcnt(0)
	v_cvt_f64_i32_e32 v[19:20], v3
.LBB143_2526:
	s_mov_b64 s[4:5], 0
.LBB143_2527:
	s_andn2_b64 vcc, exec, s[4:5]
	s_cbranch_vccnz .LBB143_2529
; %bb.2528:
	global_load_sshort v3, v[23:24], off
	s_waitcnt vmcnt(0)
	v_cvt_f64_i32_e32 v[19:20], v3
.LBB143_2529:
	s_mov_b64 s[4:5], 0
.LBB143_2530:
	s_andn2_b64 vcc, exec, s[4:5]
	s_cbranch_vccnz .LBB143_2536
; %bb.2531:
	s_cmp_gt_i32 s6, 0
	s_cbranch_scc0 .LBB143_2533
; %bb.2532:
	global_load_sbyte v3, v[23:24], off
	s_mov_b64 s[4:5], 0
	s_waitcnt vmcnt(0)
	v_cvt_f64_i32_e32 v[19:20], v3
	s_branch .LBB143_2534
.LBB143_2533:
	s_mov_b64 s[4:5], -1
                                        ; implicit-def: $vgpr19_vgpr20
.LBB143_2534:
	s_andn2_b64 vcc, exec, s[4:5]
	s_cbranch_vccnz .LBB143_2536
; %bb.2535:
	global_load_ubyte v3, v[23:24], off
	s_waitcnt vmcnt(0)
	v_cvt_f64_u32_e32 v[19:20], v3
.LBB143_2536:
	s_mov_b64 s[10:11], -1
.LBB143_2537:
	s_andn2_b64 vcc, exec, s[10:11]
	s_cbranch_vccnz .LBB143_3101
; %bb.2538:
	v_mov_b32_e32 v3, s1
	v_add_co_u32_e32 v25, vcc, s0, v9
	s_cmp_lt_i32 s25, 11
	v_addc_co_u32_e32 v26, vcc, 0, v3, vcc
	s_cbranch_scc1 .LBB143_2545
; %bb.2539:
	s_and_b32 s20, 0xffff, s25
	s_cmp_gt_i32 s20, 25
	s_mov_b64 s[4:5], 0
	s_cbranch_scc0 .LBB143_2546
; %bb.2540:
	s_cmp_gt_i32 s20, 28
	s_cbranch_scc0 .LBB143_2547
; %bb.2541:
	s_cmp_gt_i32 s20, 43
	s_cbranch_scc0 .LBB143_2548
; %bb.2542:
	s_cmp_gt_i32 s20, 45
	s_cbranch_scc0 .LBB143_2550
; %bb.2543:
	s_cmp_eq_u32 s20, 46
	s_mov_b64 s[10:11], 0
	s_cbranch_scc0 .LBB143_2551
; %bb.2544:
	global_load_dword v3, v[25:26], off
	s_mov_b64 s[0:1], 0
	s_mov_b64 s[6:7], -1
	s_waitcnt vmcnt(0)
	v_lshlrev_b32_e32 v3, 16, v3
	v_cvt_f64_f32_e32 v[23:24], v3
	s_branch .LBB143_2552
.LBB143_2545:
	s_mov_b64 s[0:1], -1
	s_mov_b64 s[6:7], 0
                                        ; implicit-def: $vgpr23_vgpr24
	s_branch .LBB143_2618
.LBB143_2546:
	s_mov_b64 s[10:11], -1
	s_mov_b64 s[6:7], 0
	s_mov_b64 s[0:1], 0
                                        ; implicit-def: $vgpr23_vgpr24
	s_branch .LBB143_2583
.LBB143_2547:
	s_mov_b64 s[10:11], -1
	s_mov_b64 s[6:7], 0
	s_mov_b64 s[0:1], 0
                                        ; implicit-def: $vgpr23_vgpr24
	s_branch .LBB143_2562
.LBB143_2548:
	s_mov_b64 s[10:11], -1
	s_mov_b64 s[6:7], 0
	s_mov_b64 s[0:1], 0
                                        ; implicit-def: $vgpr23_vgpr24
	s_branch .LBB143_2557
.LBB143_2549:
	s_trap 2
	s_or_b64 s[16:17], s[16:17], exec
	s_cbranch_execz .LBB143_2486
	s_branch .LBB143_2487
.LBB143_2550:
	s_mov_b64 s[10:11], -1
	s_mov_b64 s[6:7], 0
	s_mov_b64 s[0:1], 0
                                        ; implicit-def: $vgpr23_vgpr24
	s_branch .LBB143_2552
.LBB143_2551:
	s_mov_b64 s[0:1], -1
                                        ; implicit-def: $vgpr23_vgpr24
	s_mov_b64 s[6:7], 0
.LBB143_2552:
	s_and_b64 vcc, exec, s[10:11]
	s_cbranch_vccz .LBB143_2556
; %bb.2553:
	s_cmp_eq_u32 s20, 44
	s_cbranch_scc0 .LBB143_2555
; %bb.2554:
	global_load_ubyte v3, v[25:26], off
	s_movk_i32 s6, 0xff
	v_bfrev_b32_e32 v5, 4
	v_mov_b32_e32 v7, 0x7ff80000
	s_mov_b64 s[0:1], 0
	s_waitcnt vmcnt(0)
	v_lshlrev_b32_e32 v9, 23, v3
	v_cvt_f64_f32_e32 v[23:24], v9
	v_cmp_ne_u32_e32 vcc, s6, v3
	v_bfrev_b32_e32 v9, 28
	s_mov_b64 s[6:7], -1
	v_cndmask_b32_e32 v5, v5, v23, vcc
	v_cndmask_b32_e32 v7, v7, v24, vcc
	v_cmp_ne_u32_e32 vcc, 0, v3
	v_cndmask_b32_e32 v24, v9, v7, vcc
	v_cndmask_b32_e32 v23, 0, v5, vcc
	s_branch .LBB143_2556
.LBB143_2555:
	s_mov_b64 s[0:1], -1
                                        ; implicit-def: $vgpr23_vgpr24
.LBB143_2556:
	s_mov_b64 s[10:11], 0
.LBB143_2557:
	s_and_b64 vcc, exec, s[10:11]
	s_cbranch_vccz .LBB143_2561
; %bb.2558:
	s_cmp_eq_u32 s20, 29
	s_cbranch_scc0 .LBB143_2560
; %bb.2559:
	global_load_dwordx2 v[23:24], v[25:26], off
	s_mov_b64 s[0:1], 0
	s_mov_b64 s[6:7], -1
	s_mov_b64 s[10:11], 0
	s_waitcnt vmcnt(0)
	v_cvt_f64_u32_e32 v[27:28], v24
	v_cvt_f64_u32_e32 v[23:24], v23
	v_ldexp_f64 v[27:28], v[27:28], 32
	v_add_f64 v[23:24], v[27:28], v[23:24]
	s_branch .LBB143_2562
.LBB143_2560:
	s_mov_b64 s[0:1], -1
                                        ; implicit-def: $vgpr23_vgpr24
.LBB143_2561:
	s_mov_b64 s[10:11], 0
.LBB143_2562:
	s_and_b64 vcc, exec, s[10:11]
	s_cbranch_vccz .LBB143_2582
; %bb.2563:
	s_cmp_lt_i32 s20, 27
	s_cbranch_scc1 .LBB143_2566
; %bb.2564:
	s_cmp_gt_i32 s20, 27
	s_cbranch_scc0 .LBB143_2567
; %bb.2565:
	global_load_dword v3, v[25:26], off
	s_mov_b64 s[6:7], 0
	s_waitcnt vmcnt(0)
	v_cvt_f64_u32_e32 v[23:24], v3
	s_branch .LBB143_2568
.LBB143_2566:
	s_mov_b64 s[6:7], -1
                                        ; implicit-def: $vgpr23_vgpr24
	s_branch .LBB143_2571
.LBB143_2567:
	s_mov_b64 s[6:7], -1
                                        ; implicit-def: $vgpr23_vgpr24
.LBB143_2568:
	s_andn2_b64 vcc, exec, s[6:7]
	s_cbranch_vccnz .LBB143_2570
; %bb.2569:
	global_load_ushort v3, v[25:26], off
	s_waitcnt vmcnt(0)
	v_cvt_f64_u32_e32 v[23:24], v3
.LBB143_2570:
	s_mov_b64 s[6:7], 0
.LBB143_2571:
	s_andn2_b64 vcc, exec, s[6:7]
	s_cbranch_vccnz .LBB143_2581
; %bb.2572:
	global_load_ubyte v3, v[25:26], off
	s_movk_i32 s6, 0x7f
	s_waitcnt vmcnt(0)
	v_cmp_lt_i16_e32 vcc, s6, v3
	s_mov_b64 s[6:7], 0
	s_and_saveexec_b64 s[10:11], vcc
	s_xor_b64 s[10:11], exec, s[10:11]
	s_cbranch_execz .LBB143_2576
; %bb.2573:
	s_movk_i32 s6, 0x80
	v_cmp_eq_u16_e32 vcc, s6, v3
	s_mov_b64 s[6:7], -1
	s_and_saveexec_b64 s[18:19], vcc
; %bb.2574:
	s_xor_b64 s[6:7], exec, -1
; %bb.2575:
	s_or_b64 exec, exec, s[18:19]
	s_and_b64 s[6:7], s[6:7], exec
.LBB143_2576:
	s_or_saveexec_b64 s[10:11], s[10:11]
	v_bfrev_b32_e32 v23, 4
	v_mov_b32_e32 v24, 0x7ff80000
	s_xor_b64 exec, exec, s[10:11]
; %bb.2577:
	v_cmp_ne_u16_e32 vcc, 0, v3
	v_mov_b32_e32 v23, 0
	s_andn2_b64 s[6:7], s[6:7], exec
	s_and_b64 s[18:19], vcc, exec
	v_mov_b32_e32 v24, 0
	s_or_b64 s[6:7], s[6:7], s[18:19]
; %bb.2578:
	s_or_b64 exec, exec, s[10:11]
	s_and_saveexec_b64 s[10:11], s[6:7]
	s_cbranch_execz .LBB143_2580
; %bb.2579:
	v_lshlrev_b32_e32 v5, 24, v3
	v_and_b32_e32 v3, 0xffff, v3
	v_and_b32_e32 v7, 7, v3
	v_ffbh_u32_e32 v14, v7
	v_min_u32_e32 v14, 32, v14
	v_subrev_u32_e32 v23, 28, v14
	v_bfe_u32 v9, v3, 3, 4
	v_lshlrev_b32_e32 v3, v23, v3
	v_sub_u32_e32 v14, 29, v14
	v_and_b32_e32 v3, 7, v3
	v_cmp_eq_u32_e32 vcc, 0, v9
	v_cndmask_b32_e32 v9, v9, v14, vcc
	v_cndmask_b32_e32 v3, v7, v3, vcc
	v_mov_b32_e32 v7, 0x3b800000
	v_lshlrev_b32_e32 v3, 20, v3
	v_and_b32_e32 v5, 0x80000000, v5
	v_lshl_add_u32 v7, v9, 23, v7
	v_or3_b32 v3, v5, v7, v3
	v_cvt_f64_f32_e32 v[23:24], v3
.LBB143_2580:
	s_or_b64 exec, exec, s[10:11]
.LBB143_2581:
	s_mov_b64 s[6:7], -1
.LBB143_2582:
	s_mov_b64 s[10:11], 0
.LBB143_2583:
	s_and_b64 vcc, exec, s[10:11]
	s_cbranch_vccz .LBB143_2614
; %bb.2584:
	s_cmp_gt_i32 s20, 22
	s_cbranch_scc0 .LBB143_2596
; %bb.2585:
	s_cmp_lt_i32 s20, 24
	s_cbranch_scc1 .LBB143_2597
; %bb.2586:
	s_cmp_gt_i32 s20, 24
	s_cbranch_scc0 .LBB143_2598
; %bb.2587:
	global_load_ubyte v3, v[25:26], off
	s_movk_i32 s4, 0x7f
	s_waitcnt vmcnt(0)
	v_cmp_lt_i16_e32 vcc, s4, v3
	s_mov_b64 s[4:5], 0
	s_and_saveexec_b64 s[6:7], vcc
	s_xor_b64 s[6:7], exec, s[6:7]
	s_cbranch_execz .LBB143_2591
; %bb.2588:
	s_movk_i32 s4, 0x80
	v_cmp_eq_u16_e32 vcc, s4, v3
	s_mov_b64 s[4:5], -1
	s_and_saveexec_b64 s[10:11], vcc
; %bb.2589:
	s_xor_b64 s[4:5], exec, -1
; %bb.2590:
	s_or_b64 exec, exec, s[10:11]
	s_and_b64 s[4:5], s[4:5], exec
.LBB143_2591:
	s_or_saveexec_b64 s[6:7], s[6:7]
	v_bfrev_b32_e32 v23, 4
	v_mov_b32_e32 v24, 0x7ff80000
	s_xor_b64 exec, exec, s[6:7]
; %bb.2592:
	v_cmp_ne_u16_e32 vcc, 0, v3
	v_mov_b32_e32 v23, 0
	s_andn2_b64 s[4:5], s[4:5], exec
	s_and_b64 s[10:11], vcc, exec
	v_mov_b32_e32 v24, 0
	s_or_b64 s[4:5], s[4:5], s[10:11]
; %bb.2593:
	s_or_b64 exec, exec, s[6:7]
	s_and_saveexec_b64 s[6:7], s[4:5]
	s_cbranch_execz .LBB143_2595
; %bb.2594:
	v_lshlrev_b32_e32 v5, 24, v3
	v_and_b32_e32 v3, 0xffff, v3
	v_and_b32_e32 v7, 3, v3
	v_ffbh_u32_e32 v14, v7
	v_min_u32_e32 v14, 32, v14
	v_subrev_u32_e32 v23, 29, v14
	v_bfe_u32 v9, v3, 2, 5
	v_lshlrev_b32_e32 v3, v23, v3
	v_sub_u32_e32 v14, 30, v14
	v_and_b32_e32 v3, 3, v3
	v_cmp_eq_u32_e32 vcc, 0, v9
	v_cndmask_b32_e32 v9, v9, v14, vcc
	v_cndmask_b32_e32 v3, v7, v3, vcc
	v_mov_b32_e32 v7, 0x37800000
	v_lshlrev_b32_e32 v3, 21, v3
	v_and_b32_e32 v5, 0x80000000, v5
	v_lshl_add_u32 v7, v9, 23, v7
	v_or3_b32 v3, v5, v7, v3
	v_cvt_f64_f32_e32 v[23:24], v3
.LBB143_2595:
	s_or_b64 exec, exec, s[6:7]
	s_mov_b64 s[4:5], 0
	s_branch .LBB143_2599
.LBB143_2596:
	s_mov_b64 s[4:5], -1
                                        ; implicit-def: $vgpr23_vgpr24
	s_branch .LBB143_2605
.LBB143_2597:
	s_mov_b64 s[4:5], -1
                                        ; implicit-def: $vgpr23_vgpr24
	s_branch .LBB143_2602
.LBB143_2598:
	s_mov_b64 s[4:5], -1
                                        ; implicit-def: $vgpr23_vgpr24
.LBB143_2599:
	s_and_b64 vcc, exec, s[4:5]
	s_cbranch_vccz .LBB143_2601
; %bb.2600:
	global_load_ubyte v3, v[25:26], off
	s_mov_b32 s4, 0x7f800000
	s_waitcnt vmcnt(0)
	v_lshlrev_b32_e32 v3, 24, v3
	v_and_b32_e32 v5, 0x7f000000, v3
	v_ffbh_u32_e32 v7, v5
	v_min_u32_e32 v7, 32, v7
	v_sub_u32_e64 v7, v7, 4 clamp
	v_lshlrev_b32_e32 v14, v7, v5
	v_lshlrev_b32_e32 v7, 23, v7
	v_lshrrev_b32_e32 v14, 4, v14
	v_add_u32_e32 v9, 0x1000000, v5
	v_sub_u32_e32 v7, v14, v7
	v_ashrrev_i32_e32 v9, 8, v9
	v_add_u32_e32 v7, 0x3c000000, v7
	v_and_or_b32 v7, v9, s4, v7
	v_cmp_ne_u32_e32 vcc, 0, v5
	v_cndmask_b32_e32 v5, 0, v7, vcc
	s_brev_b32 s4, 1
	v_and_or_b32 v3, v3, s4, v5
	v_cvt_f64_f32_e32 v[23:24], v3
.LBB143_2601:
	s_mov_b64 s[4:5], 0
.LBB143_2602:
	s_andn2_b64 vcc, exec, s[4:5]
	s_cbranch_vccnz .LBB143_2604
; %bb.2603:
	global_load_ubyte v3, v[25:26], off
	s_movk_i32 s4, 0x7f00
	s_brev_b32 s5, 16
	s_waitcnt vmcnt(0)
	v_lshlrev_b16_e32 v5, 8, v3
	v_lshlrev_b32_e32 v3, 25, v3
	v_lshrrev_b32_e32 v7, 4, v3
	v_and_or_b32 v9, v5, s4, 0.5
	v_or_b32_e32 v7, 0x70000000, v7
	v_add_f32_e32 v9, -0.5, v9
	v_mul_f32_e32 v7, 0x7800000, v7
	v_cmp_gt_u32_e32 vcc, s5, v3
	v_bfe_i32 v5, v5, 0, 16
	v_cndmask_b32_e32 v3, v7, v9, vcc
	s_brev_b32 s4, 1
	v_and_or_b32 v3, v5, s4, v3
	v_cvt_f64_f32_e32 v[23:24], v3
.LBB143_2604:
	s_mov_b64 s[4:5], 0
	s_mov_b64 s[6:7], -1
.LBB143_2605:
	s_andn2_b64 vcc, exec, s[4:5]
	s_mov_b64 s[4:5], 0
	s_cbranch_vccnz .LBB143_2614
; %bb.2606:
	s_cmp_gt_i32 s20, 14
	s_cbranch_scc0 .LBB143_2609
; %bb.2607:
	s_cmp_eq_u32 s20, 15
	s_cbranch_scc0 .LBB143_2610
; %bb.2608:
	global_load_ushort v3, v[25:26], off
	s_mov_b64 s[0:1], 0
	s_mov_b64 s[6:7], -1
	s_waitcnt vmcnt(0)
	v_lshlrev_b32_e32 v3, 16, v3
	v_cvt_f64_f32_e32 v[23:24], v3
	s_branch .LBB143_2611
.LBB143_2609:
	s_mov_b64 s[10:11], -1
                                        ; implicit-def: $vgpr23_vgpr24
	s_branch .LBB143_2612
.LBB143_2610:
	s_mov_b64 s[0:1], -1
                                        ; implicit-def: $vgpr23_vgpr24
.LBB143_2611:
	s_mov_b64 s[10:11], 0
.LBB143_2612:
	s_and_b64 vcc, exec, s[10:11]
	s_cbranch_vccz .LBB143_2614
; %bb.2613:
	s_cmp_lg_u32 s20, 11
	s_mov_b64 s[4:5], -1
	s_cselect_b64 s[0:1], -1, 0
.LBB143_2614:
	s_and_b64 vcc, exec, s[0:1]
	s_cbranch_vccnz .LBB143_3147
; %bb.2615:
	s_andn2_b64 vcc, exec, s[4:5]
	s_cbranch_vccnz .LBB143_2617
.LBB143_2616:
	global_load_ubyte v3, v[25:26], off
	v_mov_b32_e32 v5, 0x3ff00000
	v_mov_b32_e32 v23, 0
	s_mov_b64 s[6:7], -1
	s_waitcnt vmcnt(0)
	v_cmp_ne_u16_e32 vcc, 0, v3
	v_cndmask_b32_e32 v24, 0, v5, vcc
.LBB143_2617:
	s_mov_b64 s[0:1], 0
.LBB143_2618:
	s_and_b64 vcc, exec, s[0:1]
	s_cbranch_vccz .LBB143_2667
; %bb.2619:
	s_and_b32 s4, 0xffff, s25
	s_cmp_lt_i32 s4, 5
	s_cbranch_scc1 .LBB143_2624
; %bb.2620:
	s_cmp_lt_i32 s4, 8
	s_cbranch_scc1 .LBB143_2625
; %bb.2621:
	;; [unrolled: 3-line block ×3, first 2 shown]
	s_cmp_gt_i32 s4, 9
	s_cbranch_scc0 .LBB143_2627
; %bb.2623:
	global_load_dwordx2 v[23:24], v[25:26], off
	s_mov_b64 s[0:1], 0
	s_branch .LBB143_2628
.LBB143_2624:
	s_mov_b64 s[0:1], -1
                                        ; implicit-def: $vgpr23_vgpr24
	s_branch .LBB143_2646
.LBB143_2625:
	s_mov_b64 s[0:1], -1
                                        ; implicit-def: $vgpr23_vgpr24
	s_branch .LBB143_2634
.LBB143_2626:
	s_mov_b64 s[0:1], -1
                                        ; implicit-def: $vgpr23_vgpr24
	s_branch .LBB143_2631
.LBB143_2627:
	s_mov_b64 s[0:1], -1
                                        ; implicit-def: $vgpr23_vgpr24
.LBB143_2628:
	s_andn2_b64 vcc, exec, s[0:1]
	s_cbranch_vccnz .LBB143_2630
; %bb.2629:
	global_load_dword v3, v[25:26], off
	s_waitcnt vmcnt(0)
	v_cvt_f64_f32_e32 v[23:24], v3
.LBB143_2630:
	s_mov_b64 s[0:1], 0
.LBB143_2631:
	s_andn2_b64 vcc, exec, s[0:1]
	s_cbranch_vccnz .LBB143_2633
; %bb.2632:
	global_load_dword v3, v[25:26], off
	s_waitcnt vmcnt(0)
	v_cvt_f32_f16_e32 v3, v3
	v_cvt_f64_f32_e32 v[23:24], v3
.LBB143_2633:
	s_mov_b64 s[0:1], 0
.LBB143_2634:
	s_andn2_b64 vcc, exec, s[0:1]
	s_cbranch_vccnz .LBB143_2645
; %bb.2635:
	s_cmp_lt_i32 s4, 6
	s_cbranch_scc1 .LBB143_2638
; %bb.2636:
	s_cmp_gt_i32 s4, 6
	s_cbranch_scc0 .LBB143_2639
; %bb.2637:
	global_load_dwordx2 v[23:24], v[25:26], off
	s_mov_b64 s[0:1], 0
	s_branch .LBB143_2640
.LBB143_2638:
	s_mov_b64 s[0:1], -1
                                        ; implicit-def: $vgpr23_vgpr24
	s_branch .LBB143_2643
.LBB143_2639:
	s_mov_b64 s[0:1], -1
                                        ; implicit-def: $vgpr23_vgpr24
.LBB143_2640:
	s_andn2_b64 vcc, exec, s[0:1]
	s_cbranch_vccnz .LBB143_2642
; %bb.2641:
	global_load_dword v3, v[25:26], off
	s_waitcnt vmcnt(0)
	v_cvt_f64_f32_e32 v[23:24], v3
.LBB143_2642:
	s_mov_b64 s[0:1], 0
.LBB143_2643:
	s_andn2_b64 vcc, exec, s[0:1]
	s_cbranch_vccnz .LBB143_2645
; %bb.2644:
	global_load_ushort v3, v[25:26], off
	s_waitcnt vmcnt(0)
	v_cvt_f32_f16_e32 v3, v3
	v_cvt_f64_f32_e32 v[23:24], v3
.LBB143_2645:
	s_mov_b64 s[0:1], 0
.LBB143_2646:
	s_andn2_b64 vcc, exec, s[0:1]
	s_cbranch_vccnz .LBB143_2666
; %bb.2647:
	s_cmp_lt_i32 s4, 2
	s_cbranch_scc1 .LBB143_2651
; %bb.2648:
	s_cmp_lt_i32 s4, 3
	s_cbranch_scc1 .LBB143_2652
; %bb.2649:
	s_cmp_gt_i32 s4, 3
	s_cbranch_scc0 .LBB143_2653
; %bb.2650:
	global_load_dwordx2 v[23:24], v[25:26], off
	s_mov_b64 s[0:1], 0
	s_waitcnt vmcnt(0)
	v_cvt_f64_i32_e32 v[27:28], v24
	v_cvt_f64_u32_e32 v[23:24], v23
	v_ldexp_f64 v[27:28], v[27:28], 32
	v_add_f64 v[23:24], v[27:28], v[23:24]
	s_branch .LBB143_2654
.LBB143_2651:
	s_mov_b64 s[0:1], -1
                                        ; implicit-def: $vgpr23_vgpr24
	s_branch .LBB143_2660
.LBB143_2652:
	s_mov_b64 s[0:1], -1
                                        ; implicit-def: $vgpr23_vgpr24
	s_branch .LBB143_2657
.LBB143_2653:
	s_mov_b64 s[0:1], -1
                                        ; implicit-def: $vgpr23_vgpr24
.LBB143_2654:
	s_andn2_b64 vcc, exec, s[0:1]
	s_cbranch_vccnz .LBB143_2656
; %bb.2655:
	global_load_dword v3, v[25:26], off
	s_waitcnt vmcnt(0)
	v_cvt_f64_i32_e32 v[23:24], v3
.LBB143_2656:
	s_mov_b64 s[0:1], 0
.LBB143_2657:
	s_andn2_b64 vcc, exec, s[0:1]
	s_cbranch_vccnz .LBB143_2659
; %bb.2658:
	global_load_sshort v3, v[25:26], off
	s_waitcnt vmcnt(0)
	v_cvt_f64_i32_e32 v[23:24], v3
.LBB143_2659:
	s_mov_b64 s[0:1], 0
.LBB143_2660:
	s_andn2_b64 vcc, exec, s[0:1]
	s_cbranch_vccnz .LBB143_2666
; %bb.2661:
	s_cmp_gt_i32 s4, 0
	s_cbranch_scc0 .LBB143_2663
; %bb.2662:
	global_load_sbyte v3, v[25:26], off
	s_mov_b64 s[0:1], 0
	s_waitcnt vmcnt(0)
	v_cvt_f64_i32_e32 v[23:24], v3
	s_branch .LBB143_2664
.LBB143_2663:
	s_mov_b64 s[0:1], -1
                                        ; implicit-def: $vgpr23_vgpr24
.LBB143_2664:
	s_andn2_b64 vcc, exec, s[0:1]
	s_cbranch_vccnz .LBB143_2666
; %bb.2665:
	global_load_ubyte v3, v[25:26], off
	s_waitcnt vmcnt(0)
	v_cvt_f64_u32_e32 v[23:24], v3
.LBB143_2666:
	s_mov_b64 s[6:7], -1
.LBB143_2667:
	s_andn2_b64 vcc, exec, s[6:7]
	s_cbranch_vccnz .LBB143_3101
; %bb.2668:
	s_load_dwordx4 s[4:7], s[2:3], 0x1a0
	s_load_dword s0, s[2:3], 0x1b0
	v_mov_b32_e32 v5, s9
	s_waitcnt vmcnt(0) lgkmcnt(0)
	v_cmp_nge_f64_e32 vcc, s[4:5], v[0:1]
	v_mov_b32_e32 v3, s7
	v_mov_b32_e32 v0, s6
	s_and_b32 s22, s0, 0xff
	s_cmp_lt_i32 s22, 11
	v_cndmask_b32_e32 v1, v3, v13, vcc
	v_cndmask_b32_e32 v0, v0, v12, vcc
	v_add_co_u32_e32 v12, vcc, s8, v2
	v_addc_co_u32_e32 v13, vcc, 0, v5, vcc
	s_cbranch_scc1 .LBB143_2746
; %bb.2669:
	s_and_b32 s23, 0xffff, s22
	s_mov_b64 s[18:19], -1
	s_mov_b64 s[2:3], 0
	s_cmp_gt_i32 s23, 25
	s_mov_b64 s[10:11], 0
	s_mov_b64 s[0:1], 0
	s_cbranch_scc0 .LBB143_2702
; %bb.2670:
	s_cmp_gt_i32 s23, 28
	s_cbranch_scc0 .LBB143_2685
; %bb.2671:
	s_cmp_gt_i32 s23, 43
	;; [unrolled: 3-line block ×3, first 2 shown]
	s_cbranch_scc0 .LBB143_2675
; %bb.2673:
	s_mov_b64 s[0:1], -1
	s_mov_b64 s[18:19], 0
	s_cmp_eq_u32 s23, 46
	s_cbranch_scc0 .LBB143_2675
; %bb.2674:
	v_cvt_f32_f64_e32 v2, v[0:1]
	s_movk_i32 s0, 0x7fff
	v_mov_b32_e32 v3, 0x7fc0
	s_mov_b64 s[10:11], -1
	v_bfe_u32 v5, v2, 16, 1
	v_cmp_o_f32_e32 vcc, v2, v2
	v_add3_u32 v2, v2, v5, s0
	v_cndmask_b32_sdwa v2, v3, v2, vcc dst_sel:DWORD dst_unused:UNUSED_PAD src0_sel:DWORD src1_sel:WORD_1
	global_store_dword v[12:13], v2, off
	s_mov_b64 s[0:1], 0
.LBB143_2675:
	s_and_b64 vcc, exec, s[18:19]
	s_cbranch_vccz .LBB143_2680
; %bb.2676:
	s_cmp_eq_u32 s23, 44
	s_mov_b64 s[0:1], -1
	s_cbranch_scc0 .LBB143_2680
; %bb.2677:
	v_cvt_f32_f64_e32 v2, v[0:1]
	s_movk_i32 s0, 0xff
	v_mov_b32_e32 v5, 0xff
	v_bfe_u32 v3, v2, 23, 8
	v_cmp_ne_u32_e32 vcc, s0, v3
	s_and_saveexec_b64 s[10:11], vcc
; %bb.2678:
	s_mov_b32 s0, 0x3fffff
	v_lshrrev_b32_e32 v5, 23, v2
	v_and_b32_e32 v7, 0x400000, v2
	v_and_or_b32 v2, v2, s0, v3
	v_cmp_ne_u32_e32 vcc, 0, v7
	v_cmp_ne_u32_e64 s[0:1], 0, v2
	s_and_b64 s[0:1], vcc, s[0:1]
	v_cndmask_b32_e64 v2, 0, 1, s[0:1]
	v_add_u32_e32 v5, v5, v2
; %bb.2679:
	s_or_b64 exec, exec, s[10:11]
	s_mov_b64 s[0:1], 0
	s_mov_b64 s[10:11], -1
	global_store_byte v[12:13], v5, off
.LBB143_2680:
	s_mov_b64 s[18:19], 0
.LBB143_2681:
	s_and_b64 vcc, exec, s[18:19]
	s_cbranch_vccz .LBB143_2684
; %bb.2682:
	s_cmp_eq_u32 s23, 29
	s_mov_b64 s[0:1], -1
	s_cbranch_scc0 .LBB143_2684
; %bb.2683:
	v_trunc_f64_e32 v[2:3], v[0:1]
	s_movk_i32 s0, 0xffe0
	s_mov_b64 s[10:11], -1
	v_ldexp_f64 v[25:26], v[2:3], s0
	s_mov_b32 s0, 0
	s_mov_b32 s1, 0xc1f00000
	v_floor_f64_e32 v[25:26], v[25:26]
	v_fma_f64 v[2:3], v[25:26], s[0:1], v[2:3]
	v_cvt_u32_f64_e32 v26, v[25:26]
	s_mov_b64 s[0:1], 0
	v_cvt_u32_f64_e32 v25, v[2:3]
	global_store_dwordx2 v[12:13], v[25:26], off
.LBB143_2684:
	s_mov_b64 s[18:19], 0
.LBB143_2685:
	s_and_b64 vcc, exec, s[18:19]
	s_cbranch_vccz .LBB143_2701
; %bb.2686:
	s_cmp_lt_i32 s23, 27
	s_mov_b64 s[10:11], -1
	s_cbranch_scc1 .LBB143_2692
; %bb.2687:
	v_cvt_u32_f64_e32 v2, v[0:1]
	s_cmp_gt_i32 s23, 27
	s_cbranch_scc0 .LBB143_2689
; %bb.2688:
	s_mov_b64 s[10:11], 0
	global_store_dword v[12:13], v2, off
.LBB143_2689:
	s_andn2_b64 vcc, exec, s[10:11]
	s_cbranch_vccnz .LBB143_2691
; %bb.2690:
	global_store_short v[12:13], v2, off
.LBB143_2691:
	s_mov_b64 s[10:11], 0
.LBB143_2692:
	s_andn2_b64 vcc, exec, s[10:11]
	s_cbranch_vccnz .LBB143_2700
; %bb.2693:
	v_cvt_f32_f64_e32 v2, v[0:1]
	s_mov_b32 s10, 0x43800000
	v_mov_b32_e32 v5, 0x80
	v_and_b32_e32 v3, 0x7fffffff, v2
	v_cmp_gt_u32_e32 vcc, s10, v3
	s_and_saveexec_b64 s[10:11], vcc
	s_cbranch_execz .LBB143_2699
; %bb.2694:
	s_mov_b32 s18, 0x3bffffff
	v_cmp_lt_u32_e32 vcc, s18, v3
	s_mov_b64 s[18:19], 0
                                        ; implicit-def: $vgpr3
	s_and_saveexec_b64 s[20:21], vcc
	s_xor_b64 s[20:21], exec, s[20:21]
	s_cbranch_execz .LBB143_3148
; %bb.2695:
	v_bfe_u32 v3, v2, 20, 1
	s_mov_b32 s24, 0x487ffff
	v_add3_u32 v3, v2, v3, s24
	s_mov_b64 s[18:19], exec
	v_lshrrev_b32_e32 v3, 20, v3
	s_andn2_saveexec_b64 s[20:21], s[20:21]
	s_cbranch_execnz .LBB143_3149
.LBB143_2696:
	s_or_b64 exec, exec, s[20:21]
	v_mov_b32_e32 v5, 0
	s_and_saveexec_b64 s[20:21], s[18:19]
.LBB143_2697:
	v_lshrrev_b32_e32 v2, 24, v2
	s_movk_i32 s18, 0x80
	v_and_or_b32 v5, v2, s18, v3
.LBB143_2698:
	s_or_b64 exec, exec, s[20:21]
.LBB143_2699:
	s_or_b64 exec, exec, s[10:11]
	global_store_byte v[12:13], v5, off
.LBB143_2700:
	s_mov_b64 s[10:11], -1
.LBB143_2701:
	s_mov_b64 s[18:19], 0
.LBB143_2702:
	s_and_b64 vcc, exec, s[18:19]
	s_cbranch_vccz .LBB143_2742
; %bb.2703:
	s_cmp_gt_i32 s23, 22
	s_mov_b64 s[2:3], -1
	s_cbranch_scc0 .LBB143_2735
; %bb.2704:
	s_cmp_lt_i32 s23, 24
	s_cbranch_scc1 .LBB143_2724
; %bb.2705:
	s_cmp_gt_i32 s23, 24
	s_cbranch_scc0 .LBB143_2713
; %bb.2706:
	v_cvt_f32_f64_e32 v2, v[0:1]
	s_mov_b32 s2, 0x47800000
	v_mov_b32_e32 v5, 0x80
	v_and_b32_e32 v3, 0x7fffffff, v2
	v_cmp_gt_u32_e32 vcc, s2, v3
	s_and_saveexec_b64 s[2:3], vcc
	s_cbranch_execz .LBB143_2712
; %bb.2707:
	s_mov_b32 s10, 0x37ffffff
	v_cmp_lt_u32_e32 vcc, s10, v3
	s_mov_b64 s[10:11], 0
                                        ; implicit-def: $vgpr3
	s_and_saveexec_b64 s[18:19], vcc
	s_xor_b64 s[18:19], exec, s[18:19]
	s_cbranch_execz .LBB143_3151
; %bb.2708:
	v_bfe_u32 v3, v2, 21, 1
	s_mov_b32 s20, 0x88fffff
	v_add3_u32 v3, v2, v3, s20
	s_mov_b64 s[10:11], exec
	v_lshrrev_b32_e32 v3, 21, v3
	s_andn2_saveexec_b64 s[18:19], s[18:19]
	s_cbranch_execnz .LBB143_3152
.LBB143_2709:
	s_or_b64 exec, exec, s[18:19]
	v_mov_b32_e32 v5, 0
	s_and_saveexec_b64 s[18:19], s[10:11]
.LBB143_2710:
	v_lshrrev_b32_e32 v2, 24, v2
	s_movk_i32 s10, 0x80
	v_and_or_b32 v5, v2, s10, v3
.LBB143_2711:
	s_or_b64 exec, exec, s[18:19]
.LBB143_2712:
	s_or_b64 exec, exec, s[2:3]
	s_mov_b64 s[2:3], 0
	global_store_byte v[12:13], v5, off
.LBB143_2713:
	s_and_b64 vcc, exec, s[2:3]
	s_cbranch_vccz .LBB143_2723
; %bb.2714:
	v_cvt_f32_f64_e32 v2, v[0:1]
	s_mov_b32 s2, 0x43f00000
                                        ; implicit-def: $vgpr3
	v_and_b32_e32 v5, 0x7fffffff, v2
	v_cmp_gt_u32_e32 vcc, s2, v5
	s_and_saveexec_b64 s[2:3], vcc
	s_xor_b64 s[2:3], exec, s[2:3]
	s_cbranch_execz .LBB143_2720
; %bb.2715:
	s_mov_b32 s10, 0x3c7fffff
	v_cmp_lt_u32_e32 vcc, s10, v5
                                        ; implicit-def: $vgpr3
	s_and_saveexec_b64 s[10:11], vcc
	s_xor_b64 s[10:11], exec, s[10:11]
; %bb.2716:
	v_bfe_u32 v3, v2, 20, 1
	s_mov_b32 s18, 0x407ffff
	v_add3_u32 v3, v2, v3, s18
	v_lshrrev_b32_e32 v5, 20, v3
	v_and_b32_e32 v3, 0xff00000, v3
	s_mov_b32 s18, 0x7f00000
	v_mov_b32_e32 v7, 0x7e
	v_cmp_ne_u32_e32 vcc, s18, v3
	v_cndmask_b32_e32 v3, v7, v5, vcc
; %bb.2717:
	s_andn2_saveexec_b64 s[10:11], s[10:11]
; %bb.2718:
	s_mov_b32 s18, 0x46800000
	v_add_f32_e64 v3, |v2|, s18
; %bb.2719:
	s_or_b64 exec, exec, s[10:11]
                                        ; implicit-def: $vgpr5
.LBB143_2720:
	s_andn2_saveexec_b64 s[2:3], s[2:3]
; %bb.2721:
	s_mov_b32 s10, 0x7f800000
	v_mov_b32_e32 v3, 0x7e
	v_mov_b32_e32 v7, 0x7f
	v_cmp_lt_u32_e32 vcc, s10, v5
	v_cndmask_b32_e32 v3, v3, v7, vcc
; %bb.2722:
	s_or_b64 exec, exec, s[2:3]
	v_lshrrev_b32_e32 v2, 24, v2
	s_movk_i32 s2, 0x80
	v_and_or_b32 v2, v2, s2, v3
	global_store_byte v[12:13], v2, off
.LBB143_2723:
	s_mov_b64 s[2:3], 0
.LBB143_2724:
	s_andn2_b64 vcc, exec, s[2:3]
	s_cbranch_vccnz .LBB143_2734
; %bb.2725:
	v_cvt_f32_f64_e32 v2, v[0:1]
	s_mov_b32 s2, 0x47800000
                                        ; implicit-def: $vgpr3
	v_and_b32_e32 v5, 0x7fffffff, v2
	v_cmp_gt_u32_e32 vcc, s2, v5
	s_and_saveexec_b64 s[2:3], vcc
	s_xor_b64 s[2:3], exec, s[2:3]
	s_cbranch_execz .LBB143_2731
; %bb.2726:
	s_mov_b32 s10, 0x387fffff
	v_cmp_lt_u32_e32 vcc, s10, v5
                                        ; implicit-def: $vgpr3
	s_and_saveexec_b64 s[10:11], vcc
	s_xor_b64 s[10:11], exec, s[10:11]
; %bb.2727:
	v_bfe_u32 v3, v2, 21, 1
	s_mov_b32 s18, 0x80fffff
	v_add3_u32 v3, v2, v3, s18
	v_lshrrev_b32_e32 v3, 21, v3
; %bb.2728:
	s_andn2_saveexec_b64 s[10:11], s[10:11]
; %bb.2729:
	s_mov_b32 s18, 0x43000000
	v_add_f32_e64 v3, |v2|, s18
; %bb.2730:
	s_or_b64 exec, exec, s[10:11]
                                        ; implicit-def: $vgpr5
.LBB143_2731:
	s_andn2_saveexec_b64 s[2:3], s[2:3]
; %bb.2732:
	s_mov_b32 s10, 0x7f800000
	v_mov_b32_e32 v3, 0x7c
	v_mov_b32_e32 v7, 0x7f
	v_cmp_lt_u32_e32 vcc, s10, v5
	v_cndmask_b32_e32 v3, v3, v7, vcc
; %bb.2733:
	s_or_b64 exec, exec, s[2:3]
	v_lshrrev_b32_e32 v2, 24, v2
	s_movk_i32 s2, 0x80
	v_and_or_b32 v2, v2, s2, v3
	global_store_byte v[12:13], v2, off
.LBB143_2734:
	s_mov_b64 s[2:3], 0
	s_mov_b64 s[10:11], -1
.LBB143_2735:
	s_andn2_b64 vcc, exec, s[2:3]
	s_mov_b64 s[2:3], 0
	s_cbranch_vccnz .LBB143_2742
; %bb.2736:
	s_cmp_gt_i32 s23, 14
	s_mov_b64 s[18:19], -1
	s_cbranch_scc0 .LBB143_2740
; %bb.2737:
	s_cmp_eq_u32 s23, 15
	s_mov_b64 s[0:1], -1
	s_cbranch_scc0 .LBB143_2739
; %bb.2738:
	v_cvt_f32_f64_e32 v2, v[0:1]
	s_movk_i32 s0, 0x7fff
	v_mov_b32_e32 v3, 0x7fc0
	s_mov_b64 s[10:11], -1
	v_bfe_u32 v5, v2, 16, 1
	v_cmp_o_f32_e32 vcc, v2, v2
	v_add3_u32 v2, v2, v5, s0
	v_cndmask_b32_sdwa v2, v3, v2, vcc dst_sel:DWORD dst_unused:UNUSED_PAD src0_sel:DWORD src1_sel:WORD_1
	global_store_short v[12:13], v2, off
	s_mov_b64 s[0:1], 0
.LBB143_2739:
	s_mov_b64 s[18:19], 0
.LBB143_2740:
	s_and_b64 vcc, exec, s[18:19]
	s_cbranch_vccz .LBB143_2742
; %bb.2741:
	s_cmp_lg_u32 s23, 11
	s_mov_b64 s[2:3], -1
	s_cselect_b64 s[0:1], -1, 0
.LBB143_2742:
	s_and_b64 vcc, exec, s[0:1]
	s_cbranch_vccnz .LBB143_3150
; %bb.2743:
	s_andn2_b64 vcc, exec, s[2:3]
	s_cbranch_vccnz .LBB143_2745
.LBB143_2744:
	v_cmp_neq_f64_e32 vcc, 0, v[0:1]
	s_mov_b64 s[10:11], -1
	v_cndmask_b32_e64 v2, 0, 1, vcc
	global_store_byte v[12:13], v2, off
.LBB143_2745:
	s_mov_b64 s[0:1], 0
	s_branch .LBB143_2747
.LBB143_2746:
	s_mov_b64 s[0:1], -1
	s_mov_b64 s[10:11], 0
.LBB143_2747:
	s_and_b64 vcc, exec, s[0:1]
	s_cbranch_vccz .LBB143_2786
; %bb.2748:
	s_and_b32 s2, 0xffff, s22
	s_cmp_lt_i32 s2, 5
	s_mov_b64 s[0:1], -1
	s_cbranch_scc1 .LBB143_2769
; %bb.2749:
	s_cmp_lt_i32 s2, 8
	s_cbranch_scc1 .LBB143_2759
; %bb.2750:
	s_cmp_lt_i32 s2, 9
	s_cbranch_scc1 .LBB143_2756
; %bb.2751:
	s_cmp_gt_i32 s2, 9
	s_cbranch_scc0 .LBB143_2753
; %bb.2752:
	v_mov_b32_e32 v2, 0
	v_mov_b32_e32 v3, v2
	global_store_dwordx4 v[12:13], v[0:3], off
	s_mov_b64 s[0:1], 0
.LBB143_2753:
	s_andn2_b64 vcc, exec, s[0:1]
	s_cbranch_vccnz .LBB143_2755
; %bb.2754:
	v_cvt_f32_f64_e32 v2, v[0:1]
	v_mov_b32_e32 v3, 0
	global_store_dwordx2 v[12:13], v[2:3], off
.LBB143_2755:
	s_mov_b64 s[0:1], 0
.LBB143_2756:
	s_andn2_b64 vcc, exec, s[0:1]
	s_cbranch_vccnz .LBB143_2758
; %bb.2757:
	s_movk_i32 s0, 0x1ff
	v_and_or_b32 v2, v1, s0, v0
	v_cmp_ne_u32_e32 vcc, 0, v2
	v_cndmask_b32_e64 v2, 0, 1, vcc
	v_lshrrev_b32_e32 v3, 8, v1
	s_movk_i32 s0, 0xffe
	v_bfe_u32 v5, v1, 20, 11
	v_and_or_b32 v2, v3, s0, v2
	v_sub_u32_e32 v7, 0x3f1, v5
	v_or_b32_e32 v3, 0x1000, v2
	v_med3_i32 v7, v7, 0, 13
	v_lshrrev_b32_e32 v9, v7, v3
	v_lshlrev_b32_e32 v7, v7, v9
	v_cmp_ne_u32_e32 vcc, v7, v3
	v_cndmask_b32_e64 v3, 0, 1, vcc
	v_add_u32_e32 v5, 0xfffffc10, v5
	v_or_b32_e32 v3, v9, v3
	v_lshl_or_b32 v7, v5, 12, v2
	v_cmp_gt_i32_e32 vcc, 1, v5
	v_cndmask_b32_e32 v3, v7, v3, vcc
	v_and_b32_e32 v7, 7, v3
	v_cmp_lt_i32_e32 vcc, 5, v7
	v_cndmask_b32_e64 v9, 0, 1, vcc
	v_cmp_eq_u32_e32 vcc, 3, v7
	v_cndmask_b32_e64 v7, 0, 1, vcc
	v_or_b32_e32 v7, v7, v9
	v_lshrrev_b32_e32 v3, 2, v3
	v_add_u32_e32 v3, v3, v7
	v_mov_b32_e32 v7, 0x7c00
	v_cmp_gt_i32_e32 vcc, 31, v5
	v_cndmask_b32_e32 v3, v7, v3, vcc
	v_mov_b32_e32 v9, 0x7e00
	v_cmp_ne_u32_e32 vcc, 0, v2
	s_movk_i32 s0, 0x40f
	v_cndmask_b32_e32 v2, v7, v9, vcc
	v_cmp_eq_u32_e32 vcc, s0, v5
	v_cndmask_b32_e32 v2, v3, v2, vcc
	v_lshrrev_b32_e32 v3, 16, v1
	s_mov_b32 s0, 0x8000
	v_and_or_b32 v2, v3, s0, v2
	v_and_b32_e32 v2, 0xffff, v2
	global_store_dword v[12:13], v2, off
.LBB143_2758:
	s_mov_b64 s[0:1], 0
.LBB143_2759:
	s_andn2_b64 vcc, exec, s[0:1]
	s_cbranch_vccnz .LBB143_2768
; %bb.2760:
	s_cmp_lt_i32 s2, 6
	s_mov_b64 s[0:1], -1
	s_cbranch_scc1 .LBB143_2766
; %bb.2761:
	s_cmp_gt_i32 s2, 6
	s_cbranch_scc0 .LBB143_2763
; %bb.2762:
	global_store_dwordx2 v[12:13], v[0:1], off
	s_mov_b64 s[0:1], 0
.LBB143_2763:
	s_andn2_b64 vcc, exec, s[0:1]
	s_cbranch_vccnz .LBB143_2765
; %bb.2764:
	v_cvt_f32_f64_e32 v2, v[0:1]
	global_store_dword v[12:13], v2, off
.LBB143_2765:
	s_mov_b64 s[0:1], 0
.LBB143_2766:
	s_andn2_b64 vcc, exec, s[0:1]
	s_cbranch_vccnz .LBB143_2768
; %bb.2767:
	s_movk_i32 s0, 0x1ff
	v_and_or_b32 v2, v1, s0, v0
	v_cmp_ne_u32_e32 vcc, 0, v2
	v_cndmask_b32_e64 v2, 0, 1, vcc
	v_lshrrev_b32_e32 v3, 8, v1
	s_movk_i32 s0, 0xffe
	v_bfe_u32 v5, v1, 20, 11
	v_and_or_b32 v2, v3, s0, v2
	v_sub_u32_e32 v7, 0x3f1, v5
	v_or_b32_e32 v3, 0x1000, v2
	v_med3_i32 v7, v7, 0, 13
	v_lshrrev_b32_e32 v9, v7, v3
	v_lshlrev_b32_e32 v7, v7, v9
	v_cmp_ne_u32_e32 vcc, v7, v3
	v_cndmask_b32_e64 v3, 0, 1, vcc
	v_add_u32_e32 v5, 0xfffffc10, v5
	v_or_b32_e32 v3, v9, v3
	v_lshl_or_b32 v7, v5, 12, v2
	v_cmp_gt_i32_e32 vcc, 1, v5
	v_cndmask_b32_e32 v3, v7, v3, vcc
	v_and_b32_e32 v7, 7, v3
	v_cmp_lt_i32_e32 vcc, 5, v7
	v_cndmask_b32_e64 v9, 0, 1, vcc
	v_cmp_eq_u32_e32 vcc, 3, v7
	v_cndmask_b32_e64 v7, 0, 1, vcc
	v_or_b32_e32 v7, v7, v9
	v_lshrrev_b32_e32 v3, 2, v3
	v_add_u32_e32 v3, v3, v7
	v_mov_b32_e32 v7, 0x7c00
	v_cmp_gt_i32_e32 vcc, 31, v5
	v_cndmask_b32_e32 v3, v7, v3, vcc
	v_mov_b32_e32 v9, 0x7e00
	v_cmp_ne_u32_e32 vcc, 0, v2
	s_movk_i32 s0, 0x40f
	v_cndmask_b32_e32 v2, v7, v9, vcc
	v_cmp_eq_u32_e32 vcc, s0, v5
	v_cndmask_b32_e32 v2, v3, v2, vcc
	v_lshrrev_b32_e32 v3, 16, v1
	s_mov_b32 s0, 0x8000
	v_and_or_b32 v2, v3, s0, v2
	global_store_short v[12:13], v2, off
.LBB143_2768:
	s_mov_b64 s[0:1], 0
.LBB143_2769:
	s_andn2_b64 vcc, exec, s[0:1]
	s_cbranch_vccnz .LBB143_2785
; %bb.2770:
	s_cmp_lt_i32 s2, 2
	s_mov_b64 s[0:1], -1
	s_cbranch_scc1 .LBB143_2780
; %bb.2771:
	s_cmp_lt_i32 s2, 3
	s_cbranch_scc1 .LBB143_2777
; %bb.2772:
	s_cmp_gt_i32 s2, 3
	s_cbranch_scc0 .LBB143_2774
; %bb.2773:
	v_trunc_f64_e32 v[2:3], v[0:1]
	s_movk_i32 s0, 0xffe0
	v_ldexp_f64 v[25:26], v[2:3], s0
	s_mov_b32 s0, 0
	s_mov_b32 s1, 0xc1f00000
	v_floor_f64_e32 v[25:26], v[25:26]
	v_fma_f64 v[2:3], v[25:26], s[0:1], v[2:3]
	v_cvt_i32_f64_e32 v26, v[25:26]
	s_mov_b64 s[0:1], 0
	v_cvt_u32_f64_e32 v25, v[2:3]
	global_store_dwordx2 v[12:13], v[25:26], off
.LBB143_2774:
	s_andn2_b64 vcc, exec, s[0:1]
	s_cbranch_vccnz .LBB143_2776
; %bb.2775:
	v_cvt_i32_f64_e32 v2, v[0:1]
	global_store_dword v[12:13], v2, off
.LBB143_2776:
	s_mov_b64 s[0:1], 0
.LBB143_2777:
	s_andn2_b64 vcc, exec, s[0:1]
	s_cbranch_vccnz .LBB143_2779
; %bb.2778:
	v_cvt_i32_f64_e32 v2, v[0:1]
	global_store_short v[12:13], v2, off
.LBB143_2779:
	s_mov_b64 s[0:1], 0
.LBB143_2780:
	s_andn2_b64 vcc, exec, s[0:1]
	s_cbranch_vccnz .LBB143_2785
; %bb.2781:
	s_cmp_gt_i32 s2, 0
	s_mov_b64 s[0:1], -1
	s_cbranch_scc0 .LBB143_2783
; %bb.2782:
	v_cvt_i32_f64_e32 v2, v[0:1]
	s_mov_b64 s[0:1], 0
	global_store_byte v[12:13], v2, off
.LBB143_2783:
	s_andn2_b64 vcc, exec, s[0:1]
	s_cbranch_vccnz .LBB143_2785
; %bb.2784:
	v_trunc_f64_e32 v[0:1], v[0:1]
	s_movk_i32 s0, 0xffe0
	v_ldexp_f64 v[2:3], v[0:1], s0
	s_mov_b32 s0, 0
	s_mov_b32 s1, 0xc1f00000
	v_floor_f64_e32 v[2:3], v[2:3]
	v_fma_f64 v[0:1], v[2:3], s[0:1], v[0:1]
	v_cvt_u32_f64_e32 v0, v[0:1]
	global_store_byte v[12:13], v0, off
.LBB143_2785:
	s_mov_b64 s[10:11], -1
.LBB143_2786:
	s_andn2_b64 vcc, exec, s[10:11]
	s_cbranch_vccnz .LBB143_3101
; %bb.2787:
	v_cmp_nge_f64_e32 vcc, s[4:5], v[10:11]
	v_mov_b32_e32 v0, s7
	v_mov_b32_e32 v2, s6
	v_mov_b32_e32 v3, s9
	s_and_b32 s23, 0xffff, s22
	s_cmp_lt_i32 s23, 11
	v_cndmask_b32_e32 v1, v0, v18, vcc
	v_cndmask_b32_e32 v0, v2, v17, vcc
	v_add_co_u32_e32 v7, vcc, s8, v8
	v_addc_co_u32_e32 v8, vcc, 0, v3, vcc
	s_cbranch_scc1 .LBB143_2865
; %bb.2788:
	s_mov_b64 s[18:19], -1
	s_mov_b64 s[2:3], 0
	s_cmp_gt_i32 s23, 25
	s_mov_b64 s[10:11], 0
	s_mov_b64 s[0:1], 0
	s_cbranch_scc0 .LBB143_2821
; %bb.2789:
	s_cmp_gt_i32 s23, 28
	s_cbranch_scc0 .LBB143_2804
; %bb.2790:
	s_cmp_gt_i32 s23, 43
	;; [unrolled: 3-line block ×3, first 2 shown]
	s_cbranch_scc0 .LBB143_2794
; %bb.2792:
	s_mov_b64 s[0:1], -1
	s_mov_b64 s[18:19], 0
	s_cmp_eq_u32 s23, 46
	s_cbranch_scc0 .LBB143_2794
; %bb.2793:
	v_cvt_f32_f64_e32 v2, v[0:1]
	s_movk_i32 s0, 0x7fff
	v_mov_b32_e32 v3, 0x7fc0
	s_mov_b64 s[10:11], -1
	v_bfe_u32 v5, v2, 16, 1
	v_cmp_o_f32_e32 vcc, v2, v2
	v_add3_u32 v2, v2, v5, s0
	v_cndmask_b32_sdwa v2, v3, v2, vcc dst_sel:DWORD dst_unused:UNUSED_PAD src0_sel:DWORD src1_sel:WORD_1
	global_store_dword v[7:8], v2, off
	s_mov_b64 s[0:1], 0
.LBB143_2794:
	s_and_b64 vcc, exec, s[18:19]
	s_cbranch_vccz .LBB143_2799
; %bb.2795:
	s_cmp_eq_u32 s23, 44
	s_mov_b64 s[0:1], -1
	s_cbranch_scc0 .LBB143_2799
; %bb.2796:
	v_cvt_f32_f64_e32 v2, v[0:1]
	s_movk_i32 s0, 0xff
	v_mov_b32_e32 v5, 0xff
	v_bfe_u32 v3, v2, 23, 8
	v_cmp_ne_u32_e32 vcc, s0, v3
	s_and_saveexec_b64 s[10:11], vcc
; %bb.2797:
	s_mov_b32 s0, 0x3fffff
	v_lshrrev_b32_e32 v5, 23, v2
	v_and_b32_e32 v9, 0x400000, v2
	v_and_or_b32 v2, v2, s0, v3
	v_cmp_ne_u32_e32 vcc, 0, v9
	v_cmp_ne_u32_e64 s[0:1], 0, v2
	s_and_b64 s[0:1], vcc, s[0:1]
	v_cndmask_b32_e64 v2, 0, 1, s[0:1]
	v_add_u32_e32 v5, v5, v2
; %bb.2798:
	s_or_b64 exec, exec, s[10:11]
	s_mov_b64 s[0:1], 0
	s_mov_b64 s[10:11], -1
	global_store_byte v[7:8], v5, off
.LBB143_2799:
	s_mov_b64 s[18:19], 0
.LBB143_2800:
	s_and_b64 vcc, exec, s[18:19]
	s_cbranch_vccz .LBB143_2803
; %bb.2801:
	s_cmp_eq_u32 s23, 29
	s_mov_b64 s[0:1], -1
	s_cbranch_scc0 .LBB143_2803
; %bb.2802:
	v_trunc_f64_e32 v[2:3], v[0:1]
	s_movk_i32 s0, 0xffe0
	s_mov_b64 s[10:11], -1
	v_ldexp_f64 v[9:10], v[2:3], s0
	s_mov_b32 s0, 0
	s_mov_b32 s1, 0xc1f00000
	v_floor_f64_e32 v[9:10], v[9:10]
	v_fma_f64 v[2:3], v[9:10], s[0:1], v[2:3]
	v_cvt_u32_f64_e32 v10, v[9:10]
	s_mov_b64 s[0:1], 0
	v_cvt_u32_f64_e32 v9, v[2:3]
	global_store_dwordx2 v[7:8], v[9:10], off
.LBB143_2803:
	s_mov_b64 s[18:19], 0
.LBB143_2804:
	s_and_b64 vcc, exec, s[18:19]
	s_cbranch_vccz .LBB143_2820
; %bb.2805:
	s_cmp_lt_i32 s23, 27
	s_mov_b64 s[10:11], -1
	s_cbranch_scc1 .LBB143_2811
; %bb.2806:
	s_cmp_gt_i32 s23, 27
	s_cbranch_scc0 .LBB143_2808
; %bb.2807:
	v_cvt_u32_f64_e32 v2, v[0:1]
	s_mov_b64 s[10:11], 0
	global_store_dword v[7:8], v2, off
.LBB143_2808:
	s_andn2_b64 vcc, exec, s[10:11]
	s_cbranch_vccnz .LBB143_2810
; %bb.2809:
	v_cvt_u32_f64_e32 v2, v[0:1]
	global_store_short v[7:8], v2, off
.LBB143_2810:
	s_mov_b64 s[10:11], 0
.LBB143_2811:
	s_andn2_b64 vcc, exec, s[10:11]
	s_cbranch_vccnz .LBB143_2819
; %bb.2812:
	v_cvt_f32_f64_e32 v2, v[0:1]
	s_mov_b32 s10, 0x43800000
	v_mov_b32_e32 v5, 0x80
	v_and_b32_e32 v3, 0x7fffffff, v2
	v_cmp_gt_u32_e32 vcc, s10, v3
	s_and_saveexec_b64 s[10:11], vcc
	s_cbranch_execz .LBB143_2818
; %bb.2813:
	s_mov_b32 s18, 0x3bffffff
	v_cmp_lt_u32_e32 vcc, s18, v3
	s_mov_b64 s[18:19], 0
                                        ; implicit-def: $vgpr3
	s_and_saveexec_b64 s[20:21], vcc
	s_xor_b64 s[20:21], exec, s[20:21]
	s_cbranch_execz .LBB143_3153
; %bb.2814:
	v_bfe_u32 v3, v2, 20, 1
	s_mov_b32 s24, 0x487ffff
	v_add3_u32 v3, v2, v3, s24
	s_mov_b64 s[18:19], exec
	v_lshrrev_b32_e32 v3, 20, v3
	s_andn2_saveexec_b64 s[20:21], s[20:21]
	s_cbranch_execnz .LBB143_3154
.LBB143_2815:
	s_or_b64 exec, exec, s[20:21]
	v_mov_b32_e32 v5, 0
	s_and_saveexec_b64 s[20:21], s[18:19]
.LBB143_2816:
	v_lshrrev_b32_e32 v2, 24, v2
	s_movk_i32 s18, 0x80
	v_and_or_b32 v5, v2, s18, v3
.LBB143_2817:
	s_or_b64 exec, exec, s[20:21]
.LBB143_2818:
	s_or_b64 exec, exec, s[10:11]
	global_store_byte v[7:8], v5, off
.LBB143_2819:
	s_mov_b64 s[10:11], -1
.LBB143_2820:
	s_mov_b64 s[18:19], 0
.LBB143_2821:
	s_and_b64 vcc, exec, s[18:19]
	s_cbranch_vccz .LBB143_2861
; %bb.2822:
	s_cmp_gt_i32 s23, 22
	s_mov_b64 s[2:3], -1
	s_cbranch_scc0 .LBB143_2854
; %bb.2823:
	s_cmp_lt_i32 s23, 24
	s_cbranch_scc1 .LBB143_2843
; %bb.2824:
	s_cmp_gt_i32 s23, 24
	s_cbranch_scc0 .LBB143_2832
; %bb.2825:
	v_cvt_f32_f64_e32 v2, v[0:1]
	s_mov_b32 s2, 0x47800000
	v_mov_b32_e32 v5, 0x80
	v_and_b32_e32 v3, 0x7fffffff, v2
	v_cmp_gt_u32_e32 vcc, s2, v3
	s_and_saveexec_b64 s[2:3], vcc
	s_cbranch_execz .LBB143_2831
; %bb.2826:
	s_mov_b32 s10, 0x37ffffff
	v_cmp_lt_u32_e32 vcc, s10, v3
	s_mov_b64 s[10:11], 0
                                        ; implicit-def: $vgpr3
	s_and_saveexec_b64 s[18:19], vcc
	s_xor_b64 s[18:19], exec, s[18:19]
	s_cbranch_execz .LBB143_3156
; %bb.2827:
	v_bfe_u32 v3, v2, 21, 1
	s_mov_b32 s20, 0x88fffff
	v_add3_u32 v3, v2, v3, s20
	s_mov_b64 s[10:11], exec
	v_lshrrev_b32_e32 v3, 21, v3
	s_andn2_saveexec_b64 s[18:19], s[18:19]
	s_cbranch_execnz .LBB143_3157
.LBB143_2828:
	s_or_b64 exec, exec, s[18:19]
	v_mov_b32_e32 v5, 0
	s_and_saveexec_b64 s[18:19], s[10:11]
.LBB143_2829:
	v_lshrrev_b32_e32 v2, 24, v2
	s_movk_i32 s10, 0x80
	v_and_or_b32 v5, v2, s10, v3
.LBB143_2830:
	s_or_b64 exec, exec, s[18:19]
.LBB143_2831:
	s_or_b64 exec, exec, s[2:3]
	s_mov_b64 s[2:3], 0
	global_store_byte v[7:8], v5, off
.LBB143_2832:
	s_and_b64 vcc, exec, s[2:3]
	s_cbranch_vccz .LBB143_2842
; %bb.2833:
	v_cvt_f32_f64_e32 v2, v[0:1]
	s_mov_b32 s2, 0x43f00000
                                        ; implicit-def: $vgpr3
	v_and_b32_e32 v5, 0x7fffffff, v2
	v_cmp_gt_u32_e32 vcc, s2, v5
	s_and_saveexec_b64 s[2:3], vcc
	s_xor_b64 s[2:3], exec, s[2:3]
	s_cbranch_execz .LBB143_2839
; %bb.2834:
	s_mov_b32 s10, 0x3c7fffff
	v_cmp_lt_u32_e32 vcc, s10, v5
                                        ; implicit-def: $vgpr3
	s_and_saveexec_b64 s[10:11], vcc
	s_xor_b64 s[10:11], exec, s[10:11]
; %bb.2835:
	v_bfe_u32 v3, v2, 20, 1
	s_mov_b32 s18, 0x407ffff
	v_add3_u32 v3, v2, v3, s18
	v_lshrrev_b32_e32 v5, 20, v3
	v_and_b32_e32 v3, 0xff00000, v3
	s_mov_b32 s18, 0x7f00000
	v_mov_b32_e32 v9, 0x7e
	v_cmp_ne_u32_e32 vcc, s18, v3
	v_cndmask_b32_e32 v3, v9, v5, vcc
; %bb.2836:
	s_andn2_saveexec_b64 s[10:11], s[10:11]
; %bb.2837:
	s_mov_b32 s18, 0x46800000
	v_add_f32_e64 v3, |v2|, s18
; %bb.2838:
	s_or_b64 exec, exec, s[10:11]
                                        ; implicit-def: $vgpr5
.LBB143_2839:
	s_andn2_saveexec_b64 s[2:3], s[2:3]
; %bb.2840:
	s_mov_b32 s10, 0x7f800000
	v_mov_b32_e32 v3, 0x7e
	v_mov_b32_e32 v9, 0x7f
	v_cmp_lt_u32_e32 vcc, s10, v5
	v_cndmask_b32_e32 v3, v3, v9, vcc
; %bb.2841:
	s_or_b64 exec, exec, s[2:3]
	v_lshrrev_b32_e32 v2, 24, v2
	s_movk_i32 s2, 0x80
	v_and_or_b32 v2, v2, s2, v3
	global_store_byte v[7:8], v2, off
.LBB143_2842:
	s_mov_b64 s[2:3], 0
.LBB143_2843:
	s_andn2_b64 vcc, exec, s[2:3]
	s_cbranch_vccnz .LBB143_2853
; %bb.2844:
	v_cvt_f32_f64_e32 v2, v[0:1]
	s_mov_b32 s2, 0x47800000
                                        ; implicit-def: $vgpr3
	v_and_b32_e32 v5, 0x7fffffff, v2
	v_cmp_gt_u32_e32 vcc, s2, v5
	s_and_saveexec_b64 s[2:3], vcc
	s_xor_b64 s[2:3], exec, s[2:3]
	s_cbranch_execz .LBB143_2850
; %bb.2845:
	s_mov_b32 s10, 0x387fffff
	v_cmp_lt_u32_e32 vcc, s10, v5
                                        ; implicit-def: $vgpr3
	s_and_saveexec_b64 s[10:11], vcc
	s_xor_b64 s[10:11], exec, s[10:11]
; %bb.2846:
	v_bfe_u32 v3, v2, 21, 1
	s_mov_b32 s18, 0x80fffff
	v_add3_u32 v3, v2, v3, s18
	v_lshrrev_b32_e32 v3, 21, v3
; %bb.2847:
	s_andn2_saveexec_b64 s[10:11], s[10:11]
; %bb.2848:
	s_mov_b32 s18, 0x43000000
	v_add_f32_e64 v3, |v2|, s18
; %bb.2849:
	s_or_b64 exec, exec, s[10:11]
                                        ; implicit-def: $vgpr5
.LBB143_2850:
	s_andn2_saveexec_b64 s[2:3], s[2:3]
; %bb.2851:
	s_mov_b32 s10, 0x7f800000
	v_mov_b32_e32 v3, 0x7c
	v_mov_b32_e32 v9, 0x7f
	v_cmp_lt_u32_e32 vcc, s10, v5
	v_cndmask_b32_e32 v3, v3, v9, vcc
; %bb.2852:
	s_or_b64 exec, exec, s[2:3]
	v_lshrrev_b32_e32 v2, 24, v2
	s_movk_i32 s2, 0x80
	v_and_or_b32 v2, v2, s2, v3
	global_store_byte v[7:8], v2, off
.LBB143_2853:
	s_mov_b64 s[2:3], 0
	s_mov_b64 s[10:11], -1
.LBB143_2854:
	s_andn2_b64 vcc, exec, s[2:3]
	s_mov_b64 s[2:3], 0
	s_cbranch_vccnz .LBB143_2861
; %bb.2855:
	s_cmp_gt_i32 s23, 14
	s_mov_b64 s[18:19], -1
	s_cbranch_scc0 .LBB143_2859
; %bb.2856:
	s_cmp_eq_u32 s23, 15
	s_mov_b64 s[0:1], -1
	s_cbranch_scc0 .LBB143_2858
; %bb.2857:
	v_cvt_f32_f64_e32 v2, v[0:1]
	s_movk_i32 s0, 0x7fff
	v_mov_b32_e32 v3, 0x7fc0
	s_mov_b64 s[10:11], -1
	v_bfe_u32 v5, v2, 16, 1
	v_cmp_o_f32_e32 vcc, v2, v2
	v_add3_u32 v2, v2, v5, s0
	v_cndmask_b32_sdwa v2, v3, v2, vcc dst_sel:DWORD dst_unused:UNUSED_PAD src0_sel:DWORD src1_sel:WORD_1
	global_store_short v[7:8], v2, off
	s_mov_b64 s[0:1], 0
.LBB143_2858:
	s_mov_b64 s[18:19], 0
.LBB143_2859:
	s_and_b64 vcc, exec, s[18:19]
	s_cbranch_vccz .LBB143_2861
; %bb.2860:
	s_cmp_lg_u32 s23, 11
	s_mov_b64 s[2:3], -1
	s_cselect_b64 s[0:1], -1, 0
.LBB143_2861:
	s_and_b64 vcc, exec, s[0:1]
	s_cbranch_vccnz .LBB143_3155
; %bb.2862:
	s_andn2_b64 vcc, exec, s[2:3]
	s_cbranch_vccnz .LBB143_2864
.LBB143_2863:
	v_cmp_neq_f64_e32 vcc, 0, v[0:1]
	s_mov_b64 s[10:11], -1
	v_cndmask_b32_e64 v2, 0, 1, vcc
	global_store_byte v[7:8], v2, off
.LBB143_2864:
	s_mov_b64 s[0:1], 0
	s_branch .LBB143_2866
.LBB143_2865:
	s_mov_b64 s[0:1], -1
	s_mov_b64 s[10:11], 0
.LBB143_2866:
	s_and_b64 vcc, exec, s[0:1]
	s_cbranch_vccz .LBB143_2905
; %bb.2867:
	s_cmp_lt_i32 s23, 5
	s_mov_b64 s[0:1], -1
	s_cbranch_scc1 .LBB143_2888
; %bb.2868:
	s_cmp_lt_i32 s23, 8
	s_cbranch_scc1 .LBB143_2878
; %bb.2869:
	s_cmp_lt_i32 s23, 9
	s_cbranch_scc1 .LBB143_2875
; %bb.2870:
	s_cmp_gt_i32 s23, 9
	s_cbranch_scc0 .LBB143_2872
; %bb.2871:
	v_mov_b32_e32 v2, 0
	v_mov_b32_e32 v3, v2
	global_store_dwordx4 v[7:8], v[0:3], off
	s_mov_b64 s[0:1], 0
.LBB143_2872:
	s_andn2_b64 vcc, exec, s[0:1]
	s_cbranch_vccnz .LBB143_2874
; %bb.2873:
	v_cvt_f32_f64_e32 v2, v[0:1]
	v_mov_b32_e32 v3, 0
	global_store_dwordx2 v[7:8], v[2:3], off
.LBB143_2874:
	s_mov_b64 s[0:1], 0
.LBB143_2875:
	s_andn2_b64 vcc, exec, s[0:1]
	s_cbranch_vccnz .LBB143_2877
; %bb.2876:
	s_movk_i32 s0, 0x1ff
	v_and_or_b32 v2, v1, s0, v0
	v_cmp_ne_u32_e32 vcc, 0, v2
	v_cndmask_b32_e64 v2, 0, 1, vcc
	v_lshrrev_b32_e32 v3, 8, v1
	s_movk_i32 s0, 0xffe
	v_bfe_u32 v5, v1, 20, 11
	v_and_or_b32 v2, v3, s0, v2
	v_sub_u32_e32 v9, 0x3f1, v5
	v_or_b32_e32 v3, 0x1000, v2
	v_med3_i32 v9, v9, 0, 13
	v_lshrrev_b32_e32 v10, v9, v3
	v_lshlrev_b32_e32 v9, v9, v10
	v_cmp_ne_u32_e32 vcc, v9, v3
	v_cndmask_b32_e64 v3, 0, 1, vcc
	v_add_u32_e32 v5, 0xfffffc10, v5
	v_or_b32_e32 v3, v10, v3
	v_lshl_or_b32 v9, v5, 12, v2
	v_cmp_gt_i32_e32 vcc, 1, v5
	v_cndmask_b32_e32 v3, v9, v3, vcc
	v_and_b32_e32 v9, 7, v3
	v_cmp_lt_i32_e32 vcc, 5, v9
	v_cndmask_b32_e64 v10, 0, 1, vcc
	v_cmp_eq_u32_e32 vcc, 3, v9
	v_cndmask_b32_e64 v9, 0, 1, vcc
	v_or_b32_e32 v9, v9, v10
	v_lshrrev_b32_e32 v3, 2, v3
	v_add_u32_e32 v3, v3, v9
	v_mov_b32_e32 v9, 0x7c00
	v_cmp_gt_i32_e32 vcc, 31, v5
	v_cndmask_b32_e32 v3, v9, v3, vcc
	v_mov_b32_e32 v10, 0x7e00
	v_cmp_ne_u32_e32 vcc, 0, v2
	s_movk_i32 s0, 0x40f
	v_cndmask_b32_e32 v2, v9, v10, vcc
	v_cmp_eq_u32_e32 vcc, s0, v5
	v_cndmask_b32_e32 v2, v3, v2, vcc
	v_lshrrev_b32_e32 v3, 16, v1
	s_mov_b32 s0, 0x8000
	v_and_or_b32 v2, v3, s0, v2
	v_and_b32_e32 v2, 0xffff, v2
	global_store_dword v[7:8], v2, off
.LBB143_2877:
	s_mov_b64 s[0:1], 0
.LBB143_2878:
	s_andn2_b64 vcc, exec, s[0:1]
	s_cbranch_vccnz .LBB143_2887
; %bb.2879:
	s_cmp_lt_i32 s23, 6
	s_mov_b64 s[0:1], -1
	s_cbranch_scc1 .LBB143_2885
; %bb.2880:
	s_cmp_gt_i32 s23, 6
	s_cbranch_scc0 .LBB143_2882
; %bb.2881:
	global_store_dwordx2 v[7:8], v[0:1], off
	s_mov_b64 s[0:1], 0
.LBB143_2882:
	s_andn2_b64 vcc, exec, s[0:1]
	s_cbranch_vccnz .LBB143_2884
; %bb.2883:
	v_cvt_f32_f64_e32 v2, v[0:1]
	global_store_dword v[7:8], v2, off
.LBB143_2884:
	s_mov_b64 s[0:1], 0
.LBB143_2885:
	s_andn2_b64 vcc, exec, s[0:1]
	s_cbranch_vccnz .LBB143_2887
; %bb.2886:
	s_movk_i32 s0, 0x1ff
	v_and_or_b32 v2, v1, s0, v0
	v_cmp_ne_u32_e32 vcc, 0, v2
	v_cndmask_b32_e64 v2, 0, 1, vcc
	v_lshrrev_b32_e32 v3, 8, v1
	s_movk_i32 s0, 0xffe
	v_bfe_u32 v5, v1, 20, 11
	v_and_or_b32 v2, v3, s0, v2
	v_sub_u32_e32 v9, 0x3f1, v5
	v_or_b32_e32 v3, 0x1000, v2
	v_med3_i32 v9, v9, 0, 13
	v_lshrrev_b32_e32 v10, v9, v3
	v_lshlrev_b32_e32 v9, v9, v10
	v_cmp_ne_u32_e32 vcc, v9, v3
	v_cndmask_b32_e64 v3, 0, 1, vcc
	v_add_u32_e32 v5, 0xfffffc10, v5
	v_or_b32_e32 v3, v10, v3
	v_lshl_or_b32 v9, v5, 12, v2
	v_cmp_gt_i32_e32 vcc, 1, v5
	v_cndmask_b32_e32 v3, v9, v3, vcc
	v_and_b32_e32 v9, 7, v3
	v_cmp_lt_i32_e32 vcc, 5, v9
	v_cndmask_b32_e64 v10, 0, 1, vcc
	v_cmp_eq_u32_e32 vcc, 3, v9
	v_cndmask_b32_e64 v9, 0, 1, vcc
	v_or_b32_e32 v9, v9, v10
	v_lshrrev_b32_e32 v3, 2, v3
	v_add_u32_e32 v3, v3, v9
	v_mov_b32_e32 v9, 0x7c00
	v_cmp_gt_i32_e32 vcc, 31, v5
	v_cndmask_b32_e32 v3, v9, v3, vcc
	v_mov_b32_e32 v10, 0x7e00
	v_cmp_ne_u32_e32 vcc, 0, v2
	s_movk_i32 s0, 0x40f
	v_cndmask_b32_e32 v2, v9, v10, vcc
	v_cmp_eq_u32_e32 vcc, s0, v5
	v_cndmask_b32_e32 v2, v3, v2, vcc
	v_lshrrev_b32_e32 v3, 16, v1
	s_mov_b32 s0, 0x8000
	v_and_or_b32 v2, v3, s0, v2
	global_store_short v[7:8], v2, off
.LBB143_2887:
	s_mov_b64 s[0:1], 0
.LBB143_2888:
	s_andn2_b64 vcc, exec, s[0:1]
	s_cbranch_vccnz .LBB143_2904
; %bb.2889:
	s_cmp_lt_i32 s23, 2
	s_mov_b64 s[0:1], -1
	s_cbranch_scc1 .LBB143_2899
; %bb.2890:
	s_cmp_lt_i32 s23, 3
	s_cbranch_scc1 .LBB143_2896
; %bb.2891:
	s_cmp_gt_i32 s23, 3
	s_cbranch_scc0 .LBB143_2893
; %bb.2892:
	v_trunc_f64_e32 v[2:3], v[0:1]
	s_movk_i32 s0, 0xffe0
	v_ldexp_f64 v[9:10], v[2:3], s0
	s_mov_b32 s0, 0
	s_mov_b32 s1, 0xc1f00000
	v_floor_f64_e32 v[9:10], v[9:10]
	v_fma_f64 v[2:3], v[9:10], s[0:1], v[2:3]
	v_cvt_i32_f64_e32 v10, v[9:10]
	s_mov_b64 s[0:1], 0
	v_cvt_u32_f64_e32 v9, v[2:3]
	global_store_dwordx2 v[7:8], v[9:10], off
.LBB143_2893:
	s_andn2_b64 vcc, exec, s[0:1]
	s_cbranch_vccnz .LBB143_2895
; %bb.2894:
	v_cvt_i32_f64_e32 v2, v[0:1]
	global_store_dword v[7:8], v2, off
.LBB143_2895:
	s_mov_b64 s[0:1], 0
.LBB143_2896:
	s_andn2_b64 vcc, exec, s[0:1]
	s_cbranch_vccnz .LBB143_2898
; %bb.2897:
	v_cvt_i32_f64_e32 v2, v[0:1]
	global_store_short v[7:8], v2, off
.LBB143_2898:
	s_mov_b64 s[0:1], 0
.LBB143_2899:
	s_andn2_b64 vcc, exec, s[0:1]
	s_cbranch_vccnz .LBB143_2904
; %bb.2900:
	s_cmp_gt_i32 s23, 0
	s_mov_b64 s[0:1], -1
	s_cbranch_scc0 .LBB143_2902
; %bb.2901:
	v_cvt_i32_f64_e32 v2, v[0:1]
	s_mov_b64 s[0:1], 0
	global_store_byte v[7:8], v2, off
.LBB143_2902:
	s_andn2_b64 vcc, exec, s[0:1]
	s_cbranch_vccnz .LBB143_2904
; %bb.2903:
	v_trunc_f64_e32 v[0:1], v[0:1]
	s_movk_i32 s0, 0xffe0
	v_ldexp_f64 v[2:3], v[0:1], s0
	s_mov_b32 s0, 0
	s_mov_b32 s1, 0xc1f00000
	v_floor_f64_e32 v[2:3], v[2:3]
	v_fma_f64 v[0:1], v[2:3], s[0:1], v[0:1]
	v_cvt_u32_f64_e32 v0, v[0:1]
	global_store_byte v[7:8], v0, off
.LBB143_2904:
	s_mov_b64 s[10:11], -1
.LBB143_2905:
	s_andn2_b64 vcc, exec, s[10:11]
	s_cbranch_vccnz .LBB143_3101
; %bb.2906:
	v_cmp_nge_f64_e32 vcc, s[4:5], v[15:16]
	v_mov_b32_e32 v0, s7
	v_mov_b32_e32 v2, s6
	v_mov_b32_e32 v3, s9
	s_cmp_lt_i32 s23, 11
	v_cndmask_b32_e32 v1, v0, v22, vcc
	v_cndmask_b32_e32 v0, v2, v21, vcc
	v_add_co_u32_e32 v5, vcc, s8, v6
	v_addc_co_u32_e32 v6, vcc, 0, v3, vcc
	s_cbranch_scc1 .LBB143_2984
; %bb.2907:
	s_mov_b64 s[18:19], -1
	s_mov_b64 s[2:3], 0
	s_cmp_gt_i32 s23, 25
	s_mov_b64 s[10:11], 0
	s_mov_b64 s[0:1], 0
	s_cbranch_scc0 .LBB143_2940
; %bb.2908:
	s_cmp_gt_i32 s23, 28
	s_cbranch_scc0 .LBB143_2923
; %bb.2909:
	s_cmp_gt_i32 s23, 43
	;; [unrolled: 3-line block ×3, first 2 shown]
	s_cbranch_scc0 .LBB143_2913
; %bb.2911:
	s_mov_b64 s[0:1], -1
	s_mov_b64 s[18:19], 0
	s_cmp_eq_u32 s23, 46
	s_cbranch_scc0 .LBB143_2913
; %bb.2912:
	v_cvt_f32_f64_e32 v2, v[0:1]
	s_movk_i32 s0, 0x7fff
	v_mov_b32_e32 v3, 0x7fc0
	s_mov_b64 s[10:11], -1
	v_bfe_u32 v7, v2, 16, 1
	v_cmp_o_f32_e32 vcc, v2, v2
	v_add3_u32 v2, v2, v7, s0
	v_cndmask_b32_sdwa v2, v3, v2, vcc dst_sel:DWORD dst_unused:UNUSED_PAD src0_sel:DWORD src1_sel:WORD_1
	global_store_dword v[5:6], v2, off
	s_mov_b64 s[0:1], 0
.LBB143_2913:
	s_and_b64 vcc, exec, s[18:19]
	s_cbranch_vccz .LBB143_2918
; %bb.2914:
	s_cmp_eq_u32 s23, 44
	s_mov_b64 s[0:1], -1
	s_cbranch_scc0 .LBB143_2918
; %bb.2915:
	v_cvt_f32_f64_e32 v2, v[0:1]
	s_movk_i32 s0, 0xff
	v_mov_b32_e32 v7, 0xff
	v_bfe_u32 v3, v2, 23, 8
	v_cmp_ne_u32_e32 vcc, s0, v3
	s_and_saveexec_b64 s[10:11], vcc
; %bb.2916:
	s_mov_b32 s0, 0x3fffff
	v_lshrrev_b32_e32 v7, 23, v2
	v_and_b32_e32 v8, 0x400000, v2
	v_and_or_b32 v2, v2, s0, v3
	v_cmp_ne_u32_e32 vcc, 0, v8
	v_cmp_ne_u32_e64 s[0:1], 0, v2
	s_and_b64 s[0:1], vcc, s[0:1]
	v_cndmask_b32_e64 v2, 0, 1, s[0:1]
	v_add_u32_e32 v7, v7, v2
; %bb.2917:
	s_or_b64 exec, exec, s[10:11]
	s_mov_b64 s[0:1], 0
	s_mov_b64 s[10:11], -1
	global_store_byte v[5:6], v7, off
.LBB143_2918:
	s_mov_b64 s[18:19], 0
.LBB143_2919:
	s_and_b64 vcc, exec, s[18:19]
	s_cbranch_vccz .LBB143_2922
; %bb.2920:
	s_cmp_eq_u32 s23, 29
	s_mov_b64 s[0:1], -1
	s_cbranch_scc0 .LBB143_2922
; %bb.2921:
	v_trunc_f64_e32 v[2:3], v[0:1]
	s_movk_i32 s0, 0xffe0
	s_mov_b64 s[10:11], -1
	v_ldexp_f64 v[7:8], v[2:3], s0
	s_mov_b32 s0, 0
	s_mov_b32 s1, 0xc1f00000
	v_floor_f64_e32 v[7:8], v[7:8]
	v_fma_f64 v[2:3], v[7:8], s[0:1], v[2:3]
	v_cvt_u32_f64_e32 v8, v[7:8]
	s_mov_b64 s[0:1], 0
	v_cvt_u32_f64_e32 v7, v[2:3]
	global_store_dwordx2 v[5:6], v[7:8], off
.LBB143_2922:
	s_mov_b64 s[18:19], 0
.LBB143_2923:
	s_and_b64 vcc, exec, s[18:19]
	s_cbranch_vccz .LBB143_2939
; %bb.2924:
	s_cmp_lt_i32 s23, 27
	s_mov_b64 s[10:11], -1
	s_cbranch_scc1 .LBB143_2930
; %bb.2925:
	s_cmp_gt_i32 s23, 27
	s_cbranch_scc0 .LBB143_2927
; %bb.2926:
	v_cvt_u32_f64_e32 v2, v[0:1]
	s_mov_b64 s[10:11], 0
	global_store_dword v[5:6], v2, off
.LBB143_2927:
	s_andn2_b64 vcc, exec, s[10:11]
	s_cbranch_vccnz .LBB143_2929
; %bb.2928:
	v_cvt_u32_f64_e32 v2, v[0:1]
	global_store_short v[5:6], v2, off
.LBB143_2929:
	s_mov_b64 s[10:11], 0
.LBB143_2930:
	s_andn2_b64 vcc, exec, s[10:11]
	s_cbranch_vccnz .LBB143_2938
; %bb.2931:
	v_cvt_f32_f64_e32 v2, v[0:1]
	s_mov_b32 s10, 0x43800000
	v_mov_b32_e32 v7, 0x80
	v_and_b32_e32 v3, 0x7fffffff, v2
	v_cmp_gt_u32_e32 vcc, s10, v3
	s_and_saveexec_b64 s[10:11], vcc
	s_cbranch_execz .LBB143_2937
; %bb.2932:
	s_mov_b32 s18, 0x3bffffff
	v_cmp_lt_u32_e32 vcc, s18, v3
	s_mov_b64 s[18:19], 0
                                        ; implicit-def: $vgpr3
	s_and_saveexec_b64 s[20:21], vcc
	s_xor_b64 s[20:21], exec, s[20:21]
	s_cbranch_execz .LBB143_3158
; %bb.2933:
	v_bfe_u32 v3, v2, 20, 1
	s_mov_b32 s24, 0x487ffff
	v_add3_u32 v3, v2, v3, s24
	s_mov_b64 s[18:19], exec
	v_lshrrev_b32_e32 v3, 20, v3
	s_andn2_saveexec_b64 s[20:21], s[20:21]
	s_cbranch_execnz .LBB143_3159
.LBB143_2934:
	s_or_b64 exec, exec, s[20:21]
	v_mov_b32_e32 v7, 0
	s_and_saveexec_b64 s[20:21], s[18:19]
.LBB143_2935:
	v_lshrrev_b32_e32 v2, 24, v2
	s_movk_i32 s18, 0x80
	v_and_or_b32 v7, v2, s18, v3
.LBB143_2936:
	s_or_b64 exec, exec, s[20:21]
.LBB143_2937:
	s_or_b64 exec, exec, s[10:11]
	global_store_byte v[5:6], v7, off
.LBB143_2938:
	s_mov_b64 s[10:11], -1
.LBB143_2939:
	s_mov_b64 s[18:19], 0
.LBB143_2940:
	s_and_b64 vcc, exec, s[18:19]
	s_cbranch_vccz .LBB143_2980
; %bb.2941:
	s_cmp_gt_i32 s23, 22
	s_mov_b64 s[2:3], -1
	s_cbranch_scc0 .LBB143_2973
; %bb.2942:
	s_cmp_lt_i32 s23, 24
	s_cbranch_scc1 .LBB143_2962
; %bb.2943:
	s_cmp_gt_i32 s23, 24
	s_cbranch_scc0 .LBB143_2951
; %bb.2944:
	v_cvt_f32_f64_e32 v2, v[0:1]
	s_mov_b32 s2, 0x47800000
	v_mov_b32_e32 v7, 0x80
	v_and_b32_e32 v3, 0x7fffffff, v2
	v_cmp_gt_u32_e32 vcc, s2, v3
	s_and_saveexec_b64 s[2:3], vcc
	s_cbranch_execz .LBB143_2950
; %bb.2945:
	s_mov_b32 s10, 0x37ffffff
	v_cmp_lt_u32_e32 vcc, s10, v3
	s_mov_b64 s[10:11], 0
                                        ; implicit-def: $vgpr3
	s_and_saveexec_b64 s[18:19], vcc
	s_xor_b64 s[18:19], exec, s[18:19]
	s_cbranch_execz .LBB143_3161
; %bb.2946:
	v_bfe_u32 v3, v2, 21, 1
	s_mov_b32 s20, 0x88fffff
	v_add3_u32 v3, v2, v3, s20
	s_mov_b64 s[10:11], exec
	v_lshrrev_b32_e32 v3, 21, v3
	s_andn2_saveexec_b64 s[18:19], s[18:19]
	s_cbranch_execnz .LBB143_3162
.LBB143_2947:
	s_or_b64 exec, exec, s[18:19]
	v_mov_b32_e32 v7, 0
	s_and_saveexec_b64 s[18:19], s[10:11]
.LBB143_2948:
	v_lshrrev_b32_e32 v2, 24, v2
	s_movk_i32 s10, 0x80
	v_and_or_b32 v7, v2, s10, v3
.LBB143_2949:
	s_or_b64 exec, exec, s[18:19]
.LBB143_2950:
	s_or_b64 exec, exec, s[2:3]
	s_mov_b64 s[2:3], 0
	global_store_byte v[5:6], v7, off
.LBB143_2951:
	s_and_b64 vcc, exec, s[2:3]
	s_cbranch_vccz .LBB143_2961
; %bb.2952:
	v_cvt_f32_f64_e32 v2, v[0:1]
	s_mov_b32 s2, 0x43f00000
                                        ; implicit-def: $vgpr3
	v_and_b32_e32 v7, 0x7fffffff, v2
	v_cmp_gt_u32_e32 vcc, s2, v7
	s_and_saveexec_b64 s[2:3], vcc
	s_xor_b64 s[2:3], exec, s[2:3]
	s_cbranch_execz .LBB143_2958
; %bb.2953:
	s_mov_b32 s10, 0x3c7fffff
	v_cmp_lt_u32_e32 vcc, s10, v7
                                        ; implicit-def: $vgpr3
	s_and_saveexec_b64 s[10:11], vcc
	s_xor_b64 s[10:11], exec, s[10:11]
; %bb.2954:
	v_bfe_u32 v3, v2, 20, 1
	s_mov_b32 s18, 0x407ffff
	v_add3_u32 v3, v2, v3, s18
	v_lshrrev_b32_e32 v7, 20, v3
	v_and_b32_e32 v3, 0xff00000, v3
	s_mov_b32 s18, 0x7f00000
	v_mov_b32_e32 v8, 0x7e
	v_cmp_ne_u32_e32 vcc, s18, v3
	v_cndmask_b32_e32 v3, v8, v7, vcc
; %bb.2955:
	s_andn2_saveexec_b64 s[10:11], s[10:11]
; %bb.2956:
	s_mov_b32 s18, 0x46800000
	v_add_f32_e64 v3, |v2|, s18
; %bb.2957:
	s_or_b64 exec, exec, s[10:11]
                                        ; implicit-def: $vgpr7
.LBB143_2958:
	s_andn2_saveexec_b64 s[2:3], s[2:3]
; %bb.2959:
	s_mov_b32 s10, 0x7f800000
	v_mov_b32_e32 v3, 0x7e
	v_mov_b32_e32 v8, 0x7f
	v_cmp_lt_u32_e32 vcc, s10, v7
	v_cndmask_b32_e32 v3, v3, v8, vcc
; %bb.2960:
	s_or_b64 exec, exec, s[2:3]
	v_lshrrev_b32_e32 v2, 24, v2
	s_movk_i32 s2, 0x80
	v_and_or_b32 v2, v2, s2, v3
	global_store_byte v[5:6], v2, off
.LBB143_2961:
	s_mov_b64 s[2:3], 0
.LBB143_2962:
	s_andn2_b64 vcc, exec, s[2:3]
	s_cbranch_vccnz .LBB143_2972
; %bb.2963:
	v_cvt_f32_f64_e32 v2, v[0:1]
	s_mov_b32 s2, 0x47800000
                                        ; implicit-def: $vgpr3
	v_and_b32_e32 v7, 0x7fffffff, v2
	v_cmp_gt_u32_e32 vcc, s2, v7
	s_and_saveexec_b64 s[2:3], vcc
	s_xor_b64 s[2:3], exec, s[2:3]
	s_cbranch_execz .LBB143_2969
; %bb.2964:
	s_mov_b32 s10, 0x387fffff
	v_cmp_lt_u32_e32 vcc, s10, v7
                                        ; implicit-def: $vgpr3
	s_and_saveexec_b64 s[10:11], vcc
	s_xor_b64 s[10:11], exec, s[10:11]
; %bb.2965:
	v_bfe_u32 v3, v2, 21, 1
	s_mov_b32 s18, 0x80fffff
	v_add3_u32 v3, v2, v3, s18
	v_lshrrev_b32_e32 v3, 21, v3
; %bb.2966:
	s_andn2_saveexec_b64 s[10:11], s[10:11]
; %bb.2967:
	s_mov_b32 s18, 0x43000000
	v_add_f32_e64 v3, |v2|, s18
; %bb.2968:
	s_or_b64 exec, exec, s[10:11]
                                        ; implicit-def: $vgpr7
.LBB143_2969:
	s_andn2_saveexec_b64 s[2:3], s[2:3]
; %bb.2970:
	s_mov_b32 s10, 0x7f800000
	v_mov_b32_e32 v3, 0x7c
	v_mov_b32_e32 v8, 0x7f
	v_cmp_lt_u32_e32 vcc, s10, v7
	v_cndmask_b32_e32 v3, v3, v8, vcc
; %bb.2971:
	s_or_b64 exec, exec, s[2:3]
	v_lshrrev_b32_e32 v2, 24, v2
	s_movk_i32 s2, 0x80
	v_and_or_b32 v2, v2, s2, v3
	global_store_byte v[5:6], v2, off
.LBB143_2972:
	s_mov_b64 s[2:3], 0
	s_mov_b64 s[10:11], -1
.LBB143_2973:
	s_andn2_b64 vcc, exec, s[2:3]
	s_mov_b64 s[2:3], 0
	s_cbranch_vccnz .LBB143_2980
; %bb.2974:
	s_cmp_gt_i32 s23, 14
	s_mov_b64 s[18:19], -1
	s_cbranch_scc0 .LBB143_2978
; %bb.2975:
	s_cmp_eq_u32 s23, 15
	s_mov_b64 s[0:1], -1
	s_cbranch_scc0 .LBB143_2977
; %bb.2976:
	v_cvt_f32_f64_e32 v2, v[0:1]
	s_movk_i32 s0, 0x7fff
	v_mov_b32_e32 v3, 0x7fc0
	s_mov_b64 s[10:11], -1
	v_bfe_u32 v7, v2, 16, 1
	v_cmp_o_f32_e32 vcc, v2, v2
	v_add3_u32 v2, v2, v7, s0
	v_cndmask_b32_sdwa v2, v3, v2, vcc dst_sel:DWORD dst_unused:UNUSED_PAD src0_sel:DWORD src1_sel:WORD_1
	global_store_short v[5:6], v2, off
	s_mov_b64 s[0:1], 0
.LBB143_2977:
	s_mov_b64 s[18:19], 0
.LBB143_2978:
	s_and_b64 vcc, exec, s[18:19]
	s_cbranch_vccz .LBB143_2980
; %bb.2979:
	s_cmp_lg_u32 s23, 11
	s_mov_b64 s[2:3], -1
	s_cselect_b64 s[0:1], -1, 0
.LBB143_2980:
	s_and_b64 vcc, exec, s[0:1]
	s_cbranch_vccnz .LBB143_3160
; %bb.2981:
	s_andn2_b64 vcc, exec, s[2:3]
	s_cbranch_vccnz .LBB143_2983
.LBB143_2982:
	v_cmp_neq_f64_e32 vcc, 0, v[0:1]
	s_mov_b64 s[10:11], -1
	v_cndmask_b32_e64 v2, 0, 1, vcc
	global_store_byte v[5:6], v2, off
.LBB143_2983:
	s_mov_b64 s[0:1], 0
	s_branch .LBB143_2985
.LBB143_2984:
	s_mov_b64 s[0:1], -1
	s_mov_b64 s[10:11], 0
.LBB143_2985:
	s_and_b64 vcc, exec, s[0:1]
	s_cbranch_vccz .LBB143_3024
; %bb.2986:
	s_cmp_lt_i32 s23, 5
	s_mov_b64 s[0:1], -1
	s_cbranch_scc1 .LBB143_3007
; %bb.2987:
	s_cmp_lt_i32 s23, 8
	s_cbranch_scc1 .LBB143_2997
; %bb.2988:
	s_cmp_lt_i32 s23, 9
	s_cbranch_scc1 .LBB143_2994
; %bb.2989:
	s_cmp_gt_i32 s23, 9
	s_cbranch_scc0 .LBB143_2991
; %bb.2990:
	v_mov_b32_e32 v2, 0
	v_mov_b32_e32 v3, v2
	global_store_dwordx4 v[5:6], v[0:3], off
	s_mov_b64 s[0:1], 0
.LBB143_2991:
	s_andn2_b64 vcc, exec, s[0:1]
	s_cbranch_vccnz .LBB143_2993
; %bb.2992:
	v_cvt_f32_f64_e32 v2, v[0:1]
	v_mov_b32_e32 v3, 0
	global_store_dwordx2 v[5:6], v[2:3], off
.LBB143_2993:
	s_mov_b64 s[0:1], 0
.LBB143_2994:
	s_andn2_b64 vcc, exec, s[0:1]
	s_cbranch_vccnz .LBB143_2996
; %bb.2995:
	s_movk_i32 s0, 0x1ff
	v_and_or_b32 v2, v1, s0, v0
	v_cmp_ne_u32_e32 vcc, 0, v2
	v_cndmask_b32_e64 v2, 0, 1, vcc
	v_lshrrev_b32_e32 v3, 8, v1
	s_movk_i32 s0, 0xffe
	v_bfe_u32 v7, v1, 20, 11
	v_and_or_b32 v2, v3, s0, v2
	v_sub_u32_e32 v8, 0x3f1, v7
	v_or_b32_e32 v3, 0x1000, v2
	v_med3_i32 v8, v8, 0, 13
	v_lshrrev_b32_e32 v9, v8, v3
	v_lshlrev_b32_e32 v8, v8, v9
	v_cmp_ne_u32_e32 vcc, v8, v3
	v_cndmask_b32_e64 v3, 0, 1, vcc
	v_add_u32_e32 v7, 0xfffffc10, v7
	v_or_b32_e32 v3, v9, v3
	v_lshl_or_b32 v8, v7, 12, v2
	v_cmp_gt_i32_e32 vcc, 1, v7
	v_cndmask_b32_e32 v3, v8, v3, vcc
	v_and_b32_e32 v8, 7, v3
	v_cmp_lt_i32_e32 vcc, 5, v8
	v_cndmask_b32_e64 v9, 0, 1, vcc
	v_cmp_eq_u32_e32 vcc, 3, v8
	v_cndmask_b32_e64 v8, 0, 1, vcc
	v_or_b32_e32 v8, v8, v9
	v_lshrrev_b32_e32 v3, 2, v3
	v_add_u32_e32 v3, v3, v8
	v_mov_b32_e32 v8, 0x7c00
	v_cmp_gt_i32_e32 vcc, 31, v7
	v_cndmask_b32_e32 v3, v8, v3, vcc
	v_mov_b32_e32 v9, 0x7e00
	v_cmp_ne_u32_e32 vcc, 0, v2
	s_movk_i32 s0, 0x40f
	v_cndmask_b32_e32 v2, v8, v9, vcc
	v_cmp_eq_u32_e32 vcc, s0, v7
	v_cndmask_b32_e32 v2, v3, v2, vcc
	v_lshrrev_b32_e32 v3, 16, v1
	s_mov_b32 s0, 0x8000
	v_and_or_b32 v2, v3, s0, v2
	v_and_b32_e32 v2, 0xffff, v2
	global_store_dword v[5:6], v2, off
.LBB143_2996:
	s_mov_b64 s[0:1], 0
.LBB143_2997:
	s_andn2_b64 vcc, exec, s[0:1]
	s_cbranch_vccnz .LBB143_3006
; %bb.2998:
	s_cmp_lt_i32 s23, 6
	s_mov_b64 s[0:1], -1
	s_cbranch_scc1 .LBB143_3004
; %bb.2999:
	s_cmp_gt_i32 s23, 6
	s_cbranch_scc0 .LBB143_3001
; %bb.3000:
	global_store_dwordx2 v[5:6], v[0:1], off
	s_mov_b64 s[0:1], 0
.LBB143_3001:
	s_andn2_b64 vcc, exec, s[0:1]
	s_cbranch_vccnz .LBB143_3003
; %bb.3002:
	v_cvt_f32_f64_e32 v2, v[0:1]
	global_store_dword v[5:6], v2, off
.LBB143_3003:
	s_mov_b64 s[0:1], 0
.LBB143_3004:
	s_andn2_b64 vcc, exec, s[0:1]
	s_cbranch_vccnz .LBB143_3006
; %bb.3005:
	s_movk_i32 s0, 0x1ff
	v_and_or_b32 v2, v1, s0, v0
	v_cmp_ne_u32_e32 vcc, 0, v2
	v_cndmask_b32_e64 v2, 0, 1, vcc
	v_lshrrev_b32_e32 v3, 8, v1
	s_movk_i32 s0, 0xffe
	v_bfe_u32 v7, v1, 20, 11
	v_and_or_b32 v2, v3, s0, v2
	v_sub_u32_e32 v8, 0x3f1, v7
	v_or_b32_e32 v3, 0x1000, v2
	v_med3_i32 v8, v8, 0, 13
	v_lshrrev_b32_e32 v9, v8, v3
	v_lshlrev_b32_e32 v8, v8, v9
	v_cmp_ne_u32_e32 vcc, v8, v3
	v_cndmask_b32_e64 v3, 0, 1, vcc
	v_add_u32_e32 v7, 0xfffffc10, v7
	v_or_b32_e32 v3, v9, v3
	v_lshl_or_b32 v8, v7, 12, v2
	v_cmp_gt_i32_e32 vcc, 1, v7
	v_cndmask_b32_e32 v3, v8, v3, vcc
	v_and_b32_e32 v8, 7, v3
	v_cmp_lt_i32_e32 vcc, 5, v8
	v_cndmask_b32_e64 v9, 0, 1, vcc
	v_cmp_eq_u32_e32 vcc, 3, v8
	v_cndmask_b32_e64 v8, 0, 1, vcc
	v_or_b32_e32 v8, v8, v9
	v_lshrrev_b32_e32 v3, 2, v3
	v_add_u32_e32 v3, v3, v8
	v_mov_b32_e32 v8, 0x7c00
	v_cmp_gt_i32_e32 vcc, 31, v7
	v_cndmask_b32_e32 v3, v8, v3, vcc
	v_mov_b32_e32 v9, 0x7e00
	v_cmp_ne_u32_e32 vcc, 0, v2
	s_movk_i32 s0, 0x40f
	v_cndmask_b32_e32 v2, v8, v9, vcc
	v_cmp_eq_u32_e32 vcc, s0, v7
	v_cndmask_b32_e32 v2, v3, v2, vcc
	v_lshrrev_b32_e32 v3, 16, v1
	s_mov_b32 s0, 0x8000
	v_and_or_b32 v2, v3, s0, v2
	global_store_short v[5:6], v2, off
.LBB143_3006:
	s_mov_b64 s[0:1], 0
.LBB143_3007:
	s_andn2_b64 vcc, exec, s[0:1]
	s_cbranch_vccnz .LBB143_3023
; %bb.3008:
	s_cmp_lt_i32 s23, 2
	s_mov_b64 s[0:1], -1
	s_cbranch_scc1 .LBB143_3018
; %bb.3009:
	s_cmp_lt_i32 s23, 3
	s_cbranch_scc1 .LBB143_3015
; %bb.3010:
	s_cmp_gt_i32 s23, 3
	s_cbranch_scc0 .LBB143_3012
; %bb.3011:
	v_trunc_f64_e32 v[2:3], v[0:1]
	s_movk_i32 s0, 0xffe0
	v_ldexp_f64 v[7:8], v[2:3], s0
	s_mov_b32 s0, 0
	s_mov_b32 s1, 0xc1f00000
	v_floor_f64_e32 v[7:8], v[7:8]
	v_fma_f64 v[2:3], v[7:8], s[0:1], v[2:3]
	v_cvt_i32_f64_e32 v8, v[7:8]
	s_mov_b64 s[0:1], 0
	v_cvt_u32_f64_e32 v7, v[2:3]
	global_store_dwordx2 v[5:6], v[7:8], off
.LBB143_3012:
	s_andn2_b64 vcc, exec, s[0:1]
	s_cbranch_vccnz .LBB143_3014
; %bb.3013:
	v_cvt_i32_f64_e32 v2, v[0:1]
	global_store_dword v[5:6], v2, off
.LBB143_3014:
	s_mov_b64 s[0:1], 0
.LBB143_3015:
	s_andn2_b64 vcc, exec, s[0:1]
	s_cbranch_vccnz .LBB143_3017
; %bb.3016:
	v_cvt_i32_f64_e32 v2, v[0:1]
	global_store_short v[5:6], v2, off
.LBB143_3017:
	s_mov_b64 s[0:1], 0
.LBB143_3018:
	s_andn2_b64 vcc, exec, s[0:1]
	s_cbranch_vccnz .LBB143_3023
; %bb.3019:
	s_cmp_gt_i32 s23, 0
	s_mov_b64 s[0:1], -1
	s_cbranch_scc0 .LBB143_3021
; %bb.3020:
	v_cvt_i32_f64_e32 v2, v[0:1]
	s_mov_b64 s[0:1], 0
	global_store_byte v[5:6], v2, off
.LBB143_3021:
	s_andn2_b64 vcc, exec, s[0:1]
	s_cbranch_vccnz .LBB143_3023
; %bb.3022:
	v_trunc_f64_e32 v[0:1], v[0:1]
	s_movk_i32 s0, 0xffe0
	v_ldexp_f64 v[2:3], v[0:1], s0
	s_mov_b32 s0, 0
	s_mov_b32 s1, 0xc1f00000
	v_floor_f64_e32 v[2:3], v[2:3]
	v_fma_f64 v[0:1], v[2:3], s[0:1], v[0:1]
	v_cvt_u32_f64_e32 v0, v[0:1]
	global_store_byte v[5:6], v0, off
.LBB143_3023:
	s_mov_b64 s[10:11], -1
.LBB143_3024:
	s_andn2_b64 vcc, exec, s[10:11]
	s_cbranch_vccnz .LBB143_3101
; %bb.3025:
	v_cmp_nge_f64_e32 vcc, s[4:5], v[19:20]
	v_mov_b32_e32 v0, s7
	v_mov_b32_e32 v2, s6
	;; [unrolled: 1-line block ×3, first 2 shown]
	s_cmp_lt_i32 s23, 11
	v_cndmask_b32_e32 v1, v0, v24, vcc
	v_cndmask_b32_e32 v0, v2, v23, vcc
	v_add_co_u32_e32 v4, vcc, s8, v4
	v_addc_co_u32_e32 v5, vcc, 0, v3, vcc
	s_cbranch_scc1 .LBB143_3146
; %bb.3026:
	s_mov_b64 s[4:5], -1
	s_mov_b64 s[2:3], 0
	s_cmp_gt_i32 s23, 25
	s_mov_b64 s[0:1], 0
	s_cbranch_scc0 .LBB143_3059
; %bb.3027:
	s_cmp_gt_i32 s23, 28
	s_cbranch_scc0 .LBB143_3043
; %bb.3028:
	s_cmp_gt_i32 s23, 43
	;; [unrolled: 3-line block ×3, first 2 shown]
	s_cbranch_scc0 .LBB143_3033
; %bb.3030:
	s_cmp_eq_u32 s23, 46
	s_mov_b64 s[0:1], -1
	s_cbranch_scc0 .LBB143_3032
; %bb.3031:
	v_cvt_f32_f64_e32 v2, v[0:1]
	s_movk_i32 s0, 0x7fff
	v_mov_b32_e32 v3, 0x7fc0
	v_bfe_u32 v6, v2, 16, 1
	v_cmp_o_f32_e32 vcc, v2, v2
	v_add3_u32 v2, v2, v6, s0
	v_cndmask_b32_sdwa v2, v3, v2, vcc dst_sel:DWORD dst_unused:UNUSED_PAD src0_sel:DWORD src1_sel:WORD_1
	global_store_dword v[4:5], v2, off
	s_mov_b64 s[0:1], 0
.LBB143_3032:
	s_mov_b64 s[4:5], 0
.LBB143_3033:
	s_and_b64 vcc, exec, s[4:5]
	s_cbranch_vccz .LBB143_3038
; %bb.3034:
	s_cmp_eq_u32 s23, 44
	s_mov_b64 s[0:1], -1
	s_cbranch_scc0 .LBB143_3038
; %bb.3035:
	v_cvt_f32_f64_e32 v2, v[0:1]
	s_movk_i32 s0, 0xff
	v_mov_b32_e32 v6, 0xff
	v_bfe_u32 v3, v2, 23, 8
	v_cmp_ne_u32_e32 vcc, s0, v3
	s_and_saveexec_b64 s[4:5], vcc
; %bb.3036:
	s_mov_b32 s0, 0x3fffff
	v_lshrrev_b32_e32 v6, 23, v2
	v_and_b32_e32 v7, 0x400000, v2
	v_and_or_b32 v2, v2, s0, v3
	v_cmp_ne_u32_e32 vcc, 0, v7
	v_cmp_ne_u32_e64 s[0:1], 0, v2
	s_and_b64 s[0:1], vcc, s[0:1]
	v_cndmask_b32_e64 v2, 0, 1, s[0:1]
	v_add_u32_e32 v6, v6, v2
; %bb.3037:
	s_or_b64 exec, exec, s[4:5]
	s_mov_b64 s[0:1], 0
	global_store_byte v[4:5], v6, off
.LBB143_3038:
	s_mov_b64 s[4:5], 0
.LBB143_3039:
	s_and_b64 vcc, exec, s[4:5]
	s_cbranch_vccz .LBB143_3042
; %bb.3040:
	s_cmp_eq_u32 s23, 29
	s_mov_b64 s[0:1], -1
	s_cbranch_scc0 .LBB143_3042
; %bb.3041:
	v_trunc_f64_e32 v[2:3], v[0:1]
	s_movk_i32 s0, 0xffe0
	v_ldexp_f64 v[6:7], v[2:3], s0
	s_mov_b32 s0, 0
	s_mov_b32 s1, 0xc1f00000
	v_floor_f64_e32 v[6:7], v[6:7]
	v_fma_f64 v[2:3], v[6:7], s[0:1], v[2:3]
	v_cvt_u32_f64_e32 v7, v[6:7]
	s_mov_b64 s[0:1], 0
	v_cvt_u32_f64_e32 v6, v[2:3]
	global_store_dwordx2 v[4:5], v[6:7], off
.LBB143_3042:
	s_mov_b64 s[4:5], 0
.LBB143_3043:
	s_and_b64 vcc, exec, s[4:5]
	s_cbranch_vccz .LBB143_3058
; %bb.3044:
	s_cmp_lt_i32 s23, 27
	s_mov_b64 s[4:5], -1
	s_cbranch_scc1 .LBB143_3050
; %bb.3045:
	v_cvt_u32_f64_e32 v2, v[0:1]
	s_cmp_gt_i32 s23, 27
	s_cbranch_scc0 .LBB143_3047
; %bb.3046:
	global_store_dword v[4:5], v2, off
	s_mov_b64 s[4:5], 0
.LBB143_3047:
	s_andn2_b64 vcc, exec, s[4:5]
	s_cbranch_vccnz .LBB143_3049
; %bb.3048:
	global_store_short v[4:5], v2, off
.LBB143_3049:
	s_mov_b64 s[4:5], 0
.LBB143_3050:
	s_andn2_b64 vcc, exec, s[4:5]
	s_cbranch_vccnz .LBB143_3058
; %bb.3051:
	v_cvt_f32_f64_e32 v2, v[0:1]
	s_mov_b32 s4, 0x43800000
	v_mov_b32_e32 v6, 0x80
	v_and_b32_e32 v3, 0x7fffffff, v2
	v_cmp_gt_u32_e32 vcc, s4, v3
	s_and_saveexec_b64 s[4:5], vcc
	s_cbranch_execz .LBB143_3057
; %bb.3052:
	s_mov_b32 s6, 0x3bffffff
	v_cmp_lt_u32_e32 vcc, s6, v3
	s_mov_b64 s[6:7], 0
                                        ; implicit-def: $vgpr3
	s_and_saveexec_b64 s[8:9], vcc
	s_xor_b64 s[8:9], exec, s[8:9]
	s_cbranch_execz .LBB143_3163
; %bb.3053:
	v_bfe_u32 v3, v2, 20, 1
	s_mov_b32 s10, 0x487ffff
	v_add3_u32 v3, v2, v3, s10
	s_mov_b64 s[6:7], exec
	v_lshrrev_b32_e32 v3, 20, v3
	s_andn2_saveexec_b64 s[8:9], s[8:9]
	s_cbranch_execnz .LBB143_3164
.LBB143_3054:
	s_or_b64 exec, exec, s[8:9]
	v_mov_b32_e32 v6, 0
	s_and_saveexec_b64 s[8:9], s[6:7]
.LBB143_3055:
	v_lshrrev_b32_e32 v2, 24, v2
	s_movk_i32 s6, 0x80
	v_and_or_b32 v6, v2, s6, v3
.LBB143_3056:
	s_or_b64 exec, exec, s[8:9]
.LBB143_3057:
	s_or_b64 exec, exec, s[4:5]
	global_store_byte v[4:5], v6, off
.LBB143_3058:
	s_mov_b64 s[4:5], 0
.LBB143_3059:
	s_and_b64 vcc, exec, s[4:5]
	s_cbranch_vccz .LBB143_3099
; %bb.3060:
	s_cmp_gt_i32 s23, 22
	s_mov_b64 s[2:3], -1
	s_cbranch_scc0 .LBB143_3092
; %bb.3061:
	s_cmp_lt_i32 s23, 24
	s_cbranch_scc1 .LBB143_3081
; %bb.3062:
	s_cmp_gt_i32 s23, 24
	s_cbranch_scc0 .LBB143_3070
; %bb.3063:
	v_cvt_f32_f64_e32 v2, v[0:1]
	s_mov_b32 s2, 0x47800000
	v_mov_b32_e32 v6, 0x80
	v_and_b32_e32 v3, 0x7fffffff, v2
	v_cmp_gt_u32_e32 vcc, s2, v3
	s_and_saveexec_b64 s[2:3], vcc
	s_cbranch_execz .LBB143_3069
; %bb.3064:
	s_mov_b32 s4, 0x37ffffff
	v_cmp_lt_u32_e32 vcc, s4, v3
	s_mov_b64 s[4:5], 0
                                        ; implicit-def: $vgpr3
	s_and_saveexec_b64 s[6:7], vcc
	s_xor_b64 s[6:7], exec, s[6:7]
	s_cbranch_execz .LBB143_3166
; %bb.3065:
	v_bfe_u32 v3, v2, 21, 1
	s_mov_b32 s8, 0x88fffff
	v_add3_u32 v3, v2, v3, s8
	s_mov_b64 s[4:5], exec
	v_lshrrev_b32_e32 v3, 21, v3
	s_andn2_saveexec_b64 s[6:7], s[6:7]
	s_cbranch_execnz .LBB143_3167
.LBB143_3066:
	s_or_b64 exec, exec, s[6:7]
	v_mov_b32_e32 v6, 0
	s_and_saveexec_b64 s[6:7], s[4:5]
.LBB143_3067:
	v_lshrrev_b32_e32 v2, 24, v2
	s_movk_i32 s4, 0x80
	v_and_or_b32 v6, v2, s4, v3
.LBB143_3068:
	s_or_b64 exec, exec, s[6:7]
.LBB143_3069:
	s_or_b64 exec, exec, s[2:3]
	s_mov_b64 s[2:3], 0
	global_store_byte v[4:5], v6, off
.LBB143_3070:
	s_and_b64 vcc, exec, s[2:3]
	s_cbranch_vccz .LBB143_3080
; %bb.3071:
	v_cvt_f32_f64_e32 v2, v[0:1]
	s_mov_b32 s2, 0x43f00000
                                        ; implicit-def: $vgpr3
	v_and_b32_e32 v6, 0x7fffffff, v2
	v_cmp_gt_u32_e32 vcc, s2, v6
	s_and_saveexec_b64 s[2:3], vcc
	s_xor_b64 s[2:3], exec, s[2:3]
	s_cbranch_execz .LBB143_3077
; %bb.3072:
	s_mov_b32 s4, 0x3c7fffff
	v_cmp_lt_u32_e32 vcc, s4, v6
                                        ; implicit-def: $vgpr3
	s_and_saveexec_b64 s[4:5], vcc
	s_xor_b64 s[4:5], exec, s[4:5]
; %bb.3073:
	v_bfe_u32 v3, v2, 20, 1
	s_mov_b32 s6, 0x407ffff
	v_add3_u32 v3, v2, v3, s6
	v_lshrrev_b32_e32 v6, 20, v3
	v_and_b32_e32 v3, 0xff00000, v3
	s_mov_b32 s6, 0x7f00000
	v_mov_b32_e32 v7, 0x7e
	v_cmp_ne_u32_e32 vcc, s6, v3
	v_cndmask_b32_e32 v3, v7, v6, vcc
; %bb.3074:
	s_andn2_saveexec_b64 s[4:5], s[4:5]
; %bb.3075:
	s_mov_b32 s6, 0x46800000
	v_add_f32_e64 v3, |v2|, s6
; %bb.3076:
	s_or_b64 exec, exec, s[4:5]
                                        ; implicit-def: $vgpr6
.LBB143_3077:
	s_andn2_saveexec_b64 s[2:3], s[2:3]
; %bb.3078:
	s_mov_b32 s4, 0x7f800000
	v_mov_b32_e32 v3, 0x7e
	v_mov_b32_e32 v7, 0x7f
	v_cmp_lt_u32_e32 vcc, s4, v6
	v_cndmask_b32_e32 v3, v3, v7, vcc
; %bb.3079:
	s_or_b64 exec, exec, s[2:3]
	v_lshrrev_b32_e32 v2, 24, v2
	s_movk_i32 s2, 0x80
	v_and_or_b32 v2, v2, s2, v3
	global_store_byte v[4:5], v2, off
.LBB143_3080:
	s_mov_b64 s[2:3], 0
.LBB143_3081:
	s_andn2_b64 vcc, exec, s[2:3]
	s_cbranch_vccnz .LBB143_3091
; %bb.3082:
	v_cvt_f32_f64_e32 v2, v[0:1]
	s_mov_b32 s2, 0x47800000
                                        ; implicit-def: $vgpr3
	v_and_b32_e32 v6, 0x7fffffff, v2
	v_cmp_gt_u32_e32 vcc, s2, v6
	s_and_saveexec_b64 s[2:3], vcc
	s_xor_b64 s[2:3], exec, s[2:3]
	s_cbranch_execz .LBB143_3088
; %bb.3083:
	s_mov_b32 s4, 0x387fffff
	v_cmp_lt_u32_e32 vcc, s4, v6
                                        ; implicit-def: $vgpr3
	s_and_saveexec_b64 s[4:5], vcc
	s_xor_b64 s[4:5], exec, s[4:5]
; %bb.3084:
	v_bfe_u32 v3, v2, 21, 1
	s_mov_b32 s6, 0x80fffff
	v_add3_u32 v3, v2, v3, s6
	v_lshrrev_b32_e32 v3, 21, v3
; %bb.3085:
	s_andn2_saveexec_b64 s[4:5], s[4:5]
; %bb.3086:
	s_mov_b32 s6, 0x43000000
	v_add_f32_e64 v3, |v2|, s6
; %bb.3087:
	s_or_b64 exec, exec, s[4:5]
                                        ; implicit-def: $vgpr6
.LBB143_3088:
	s_andn2_saveexec_b64 s[2:3], s[2:3]
; %bb.3089:
	s_mov_b32 s4, 0x7f800000
	v_mov_b32_e32 v3, 0x7c
	v_mov_b32_e32 v7, 0x7f
	v_cmp_lt_u32_e32 vcc, s4, v6
	v_cndmask_b32_e32 v3, v3, v7, vcc
; %bb.3090:
	s_or_b64 exec, exec, s[2:3]
	v_lshrrev_b32_e32 v2, 24, v2
	s_movk_i32 s2, 0x80
	v_and_or_b32 v2, v2, s2, v3
	global_store_byte v[4:5], v2, off
.LBB143_3091:
	s_mov_b64 s[2:3], 0
.LBB143_3092:
	s_andn2_b64 vcc, exec, s[2:3]
	s_mov_b64 s[2:3], 0
	s_cbranch_vccnz .LBB143_3099
; %bb.3093:
	s_cmp_gt_i32 s23, 14
	s_mov_b64 s[4:5], -1
	s_cbranch_scc0 .LBB143_3097
; %bb.3094:
	s_cmp_eq_u32 s23, 15
	s_mov_b64 s[0:1], -1
	s_cbranch_scc0 .LBB143_3096
; %bb.3095:
	v_cvt_f32_f64_e32 v2, v[0:1]
	s_movk_i32 s0, 0x7fff
	v_mov_b32_e32 v3, 0x7fc0
	v_bfe_u32 v6, v2, 16, 1
	v_cmp_o_f32_e32 vcc, v2, v2
	v_add3_u32 v2, v2, v6, s0
	v_cndmask_b32_sdwa v2, v3, v2, vcc dst_sel:DWORD dst_unused:UNUSED_PAD src0_sel:DWORD src1_sel:WORD_1
	global_store_short v[4:5], v2, off
	s_mov_b64 s[0:1], 0
.LBB143_3096:
	s_mov_b64 s[4:5], 0
.LBB143_3097:
	s_and_b64 vcc, exec, s[4:5]
	s_cbranch_vccz .LBB143_3099
; %bb.3098:
	s_cmp_lg_u32 s23, 11
	s_mov_b64 s[2:3], -1
	s_cselect_b64 s[0:1], -1, 0
.LBB143_3099:
	s_and_b64 vcc, exec, s[0:1]
	s_cbranch_vccnz .LBB143_3165
.LBB143_3100:
	s_mov_b64 s[0:1], 0
	s_branch .LBB143_3102
.LBB143_3101:
	s_mov_b64 s[0:1], 0
	s_mov_b64 s[2:3], 0
                                        ; implicit-def: $vgpr4_vgpr5
                                        ; implicit-def: $sgpr22
                                        ; implicit-def: $vgpr0_vgpr1
.LBB143_3102:
	s_and_b64 s[6:7], s[2:3], exec
	s_andn2_b64 s[2:3], s[12:13], exec
	s_and_b64 s[4:5], s[16:17], exec
	s_and_b64 s[0:1], s[0:1], exec
	s_or_b64 s[12:13], s[2:3], s[4:5]
.LBB143_3103:
	s_or_b64 exec, exec, s[14:15]
	s_and_saveexec_b64 s[2:3], s[12:13]
	s_cbranch_execz .LBB143_3106
; %bb.3104:
	; divergent unreachable
	s_or_b64 exec, exec, s[2:3]
	s_and_saveexec_b64 s[2:3], s[6:7]
	s_xor_b64 s[2:3], exec, s[2:3]
	s_cbranch_execnz .LBB143_3107
.LBB143_3105:
	s_or_b64 exec, exec, s[2:3]
	s_and_saveexec_b64 s[2:3], s[0:1]
	s_cbranch_execnz .LBB143_3108
	s_branch .LBB143_3145
.LBB143_3106:
	s_or_b64 exec, exec, s[2:3]
	s_and_saveexec_b64 s[2:3], s[6:7]
	s_xor_b64 s[2:3], exec, s[2:3]
	s_cbranch_execz .LBB143_3105
.LBB143_3107:
	s_waitcnt vmcnt(0)
	v_cmp_neq_f64_e32 vcc, 0, v[0:1]
	v_cndmask_b32_e64 v2, 0, 1, vcc
	global_store_byte v[4:5], v2, off
	s_or_b64 exec, exec, s[2:3]
	s_and_saveexec_b64 s[2:3], s[0:1]
	s_cbranch_execz .LBB143_3145
.LBB143_3108:
	s_sext_i32_i16 s2, s22
	s_cmp_lt_i32 s2, 5
	s_mov_b64 s[0:1], -1
	s_cbranch_scc1 .LBB143_3129
; %bb.3109:
	s_cmp_lt_i32 s2, 8
	s_cbranch_scc1 .LBB143_3119
; %bb.3110:
	s_cmp_lt_i32 s2, 9
	s_cbranch_scc1 .LBB143_3116
; %bb.3111:
	s_cmp_gt_i32 s2, 9
	s_cbranch_scc0 .LBB143_3113
; %bb.3112:
	v_mov_b32_e32 v2, 0
	s_waitcnt vmcnt(0)
	v_mov_b32_e32 v3, v2
	global_store_dwordx4 v[4:5], v[0:3], off
	s_mov_b64 s[0:1], 0
.LBB143_3113:
	s_andn2_b64 vcc, exec, s[0:1]
	s_cbranch_vccnz .LBB143_3115
; %bb.3114:
	s_waitcnt vmcnt(0)
	v_cvt_f32_f64_e32 v2, v[0:1]
	v_mov_b32_e32 v3, 0
	global_store_dwordx2 v[4:5], v[2:3], off
.LBB143_3115:
	s_mov_b64 s[0:1], 0
.LBB143_3116:
	s_andn2_b64 vcc, exec, s[0:1]
	s_cbranch_vccnz .LBB143_3118
; %bb.3117:
	s_movk_i32 s0, 0x1ff
	s_waitcnt vmcnt(0)
	v_and_or_b32 v2, v1, s0, v0
	v_cmp_ne_u32_e32 vcc, 0, v2
	v_cndmask_b32_e64 v2, 0, 1, vcc
	v_lshrrev_b32_e32 v3, 8, v1
	s_movk_i32 s0, 0xffe
	v_bfe_u32 v6, v1, 20, 11
	v_and_or_b32 v2, v3, s0, v2
	v_sub_u32_e32 v7, 0x3f1, v6
	v_or_b32_e32 v3, 0x1000, v2
	v_med3_i32 v7, v7, 0, 13
	v_lshrrev_b32_e32 v8, v7, v3
	v_lshlrev_b32_e32 v7, v7, v8
	v_cmp_ne_u32_e32 vcc, v7, v3
	v_cndmask_b32_e64 v3, 0, 1, vcc
	v_add_u32_e32 v6, 0xfffffc10, v6
	v_or_b32_e32 v3, v8, v3
	v_lshl_or_b32 v7, v6, 12, v2
	v_cmp_gt_i32_e32 vcc, 1, v6
	v_cndmask_b32_e32 v3, v7, v3, vcc
	v_and_b32_e32 v7, 7, v3
	v_cmp_lt_i32_e32 vcc, 5, v7
	v_cndmask_b32_e64 v8, 0, 1, vcc
	v_cmp_eq_u32_e32 vcc, 3, v7
	v_cndmask_b32_e64 v7, 0, 1, vcc
	v_or_b32_e32 v7, v7, v8
	v_lshrrev_b32_e32 v3, 2, v3
	v_add_u32_e32 v3, v3, v7
	v_mov_b32_e32 v7, 0x7c00
	v_cmp_gt_i32_e32 vcc, 31, v6
	v_cndmask_b32_e32 v3, v7, v3, vcc
	v_mov_b32_e32 v8, 0x7e00
	v_cmp_ne_u32_e32 vcc, 0, v2
	s_movk_i32 s0, 0x40f
	v_cndmask_b32_e32 v2, v7, v8, vcc
	v_cmp_eq_u32_e32 vcc, s0, v6
	v_cndmask_b32_e32 v2, v3, v2, vcc
	v_lshrrev_b32_e32 v3, 16, v1
	s_mov_b32 s0, 0x8000
	v_and_or_b32 v2, v3, s0, v2
	v_and_b32_e32 v2, 0xffff, v2
	global_store_dword v[4:5], v2, off
.LBB143_3118:
	s_mov_b64 s[0:1], 0
.LBB143_3119:
	s_andn2_b64 vcc, exec, s[0:1]
	s_cbranch_vccnz .LBB143_3128
; %bb.3120:
	s_sext_i32_i16 s2, s22
	s_cmp_lt_i32 s2, 6
	s_mov_b64 s[0:1], -1
	s_cbranch_scc1 .LBB143_3126
; %bb.3121:
	s_cmp_gt_i32 s2, 6
	s_cbranch_scc0 .LBB143_3123
; %bb.3122:
	s_waitcnt vmcnt(0)
	global_store_dwordx2 v[4:5], v[0:1], off
	s_mov_b64 s[0:1], 0
.LBB143_3123:
	s_andn2_b64 vcc, exec, s[0:1]
	s_cbranch_vccnz .LBB143_3125
; %bb.3124:
	s_waitcnt vmcnt(0)
	v_cvt_f32_f64_e32 v2, v[0:1]
	global_store_dword v[4:5], v2, off
.LBB143_3125:
	s_mov_b64 s[0:1], 0
.LBB143_3126:
	s_andn2_b64 vcc, exec, s[0:1]
	s_cbranch_vccnz .LBB143_3128
; %bb.3127:
	s_movk_i32 s0, 0x1ff
	s_waitcnt vmcnt(0)
	v_and_or_b32 v2, v1, s0, v0
	v_cmp_ne_u32_e32 vcc, 0, v2
	v_cndmask_b32_e64 v2, 0, 1, vcc
	v_lshrrev_b32_e32 v3, 8, v1
	s_movk_i32 s0, 0xffe
	v_bfe_u32 v6, v1, 20, 11
	v_and_or_b32 v2, v3, s0, v2
	v_sub_u32_e32 v7, 0x3f1, v6
	v_or_b32_e32 v3, 0x1000, v2
	v_med3_i32 v7, v7, 0, 13
	v_lshrrev_b32_e32 v8, v7, v3
	v_lshlrev_b32_e32 v7, v7, v8
	v_cmp_ne_u32_e32 vcc, v7, v3
	v_cndmask_b32_e64 v3, 0, 1, vcc
	v_add_u32_e32 v6, 0xfffffc10, v6
	v_or_b32_e32 v3, v8, v3
	v_lshl_or_b32 v7, v6, 12, v2
	v_cmp_gt_i32_e32 vcc, 1, v6
	v_cndmask_b32_e32 v3, v7, v3, vcc
	v_and_b32_e32 v7, 7, v3
	v_cmp_lt_i32_e32 vcc, 5, v7
	v_cndmask_b32_e64 v8, 0, 1, vcc
	v_cmp_eq_u32_e32 vcc, 3, v7
	v_cndmask_b32_e64 v7, 0, 1, vcc
	v_or_b32_e32 v7, v7, v8
	v_lshrrev_b32_e32 v3, 2, v3
	v_add_u32_e32 v3, v3, v7
	v_mov_b32_e32 v7, 0x7c00
	v_cmp_gt_i32_e32 vcc, 31, v6
	v_cndmask_b32_e32 v3, v7, v3, vcc
	v_mov_b32_e32 v8, 0x7e00
	v_cmp_ne_u32_e32 vcc, 0, v2
	s_movk_i32 s0, 0x40f
	v_cndmask_b32_e32 v2, v7, v8, vcc
	v_cmp_eq_u32_e32 vcc, s0, v6
	v_cndmask_b32_e32 v2, v3, v2, vcc
	v_lshrrev_b32_e32 v3, 16, v1
	s_mov_b32 s0, 0x8000
	v_and_or_b32 v2, v3, s0, v2
	global_store_short v[4:5], v2, off
.LBB143_3128:
	s_mov_b64 s[0:1], 0
.LBB143_3129:
	s_andn2_b64 vcc, exec, s[0:1]
	s_cbranch_vccnz .LBB143_3145
; %bb.3130:
	s_sext_i32_i16 s2, s22
	s_cmp_lt_i32 s2, 2
	s_mov_b64 s[0:1], -1
	s_cbranch_scc1 .LBB143_3140
; %bb.3131:
	s_cmp_lt_i32 s2, 3
	s_cbranch_scc1 .LBB143_3137
; %bb.3132:
	s_cmp_gt_i32 s2, 3
	s_cbranch_scc0 .LBB143_3134
; %bb.3133:
	s_waitcnt vmcnt(0)
	v_trunc_f64_e32 v[2:3], v[0:1]
	s_movk_i32 s0, 0xffe0
	v_ldexp_f64 v[6:7], v[2:3], s0
	s_mov_b32 s0, 0
	s_mov_b32 s1, 0xc1f00000
	v_floor_f64_e32 v[6:7], v[6:7]
	v_fma_f64 v[2:3], v[6:7], s[0:1], v[2:3]
	v_cvt_i32_f64_e32 v7, v[6:7]
	s_mov_b64 s[0:1], 0
	v_cvt_u32_f64_e32 v6, v[2:3]
	global_store_dwordx2 v[4:5], v[6:7], off
.LBB143_3134:
	s_andn2_b64 vcc, exec, s[0:1]
	s_cbranch_vccnz .LBB143_3136
; %bb.3135:
	s_waitcnt vmcnt(0)
	v_cvt_i32_f64_e32 v2, v[0:1]
	global_store_dword v[4:5], v2, off
.LBB143_3136:
	s_mov_b64 s[0:1], 0
.LBB143_3137:
	s_andn2_b64 vcc, exec, s[0:1]
	s_cbranch_vccnz .LBB143_3139
; %bb.3138:
	s_waitcnt vmcnt(0)
	v_cvt_i32_f64_e32 v2, v[0:1]
	global_store_short v[4:5], v2, off
.LBB143_3139:
	s_mov_b64 s[0:1], 0
.LBB143_3140:
	s_andn2_b64 vcc, exec, s[0:1]
	s_cbranch_vccnz .LBB143_3145
; %bb.3141:
	s_sext_i32_i16 s0, s22
	s_cmp_gt_i32 s0, 0
	s_mov_b64 s[0:1], -1
	s_cbranch_scc0 .LBB143_3143
; %bb.3142:
	s_waitcnt vmcnt(0)
	v_cvt_i32_f64_e32 v2, v[0:1]
	s_mov_b64 s[0:1], 0
	global_store_byte v[4:5], v2, off
.LBB143_3143:
	s_andn2_b64 vcc, exec, s[0:1]
	s_cbranch_vccnz .LBB143_3145
; %bb.3144:
	s_waitcnt vmcnt(0)
	v_trunc_f64_e32 v[0:1], v[0:1]
	s_movk_i32 s0, 0xffe0
	v_ldexp_f64 v[2:3], v[0:1], s0
	s_mov_b32 s0, 0
	s_mov_b32 s1, 0xc1f00000
	v_floor_f64_e32 v[2:3], v[2:3]
	v_fma_f64 v[0:1], v[2:3], s[0:1], v[0:1]
	v_cvt_u32_f64_e32 v0, v[0:1]
	global_store_byte v[4:5], v0, off
	s_endpgm
.LBB143_3145:
	s_endpgm
.LBB143_3146:
	s_mov_b64 s[2:3], 0
	s_mov_b64 s[0:1], -1
	s_branch .LBB143_3102
.LBB143_3147:
	s_trap 2
	s_or_b64 s[16:17], s[16:17], exec
	s_cbranch_execz .LBB143_2616
	s_branch .LBB143_2617
.LBB143_3148:
	s_andn2_saveexec_b64 s[20:21], s[20:21]
	s_cbranch_execz .LBB143_2696
.LBB143_3149:
	s_mov_b32 s24, 0x46000000
	v_add_f32_e64 v3, |v2|, s24
	v_and_b32_e32 v3, 0xff, v3
	v_cmp_ne_u32_e32 vcc, 0, v3
	s_andn2_b64 s[18:19], s[18:19], exec
	s_and_b64 s[24:25], vcc, exec
	s_or_b64 s[18:19], s[18:19], s[24:25]
	s_or_b64 exec, exec, s[20:21]
	v_mov_b32_e32 v5, 0
	s_and_saveexec_b64 s[20:21], s[18:19]
	s_cbranch_execnz .LBB143_2697
	s_branch .LBB143_2698
.LBB143_3150:
	s_trap 2
	s_or_b64 s[16:17], s[16:17], exec
	s_cbranch_execz .LBB143_2744
	s_branch .LBB143_2745
.LBB143_3151:
	s_andn2_saveexec_b64 s[18:19], s[18:19]
	s_cbranch_execz .LBB143_2709
.LBB143_3152:
	s_mov_b32 s20, 0x42800000
	v_add_f32_e64 v3, |v2|, s20
	v_and_b32_e32 v3, 0xff, v3
	v_cmp_ne_u32_e32 vcc, 0, v3
	s_andn2_b64 s[10:11], s[10:11], exec
	s_and_b64 s[20:21], vcc, exec
	s_or_b64 s[10:11], s[10:11], s[20:21]
	s_or_b64 exec, exec, s[18:19]
	v_mov_b32_e32 v5, 0
	s_and_saveexec_b64 s[18:19], s[10:11]
	s_cbranch_execnz .LBB143_2710
	s_branch .LBB143_2711
.LBB143_3153:
	s_andn2_saveexec_b64 s[20:21], s[20:21]
	s_cbranch_execz .LBB143_2815
.LBB143_3154:
	s_mov_b32 s24, 0x46000000
	v_add_f32_e64 v3, |v2|, s24
	v_and_b32_e32 v3, 0xff, v3
	v_cmp_ne_u32_e32 vcc, 0, v3
	s_andn2_b64 s[18:19], s[18:19], exec
	s_and_b64 s[24:25], vcc, exec
	s_or_b64 s[18:19], s[18:19], s[24:25]
	s_or_b64 exec, exec, s[20:21]
	v_mov_b32_e32 v5, 0
	s_and_saveexec_b64 s[20:21], s[18:19]
	s_cbranch_execnz .LBB143_2816
	s_branch .LBB143_2817
.LBB143_3155:
	s_trap 2
	s_or_b64 s[16:17], s[16:17], exec
	s_cbranch_execz .LBB143_2863
	s_branch .LBB143_2864
.LBB143_3156:
	s_andn2_saveexec_b64 s[18:19], s[18:19]
	s_cbranch_execz .LBB143_2828
.LBB143_3157:
	s_mov_b32 s20, 0x42800000
	v_add_f32_e64 v3, |v2|, s20
	v_and_b32_e32 v3, 0xff, v3
	v_cmp_ne_u32_e32 vcc, 0, v3
	s_andn2_b64 s[10:11], s[10:11], exec
	s_and_b64 s[20:21], vcc, exec
	s_or_b64 s[10:11], s[10:11], s[20:21]
	s_or_b64 exec, exec, s[18:19]
	v_mov_b32_e32 v5, 0
	s_and_saveexec_b64 s[18:19], s[10:11]
	s_cbranch_execnz .LBB143_2829
	s_branch .LBB143_2830
.LBB143_3158:
	s_andn2_saveexec_b64 s[20:21], s[20:21]
	s_cbranch_execz .LBB143_2934
.LBB143_3159:
	s_mov_b32 s24, 0x46000000
	v_add_f32_e64 v3, |v2|, s24
	v_and_b32_e32 v3, 0xff, v3
	v_cmp_ne_u32_e32 vcc, 0, v3
	s_andn2_b64 s[18:19], s[18:19], exec
	s_and_b64 s[24:25], vcc, exec
	s_or_b64 s[18:19], s[18:19], s[24:25]
	s_or_b64 exec, exec, s[20:21]
	v_mov_b32_e32 v7, 0
	s_and_saveexec_b64 s[20:21], s[18:19]
	s_cbranch_execnz .LBB143_2935
	s_branch .LBB143_2936
.LBB143_3160:
	s_trap 2
	s_or_b64 s[16:17], s[16:17], exec
	s_cbranch_execz .LBB143_2982
	s_branch .LBB143_2983
.LBB143_3161:
	s_andn2_saveexec_b64 s[18:19], s[18:19]
	s_cbranch_execz .LBB143_2947
.LBB143_3162:
	s_mov_b32 s20, 0x42800000
	v_add_f32_e64 v3, |v2|, s20
	v_and_b32_e32 v3, 0xff, v3
	v_cmp_ne_u32_e32 vcc, 0, v3
	s_andn2_b64 s[10:11], s[10:11], exec
	s_and_b64 s[20:21], vcc, exec
	s_or_b64 s[10:11], s[10:11], s[20:21]
	s_or_b64 exec, exec, s[18:19]
	v_mov_b32_e32 v7, 0
	s_and_saveexec_b64 s[18:19], s[10:11]
	s_cbranch_execnz .LBB143_2948
	s_branch .LBB143_2949
.LBB143_3163:
	s_andn2_saveexec_b64 s[8:9], s[8:9]
	s_cbranch_execz .LBB143_3054
.LBB143_3164:
	s_mov_b32 s10, 0x46000000
	v_add_f32_e64 v3, |v2|, s10
	v_and_b32_e32 v3, 0xff, v3
	v_cmp_ne_u32_e32 vcc, 0, v3
	s_andn2_b64 s[6:7], s[6:7], exec
	s_and_b64 s[10:11], vcc, exec
	s_or_b64 s[6:7], s[6:7], s[10:11]
	s_or_b64 exec, exec, s[8:9]
	v_mov_b32_e32 v6, 0
	s_and_saveexec_b64 s[8:9], s[6:7]
	s_cbranch_execnz .LBB143_3055
	s_branch .LBB143_3056
.LBB143_3165:
	s_mov_b64 s[2:3], 0
	s_or_b64 s[16:17], s[16:17], exec
	s_trap 2
	s_branch .LBB143_3100
.LBB143_3166:
	s_andn2_saveexec_b64 s[6:7], s[6:7]
	s_cbranch_execz .LBB143_3066
.LBB143_3167:
	s_mov_b32 s8, 0x42800000
	v_add_f32_e64 v3, |v2|, s8
	v_and_b32_e32 v3, 0xff, v3
	v_cmp_ne_u32_e32 vcc, 0, v3
	s_andn2_b64 s[4:5], s[4:5], exec
	s_and_b64 s[8:9], vcc, exec
	s_or_b64 s[4:5], s[4:5], s[8:9]
	s_or_b64 exec, exec, s[6:7]
	v_mov_b32_e32 v6, 0
	s_and_saveexec_b64 s[6:7], s[4:5]
	s_cbranch_execnz .LBB143_3067
	s_branch .LBB143_3068
	.section	.rodata,"a",@progbits
	.p2align	6, 0x0
	.amdhsa_kernel _ZN2at6native32elementwise_kernel_manual_unrollILi128ELi4EZNS0_15gpu_kernel_implINS0_13BinaryFunctorIdddZNS0_12_GLOBAL__N_121threshold_kernel_implIdEEvRNS_18TensorIteratorBaseET_S8_EUlddE_EEEEvS7_RKS8_EUlibE0_EEviT1_
		.amdhsa_group_segment_fixed_size 0
		.amdhsa_private_segment_fixed_size 0
		.amdhsa_kernarg_size 448
		.amdhsa_user_sgpr_count 6
		.amdhsa_user_sgpr_private_segment_buffer 1
		.amdhsa_user_sgpr_dispatch_ptr 0
		.amdhsa_user_sgpr_queue_ptr 0
		.amdhsa_user_sgpr_kernarg_segment_ptr 1
		.amdhsa_user_sgpr_dispatch_id 0
		.amdhsa_user_sgpr_flat_scratch_init 0
		.amdhsa_user_sgpr_private_segment_size 0
		.amdhsa_uses_dynamic_stack 0
		.amdhsa_system_sgpr_private_segment_wavefront_offset 0
		.amdhsa_system_sgpr_workgroup_id_x 1
		.amdhsa_system_sgpr_workgroup_id_y 0
		.amdhsa_system_sgpr_workgroup_id_z 0
		.amdhsa_system_sgpr_workgroup_info 0
		.amdhsa_system_vgpr_workitem_id 0
		.amdhsa_next_free_vgpr 29
		.amdhsa_next_free_sgpr 84
		.amdhsa_reserve_vcc 1
		.amdhsa_reserve_flat_scratch 0
		.amdhsa_float_round_mode_32 0
		.amdhsa_float_round_mode_16_64 0
		.amdhsa_float_denorm_mode_32 3
		.amdhsa_float_denorm_mode_16_64 3
		.amdhsa_dx10_clamp 1
		.amdhsa_ieee_mode 1
		.amdhsa_fp16_overflow 0
		.amdhsa_exception_fp_ieee_invalid_op 0
		.amdhsa_exception_fp_denorm_src 0
		.amdhsa_exception_fp_ieee_div_zero 0
		.amdhsa_exception_fp_ieee_overflow 0
		.amdhsa_exception_fp_ieee_underflow 0
		.amdhsa_exception_fp_ieee_inexact 0
		.amdhsa_exception_int_div_zero 0
	.end_amdhsa_kernel
	.section	.text._ZN2at6native32elementwise_kernel_manual_unrollILi128ELi4EZNS0_15gpu_kernel_implINS0_13BinaryFunctorIdddZNS0_12_GLOBAL__N_121threshold_kernel_implIdEEvRNS_18TensorIteratorBaseET_S8_EUlddE_EEEEvS7_RKS8_EUlibE0_EEviT1_,"axG",@progbits,_ZN2at6native32elementwise_kernel_manual_unrollILi128ELi4EZNS0_15gpu_kernel_implINS0_13BinaryFunctorIdddZNS0_12_GLOBAL__N_121threshold_kernel_implIdEEvRNS_18TensorIteratorBaseET_S8_EUlddE_EEEEvS7_RKS8_EUlibE0_EEviT1_,comdat
.Lfunc_end143:
	.size	_ZN2at6native32elementwise_kernel_manual_unrollILi128ELi4EZNS0_15gpu_kernel_implINS0_13BinaryFunctorIdddZNS0_12_GLOBAL__N_121threshold_kernel_implIdEEvRNS_18TensorIteratorBaseET_S8_EUlddE_EEEEvS7_RKS8_EUlibE0_EEviT1_, .Lfunc_end143-_ZN2at6native32elementwise_kernel_manual_unrollILi128ELi4EZNS0_15gpu_kernel_implINS0_13BinaryFunctorIdddZNS0_12_GLOBAL__N_121threshold_kernel_implIdEEvRNS_18TensorIteratorBaseET_S8_EUlddE_EEEEvS7_RKS8_EUlibE0_EEviT1_
                                        ; -- End function
	.set _ZN2at6native32elementwise_kernel_manual_unrollILi128ELi4EZNS0_15gpu_kernel_implINS0_13BinaryFunctorIdddZNS0_12_GLOBAL__N_121threshold_kernel_implIdEEvRNS_18TensorIteratorBaseET_S8_EUlddE_EEEEvS7_RKS8_EUlibE0_EEviT1_.num_vgpr, 29
	.set _ZN2at6native32elementwise_kernel_manual_unrollILi128ELi4EZNS0_15gpu_kernel_implINS0_13BinaryFunctorIdddZNS0_12_GLOBAL__N_121threshold_kernel_implIdEEvRNS_18TensorIteratorBaseET_S8_EUlddE_EEEEvS7_RKS8_EUlibE0_EEviT1_.num_agpr, 0
	.set _ZN2at6native32elementwise_kernel_manual_unrollILi128ELi4EZNS0_15gpu_kernel_implINS0_13BinaryFunctorIdddZNS0_12_GLOBAL__N_121threshold_kernel_implIdEEvRNS_18TensorIteratorBaseET_S8_EUlddE_EEEEvS7_RKS8_EUlibE0_EEviT1_.numbered_sgpr, 84
	.set _ZN2at6native32elementwise_kernel_manual_unrollILi128ELi4EZNS0_15gpu_kernel_implINS0_13BinaryFunctorIdddZNS0_12_GLOBAL__N_121threshold_kernel_implIdEEvRNS_18TensorIteratorBaseET_S8_EUlddE_EEEEvS7_RKS8_EUlibE0_EEviT1_.num_named_barrier, 0
	.set _ZN2at6native32elementwise_kernel_manual_unrollILi128ELi4EZNS0_15gpu_kernel_implINS0_13BinaryFunctorIdddZNS0_12_GLOBAL__N_121threshold_kernel_implIdEEvRNS_18TensorIteratorBaseET_S8_EUlddE_EEEEvS7_RKS8_EUlibE0_EEviT1_.private_seg_size, 0
	.set _ZN2at6native32elementwise_kernel_manual_unrollILi128ELi4EZNS0_15gpu_kernel_implINS0_13BinaryFunctorIdddZNS0_12_GLOBAL__N_121threshold_kernel_implIdEEvRNS_18TensorIteratorBaseET_S8_EUlddE_EEEEvS7_RKS8_EUlibE0_EEviT1_.uses_vcc, 1
	.set _ZN2at6native32elementwise_kernel_manual_unrollILi128ELi4EZNS0_15gpu_kernel_implINS0_13BinaryFunctorIdddZNS0_12_GLOBAL__N_121threshold_kernel_implIdEEvRNS_18TensorIteratorBaseET_S8_EUlddE_EEEEvS7_RKS8_EUlibE0_EEviT1_.uses_flat_scratch, 0
	.set _ZN2at6native32elementwise_kernel_manual_unrollILi128ELi4EZNS0_15gpu_kernel_implINS0_13BinaryFunctorIdddZNS0_12_GLOBAL__N_121threshold_kernel_implIdEEvRNS_18TensorIteratorBaseET_S8_EUlddE_EEEEvS7_RKS8_EUlibE0_EEviT1_.has_dyn_sized_stack, 0
	.set _ZN2at6native32elementwise_kernel_manual_unrollILi128ELi4EZNS0_15gpu_kernel_implINS0_13BinaryFunctorIdddZNS0_12_GLOBAL__N_121threshold_kernel_implIdEEvRNS_18TensorIteratorBaseET_S8_EUlddE_EEEEvS7_RKS8_EUlibE0_EEviT1_.has_recursion, 0
	.set _ZN2at6native32elementwise_kernel_manual_unrollILi128ELi4EZNS0_15gpu_kernel_implINS0_13BinaryFunctorIdddZNS0_12_GLOBAL__N_121threshold_kernel_implIdEEvRNS_18TensorIteratorBaseET_S8_EUlddE_EEEEvS7_RKS8_EUlibE0_EEviT1_.has_indirect_call, 0
	.section	.AMDGPU.csdata,"",@progbits
; Kernel info:
; codeLenInByte = 55112
; TotalNumSgprs: 88
; NumVgprs: 29
; ScratchSize: 0
; MemoryBound: 1
; FloatMode: 240
; IeeeMode: 1
; LDSByteSize: 0 bytes/workgroup (compile time only)
; SGPRBlocks: 10
; VGPRBlocks: 7
; NumSGPRsForWavesPerEU: 88
; NumVGPRsForWavesPerEU: 29
; Occupancy: 8
; WaveLimiterHint : 1
; COMPUTE_PGM_RSRC2:SCRATCH_EN: 0
; COMPUTE_PGM_RSRC2:USER_SGPR: 6
; COMPUTE_PGM_RSRC2:TRAP_HANDLER: 0
; COMPUTE_PGM_RSRC2:TGID_X_EN: 1
; COMPUTE_PGM_RSRC2:TGID_Y_EN: 0
; COMPUTE_PGM_RSRC2:TGID_Z_EN: 0
; COMPUTE_PGM_RSRC2:TIDIG_COMP_CNT: 0
	.section	.text._ZN2at6native29vectorized_elementwise_kernelILi16ENS0_13AUnaryFunctorIfffZNS0_12_GLOBAL__N_121threshold_kernel_implIfEEvRNS_18TensorIteratorBaseET_S7_EUlffE_EESt5arrayIPcLm2EEEEviT0_T1_,"axG",@progbits,_ZN2at6native29vectorized_elementwise_kernelILi16ENS0_13AUnaryFunctorIfffZNS0_12_GLOBAL__N_121threshold_kernel_implIfEEvRNS_18TensorIteratorBaseET_S7_EUlffE_EESt5arrayIPcLm2EEEEviT0_T1_,comdat
	.globl	_ZN2at6native29vectorized_elementwise_kernelILi16ENS0_13AUnaryFunctorIfffZNS0_12_GLOBAL__N_121threshold_kernel_implIfEEvRNS_18TensorIteratorBaseET_S7_EUlffE_EESt5arrayIPcLm2EEEEviT0_T1_ ; -- Begin function _ZN2at6native29vectorized_elementwise_kernelILi16ENS0_13AUnaryFunctorIfffZNS0_12_GLOBAL__N_121threshold_kernel_implIfEEvRNS_18TensorIteratorBaseET_S7_EUlffE_EESt5arrayIPcLm2EEEEviT0_T1_
	.p2align	8
	.type	_ZN2at6native29vectorized_elementwise_kernelILi16ENS0_13AUnaryFunctorIfffZNS0_12_GLOBAL__N_121threshold_kernel_implIfEEvRNS_18TensorIteratorBaseET_S7_EUlffE_EESt5arrayIPcLm2EEEEviT0_T1_,@function
_ZN2at6native29vectorized_elementwise_kernelILi16ENS0_13AUnaryFunctorIfffZNS0_12_GLOBAL__N_121threshold_kernel_implIfEEvRNS_18TensorIteratorBaseET_S7_EUlffE_EESt5arrayIPcLm2EEEEviT0_T1_: ; @_ZN2at6native29vectorized_elementwise_kernelILi16ENS0_13AUnaryFunctorIfffZNS0_12_GLOBAL__N_121threshold_kernel_implIfEEvRNS_18TensorIteratorBaseET_S7_EUlffE_EESt5arrayIPcLm2EEEEviT0_T1_
; %bb.0:
	s_load_dwordx8 s[8:15], s[4:5], 0x0
	s_lshl_b32 s4, s6, 10
	s_mov_b64 s[0:1], -1
	s_waitcnt lgkmcnt(0)
	s_sub_i32 s6, s8, s4
	s_cmpk_gt_i32 s6, 0x3ff
	s_cbranch_scc0 .LBB144_2
; %bb.1:
	s_ashr_i32 s5, s4, 31
	s_lshl_b64 s[0:1], s[4:5], 2
	s_add_u32 s2, s14, s0
	s_addc_u32 s3, s15, s1
	v_lshlrev_b32_e32 v5, 4, v0
	global_load_dwordx4 v[1:4], v5, s[2:3]
	v_mov_b32_e32 v6, s9
	v_mov_b32_e32 v7, s10
	s_add_u32 s0, s12, s0
	v_cmp_nle_f32_e32 vcc, s11, v6
	s_addc_u32 s1, s13, s1
	s_waitcnt vmcnt(0)
	v_cndmask_b32_e32 v1, v7, v1, vcc
	v_cndmask_b32_e32 v2, v7, v2, vcc
	;; [unrolled: 1-line block ×4, first 2 shown]
	global_store_dwordx4 v5, v[1:4], s[0:1]
	s_mov_b64 s[0:1], 0
.LBB144_2:
	s_andn2_b64 vcc, exec, s[0:1]
	s_cbranch_vccnz .LBB144_16
; %bb.3:
	v_cmp_gt_i32_e32 vcc, s6, v0
	v_mov_b32_e32 v3, 0
	v_or_b32_e32 v1, s4, v0
	v_mov_b32_e32 v2, 0
	v_mov_b32_e32 v4, v0
	s_and_saveexec_b64 s[2:3], vcc
	s_cbranch_execz .LBB144_5
; %bb.4:
	v_mov_b32_e32 v2, 0
	v_lshlrev_b64 v[4:5], 2, v[1:2]
	v_mov_b32_e32 v2, s15
	v_add_co_u32_e64 v4, s[0:1], s14, v4
	v_addc_co_u32_e64 v5, s[0:1], v2, v5, s[0:1]
	global_load_dword v2, v[4:5], off
	v_or_b32_e32 v4, 0x100, v0
.LBB144_5:
	s_or_b64 exec, exec, s[2:3]
	v_cmp_gt_i32_e64 s[0:1], s6, v4
	s_and_saveexec_b64 s[2:3], s[0:1]
	s_cbranch_execz .LBB144_7
; %bb.6:
	v_add_u32_e32 v5, s4, v4
	v_mov_b32_e32 v6, 0
	v_lshlrev_b64 v[5:6], 2, v[5:6]
	v_mov_b32_e32 v3, s15
	v_add_co_u32_e64 v5, s[0:1], s14, v5
	v_addc_co_u32_e64 v6, s[0:1], v3, v6, s[0:1]
	global_load_dword v3, v[5:6], off
	v_add_u32_e32 v4, 0x100, v4
.LBB144_7:
	s_or_b64 exec, exec, s[2:3]
	v_cmp_gt_i32_e64 s[0:1], s6, v4
	v_mov_b32_e32 v5, 0
	v_mov_b32_e32 v7, 0
	s_and_saveexec_b64 s[2:3], s[0:1]
	s_cbranch_execz .LBB144_9
; %bb.8:
	v_add_u32_e32 v6, s4, v4
	v_mov_b32_e32 v7, 0
	v_lshlrev_b64 v[6:7], 2, v[6:7]
	v_mov_b32_e32 v8, s15
	v_add_co_u32_e64 v6, s[0:1], s14, v6
	v_addc_co_u32_e64 v7, s[0:1], v8, v7, s[0:1]
	global_load_dword v7, v[6:7], off
	v_add_u32_e32 v4, 0x100, v4
.LBB144_9:
	s_or_b64 exec, exec, s[2:3]
	v_cmp_gt_i32_e64 s[0:1], s6, v4
	s_and_saveexec_b64 s[2:3], s[0:1]
	s_cbranch_execz .LBB144_11
; %bb.10:
	v_add_u32_e32 v4, s4, v4
	v_mov_b32_e32 v5, 0
	v_lshlrev_b64 v[4:5], 2, v[4:5]
	v_mov_b32_e32 v6, s15
	v_add_co_u32_e64 v4, s[0:1], s14, v4
	v_addc_co_u32_e64 v5, s[0:1], v6, v5, s[0:1]
	global_load_dword v5, v[4:5], off
.LBB144_11:
	s_or_b64 exec, exec, s[2:3]
	v_mov_b32_e32 v4, s9
	v_mov_b32_e32 v10, s10
	v_cmp_nle_f32_e64 s[0:1], s11, v4
	s_waitcnt vmcnt(0)
	v_cndmask_b32_e64 v2, v10, v2, s[0:1]
	v_or_b32_e32 v8, 0x100, v0
	v_cndmask_b32_e32 v9, 0, v2, vcc
	v_cndmask_b32_e64 v2, v10, v3, s[0:1]
	v_cmp_gt_i32_e64 s[2:3], s6, v8
	v_cndmask_b32_e64 v6, 0, v2, s[2:3]
	v_or_b32_e32 v2, 0x200, v0
	v_cndmask_b32_e64 v3, v10, v7, s[0:1]
	v_cmp_gt_i32_e64 s[2:3], s6, v2
	v_or_b32_e32 v2, 0x300, v0
	v_cndmask_b32_e64 v4, 0, v3, s[2:3]
	v_cndmask_b32_e64 v3, v10, v5, s[0:1]
	v_cmp_gt_i32_e64 s[0:1], s6, v2
	v_cndmask_b32_e64 v3, 0, v3, s[0:1]
	s_and_saveexec_b64 s[0:1], vcc
	s_cbranch_execnz .LBB144_17
; %bb.12:
	s_or_b64 exec, exec, s[0:1]
	v_cmp_gt_i32_e32 vcc, s6, v0
	s_and_saveexec_b64 s[0:1], vcc
	s_cbranch_execnz .LBB144_18
.LBB144_13:
	s_or_b64 exec, exec, s[0:1]
	v_cmp_gt_i32_e32 vcc, s6, v0
	s_and_saveexec_b64 s[0:1], vcc
	s_cbranch_execnz .LBB144_19
.LBB144_14:
	s_or_b64 exec, exec, s[0:1]
	v_cmp_gt_i32_e32 vcc, s6, v0
	s_and_saveexec_b64 s[0:1], vcc
	s_cbranch_execz .LBB144_16
.LBB144_15:
	v_add_u32_e32 v0, s4, v0
	v_mov_b32_e32 v1, 0
	v_lshlrev_b64 v[0:1], 2, v[0:1]
	v_mov_b32_e32 v2, s13
	v_add_co_u32_e32 v0, vcc, s12, v0
	v_addc_co_u32_e32 v1, vcc, v2, v1, vcc
	global_store_dword v[0:1], v3, off
.LBB144_16:
	s_endpgm
.LBB144_17:
	v_mov_b32_e32 v2, 0
	v_lshlrev_b64 v[0:1], 2, v[1:2]
	v_mov_b32_e32 v2, s13
	v_add_co_u32_e32 v0, vcc, s12, v0
	v_addc_co_u32_e32 v1, vcc, v2, v1, vcc
	global_store_dword v[0:1], v9, off
	v_mov_b32_e32 v0, v8
	s_or_b64 exec, exec, s[0:1]
	v_cmp_gt_i32_e32 vcc, s6, v0
	s_and_saveexec_b64 s[0:1], vcc
	s_cbranch_execz .LBB144_13
.LBB144_18:
	v_add_u32_e32 v1, s4, v0
	v_mov_b32_e32 v2, 0
	v_lshlrev_b64 v[1:2], 2, v[1:2]
	v_mov_b32_e32 v5, s13
	v_add_co_u32_e32 v1, vcc, s12, v1
	v_addc_co_u32_e32 v2, vcc, v5, v2, vcc
	v_add_u32_e32 v0, 0x100, v0
	global_store_dword v[1:2], v6, off
	s_or_b64 exec, exec, s[0:1]
	v_cmp_gt_i32_e32 vcc, s6, v0
	s_and_saveexec_b64 s[0:1], vcc
	s_cbranch_execz .LBB144_14
.LBB144_19:
	v_add_u32_e32 v1, s4, v0
	v_mov_b32_e32 v2, 0
	v_lshlrev_b64 v[1:2], 2, v[1:2]
	v_mov_b32_e32 v5, s13
	v_add_co_u32_e32 v1, vcc, s12, v1
	v_addc_co_u32_e32 v2, vcc, v5, v2, vcc
	v_add_u32_e32 v0, 0x100, v0
	global_store_dword v[1:2], v4, off
	s_or_b64 exec, exec, s[0:1]
	v_cmp_gt_i32_e32 vcc, s6, v0
	s_and_saveexec_b64 s[0:1], vcc
	s_cbranch_execnz .LBB144_15
	s_branch .LBB144_16
	.section	.rodata,"a",@progbits
	.p2align	6, 0x0
	.amdhsa_kernel _ZN2at6native29vectorized_elementwise_kernelILi16ENS0_13AUnaryFunctorIfffZNS0_12_GLOBAL__N_121threshold_kernel_implIfEEvRNS_18TensorIteratorBaseET_S7_EUlffE_EESt5arrayIPcLm2EEEEviT0_T1_
		.amdhsa_group_segment_fixed_size 0
		.amdhsa_private_segment_fixed_size 0
		.amdhsa_kernarg_size 32
		.amdhsa_user_sgpr_count 6
		.amdhsa_user_sgpr_private_segment_buffer 1
		.amdhsa_user_sgpr_dispatch_ptr 0
		.amdhsa_user_sgpr_queue_ptr 0
		.amdhsa_user_sgpr_kernarg_segment_ptr 1
		.amdhsa_user_sgpr_dispatch_id 0
		.amdhsa_user_sgpr_flat_scratch_init 0
		.amdhsa_user_sgpr_private_segment_size 0
		.amdhsa_uses_dynamic_stack 0
		.amdhsa_system_sgpr_private_segment_wavefront_offset 0
		.amdhsa_system_sgpr_workgroup_id_x 1
		.amdhsa_system_sgpr_workgroup_id_y 0
		.amdhsa_system_sgpr_workgroup_id_z 0
		.amdhsa_system_sgpr_workgroup_info 0
		.amdhsa_system_vgpr_workitem_id 0
		.amdhsa_next_free_vgpr 11
		.amdhsa_next_free_sgpr 16
		.amdhsa_reserve_vcc 1
		.amdhsa_reserve_flat_scratch 0
		.amdhsa_float_round_mode_32 0
		.amdhsa_float_round_mode_16_64 0
		.amdhsa_float_denorm_mode_32 3
		.amdhsa_float_denorm_mode_16_64 3
		.amdhsa_dx10_clamp 1
		.amdhsa_ieee_mode 1
		.amdhsa_fp16_overflow 0
		.amdhsa_exception_fp_ieee_invalid_op 0
		.amdhsa_exception_fp_denorm_src 0
		.amdhsa_exception_fp_ieee_div_zero 0
		.amdhsa_exception_fp_ieee_overflow 0
		.amdhsa_exception_fp_ieee_underflow 0
		.amdhsa_exception_fp_ieee_inexact 0
		.amdhsa_exception_int_div_zero 0
	.end_amdhsa_kernel
	.section	.text._ZN2at6native29vectorized_elementwise_kernelILi16ENS0_13AUnaryFunctorIfffZNS0_12_GLOBAL__N_121threshold_kernel_implIfEEvRNS_18TensorIteratorBaseET_S7_EUlffE_EESt5arrayIPcLm2EEEEviT0_T1_,"axG",@progbits,_ZN2at6native29vectorized_elementwise_kernelILi16ENS0_13AUnaryFunctorIfffZNS0_12_GLOBAL__N_121threshold_kernel_implIfEEvRNS_18TensorIteratorBaseET_S7_EUlffE_EESt5arrayIPcLm2EEEEviT0_T1_,comdat
.Lfunc_end144:
	.size	_ZN2at6native29vectorized_elementwise_kernelILi16ENS0_13AUnaryFunctorIfffZNS0_12_GLOBAL__N_121threshold_kernel_implIfEEvRNS_18TensorIteratorBaseET_S7_EUlffE_EESt5arrayIPcLm2EEEEviT0_T1_, .Lfunc_end144-_ZN2at6native29vectorized_elementwise_kernelILi16ENS0_13AUnaryFunctorIfffZNS0_12_GLOBAL__N_121threshold_kernel_implIfEEvRNS_18TensorIteratorBaseET_S7_EUlffE_EESt5arrayIPcLm2EEEEviT0_T1_
                                        ; -- End function
	.set _ZN2at6native29vectorized_elementwise_kernelILi16ENS0_13AUnaryFunctorIfffZNS0_12_GLOBAL__N_121threshold_kernel_implIfEEvRNS_18TensorIteratorBaseET_S7_EUlffE_EESt5arrayIPcLm2EEEEviT0_T1_.num_vgpr, 11
	.set _ZN2at6native29vectorized_elementwise_kernelILi16ENS0_13AUnaryFunctorIfffZNS0_12_GLOBAL__N_121threshold_kernel_implIfEEvRNS_18TensorIteratorBaseET_S7_EUlffE_EESt5arrayIPcLm2EEEEviT0_T1_.num_agpr, 0
	.set _ZN2at6native29vectorized_elementwise_kernelILi16ENS0_13AUnaryFunctorIfffZNS0_12_GLOBAL__N_121threshold_kernel_implIfEEvRNS_18TensorIteratorBaseET_S7_EUlffE_EESt5arrayIPcLm2EEEEviT0_T1_.numbered_sgpr, 16
	.set _ZN2at6native29vectorized_elementwise_kernelILi16ENS0_13AUnaryFunctorIfffZNS0_12_GLOBAL__N_121threshold_kernel_implIfEEvRNS_18TensorIteratorBaseET_S7_EUlffE_EESt5arrayIPcLm2EEEEviT0_T1_.num_named_barrier, 0
	.set _ZN2at6native29vectorized_elementwise_kernelILi16ENS0_13AUnaryFunctorIfffZNS0_12_GLOBAL__N_121threshold_kernel_implIfEEvRNS_18TensorIteratorBaseET_S7_EUlffE_EESt5arrayIPcLm2EEEEviT0_T1_.private_seg_size, 0
	.set _ZN2at6native29vectorized_elementwise_kernelILi16ENS0_13AUnaryFunctorIfffZNS0_12_GLOBAL__N_121threshold_kernel_implIfEEvRNS_18TensorIteratorBaseET_S7_EUlffE_EESt5arrayIPcLm2EEEEviT0_T1_.uses_vcc, 1
	.set _ZN2at6native29vectorized_elementwise_kernelILi16ENS0_13AUnaryFunctorIfffZNS0_12_GLOBAL__N_121threshold_kernel_implIfEEvRNS_18TensorIteratorBaseET_S7_EUlffE_EESt5arrayIPcLm2EEEEviT0_T1_.uses_flat_scratch, 0
	.set _ZN2at6native29vectorized_elementwise_kernelILi16ENS0_13AUnaryFunctorIfffZNS0_12_GLOBAL__N_121threshold_kernel_implIfEEvRNS_18TensorIteratorBaseET_S7_EUlffE_EESt5arrayIPcLm2EEEEviT0_T1_.has_dyn_sized_stack, 0
	.set _ZN2at6native29vectorized_elementwise_kernelILi16ENS0_13AUnaryFunctorIfffZNS0_12_GLOBAL__N_121threshold_kernel_implIfEEvRNS_18TensorIteratorBaseET_S7_EUlffE_EESt5arrayIPcLm2EEEEviT0_T1_.has_recursion, 0
	.set _ZN2at6native29vectorized_elementwise_kernelILi16ENS0_13AUnaryFunctorIfffZNS0_12_GLOBAL__N_121threshold_kernel_implIfEEvRNS_18TensorIteratorBaseET_S7_EUlffE_EESt5arrayIPcLm2EEEEviT0_T1_.has_indirect_call, 0
	.section	.AMDGPU.csdata,"",@progbits
; Kernel info:
; codeLenInByte = 816
; TotalNumSgprs: 20
; NumVgprs: 11
; ScratchSize: 0
; MemoryBound: 0
; FloatMode: 240
; IeeeMode: 1
; LDSByteSize: 0 bytes/workgroup (compile time only)
; SGPRBlocks: 2
; VGPRBlocks: 2
; NumSGPRsForWavesPerEU: 20
; NumVGPRsForWavesPerEU: 11
; Occupancy: 10
; WaveLimiterHint : 0
; COMPUTE_PGM_RSRC2:SCRATCH_EN: 0
; COMPUTE_PGM_RSRC2:USER_SGPR: 6
; COMPUTE_PGM_RSRC2:TRAP_HANDLER: 0
; COMPUTE_PGM_RSRC2:TGID_X_EN: 1
; COMPUTE_PGM_RSRC2:TGID_Y_EN: 0
; COMPUTE_PGM_RSRC2:TGID_Z_EN: 0
; COMPUTE_PGM_RSRC2:TIDIG_COMP_CNT: 0
	.section	.text._ZN2at6native29vectorized_elementwise_kernelILi8ENS0_13AUnaryFunctorIfffZNS0_12_GLOBAL__N_121threshold_kernel_implIfEEvRNS_18TensorIteratorBaseET_S7_EUlffE_EESt5arrayIPcLm2EEEEviT0_T1_,"axG",@progbits,_ZN2at6native29vectorized_elementwise_kernelILi8ENS0_13AUnaryFunctorIfffZNS0_12_GLOBAL__N_121threshold_kernel_implIfEEvRNS_18TensorIteratorBaseET_S7_EUlffE_EESt5arrayIPcLm2EEEEviT0_T1_,comdat
	.globl	_ZN2at6native29vectorized_elementwise_kernelILi8ENS0_13AUnaryFunctorIfffZNS0_12_GLOBAL__N_121threshold_kernel_implIfEEvRNS_18TensorIteratorBaseET_S7_EUlffE_EESt5arrayIPcLm2EEEEviT0_T1_ ; -- Begin function _ZN2at6native29vectorized_elementwise_kernelILi8ENS0_13AUnaryFunctorIfffZNS0_12_GLOBAL__N_121threshold_kernel_implIfEEvRNS_18TensorIteratorBaseET_S7_EUlffE_EESt5arrayIPcLm2EEEEviT0_T1_
	.p2align	8
	.type	_ZN2at6native29vectorized_elementwise_kernelILi8ENS0_13AUnaryFunctorIfffZNS0_12_GLOBAL__N_121threshold_kernel_implIfEEvRNS_18TensorIteratorBaseET_S7_EUlffE_EESt5arrayIPcLm2EEEEviT0_T1_,@function
_ZN2at6native29vectorized_elementwise_kernelILi8ENS0_13AUnaryFunctorIfffZNS0_12_GLOBAL__N_121threshold_kernel_implIfEEvRNS_18TensorIteratorBaseET_S7_EUlffE_EESt5arrayIPcLm2EEEEviT0_T1_: ; @_ZN2at6native29vectorized_elementwise_kernelILi8ENS0_13AUnaryFunctorIfffZNS0_12_GLOBAL__N_121threshold_kernel_implIfEEvRNS_18TensorIteratorBaseET_S7_EUlffE_EESt5arrayIPcLm2EEEEviT0_T1_
; %bb.0:
	s_load_dwordx8 s[8:15], s[4:5], 0x0
	s_lshl_b32 s4, s6, 10
	s_mov_b64 s[0:1], -1
	s_waitcnt lgkmcnt(0)
	s_sub_i32 s6, s8, s4
	s_cmpk_gt_i32 s6, 0x3ff
	s_cbranch_scc0 .LBB145_2
; %bb.1:
	s_ashr_i32 s5, s4, 31
	s_lshl_b64 s[0:1], s[4:5], 2
	s_add_u32 s2, s14, s0
	s_addc_u32 s3, s15, s1
	v_lshlrev_b32_e32 v5, 4, v0
	global_load_dwordx4 v[1:4], v5, s[2:3]
	v_mov_b32_e32 v6, s9
	v_mov_b32_e32 v7, s10
	s_add_u32 s0, s12, s0
	v_cmp_nle_f32_e32 vcc, s11, v6
	s_addc_u32 s1, s13, s1
	s_waitcnt vmcnt(0)
	v_cndmask_b32_e32 v1, v7, v1, vcc
	v_cndmask_b32_e32 v2, v7, v2, vcc
	;; [unrolled: 1-line block ×4, first 2 shown]
	global_store_dwordx4 v5, v[1:4], s[0:1]
	s_mov_b64 s[0:1], 0
.LBB145_2:
	s_andn2_b64 vcc, exec, s[0:1]
	s_cbranch_vccnz .LBB145_16
; %bb.3:
	v_cmp_gt_i32_e32 vcc, s6, v0
	v_mov_b32_e32 v3, 0
	v_or_b32_e32 v1, s4, v0
	v_mov_b32_e32 v2, 0
	v_mov_b32_e32 v4, v0
	s_and_saveexec_b64 s[2:3], vcc
	s_cbranch_execz .LBB145_5
; %bb.4:
	v_mov_b32_e32 v2, 0
	v_lshlrev_b64 v[4:5], 2, v[1:2]
	v_mov_b32_e32 v2, s15
	v_add_co_u32_e64 v4, s[0:1], s14, v4
	v_addc_co_u32_e64 v5, s[0:1], v2, v5, s[0:1]
	global_load_dword v2, v[4:5], off
	v_or_b32_e32 v4, 0x100, v0
.LBB145_5:
	s_or_b64 exec, exec, s[2:3]
	v_cmp_gt_i32_e64 s[0:1], s6, v4
	s_and_saveexec_b64 s[2:3], s[0:1]
	s_cbranch_execz .LBB145_7
; %bb.6:
	v_add_u32_e32 v5, s4, v4
	v_mov_b32_e32 v6, 0
	v_lshlrev_b64 v[5:6], 2, v[5:6]
	v_mov_b32_e32 v3, s15
	v_add_co_u32_e64 v5, s[0:1], s14, v5
	v_addc_co_u32_e64 v6, s[0:1], v3, v6, s[0:1]
	global_load_dword v3, v[5:6], off
	v_add_u32_e32 v4, 0x100, v4
.LBB145_7:
	s_or_b64 exec, exec, s[2:3]
	v_cmp_gt_i32_e64 s[0:1], s6, v4
	v_mov_b32_e32 v5, 0
	v_mov_b32_e32 v7, 0
	s_and_saveexec_b64 s[2:3], s[0:1]
	s_cbranch_execz .LBB145_9
; %bb.8:
	v_add_u32_e32 v6, s4, v4
	v_mov_b32_e32 v7, 0
	v_lshlrev_b64 v[6:7], 2, v[6:7]
	v_mov_b32_e32 v8, s15
	v_add_co_u32_e64 v6, s[0:1], s14, v6
	v_addc_co_u32_e64 v7, s[0:1], v8, v7, s[0:1]
	global_load_dword v7, v[6:7], off
	v_add_u32_e32 v4, 0x100, v4
.LBB145_9:
	s_or_b64 exec, exec, s[2:3]
	v_cmp_gt_i32_e64 s[0:1], s6, v4
	s_and_saveexec_b64 s[2:3], s[0:1]
	s_cbranch_execz .LBB145_11
; %bb.10:
	v_add_u32_e32 v4, s4, v4
	v_mov_b32_e32 v5, 0
	v_lshlrev_b64 v[4:5], 2, v[4:5]
	v_mov_b32_e32 v6, s15
	v_add_co_u32_e64 v4, s[0:1], s14, v4
	v_addc_co_u32_e64 v5, s[0:1], v6, v5, s[0:1]
	global_load_dword v5, v[4:5], off
.LBB145_11:
	s_or_b64 exec, exec, s[2:3]
	v_mov_b32_e32 v4, s9
	v_mov_b32_e32 v10, s10
	v_cmp_nle_f32_e64 s[0:1], s11, v4
	s_waitcnt vmcnt(0)
	v_cndmask_b32_e64 v2, v10, v2, s[0:1]
	v_or_b32_e32 v8, 0x100, v0
	v_cndmask_b32_e32 v9, 0, v2, vcc
	v_cndmask_b32_e64 v2, v10, v3, s[0:1]
	v_cmp_gt_i32_e64 s[2:3], s6, v8
	v_cndmask_b32_e64 v6, 0, v2, s[2:3]
	v_or_b32_e32 v2, 0x200, v0
	v_cndmask_b32_e64 v3, v10, v7, s[0:1]
	v_cmp_gt_i32_e64 s[2:3], s6, v2
	v_or_b32_e32 v2, 0x300, v0
	v_cndmask_b32_e64 v4, 0, v3, s[2:3]
	v_cndmask_b32_e64 v3, v10, v5, s[0:1]
	v_cmp_gt_i32_e64 s[0:1], s6, v2
	v_cndmask_b32_e64 v3, 0, v3, s[0:1]
	s_and_saveexec_b64 s[0:1], vcc
	s_cbranch_execnz .LBB145_17
; %bb.12:
	s_or_b64 exec, exec, s[0:1]
	v_cmp_gt_i32_e32 vcc, s6, v0
	s_and_saveexec_b64 s[0:1], vcc
	s_cbranch_execnz .LBB145_18
.LBB145_13:
	s_or_b64 exec, exec, s[0:1]
	v_cmp_gt_i32_e32 vcc, s6, v0
	s_and_saveexec_b64 s[0:1], vcc
	s_cbranch_execnz .LBB145_19
.LBB145_14:
	s_or_b64 exec, exec, s[0:1]
	v_cmp_gt_i32_e32 vcc, s6, v0
	s_and_saveexec_b64 s[0:1], vcc
	s_cbranch_execz .LBB145_16
.LBB145_15:
	v_add_u32_e32 v0, s4, v0
	v_mov_b32_e32 v1, 0
	v_lshlrev_b64 v[0:1], 2, v[0:1]
	v_mov_b32_e32 v2, s13
	v_add_co_u32_e32 v0, vcc, s12, v0
	v_addc_co_u32_e32 v1, vcc, v2, v1, vcc
	global_store_dword v[0:1], v3, off
.LBB145_16:
	s_endpgm
.LBB145_17:
	v_mov_b32_e32 v2, 0
	v_lshlrev_b64 v[0:1], 2, v[1:2]
	v_mov_b32_e32 v2, s13
	v_add_co_u32_e32 v0, vcc, s12, v0
	v_addc_co_u32_e32 v1, vcc, v2, v1, vcc
	global_store_dword v[0:1], v9, off
	v_mov_b32_e32 v0, v8
	s_or_b64 exec, exec, s[0:1]
	v_cmp_gt_i32_e32 vcc, s6, v0
	s_and_saveexec_b64 s[0:1], vcc
	s_cbranch_execz .LBB145_13
.LBB145_18:
	v_add_u32_e32 v1, s4, v0
	v_mov_b32_e32 v2, 0
	v_lshlrev_b64 v[1:2], 2, v[1:2]
	v_mov_b32_e32 v5, s13
	v_add_co_u32_e32 v1, vcc, s12, v1
	v_addc_co_u32_e32 v2, vcc, v5, v2, vcc
	v_add_u32_e32 v0, 0x100, v0
	global_store_dword v[1:2], v6, off
	s_or_b64 exec, exec, s[0:1]
	v_cmp_gt_i32_e32 vcc, s6, v0
	s_and_saveexec_b64 s[0:1], vcc
	s_cbranch_execz .LBB145_14
.LBB145_19:
	v_add_u32_e32 v1, s4, v0
	v_mov_b32_e32 v2, 0
	v_lshlrev_b64 v[1:2], 2, v[1:2]
	v_mov_b32_e32 v5, s13
	v_add_co_u32_e32 v1, vcc, s12, v1
	v_addc_co_u32_e32 v2, vcc, v5, v2, vcc
	v_add_u32_e32 v0, 0x100, v0
	global_store_dword v[1:2], v4, off
	s_or_b64 exec, exec, s[0:1]
	v_cmp_gt_i32_e32 vcc, s6, v0
	s_and_saveexec_b64 s[0:1], vcc
	s_cbranch_execnz .LBB145_15
	s_branch .LBB145_16
	.section	.rodata,"a",@progbits
	.p2align	6, 0x0
	.amdhsa_kernel _ZN2at6native29vectorized_elementwise_kernelILi8ENS0_13AUnaryFunctorIfffZNS0_12_GLOBAL__N_121threshold_kernel_implIfEEvRNS_18TensorIteratorBaseET_S7_EUlffE_EESt5arrayIPcLm2EEEEviT0_T1_
		.amdhsa_group_segment_fixed_size 0
		.amdhsa_private_segment_fixed_size 0
		.amdhsa_kernarg_size 32
		.amdhsa_user_sgpr_count 6
		.amdhsa_user_sgpr_private_segment_buffer 1
		.amdhsa_user_sgpr_dispatch_ptr 0
		.amdhsa_user_sgpr_queue_ptr 0
		.amdhsa_user_sgpr_kernarg_segment_ptr 1
		.amdhsa_user_sgpr_dispatch_id 0
		.amdhsa_user_sgpr_flat_scratch_init 0
		.amdhsa_user_sgpr_private_segment_size 0
		.amdhsa_uses_dynamic_stack 0
		.amdhsa_system_sgpr_private_segment_wavefront_offset 0
		.amdhsa_system_sgpr_workgroup_id_x 1
		.amdhsa_system_sgpr_workgroup_id_y 0
		.amdhsa_system_sgpr_workgroup_id_z 0
		.amdhsa_system_sgpr_workgroup_info 0
		.amdhsa_system_vgpr_workitem_id 0
		.amdhsa_next_free_vgpr 11
		.amdhsa_next_free_sgpr 16
		.amdhsa_reserve_vcc 1
		.amdhsa_reserve_flat_scratch 0
		.amdhsa_float_round_mode_32 0
		.amdhsa_float_round_mode_16_64 0
		.amdhsa_float_denorm_mode_32 3
		.amdhsa_float_denorm_mode_16_64 3
		.amdhsa_dx10_clamp 1
		.amdhsa_ieee_mode 1
		.amdhsa_fp16_overflow 0
		.amdhsa_exception_fp_ieee_invalid_op 0
		.amdhsa_exception_fp_denorm_src 0
		.amdhsa_exception_fp_ieee_div_zero 0
		.amdhsa_exception_fp_ieee_overflow 0
		.amdhsa_exception_fp_ieee_underflow 0
		.amdhsa_exception_fp_ieee_inexact 0
		.amdhsa_exception_int_div_zero 0
	.end_amdhsa_kernel
	.section	.text._ZN2at6native29vectorized_elementwise_kernelILi8ENS0_13AUnaryFunctorIfffZNS0_12_GLOBAL__N_121threshold_kernel_implIfEEvRNS_18TensorIteratorBaseET_S7_EUlffE_EESt5arrayIPcLm2EEEEviT0_T1_,"axG",@progbits,_ZN2at6native29vectorized_elementwise_kernelILi8ENS0_13AUnaryFunctorIfffZNS0_12_GLOBAL__N_121threshold_kernel_implIfEEvRNS_18TensorIteratorBaseET_S7_EUlffE_EESt5arrayIPcLm2EEEEviT0_T1_,comdat
.Lfunc_end145:
	.size	_ZN2at6native29vectorized_elementwise_kernelILi8ENS0_13AUnaryFunctorIfffZNS0_12_GLOBAL__N_121threshold_kernel_implIfEEvRNS_18TensorIteratorBaseET_S7_EUlffE_EESt5arrayIPcLm2EEEEviT0_T1_, .Lfunc_end145-_ZN2at6native29vectorized_elementwise_kernelILi8ENS0_13AUnaryFunctorIfffZNS0_12_GLOBAL__N_121threshold_kernel_implIfEEvRNS_18TensorIteratorBaseET_S7_EUlffE_EESt5arrayIPcLm2EEEEviT0_T1_
                                        ; -- End function
	.set _ZN2at6native29vectorized_elementwise_kernelILi8ENS0_13AUnaryFunctorIfffZNS0_12_GLOBAL__N_121threshold_kernel_implIfEEvRNS_18TensorIteratorBaseET_S7_EUlffE_EESt5arrayIPcLm2EEEEviT0_T1_.num_vgpr, 11
	.set _ZN2at6native29vectorized_elementwise_kernelILi8ENS0_13AUnaryFunctorIfffZNS0_12_GLOBAL__N_121threshold_kernel_implIfEEvRNS_18TensorIteratorBaseET_S7_EUlffE_EESt5arrayIPcLm2EEEEviT0_T1_.num_agpr, 0
	.set _ZN2at6native29vectorized_elementwise_kernelILi8ENS0_13AUnaryFunctorIfffZNS0_12_GLOBAL__N_121threshold_kernel_implIfEEvRNS_18TensorIteratorBaseET_S7_EUlffE_EESt5arrayIPcLm2EEEEviT0_T1_.numbered_sgpr, 16
	.set _ZN2at6native29vectorized_elementwise_kernelILi8ENS0_13AUnaryFunctorIfffZNS0_12_GLOBAL__N_121threshold_kernel_implIfEEvRNS_18TensorIteratorBaseET_S7_EUlffE_EESt5arrayIPcLm2EEEEviT0_T1_.num_named_barrier, 0
	.set _ZN2at6native29vectorized_elementwise_kernelILi8ENS0_13AUnaryFunctorIfffZNS0_12_GLOBAL__N_121threshold_kernel_implIfEEvRNS_18TensorIteratorBaseET_S7_EUlffE_EESt5arrayIPcLm2EEEEviT0_T1_.private_seg_size, 0
	.set _ZN2at6native29vectorized_elementwise_kernelILi8ENS0_13AUnaryFunctorIfffZNS0_12_GLOBAL__N_121threshold_kernel_implIfEEvRNS_18TensorIteratorBaseET_S7_EUlffE_EESt5arrayIPcLm2EEEEviT0_T1_.uses_vcc, 1
	.set _ZN2at6native29vectorized_elementwise_kernelILi8ENS0_13AUnaryFunctorIfffZNS0_12_GLOBAL__N_121threshold_kernel_implIfEEvRNS_18TensorIteratorBaseET_S7_EUlffE_EESt5arrayIPcLm2EEEEviT0_T1_.uses_flat_scratch, 0
	.set _ZN2at6native29vectorized_elementwise_kernelILi8ENS0_13AUnaryFunctorIfffZNS0_12_GLOBAL__N_121threshold_kernel_implIfEEvRNS_18TensorIteratorBaseET_S7_EUlffE_EESt5arrayIPcLm2EEEEviT0_T1_.has_dyn_sized_stack, 0
	.set _ZN2at6native29vectorized_elementwise_kernelILi8ENS0_13AUnaryFunctorIfffZNS0_12_GLOBAL__N_121threshold_kernel_implIfEEvRNS_18TensorIteratorBaseET_S7_EUlffE_EESt5arrayIPcLm2EEEEviT0_T1_.has_recursion, 0
	.set _ZN2at6native29vectorized_elementwise_kernelILi8ENS0_13AUnaryFunctorIfffZNS0_12_GLOBAL__N_121threshold_kernel_implIfEEvRNS_18TensorIteratorBaseET_S7_EUlffE_EESt5arrayIPcLm2EEEEviT0_T1_.has_indirect_call, 0
	.section	.AMDGPU.csdata,"",@progbits
; Kernel info:
; codeLenInByte = 816
; TotalNumSgprs: 20
; NumVgprs: 11
; ScratchSize: 0
; MemoryBound: 0
; FloatMode: 240
; IeeeMode: 1
; LDSByteSize: 0 bytes/workgroup (compile time only)
; SGPRBlocks: 2
; VGPRBlocks: 2
; NumSGPRsForWavesPerEU: 20
; NumVGPRsForWavesPerEU: 11
; Occupancy: 10
; WaveLimiterHint : 0
; COMPUTE_PGM_RSRC2:SCRATCH_EN: 0
; COMPUTE_PGM_RSRC2:USER_SGPR: 6
; COMPUTE_PGM_RSRC2:TRAP_HANDLER: 0
; COMPUTE_PGM_RSRC2:TGID_X_EN: 1
; COMPUTE_PGM_RSRC2:TGID_Y_EN: 0
; COMPUTE_PGM_RSRC2:TGID_Z_EN: 0
; COMPUTE_PGM_RSRC2:TIDIG_COMP_CNT: 0
	.section	.text._ZN2at6native29vectorized_elementwise_kernelILi4ENS0_13AUnaryFunctorIfffZNS0_12_GLOBAL__N_121threshold_kernel_implIfEEvRNS_18TensorIteratorBaseET_S7_EUlffE_EESt5arrayIPcLm2EEEEviT0_T1_,"axG",@progbits,_ZN2at6native29vectorized_elementwise_kernelILi4ENS0_13AUnaryFunctorIfffZNS0_12_GLOBAL__N_121threshold_kernel_implIfEEvRNS_18TensorIteratorBaseET_S7_EUlffE_EESt5arrayIPcLm2EEEEviT0_T1_,comdat
	.globl	_ZN2at6native29vectorized_elementwise_kernelILi4ENS0_13AUnaryFunctorIfffZNS0_12_GLOBAL__N_121threshold_kernel_implIfEEvRNS_18TensorIteratorBaseET_S7_EUlffE_EESt5arrayIPcLm2EEEEviT0_T1_ ; -- Begin function _ZN2at6native29vectorized_elementwise_kernelILi4ENS0_13AUnaryFunctorIfffZNS0_12_GLOBAL__N_121threshold_kernel_implIfEEvRNS_18TensorIteratorBaseET_S7_EUlffE_EESt5arrayIPcLm2EEEEviT0_T1_
	.p2align	8
	.type	_ZN2at6native29vectorized_elementwise_kernelILi4ENS0_13AUnaryFunctorIfffZNS0_12_GLOBAL__N_121threshold_kernel_implIfEEvRNS_18TensorIteratorBaseET_S7_EUlffE_EESt5arrayIPcLm2EEEEviT0_T1_,@function
_ZN2at6native29vectorized_elementwise_kernelILi4ENS0_13AUnaryFunctorIfffZNS0_12_GLOBAL__N_121threshold_kernel_implIfEEvRNS_18TensorIteratorBaseET_S7_EUlffE_EESt5arrayIPcLm2EEEEviT0_T1_: ; @_ZN2at6native29vectorized_elementwise_kernelILi4ENS0_13AUnaryFunctorIfffZNS0_12_GLOBAL__N_121threshold_kernel_implIfEEvRNS_18TensorIteratorBaseET_S7_EUlffE_EESt5arrayIPcLm2EEEEviT0_T1_
; %bb.0:
	s_load_dwordx8 s[8:15], s[4:5], 0x0
	s_lshl_b32 s4, s6, 10
	s_mov_b64 s[0:1], -1
	s_waitcnt lgkmcnt(0)
	s_sub_i32 s6, s8, s4
	s_cmpk_gt_i32 s6, 0x3ff
	s_cbranch_scc0 .LBB146_2
; %bb.1:
	s_ashr_i32 s5, s4, 31
	s_lshl_b64 s[0:1], s[4:5], 2
	s_add_u32 s2, s14, s0
	s_addc_u32 s3, s15, s1
	v_lshlrev_b32_e32 v5, 4, v0
	global_load_dwordx4 v[1:4], v5, s[2:3]
	v_mov_b32_e32 v6, s9
	v_mov_b32_e32 v7, s10
	s_add_u32 s0, s12, s0
	v_cmp_nle_f32_e32 vcc, s11, v6
	s_addc_u32 s1, s13, s1
	s_waitcnt vmcnt(0)
	v_cndmask_b32_e32 v1, v7, v1, vcc
	v_cndmask_b32_e32 v2, v7, v2, vcc
	;; [unrolled: 1-line block ×4, first 2 shown]
	global_store_dwordx4 v5, v[1:4], s[0:1]
	s_mov_b64 s[0:1], 0
.LBB146_2:
	s_andn2_b64 vcc, exec, s[0:1]
	s_cbranch_vccnz .LBB146_16
; %bb.3:
	v_cmp_gt_i32_e32 vcc, s6, v0
	v_mov_b32_e32 v3, 0
	v_or_b32_e32 v1, s4, v0
	v_mov_b32_e32 v2, 0
	v_mov_b32_e32 v4, v0
	s_and_saveexec_b64 s[2:3], vcc
	s_cbranch_execz .LBB146_5
; %bb.4:
	v_mov_b32_e32 v2, 0
	v_lshlrev_b64 v[4:5], 2, v[1:2]
	v_mov_b32_e32 v2, s15
	v_add_co_u32_e64 v4, s[0:1], s14, v4
	v_addc_co_u32_e64 v5, s[0:1], v2, v5, s[0:1]
	global_load_dword v2, v[4:5], off
	v_or_b32_e32 v4, 0x100, v0
.LBB146_5:
	s_or_b64 exec, exec, s[2:3]
	v_cmp_gt_i32_e64 s[0:1], s6, v4
	s_and_saveexec_b64 s[2:3], s[0:1]
	s_cbranch_execz .LBB146_7
; %bb.6:
	v_add_u32_e32 v5, s4, v4
	v_mov_b32_e32 v6, 0
	v_lshlrev_b64 v[5:6], 2, v[5:6]
	v_mov_b32_e32 v3, s15
	v_add_co_u32_e64 v5, s[0:1], s14, v5
	v_addc_co_u32_e64 v6, s[0:1], v3, v6, s[0:1]
	global_load_dword v3, v[5:6], off
	v_add_u32_e32 v4, 0x100, v4
.LBB146_7:
	s_or_b64 exec, exec, s[2:3]
	v_cmp_gt_i32_e64 s[0:1], s6, v4
	v_mov_b32_e32 v5, 0
	v_mov_b32_e32 v7, 0
	s_and_saveexec_b64 s[2:3], s[0:1]
	s_cbranch_execz .LBB146_9
; %bb.8:
	v_add_u32_e32 v6, s4, v4
	v_mov_b32_e32 v7, 0
	v_lshlrev_b64 v[6:7], 2, v[6:7]
	v_mov_b32_e32 v8, s15
	v_add_co_u32_e64 v6, s[0:1], s14, v6
	v_addc_co_u32_e64 v7, s[0:1], v8, v7, s[0:1]
	global_load_dword v7, v[6:7], off
	v_add_u32_e32 v4, 0x100, v4
.LBB146_9:
	s_or_b64 exec, exec, s[2:3]
	v_cmp_gt_i32_e64 s[0:1], s6, v4
	s_and_saveexec_b64 s[2:3], s[0:1]
	s_cbranch_execz .LBB146_11
; %bb.10:
	v_add_u32_e32 v4, s4, v4
	v_mov_b32_e32 v5, 0
	v_lshlrev_b64 v[4:5], 2, v[4:5]
	v_mov_b32_e32 v6, s15
	v_add_co_u32_e64 v4, s[0:1], s14, v4
	v_addc_co_u32_e64 v5, s[0:1], v6, v5, s[0:1]
	global_load_dword v5, v[4:5], off
.LBB146_11:
	s_or_b64 exec, exec, s[2:3]
	v_mov_b32_e32 v4, s9
	v_mov_b32_e32 v10, s10
	v_cmp_nle_f32_e64 s[0:1], s11, v4
	s_waitcnt vmcnt(0)
	v_cndmask_b32_e64 v2, v10, v2, s[0:1]
	v_or_b32_e32 v8, 0x100, v0
	v_cndmask_b32_e32 v9, 0, v2, vcc
	v_cndmask_b32_e64 v2, v10, v3, s[0:1]
	v_cmp_gt_i32_e64 s[2:3], s6, v8
	v_cndmask_b32_e64 v6, 0, v2, s[2:3]
	v_or_b32_e32 v2, 0x200, v0
	v_cndmask_b32_e64 v3, v10, v7, s[0:1]
	v_cmp_gt_i32_e64 s[2:3], s6, v2
	v_or_b32_e32 v2, 0x300, v0
	v_cndmask_b32_e64 v4, 0, v3, s[2:3]
	v_cndmask_b32_e64 v3, v10, v5, s[0:1]
	v_cmp_gt_i32_e64 s[0:1], s6, v2
	v_cndmask_b32_e64 v3, 0, v3, s[0:1]
	s_and_saveexec_b64 s[0:1], vcc
	s_cbranch_execnz .LBB146_17
; %bb.12:
	s_or_b64 exec, exec, s[0:1]
	v_cmp_gt_i32_e32 vcc, s6, v0
	s_and_saveexec_b64 s[0:1], vcc
	s_cbranch_execnz .LBB146_18
.LBB146_13:
	s_or_b64 exec, exec, s[0:1]
	v_cmp_gt_i32_e32 vcc, s6, v0
	s_and_saveexec_b64 s[0:1], vcc
	s_cbranch_execnz .LBB146_19
.LBB146_14:
	s_or_b64 exec, exec, s[0:1]
	v_cmp_gt_i32_e32 vcc, s6, v0
	s_and_saveexec_b64 s[0:1], vcc
	s_cbranch_execz .LBB146_16
.LBB146_15:
	v_add_u32_e32 v0, s4, v0
	v_mov_b32_e32 v1, 0
	v_lshlrev_b64 v[0:1], 2, v[0:1]
	v_mov_b32_e32 v2, s13
	v_add_co_u32_e32 v0, vcc, s12, v0
	v_addc_co_u32_e32 v1, vcc, v2, v1, vcc
	global_store_dword v[0:1], v3, off
.LBB146_16:
	s_endpgm
.LBB146_17:
	v_mov_b32_e32 v2, 0
	v_lshlrev_b64 v[0:1], 2, v[1:2]
	v_mov_b32_e32 v2, s13
	v_add_co_u32_e32 v0, vcc, s12, v0
	v_addc_co_u32_e32 v1, vcc, v2, v1, vcc
	global_store_dword v[0:1], v9, off
	v_mov_b32_e32 v0, v8
	s_or_b64 exec, exec, s[0:1]
	v_cmp_gt_i32_e32 vcc, s6, v0
	s_and_saveexec_b64 s[0:1], vcc
	s_cbranch_execz .LBB146_13
.LBB146_18:
	v_add_u32_e32 v1, s4, v0
	v_mov_b32_e32 v2, 0
	v_lshlrev_b64 v[1:2], 2, v[1:2]
	v_mov_b32_e32 v5, s13
	v_add_co_u32_e32 v1, vcc, s12, v1
	v_addc_co_u32_e32 v2, vcc, v5, v2, vcc
	v_add_u32_e32 v0, 0x100, v0
	global_store_dword v[1:2], v6, off
	s_or_b64 exec, exec, s[0:1]
	v_cmp_gt_i32_e32 vcc, s6, v0
	s_and_saveexec_b64 s[0:1], vcc
	s_cbranch_execz .LBB146_14
.LBB146_19:
	v_add_u32_e32 v1, s4, v0
	v_mov_b32_e32 v2, 0
	v_lshlrev_b64 v[1:2], 2, v[1:2]
	v_mov_b32_e32 v5, s13
	v_add_co_u32_e32 v1, vcc, s12, v1
	v_addc_co_u32_e32 v2, vcc, v5, v2, vcc
	v_add_u32_e32 v0, 0x100, v0
	global_store_dword v[1:2], v4, off
	s_or_b64 exec, exec, s[0:1]
	v_cmp_gt_i32_e32 vcc, s6, v0
	s_and_saveexec_b64 s[0:1], vcc
	s_cbranch_execnz .LBB146_15
	s_branch .LBB146_16
	.section	.rodata,"a",@progbits
	.p2align	6, 0x0
	.amdhsa_kernel _ZN2at6native29vectorized_elementwise_kernelILi4ENS0_13AUnaryFunctorIfffZNS0_12_GLOBAL__N_121threshold_kernel_implIfEEvRNS_18TensorIteratorBaseET_S7_EUlffE_EESt5arrayIPcLm2EEEEviT0_T1_
		.amdhsa_group_segment_fixed_size 0
		.amdhsa_private_segment_fixed_size 0
		.amdhsa_kernarg_size 32
		.amdhsa_user_sgpr_count 6
		.amdhsa_user_sgpr_private_segment_buffer 1
		.amdhsa_user_sgpr_dispatch_ptr 0
		.amdhsa_user_sgpr_queue_ptr 0
		.amdhsa_user_sgpr_kernarg_segment_ptr 1
		.amdhsa_user_sgpr_dispatch_id 0
		.amdhsa_user_sgpr_flat_scratch_init 0
		.amdhsa_user_sgpr_private_segment_size 0
		.amdhsa_uses_dynamic_stack 0
		.amdhsa_system_sgpr_private_segment_wavefront_offset 0
		.amdhsa_system_sgpr_workgroup_id_x 1
		.amdhsa_system_sgpr_workgroup_id_y 0
		.amdhsa_system_sgpr_workgroup_id_z 0
		.amdhsa_system_sgpr_workgroup_info 0
		.amdhsa_system_vgpr_workitem_id 0
		.amdhsa_next_free_vgpr 11
		.amdhsa_next_free_sgpr 16
		.amdhsa_reserve_vcc 1
		.amdhsa_reserve_flat_scratch 0
		.amdhsa_float_round_mode_32 0
		.amdhsa_float_round_mode_16_64 0
		.amdhsa_float_denorm_mode_32 3
		.amdhsa_float_denorm_mode_16_64 3
		.amdhsa_dx10_clamp 1
		.amdhsa_ieee_mode 1
		.amdhsa_fp16_overflow 0
		.amdhsa_exception_fp_ieee_invalid_op 0
		.amdhsa_exception_fp_denorm_src 0
		.amdhsa_exception_fp_ieee_div_zero 0
		.amdhsa_exception_fp_ieee_overflow 0
		.amdhsa_exception_fp_ieee_underflow 0
		.amdhsa_exception_fp_ieee_inexact 0
		.amdhsa_exception_int_div_zero 0
	.end_amdhsa_kernel
	.section	.text._ZN2at6native29vectorized_elementwise_kernelILi4ENS0_13AUnaryFunctorIfffZNS0_12_GLOBAL__N_121threshold_kernel_implIfEEvRNS_18TensorIteratorBaseET_S7_EUlffE_EESt5arrayIPcLm2EEEEviT0_T1_,"axG",@progbits,_ZN2at6native29vectorized_elementwise_kernelILi4ENS0_13AUnaryFunctorIfffZNS0_12_GLOBAL__N_121threshold_kernel_implIfEEvRNS_18TensorIteratorBaseET_S7_EUlffE_EESt5arrayIPcLm2EEEEviT0_T1_,comdat
.Lfunc_end146:
	.size	_ZN2at6native29vectorized_elementwise_kernelILi4ENS0_13AUnaryFunctorIfffZNS0_12_GLOBAL__N_121threshold_kernel_implIfEEvRNS_18TensorIteratorBaseET_S7_EUlffE_EESt5arrayIPcLm2EEEEviT0_T1_, .Lfunc_end146-_ZN2at6native29vectorized_elementwise_kernelILi4ENS0_13AUnaryFunctorIfffZNS0_12_GLOBAL__N_121threshold_kernel_implIfEEvRNS_18TensorIteratorBaseET_S7_EUlffE_EESt5arrayIPcLm2EEEEviT0_T1_
                                        ; -- End function
	.set _ZN2at6native29vectorized_elementwise_kernelILi4ENS0_13AUnaryFunctorIfffZNS0_12_GLOBAL__N_121threshold_kernel_implIfEEvRNS_18TensorIteratorBaseET_S7_EUlffE_EESt5arrayIPcLm2EEEEviT0_T1_.num_vgpr, 11
	.set _ZN2at6native29vectorized_elementwise_kernelILi4ENS0_13AUnaryFunctorIfffZNS0_12_GLOBAL__N_121threshold_kernel_implIfEEvRNS_18TensorIteratorBaseET_S7_EUlffE_EESt5arrayIPcLm2EEEEviT0_T1_.num_agpr, 0
	.set _ZN2at6native29vectorized_elementwise_kernelILi4ENS0_13AUnaryFunctorIfffZNS0_12_GLOBAL__N_121threshold_kernel_implIfEEvRNS_18TensorIteratorBaseET_S7_EUlffE_EESt5arrayIPcLm2EEEEviT0_T1_.numbered_sgpr, 16
	.set _ZN2at6native29vectorized_elementwise_kernelILi4ENS0_13AUnaryFunctorIfffZNS0_12_GLOBAL__N_121threshold_kernel_implIfEEvRNS_18TensorIteratorBaseET_S7_EUlffE_EESt5arrayIPcLm2EEEEviT0_T1_.num_named_barrier, 0
	.set _ZN2at6native29vectorized_elementwise_kernelILi4ENS0_13AUnaryFunctorIfffZNS0_12_GLOBAL__N_121threshold_kernel_implIfEEvRNS_18TensorIteratorBaseET_S7_EUlffE_EESt5arrayIPcLm2EEEEviT0_T1_.private_seg_size, 0
	.set _ZN2at6native29vectorized_elementwise_kernelILi4ENS0_13AUnaryFunctorIfffZNS0_12_GLOBAL__N_121threshold_kernel_implIfEEvRNS_18TensorIteratorBaseET_S7_EUlffE_EESt5arrayIPcLm2EEEEviT0_T1_.uses_vcc, 1
	.set _ZN2at6native29vectorized_elementwise_kernelILi4ENS0_13AUnaryFunctorIfffZNS0_12_GLOBAL__N_121threshold_kernel_implIfEEvRNS_18TensorIteratorBaseET_S7_EUlffE_EESt5arrayIPcLm2EEEEviT0_T1_.uses_flat_scratch, 0
	.set _ZN2at6native29vectorized_elementwise_kernelILi4ENS0_13AUnaryFunctorIfffZNS0_12_GLOBAL__N_121threshold_kernel_implIfEEvRNS_18TensorIteratorBaseET_S7_EUlffE_EESt5arrayIPcLm2EEEEviT0_T1_.has_dyn_sized_stack, 0
	.set _ZN2at6native29vectorized_elementwise_kernelILi4ENS0_13AUnaryFunctorIfffZNS0_12_GLOBAL__N_121threshold_kernel_implIfEEvRNS_18TensorIteratorBaseET_S7_EUlffE_EESt5arrayIPcLm2EEEEviT0_T1_.has_recursion, 0
	.set _ZN2at6native29vectorized_elementwise_kernelILi4ENS0_13AUnaryFunctorIfffZNS0_12_GLOBAL__N_121threshold_kernel_implIfEEvRNS_18TensorIteratorBaseET_S7_EUlffE_EESt5arrayIPcLm2EEEEviT0_T1_.has_indirect_call, 0
	.section	.AMDGPU.csdata,"",@progbits
; Kernel info:
; codeLenInByte = 816
; TotalNumSgprs: 20
; NumVgprs: 11
; ScratchSize: 0
; MemoryBound: 0
; FloatMode: 240
; IeeeMode: 1
; LDSByteSize: 0 bytes/workgroup (compile time only)
; SGPRBlocks: 2
; VGPRBlocks: 2
; NumSGPRsForWavesPerEU: 20
; NumVGPRsForWavesPerEU: 11
; Occupancy: 10
; WaveLimiterHint : 0
; COMPUTE_PGM_RSRC2:SCRATCH_EN: 0
; COMPUTE_PGM_RSRC2:USER_SGPR: 6
; COMPUTE_PGM_RSRC2:TRAP_HANDLER: 0
; COMPUTE_PGM_RSRC2:TGID_X_EN: 1
; COMPUTE_PGM_RSRC2:TGID_Y_EN: 0
; COMPUTE_PGM_RSRC2:TGID_Z_EN: 0
; COMPUTE_PGM_RSRC2:TIDIG_COMP_CNT: 0
	.section	.text._ZN2at6native29vectorized_elementwise_kernelILi2ENS0_13AUnaryFunctorIfffZNS0_12_GLOBAL__N_121threshold_kernel_implIfEEvRNS_18TensorIteratorBaseET_S7_EUlffE_EESt5arrayIPcLm2EEEEviT0_T1_,"axG",@progbits,_ZN2at6native29vectorized_elementwise_kernelILi2ENS0_13AUnaryFunctorIfffZNS0_12_GLOBAL__N_121threshold_kernel_implIfEEvRNS_18TensorIteratorBaseET_S7_EUlffE_EESt5arrayIPcLm2EEEEviT0_T1_,comdat
	.globl	_ZN2at6native29vectorized_elementwise_kernelILi2ENS0_13AUnaryFunctorIfffZNS0_12_GLOBAL__N_121threshold_kernel_implIfEEvRNS_18TensorIteratorBaseET_S7_EUlffE_EESt5arrayIPcLm2EEEEviT0_T1_ ; -- Begin function _ZN2at6native29vectorized_elementwise_kernelILi2ENS0_13AUnaryFunctorIfffZNS0_12_GLOBAL__N_121threshold_kernel_implIfEEvRNS_18TensorIteratorBaseET_S7_EUlffE_EESt5arrayIPcLm2EEEEviT0_T1_
	.p2align	8
	.type	_ZN2at6native29vectorized_elementwise_kernelILi2ENS0_13AUnaryFunctorIfffZNS0_12_GLOBAL__N_121threshold_kernel_implIfEEvRNS_18TensorIteratorBaseET_S7_EUlffE_EESt5arrayIPcLm2EEEEviT0_T1_,@function
_ZN2at6native29vectorized_elementwise_kernelILi2ENS0_13AUnaryFunctorIfffZNS0_12_GLOBAL__N_121threshold_kernel_implIfEEvRNS_18TensorIteratorBaseET_S7_EUlffE_EESt5arrayIPcLm2EEEEviT0_T1_: ; @_ZN2at6native29vectorized_elementwise_kernelILi2ENS0_13AUnaryFunctorIfffZNS0_12_GLOBAL__N_121threshold_kernel_implIfEEvRNS_18TensorIteratorBaseET_S7_EUlffE_EESt5arrayIPcLm2EEEEviT0_T1_
; %bb.0:
	s_load_dwordx8 s[8:15], s[4:5], 0x0
	s_lshl_b32 s4, s6, 10
	s_mov_b64 s[0:1], -1
	s_waitcnt lgkmcnt(0)
	s_sub_i32 s6, s8, s4
	s_cmpk_gt_i32 s6, 0x3ff
	s_cbranch_scc0 .LBB147_2
; %bb.1:
	s_ashr_i32 s5, s4, 31
	s_lshl_b64 s[0:1], s[4:5], 2
	s_add_u32 s2, s14, s0
	s_addc_u32 s3, s15, s1
	v_lshlrev_b32_e32 v5, 3, v0
	global_load_dwordx2 v[1:2], v5, s[2:3]
	global_load_dwordx2 v[3:4], v5, s[2:3] offset:2048
	v_mov_b32_e32 v6, s9
	v_mov_b32_e32 v7, s10
	s_add_u32 s0, s12, s0
	v_cmp_nle_f32_e32 vcc, s11, v6
	s_addc_u32 s1, s13, s1
	s_waitcnt vmcnt(1)
	v_cndmask_b32_e32 v1, v7, v1, vcc
	v_cndmask_b32_e32 v2, v7, v2, vcc
	s_waitcnt vmcnt(0)
	v_cndmask_b32_e32 v3, v7, v3, vcc
	v_cndmask_b32_e32 v4, v7, v4, vcc
	global_store_dwordx2 v5, v[1:2], s[0:1]
	global_store_dwordx2 v5, v[3:4], s[0:1] offset:2048
	s_mov_b64 s[0:1], 0
.LBB147_2:
	s_andn2_b64 vcc, exec, s[0:1]
	s_cbranch_vccnz .LBB147_16
; %bb.3:
	v_cmp_gt_i32_e32 vcc, s6, v0
	v_mov_b32_e32 v3, 0
	v_or_b32_e32 v1, s4, v0
	v_mov_b32_e32 v2, 0
	v_mov_b32_e32 v4, v0
	s_and_saveexec_b64 s[2:3], vcc
	s_cbranch_execz .LBB147_5
; %bb.4:
	v_mov_b32_e32 v2, 0
	v_lshlrev_b64 v[4:5], 2, v[1:2]
	v_mov_b32_e32 v2, s15
	v_add_co_u32_e64 v4, s[0:1], s14, v4
	v_addc_co_u32_e64 v5, s[0:1], v2, v5, s[0:1]
	global_load_dword v2, v[4:5], off
	v_or_b32_e32 v4, 0x100, v0
.LBB147_5:
	s_or_b64 exec, exec, s[2:3]
	v_cmp_gt_i32_e64 s[0:1], s6, v4
	s_and_saveexec_b64 s[2:3], s[0:1]
	s_cbranch_execz .LBB147_7
; %bb.6:
	v_add_u32_e32 v5, s4, v4
	v_mov_b32_e32 v6, 0
	v_lshlrev_b64 v[5:6], 2, v[5:6]
	v_mov_b32_e32 v3, s15
	v_add_co_u32_e64 v5, s[0:1], s14, v5
	v_addc_co_u32_e64 v6, s[0:1], v3, v6, s[0:1]
	global_load_dword v3, v[5:6], off
	v_add_u32_e32 v4, 0x100, v4
.LBB147_7:
	s_or_b64 exec, exec, s[2:3]
	v_cmp_gt_i32_e64 s[0:1], s6, v4
	v_mov_b32_e32 v5, 0
	v_mov_b32_e32 v7, 0
	s_and_saveexec_b64 s[2:3], s[0:1]
	s_cbranch_execz .LBB147_9
; %bb.8:
	v_add_u32_e32 v6, s4, v4
	v_mov_b32_e32 v7, 0
	v_lshlrev_b64 v[6:7], 2, v[6:7]
	v_mov_b32_e32 v8, s15
	v_add_co_u32_e64 v6, s[0:1], s14, v6
	v_addc_co_u32_e64 v7, s[0:1], v8, v7, s[0:1]
	global_load_dword v7, v[6:7], off
	v_add_u32_e32 v4, 0x100, v4
.LBB147_9:
	s_or_b64 exec, exec, s[2:3]
	v_cmp_gt_i32_e64 s[0:1], s6, v4
	s_and_saveexec_b64 s[2:3], s[0:1]
	s_cbranch_execz .LBB147_11
; %bb.10:
	v_add_u32_e32 v4, s4, v4
	v_mov_b32_e32 v5, 0
	v_lshlrev_b64 v[4:5], 2, v[4:5]
	v_mov_b32_e32 v6, s15
	v_add_co_u32_e64 v4, s[0:1], s14, v4
	v_addc_co_u32_e64 v5, s[0:1], v6, v5, s[0:1]
	global_load_dword v5, v[4:5], off
.LBB147_11:
	s_or_b64 exec, exec, s[2:3]
	v_mov_b32_e32 v4, s9
	v_mov_b32_e32 v10, s10
	v_cmp_nle_f32_e64 s[0:1], s11, v4
	s_waitcnt vmcnt(0)
	v_cndmask_b32_e64 v2, v10, v2, s[0:1]
	v_or_b32_e32 v8, 0x100, v0
	v_cndmask_b32_e32 v9, 0, v2, vcc
	v_cndmask_b32_e64 v2, v10, v3, s[0:1]
	v_cmp_gt_i32_e64 s[2:3], s6, v8
	v_cndmask_b32_e64 v6, 0, v2, s[2:3]
	v_or_b32_e32 v2, 0x200, v0
	v_cndmask_b32_e64 v3, v10, v7, s[0:1]
	v_cmp_gt_i32_e64 s[2:3], s6, v2
	v_or_b32_e32 v2, 0x300, v0
	v_cndmask_b32_e64 v4, 0, v3, s[2:3]
	v_cndmask_b32_e64 v3, v10, v5, s[0:1]
	v_cmp_gt_i32_e64 s[0:1], s6, v2
	v_cndmask_b32_e64 v3, 0, v3, s[0:1]
	s_and_saveexec_b64 s[0:1], vcc
	s_cbranch_execnz .LBB147_17
; %bb.12:
	s_or_b64 exec, exec, s[0:1]
	v_cmp_gt_i32_e32 vcc, s6, v0
	s_and_saveexec_b64 s[0:1], vcc
	s_cbranch_execnz .LBB147_18
.LBB147_13:
	s_or_b64 exec, exec, s[0:1]
	v_cmp_gt_i32_e32 vcc, s6, v0
	s_and_saveexec_b64 s[0:1], vcc
	s_cbranch_execnz .LBB147_19
.LBB147_14:
	s_or_b64 exec, exec, s[0:1]
	v_cmp_gt_i32_e32 vcc, s6, v0
	s_and_saveexec_b64 s[0:1], vcc
	s_cbranch_execz .LBB147_16
.LBB147_15:
	v_add_u32_e32 v0, s4, v0
	v_mov_b32_e32 v1, 0
	v_lshlrev_b64 v[0:1], 2, v[0:1]
	v_mov_b32_e32 v2, s13
	v_add_co_u32_e32 v0, vcc, s12, v0
	v_addc_co_u32_e32 v1, vcc, v2, v1, vcc
	global_store_dword v[0:1], v3, off
.LBB147_16:
	s_endpgm
.LBB147_17:
	v_mov_b32_e32 v2, 0
	v_lshlrev_b64 v[0:1], 2, v[1:2]
	v_mov_b32_e32 v2, s13
	v_add_co_u32_e32 v0, vcc, s12, v0
	v_addc_co_u32_e32 v1, vcc, v2, v1, vcc
	global_store_dword v[0:1], v9, off
	v_mov_b32_e32 v0, v8
	s_or_b64 exec, exec, s[0:1]
	v_cmp_gt_i32_e32 vcc, s6, v0
	s_and_saveexec_b64 s[0:1], vcc
	s_cbranch_execz .LBB147_13
.LBB147_18:
	v_add_u32_e32 v1, s4, v0
	v_mov_b32_e32 v2, 0
	v_lshlrev_b64 v[1:2], 2, v[1:2]
	v_mov_b32_e32 v5, s13
	v_add_co_u32_e32 v1, vcc, s12, v1
	v_addc_co_u32_e32 v2, vcc, v5, v2, vcc
	v_add_u32_e32 v0, 0x100, v0
	global_store_dword v[1:2], v6, off
	s_or_b64 exec, exec, s[0:1]
	v_cmp_gt_i32_e32 vcc, s6, v0
	s_and_saveexec_b64 s[0:1], vcc
	s_cbranch_execz .LBB147_14
.LBB147_19:
	v_add_u32_e32 v1, s4, v0
	v_mov_b32_e32 v2, 0
	v_lshlrev_b64 v[1:2], 2, v[1:2]
	v_mov_b32_e32 v5, s13
	v_add_co_u32_e32 v1, vcc, s12, v1
	v_addc_co_u32_e32 v2, vcc, v5, v2, vcc
	v_add_u32_e32 v0, 0x100, v0
	global_store_dword v[1:2], v4, off
	s_or_b64 exec, exec, s[0:1]
	v_cmp_gt_i32_e32 vcc, s6, v0
	s_and_saveexec_b64 s[0:1], vcc
	s_cbranch_execnz .LBB147_15
	s_branch .LBB147_16
	.section	.rodata,"a",@progbits
	.p2align	6, 0x0
	.amdhsa_kernel _ZN2at6native29vectorized_elementwise_kernelILi2ENS0_13AUnaryFunctorIfffZNS0_12_GLOBAL__N_121threshold_kernel_implIfEEvRNS_18TensorIteratorBaseET_S7_EUlffE_EESt5arrayIPcLm2EEEEviT0_T1_
		.amdhsa_group_segment_fixed_size 0
		.amdhsa_private_segment_fixed_size 0
		.amdhsa_kernarg_size 32
		.amdhsa_user_sgpr_count 6
		.amdhsa_user_sgpr_private_segment_buffer 1
		.amdhsa_user_sgpr_dispatch_ptr 0
		.amdhsa_user_sgpr_queue_ptr 0
		.amdhsa_user_sgpr_kernarg_segment_ptr 1
		.amdhsa_user_sgpr_dispatch_id 0
		.amdhsa_user_sgpr_flat_scratch_init 0
		.amdhsa_user_sgpr_private_segment_size 0
		.amdhsa_uses_dynamic_stack 0
		.amdhsa_system_sgpr_private_segment_wavefront_offset 0
		.amdhsa_system_sgpr_workgroup_id_x 1
		.amdhsa_system_sgpr_workgroup_id_y 0
		.amdhsa_system_sgpr_workgroup_id_z 0
		.amdhsa_system_sgpr_workgroup_info 0
		.amdhsa_system_vgpr_workitem_id 0
		.amdhsa_next_free_vgpr 11
		.amdhsa_next_free_sgpr 16
		.amdhsa_reserve_vcc 1
		.amdhsa_reserve_flat_scratch 0
		.amdhsa_float_round_mode_32 0
		.amdhsa_float_round_mode_16_64 0
		.amdhsa_float_denorm_mode_32 3
		.amdhsa_float_denorm_mode_16_64 3
		.amdhsa_dx10_clamp 1
		.amdhsa_ieee_mode 1
		.amdhsa_fp16_overflow 0
		.amdhsa_exception_fp_ieee_invalid_op 0
		.amdhsa_exception_fp_denorm_src 0
		.amdhsa_exception_fp_ieee_div_zero 0
		.amdhsa_exception_fp_ieee_overflow 0
		.amdhsa_exception_fp_ieee_underflow 0
		.amdhsa_exception_fp_ieee_inexact 0
		.amdhsa_exception_int_div_zero 0
	.end_amdhsa_kernel
	.section	.text._ZN2at6native29vectorized_elementwise_kernelILi2ENS0_13AUnaryFunctorIfffZNS0_12_GLOBAL__N_121threshold_kernel_implIfEEvRNS_18TensorIteratorBaseET_S7_EUlffE_EESt5arrayIPcLm2EEEEviT0_T1_,"axG",@progbits,_ZN2at6native29vectorized_elementwise_kernelILi2ENS0_13AUnaryFunctorIfffZNS0_12_GLOBAL__N_121threshold_kernel_implIfEEvRNS_18TensorIteratorBaseET_S7_EUlffE_EESt5arrayIPcLm2EEEEviT0_T1_,comdat
.Lfunc_end147:
	.size	_ZN2at6native29vectorized_elementwise_kernelILi2ENS0_13AUnaryFunctorIfffZNS0_12_GLOBAL__N_121threshold_kernel_implIfEEvRNS_18TensorIteratorBaseET_S7_EUlffE_EESt5arrayIPcLm2EEEEviT0_T1_, .Lfunc_end147-_ZN2at6native29vectorized_elementwise_kernelILi2ENS0_13AUnaryFunctorIfffZNS0_12_GLOBAL__N_121threshold_kernel_implIfEEvRNS_18TensorIteratorBaseET_S7_EUlffE_EESt5arrayIPcLm2EEEEviT0_T1_
                                        ; -- End function
	.set _ZN2at6native29vectorized_elementwise_kernelILi2ENS0_13AUnaryFunctorIfffZNS0_12_GLOBAL__N_121threshold_kernel_implIfEEvRNS_18TensorIteratorBaseET_S7_EUlffE_EESt5arrayIPcLm2EEEEviT0_T1_.num_vgpr, 11
	.set _ZN2at6native29vectorized_elementwise_kernelILi2ENS0_13AUnaryFunctorIfffZNS0_12_GLOBAL__N_121threshold_kernel_implIfEEvRNS_18TensorIteratorBaseET_S7_EUlffE_EESt5arrayIPcLm2EEEEviT0_T1_.num_agpr, 0
	.set _ZN2at6native29vectorized_elementwise_kernelILi2ENS0_13AUnaryFunctorIfffZNS0_12_GLOBAL__N_121threshold_kernel_implIfEEvRNS_18TensorIteratorBaseET_S7_EUlffE_EESt5arrayIPcLm2EEEEviT0_T1_.numbered_sgpr, 16
	.set _ZN2at6native29vectorized_elementwise_kernelILi2ENS0_13AUnaryFunctorIfffZNS0_12_GLOBAL__N_121threshold_kernel_implIfEEvRNS_18TensorIteratorBaseET_S7_EUlffE_EESt5arrayIPcLm2EEEEviT0_T1_.num_named_barrier, 0
	.set _ZN2at6native29vectorized_elementwise_kernelILi2ENS0_13AUnaryFunctorIfffZNS0_12_GLOBAL__N_121threshold_kernel_implIfEEvRNS_18TensorIteratorBaseET_S7_EUlffE_EESt5arrayIPcLm2EEEEviT0_T1_.private_seg_size, 0
	.set _ZN2at6native29vectorized_elementwise_kernelILi2ENS0_13AUnaryFunctorIfffZNS0_12_GLOBAL__N_121threshold_kernel_implIfEEvRNS_18TensorIteratorBaseET_S7_EUlffE_EESt5arrayIPcLm2EEEEviT0_T1_.uses_vcc, 1
	.set _ZN2at6native29vectorized_elementwise_kernelILi2ENS0_13AUnaryFunctorIfffZNS0_12_GLOBAL__N_121threshold_kernel_implIfEEvRNS_18TensorIteratorBaseET_S7_EUlffE_EESt5arrayIPcLm2EEEEviT0_T1_.uses_flat_scratch, 0
	.set _ZN2at6native29vectorized_elementwise_kernelILi2ENS0_13AUnaryFunctorIfffZNS0_12_GLOBAL__N_121threshold_kernel_implIfEEvRNS_18TensorIteratorBaseET_S7_EUlffE_EESt5arrayIPcLm2EEEEviT0_T1_.has_dyn_sized_stack, 0
	.set _ZN2at6native29vectorized_elementwise_kernelILi2ENS0_13AUnaryFunctorIfffZNS0_12_GLOBAL__N_121threshold_kernel_implIfEEvRNS_18TensorIteratorBaseET_S7_EUlffE_EESt5arrayIPcLm2EEEEviT0_T1_.has_recursion, 0
	.set _ZN2at6native29vectorized_elementwise_kernelILi2ENS0_13AUnaryFunctorIfffZNS0_12_GLOBAL__N_121threshold_kernel_implIfEEvRNS_18TensorIteratorBaseET_S7_EUlffE_EESt5arrayIPcLm2EEEEviT0_T1_.has_indirect_call, 0
	.section	.AMDGPU.csdata,"",@progbits
; Kernel info:
; codeLenInByte = 836
; TotalNumSgprs: 20
; NumVgprs: 11
; ScratchSize: 0
; MemoryBound: 0
; FloatMode: 240
; IeeeMode: 1
; LDSByteSize: 0 bytes/workgroup (compile time only)
; SGPRBlocks: 2
; VGPRBlocks: 2
; NumSGPRsForWavesPerEU: 20
; NumVGPRsForWavesPerEU: 11
; Occupancy: 10
; WaveLimiterHint : 1
; COMPUTE_PGM_RSRC2:SCRATCH_EN: 0
; COMPUTE_PGM_RSRC2:USER_SGPR: 6
; COMPUTE_PGM_RSRC2:TRAP_HANDLER: 0
; COMPUTE_PGM_RSRC2:TGID_X_EN: 1
; COMPUTE_PGM_RSRC2:TGID_Y_EN: 0
; COMPUTE_PGM_RSRC2:TGID_Z_EN: 0
; COMPUTE_PGM_RSRC2:TIDIG_COMP_CNT: 0
	.section	.text._ZN2at6native27unrolled_elementwise_kernelINS0_13AUnaryFunctorIfffZNS0_12_GLOBAL__N_121threshold_kernel_implIfEEvRNS_18TensorIteratorBaseET_S7_EUlffE_EESt5arrayIPcLm2EELi4E23TrivialOffsetCalculatorILi1EjESE_NS0_6memory15LoadWithoutCastENSF_16StoreWithoutCastEEEviS7_T0_T2_T3_T4_T5_,"axG",@progbits,_ZN2at6native27unrolled_elementwise_kernelINS0_13AUnaryFunctorIfffZNS0_12_GLOBAL__N_121threshold_kernel_implIfEEvRNS_18TensorIteratorBaseET_S7_EUlffE_EESt5arrayIPcLm2EELi4E23TrivialOffsetCalculatorILi1EjESE_NS0_6memory15LoadWithoutCastENSF_16StoreWithoutCastEEEviS7_T0_T2_T3_T4_T5_,comdat
	.globl	_ZN2at6native27unrolled_elementwise_kernelINS0_13AUnaryFunctorIfffZNS0_12_GLOBAL__N_121threshold_kernel_implIfEEvRNS_18TensorIteratorBaseET_S7_EUlffE_EESt5arrayIPcLm2EELi4E23TrivialOffsetCalculatorILi1EjESE_NS0_6memory15LoadWithoutCastENSF_16StoreWithoutCastEEEviS7_T0_T2_T3_T4_T5_ ; -- Begin function _ZN2at6native27unrolled_elementwise_kernelINS0_13AUnaryFunctorIfffZNS0_12_GLOBAL__N_121threshold_kernel_implIfEEvRNS_18TensorIteratorBaseET_S7_EUlffE_EESt5arrayIPcLm2EELi4E23TrivialOffsetCalculatorILi1EjESE_NS0_6memory15LoadWithoutCastENSF_16StoreWithoutCastEEEviS7_T0_T2_T3_T4_T5_
	.p2align	8
	.type	_ZN2at6native27unrolled_elementwise_kernelINS0_13AUnaryFunctorIfffZNS0_12_GLOBAL__N_121threshold_kernel_implIfEEvRNS_18TensorIteratorBaseET_S7_EUlffE_EESt5arrayIPcLm2EELi4E23TrivialOffsetCalculatorILi1EjESE_NS0_6memory15LoadWithoutCastENSF_16StoreWithoutCastEEEviS7_T0_T2_T3_T4_T5_,@function
_ZN2at6native27unrolled_elementwise_kernelINS0_13AUnaryFunctorIfffZNS0_12_GLOBAL__N_121threshold_kernel_implIfEEvRNS_18TensorIteratorBaseET_S7_EUlffE_EESt5arrayIPcLm2EELi4E23TrivialOffsetCalculatorILi1EjESE_NS0_6memory15LoadWithoutCastENSF_16StoreWithoutCastEEEviS7_T0_T2_T3_T4_T5_: ; @_ZN2at6native27unrolled_elementwise_kernelINS0_13AUnaryFunctorIfffZNS0_12_GLOBAL__N_121threshold_kernel_implIfEEvRNS_18TensorIteratorBaseET_S7_EUlffE_EESt5arrayIPcLm2EELi4E23TrivialOffsetCalculatorILi1EjESE_NS0_6memory15LoadWithoutCastENSF_16StoreWithoutCastEEEviS7_T0_T2_T3_T4_T5_
; %bb.0:
	s_load_dwordx8 s[8:15], s[4:5], 0x0
	s_lshl_b32 s4, s6, 10
	v_mov_b32_e32 v3, 0
	v_or_b32_e32 v1, s4, v0
	v_mov_b32_e32 v2, 0
	s_waitcnt lgkmcnt(0)
	s_sub_i32 s5, s8, s4
	v_cmp_gt_i32_e32 vcc, s5, v0
	v_mov_b32_e32 v4, v0
	s_and_saveexec_b64 s[2:3], vcc
	s_cbranch_execz .LBB148_2
; %bb.1:
	v_mov_b32_e32 v2, 0
	v_lshlrev_b64 v[4:5], 2, v[1:2]
	v_mov_b32_e32 v2, s15
	v_add_co_u32_e64 v4, s[0:1], s14, v4
	v_addc_co_u32_e64 v5, s[0:1], v2, v5, s[0:1]
	global_load_dword v2, v[4:5], off
	v_or_b32_e32 v4, 0x100, v0
.LBB148_2:
	s_or_b64 exec, exec, s[2:3]
	v_cmp_gt_i32_e64 s[0:1], s5, v4
	s_and_saveexec_b64 s[2:3], s[0:1]
	s_cbranch_execz .LBB148_4
; %bb.3:
	v_add_u32_e32 v5, s4, v4
	v_mov_b32_e32 v6, 0
	v_lshlrev_b64 v[5:6], 2, v[5:6]
	v_mov_b32_e32 v3, s15
	v_add_co_u32_e64 v5, s[0:1], s14, v5
	v_addc_co_u32_e64 v6, s[0:1], v3, v6, s[0:1]
	global_load_dword v3, v[5:6], off
	v_add_u32_e32 v4, 0x100, v4
.LBB148_4:
	s_or_b64 exec, exec, s[2:3]
	v_cmp_gt_i32_e64 s[0:1], s5, v4
	v_mov_b32_e32 v5, 0
	v_mov_b32_e32 v7, 0
	s_and_saveexec_b64 s[2:3], s[0:1]
	s_cbranch_execz .LBB148_6
; %bb.5:
	v_add_u32_e32 v6, s4, v4
	v_mov_b32_e32 v7, 0
	v_lshlrev_b64 v[6:7], 2, v[6:7]
	v_mov_b32_e32 v8, s15
	v_add_co_u32_e64 v6, s[0:1], s14, v6
	v_addc_co_u32_e64 v7, s[0:1], v8, v7, s[0:1]
	global_load_dword v7, v[6:7], off
	v_add_u32_e32 v4, 0x100, v4
.LBB148_6:
	s_or_b64 exec, exec, s[2:3]
	v_cmp_gt_i32_e64 s[0:1], s5, v4
	s_and_saveexec_b64 s[2:3], s[0:1]
	s_cbranch_execz .LBB148_8
; %bb.7:
	v_add_u32_e32 v4, s4, v4
	v_mov_b32_e32 v5, 0
	v_lshlrev_b64 v[4:5], 2, v[4:5]
	v_mov_b32_e32 v6, s15
	v_add_co_u32_e64 v4, s[0:1], s14, v4
	v_addc_co_u32_e64 v5, s[0:1], v6, v5, s[0:1]
	global_load_dword v5, v[4:5], off
.LBB148_8:
	s_or_b64 exec, exec, s[2:3]
	v_mov_b32_e32 v4, s9
	v_mov_b32_e32 v10, s10
	v_cmp_nle_f32_e64 s[0:1], s11, v4
	s_waitcnt vmcnt(0)
	v_cndmask_b32_e64 v2, v10, v2, s[0:1]
	v_or_b32_e32 v8, 0x100, v0
	v_cndmask_b32_e32 v9, 0, v2, vcc
	v_cndmask_b32_e64 v2, v10, v3, s[0:1]
	v_cmp_gt_i32_e64 s[2:3], s5, v8
	v_cndmask_b32_e64 v6, 0, v2, s[2:3]
	v_or_b32_e32 v2, 0x200, v0
	v_cndmask_b32_e64 v3, v10, v7, s[0:1]
	v_cmp_gt_i32_e64 s[2:3], s5, v2
	v_or_b32_e32 v2, 0x300, v0
	v_cndmask_b32_e64 v4, 0, v3, s[2:3]
	v_cndmask_b32_e64 v3, v10, v5, s[0:1]
	v_cmp_gt_i32_e64 s[0:1], s5, v2
	v_cndmask_b32_e64 v3, 0, v3, s[0:1]
	s_and_saveexec_b64 s[0:1], vcc
	s_cbranch_execnz .LBB148_13
; %bb.9:
	s_or_b64 exec, exec, s[0:1]
	v_cmp_gt_i32_e32 vcc, s5, v0
	s_and_saveexec_b64 s[0:1], vcc
	s_cbranch_execnz .LBB148_14
.LBB148_10:
	s_or_b64 exec, exec, s[0:1]
	v_cmp_gt_i32_e32 vcc, s5, v0
	s_and_saveexec_b64 s[0:1], vcc
	s_cbranch_execnz .LBB148_15
.LBB148_11:
	s_or_b64 exec, exec, s[0:1]
	v_cmp_gt_i32_e32 vcc, s5, v0
	s_and_saveexec_b64 s[0:1], vcc
	s_cbranch_execnz .LBB148_16
.LBB148_12:
	s_endpgm
.LBB148_13:
	v_mov_b32_e32 v2, 0
	v_lshlrev_b64 v[0:1], 2, v[1:2]
	v_mov_b32_e32 v2, s13
	v_add_co_u32_e32 v0, vcc, s12, v0
	v_addc_co_u32_e32 v1, vcc, v2, v1, vcc
	global_store_dword v[0:1], v9, off
	v_mov_b32_e32 v0, v8
	s_or_b64 exec, exec, s[0:1]
	v_cmp_gt_i32_e32 vcc, s5, v0
	s_and_saveexec_b64 s[0:1], vcc
	s_cbranch_execz .LBB148_10
.LBB148_14:
	v_add_u32_e32 v2, 0x100, v0
	v_add_u32_e32 v0, s4, v0
	v_mov_b32_e32 v1, 0
	v_lshlrev_b64 v[0:1], 2, v[0:1]
	v_mov_b32_e32 v5, s13
	v_add_co_u32_e32 v0, vcc, s12, v0
	v_addc_co_u32_e32 v1, vcc, v5, v1, vcc
	global_store_dword v[0:1], v6, off
	v_mov_b32_e32 v0, v2
	s_or_b64 exec, exec, s[0:1]
	v_cmp_gt_i32_e32 vcc, s5, v0
	s_and_saveexec_b64 s[0:1], vcc
	s_cbranch_execz .LBB148_11
.LBB148_15:
	v_add_u32_e32 v2, 0x100, v0
	v_add_u32_e32 v0, s4, v0
	v_mov_b32_e32 v1, 0
	v_lshlrev_b64 v[0:1], 2, v[0:1]
	v_mov_b32_e32 v5, s13
	v_add_co_u32_e32 v0, vcc, s12, v0
	v_addc_co_u32_e32 v1, vcc, v5, v1, vcc
	global_store_dword v[0:1], v4, off
	v_mov_b32_e32 v0, v2
	s_or_b64 exec, exec, s[0:1]
	v_cmp_gt_i32_e32 vcc, s5, v0
	s_and_saveexec_b64 s[0:1], vcc
	s_cbranch_execz .LBB148_12
.LBB148_16:
	v_add_u32_e32 v0, s4, v0
	v_mov_b32_e32 v1, 0
	v_lshlrev_b64 v[0:1], 2, v[0:1]
	v_mov_b32_e32 v2, s13
	v_add_co_u32_e32 v0, vcc, s12, v0
	v_addc_co_u32_e32 v1, vcc, v2, v1, vcc
	global_store_dword v[0:1], v3, off
	s_endpgm
	.section	.rodata,"a",@progbits
	.p2align	6, 0x0
	.amdhsa_kernel _ZN2at6native27unrolled_elementwise_kernelINS0_13AUnaryFunctorIfffZNS0_12_GLOBAL__N_121threshold_kernel_implIfEEvRNS_18TensorIteratorBaseET_S7_EUlffE_EESt5arrayIPcLm2EELi4E23TrivialOffsetCalculatorILi1EjESE_NS0_6memory15LoadWithoutCastENSF_16StoreWithoutCastEEEviS7_T0_T2_T3_T4_T5_
		.amdhsa_group_segment_fixed_size 0
		.amdhsa_private_segment_fixed_size 0
		.amdhsa_kernarg_size 36
		.amdhsa_user_sgpr_count 6
		.amdhsa_user_sgpr_private_segment_buffer 1
		.amdhsa_user_sgpr_dispatch_ptr 0
		.amdhsa_user_sgpr_queue_ptr 0
		.amdhsa_user_sgpr_kernarg_segment_ptr 1
		.amdhsa_user_sgpr_dispatch_id 0
		.amdhsa_user_sgpr_flat_scratch_init 0
		.amdhsa_user_sgpr_private_segment_size 0
		.amdhsa_uses_dynamic_stack 0
		.amdhsa_system_sgpr_private_segment_wavefront_offset 0
		.amdhsa_system_sgpr_workgroup_id_x 1
		.amdhsa_system_sgpr_workgroup_id_y 0
		.amdhsa_system_sgpr_workgroup_id_z 0
		.amdhsa_system_sgpr_workgroup_info 0
		.amdhsa_system_vgpr_workitem_id 0
		.amdhsa_next_free_vgpr 11
		.amdhsa_next_free_sgpr 16
		.amdhsa_reserve_vcc 1
		.amdhsa_reserve_flat_scratch 0
		.amdhsa_float_round_mode_32 0
		.amdhsa_float_round_mode_16_64 0
		.amdhsa_float_denorm_mode_32 3
		.amdhsa_float_denorm_mode_16_64 3
		.amdhsa_dx10_clamp 1
		.amdhsa_ieee_mode 1
		.amdhsa_fp16_overflow 0
		.amdhsa_exception_fp_ieee_invalid_op 0
		.amdhsa_exception_fp_denorm_src 0
		.amdhsa_exception_fp_ieee_div_zero 0
		.amdhsa_exception_fp_ieee_overflow 0
		.amdhsa_exception_fp_ieee_underflow 0
		.amdhsa_exception_fp_ieee_inexact 0
		.amdhsa_exception_int_div_zero 0
	.end_amdhsa_kernel
	.section	.text._ZN2at6native27unrolled_elementwise_kernelINS0_13AUnaryFunctorIfffZNS0_12_GLOBAL__N_121threshold_kernel_implIfEEvRNS_18TensorIteratorBaseET_S7_EUlffE_EESt5arrayIPcLm2EELi4E23TrivialOffsetCalculatorILi1EjESE_NS0_6memory15LoadWithoutCastENSF_16StoreWithoutCastEEEviS7_T0_T2_T3_T4_T5_,"axG",@progbits,_ZN2at6native27unrolled_elementwise_kernelINS0_13AUnaryFunctorIfffZNS0_12_GLOBAL__N_121threshold_kernel_implIfEEvRNS_18TensorIteratorBaseET_S7_EUlffE_EESt5arrayIPcLm2EELi4E23TrivialOffsetCalculatorILi1EjESE_NS0_6memory15LoadWithoutCastENSF_16StoreWithoutCastEEEviS7_T0_T2_T3_T4_T5_,comdat
.Lfunc_end148:
	.size	_ZN2at6native27unrolled_elementwise_kernelINS0_13AUnaryFunctorIfffZNS0_12_GLOBAL__N_121threshold_kernel_implIfEEvRNS_18TensorIteratorBaseET_S7_EUlffE_EESt5arrayIPcLm2EELi4E23TrivialOffsetCalculatorILi1EjESE_NS0_6memory15LoadWithoutCastENSF_16StoreWithoutCastEEEviS7_T0_T2_T3_T4_T5_, .Lfunc_end148-_ZN2at6native27unrolled_elementwise_kernelINS0_13AUnaryFunctorIfffZNS0_12_GLOBAL__N_121threshold_kernel_implIfEEvRNS_18TensorIteratorBaseET_S7_EUlffE_EESt5arrayIPcLm2EELi4E23TrivialOffsetCalculatorILi1EjESE_NS0_6memory15LoadWithoutCastENSF_16StoreWithoutCastEEEviS7_T0_T2_T3_T4_T5_
                                        ; -- End function
	.set _ZN2at6native27unrolled_elementwise_kernelINS0_13AUnaryFunctorIfffZNS0_12_GLOBAL__N_121threshold_kernel_implIfEEvRNS_18TensorIteratorBaseET_S7_EUlffE_EESt5arrayIPcLm2EELi4E23TrivialOffsetCalculatorILi1EjESE_NS0_6memory15LoadWithoutCastENSF_16StoreWithoutCastEEEviS7_T0_T2_T3_T4_T5_.num_vgpr, 11
	.set _ZN2at6native27unrolled_elementwise_kernelINS0_13AUnaryFunctorIfffZNS0_12_GLOBAL__N_121threshold_kernel_implIfEEvRNS_18TensorIteratorBaseET_S7_EUlffE_EESt5arrayIPcLm2EELi4E23TrivialOffsetCalculatorILi1EjESE_NS0_6memory15LoadWithoutCastENSF_16StoreWithoutCastEEEviS7_T0_T2_T3_T4_T5_.num_agpr, 0
	.set _ZN2at6native27unrolled_elementwise_kernelINS0_13AUnaryFunctorIfffZNS0_12_GLOBAL__N_121threshold_kernel_implIfEEvRNS_18TensorIteratorBaseET_S7_EUlffE_EESt5arrayIPcLm2EELi4E23TrivialOffsetCalculatorILi1EjESE_NS0_6memory15LoadWithoutCastENSF_16StoreWithoutCastEEEviS7_T0_T2_T3_T4_T5_.numbered_sgpr, 16
	.set _ZN2at6native27unrolled_elementwise_kernelINS0_13AUnaryFunctorIfffZNS0_12_GLOBAL__N_121threshold_kernel_implIfEEvRNS_18TensorIteratorBaseET_S7_EUlffE_EESt5arrayIPcLm2EELi4E23TrivialOffsetCalculatorILi1EjESE_NS0_6memory15LoadWithoutCastENSF_16StoreWithoutCastEEEviS7_T0_T2_T3_T4_T5_.num_named_barrier, 0
	.set _ZN2at6native27unrolled_elementwise_kernelINS0_13AUnaryFunctorIfffZNS0_12_GLOBAL__N_121threshold_kernel_implIfEEvRNS_18TensorIteratorBaseET_S7_EUlffE_EESt5arrayIPcLm2EELi4E23TrivialOffsetCalculatorILi1EjESE_NS0_6memory15LoadWithoutCastENSF_16StoreWithoutCastEEEviS7_T0_T2_T3_T4_T5_.private_seg_size, 0
	.set _ZN2at6native27unrolled_elementwise_kernelINS0_13AUnaryFunctorIfffZNS0_12_GLOBAL__N_121threshold_kernel_implIfEEvRNS_18TensorIteratorBaseET_S7_EUlffE_EESt5arrayIPcLm2EELi4E23TrivialOffsetCalculatorILi1EjESE_NS0_6memory15LoadWithoutCastENSF_16StoreWithoutCastEEEviS7_T0_T2_T3_T4_T5_.uses_vcc, 1
	.set _ZN2at6native27unrolled_elementwise_kernelINS0_13AUnaryFunctorIfffZNS0_12_GLOBAL__N_121threshold_kernel_implIfEEvRNS_18TensorIteratorBaseET_S7_EUlffE_EESt5arrayIPcLm2EELi4E23TrivialOffsetCalculatorILi1EjESE_NS0_6memory15LoadWithoutCastENSF_16StoreWithoutCastEEEviS7_T0_T2_T3_T4_T5_.uses_flat_scratch, 0
	.set _ZN2at6native27unrolled_elementwise_kernelINS0_13AUnaryFunctorIfffZNS0_12_GLOBAL__N_121threshold_kernel_implIfEEvRNS_18TensorIteratorBaseET_S7_EUlffE_EESt5arrayIPcLm2EELi4E23TrivialOffsetCalculatorILi1EjESE_NS0_6memory15LoadWithoutCastENSF_16StoreWithoutCastEEEviS7_T0_T2_T3_T4_T5_.has_dyn_sized_stack, 0
	.set _ZN2at6native27unrolled_elementwise_kernelINS0_13AUnaryFunctorIfffZNS0_12_GLOBAL__N_121threshold_kernel_implIfEEvRNS_18TensorIteratorBaseET_S7_EUlffE_EESt5arrayIPcLm2EELi4E23TrivialOffsetCalculatorILi1EjESE_NS0_6memory15LoadWithoutCastENSF_16StoreWithoutCastEEEviS7_T0_T2_T3_T4_T5_.has_recursion, 0
	.set _ZN2at6native27unrolled_elementwise_kernelINS0_13AUnaryFunctorIfffZNS0_12_GLOBAL__N_121threshold_kernel_implIfEEvRNS_18TensorIteratorBaseET_S7_EUlffE_EESt5arrayIPcLm2EELi4E23TrivialOffsetCalculatorILi1EjESE_NS0_6memory15LoadWithoutCastENSF_16StoreWithoutCastEEEviS7_T0_T2_T3_T4_T5_.has_indirect_call, 0
	.section	.AMDGPU.csdata,"",@progbits
; Kernel info:
; codeLenInByte = 724
; TotalNumSgprs: 20
; NumVgprs: 11
; ScratchSize: 0
; MemoryBound: 0
; FloatMode: 240
; IeeeMode: 1
; LDSByteSize: 0 bytes/workgroup (compile time only)
; SGPRBlocks: 2
; VGPRBlocks: 2
; NumSGPRsForWavesPerEU: 20
; NumVGPRsForWavesPerEU: 11
; Occupancy: 10
; WaveLimiterHint : 0
; COMPUTE_PGM_RSRC2:SCRATCH_EN: 0
; COMPUTE_PGM_RSRC2:USER_SGPR: 6
; COMPUTE_PGM_RSRC2:TRAP_HANDLER: 0
; COMPUTE_PGM_RSRC2:TGID_X_EN: 1
; COMPUTE_PGM_RSRC2:TGID_Y_EN: 0
; COMPUTE_PGM_RSRC2:TGID_Z_EN: 0
; COMPUTE_PGM_RSRC2:TIDIG_COMP_CNT: 0
	.section	.text._ZN2at6native32elementwise_kernel_manual_unrollILi128ELi4EZNS0_22gpu_kernel_impl_nocastINS0_13AUnaryFunctorIfffZNS0_12_GLOBAL__N_121threshold_kernel_implIfEEvRNS_18TensorIteratorBaseET_S8_EUlffE_EEEEvS7_RKS8_EUlibE_EEviT1_,"axG",@progbits,_ZN2at6native32elementwise_kernel_manual_unrollILi128ELi4EZNS0_22gpu_kernel_impl_nocastINS0_13AUnaryFunctorIfffZNS0_12_GLOBAL__N_121threshold_kernel_implIfEEvRNS_18TensorIteratorBaseET_S8_EUlffE_EEEEvS7_RKS8_EUlibE_EEviT1_,comdat
	.globl	_ZN2at6native32elementwise_kernel_manual_unrollILi128ELi4EZNS0_22gpu_kernel_impl_nocastINS0_13AUnaryFunctorIfffZNS0_12_GLOBAL__N_121threshold_kernel_implIfEEvRNS_18TensorIteratorBaseET_S8_EUlffE_EEEEvS7_RKS8_EUlibE_EEviT1_ ; -- Begin function _ZN2at6native32elementwise_kernel_manual_unrollILi128ELi4EZNS0_22gpu_kernel_impl_nocastINS0_13AUnaryFunctorIfffZNS0_12_GLOBAL__N_121threshold_kernel_implIfEEvRNS_18TensorIteratorBaseET_S8_EUlffE_EEEEvS7_RKS8_EUlibE_EEviT1_
	.p2align	8
	.type	_ZN2at6native32elementwise_kernel_manual_unrollILi128ELi4EZNS0_22gpu_kernel_impl_nocastINS0_13AUnaryFunctorIfffZNS0_12_GLOBAL__N_121threshold_kernel_implIfEEvRNS_18TensorIteratorBaseET_S8_EUlffE_EEEEvS7_RKS8_EUlibE_EEviT1_,@function
_ZN2at6native32elementwise_kernel_manual_unrollILi128ELi4EZNS0_22gpu_kernel_impl_nocastINS0_13AUnaryFunctorIfffZNS0_12_GLOBAL__N_121threshold_kernel_implIfEEvRNS_18TensorIteratorBaseET_S8_EUlffE_EEEEvS7_RKS8_EUlibE_EEviT1_: ; @_ZN2at6native32elementwise_kernel_manual_unrollILi128ELi4EZNS0_22gpu_kernel_impl_nocastINS0_13AUnaryFunctorIfffZNS0_12_GLOBAL__N_121threshold_kernel_implIfEEvRNS_18TensorIteratorBaseET_S8_EUlffE_EEEEvS7_RKS8_EUlibE_EEviT1_
; %bb.0:
	s_load_dword s59, s[4:5], 0x0
	s_load_dword s33, s[4:5], 0x8
	s_add_u32 s34, s4, 8
	s_addc_u32 s35, s5, 0
	v_lshl_or_b32 v7, s6, 9, v0
	v_or_b32_e32 v13, 0x180, v7
	s_waitcnt lgkmcnt(0)
	s_add_i32 s58, s33, -1
	s_cmp_gt_u32 s58, 1
	v_cmp_le_i32_e32 vcc, s59, v13
	s_cselect_b64 s[2:3], -1, 0
	s_and_saveexec_b64 s[0:1], vcc
	s_xor_b64 s[44:45], exec, s[0:1]
	s_cbranch_execz .LBB149_7
; %bb.1:
	s_cmp_lg_u32 s33, 0
	s_cselect_b64 s[52:53], -1, 0
	s_add_u32 s50, s34, 0xc4
	s_load_dwordx8 s[4:11], s[34:35], 0x148
	s_load_dwordx4 s[36:39], s[34:35], 0x4
	s_load_dwordx2 s[46:47], s[34:35], 0x14
	s_load_dwordx4 s[28:31], s[34:35], 0xc4
	s_addc_u32 s51, s35, 0
	s_min_u32 s60, s58, 15
	s_cmp_gt_u32 s33, 1
	s_waitcnt lgkmcnt(0)
	v_mov_b32_e32 v0, s8
	s_cselect_b64 s[48:49], -1, 0
	v_cmp_nle_f32_e64 s[0:1], s10, v0
	v_cmp_gt_i32_e32 vcc, s59, v7
	s_and_saveexec_b64 s[10:11], vcc
	s_cbranch_execz .LBB149_14
; %bb.2:
	s_andn2_b64 vcc, exec, s[2:3]
	s_cbranch_vccnz .LBB149_21
; %bb.3:
	s_andn2_b64 vcc, exec, s[52:53]
	s_cbranch_vccnz .LBB149_73
; %bb.4:
	s_add_i32 s61, s60, 1
	s_cmp_eq_u32 s58, 2
	s_cbranch_scc1 .LBB149_75
; %bb.5:
	s_and_b32 s8, s61, 28
	v_mov_b32_e32 v2, 0
	s_mov_b32 s62, 0
	s_mov_b64 s[54:55], s[34:35]
	s_mov_b64 s[56:57], s[50:51]
	v_mov_b32_e32 v0, 0
	v_mov_b32_e32 v1, v7
.LBB149_6:                              ; =>This Inner Loop Header: Depth=1
	s_load_dwordx8 s[20:27], s[54:55], 0x4
	s_load_dwordx4 s[40:43], s[54:55], 0x24
	s_load_dwordx8 s[12:19], s[56:57], 0x0
	s_add_u32 s54, s54, 48
	s_addc_u32 s55, s55, 0
	s_waitcnt lgkmcnt(0)
	v_mul_hi_u32 v3, s21, v1
	s_add_i32 s62, s62, 4
	s_add_u32 s56, s56, 32
	s_addc_u32 s57, s57, 0
	v_add_u32_e32 v3, v1, v3
	v_lshrrev_b32_e32 v3, s22, v3
	v_mul_lo_u32 v4, v3, s20
	v_mul_hi_u32 v5, s24, v3
	s_cmp_lg_u32 s8, s62
	v_sub_u32_e32 v1, v1, v4
	v_add_u32_e32 v4, v3, v5
	v_mul_lo_u32 v5, v1, s12
	v_mul_lo_u32 v6, v1, s13
	v_lshrrev_b32_e32 v1, s25, v4
	v_mul_lo_u32 v4, v1, s23
	v_mul_hi_u32 v8, s27, v1
	v_sub_u32_e32 v3, v3, v4
	v_add_u32_e32 v4, v1, v8
	v_lshrrev_b32_e32 v4, s40, v4
	v_mul_hi_u32 v9, s42, v4
	v_mul_lo_u32 v10, v4, s26
	v_mul_lo_u32 v8, v3, s14
	;; [unrolled: 1-line block ×3, first 2 shown]
	v_sub_u32_e32 v10, v1, v10
	v_add_u32_e32 v1, v4, v9
	v_lshrrev_b32_e32 v1, s43, v1
	v_mul_lo_u32 v9, v1, s41
	v_mul_lo_u32 v11, v10, s16
	;; [unrolled: 1-line block ×3, first 2 shown]
	v_add3_u32 v0, v5, v0, v8
	v_sub_u32_e32 v4, v4, v9
	v_mul_lo_u32 v9, v4, s18
	v_mul_lo_u32 v4, v4, s19
	v_add3_u32 v2, v6, v2, v3
	v_add3_u32 v0, v11, v0, v9
	;; [unrolled: 1-line block ×3, first 2 shown]
	s_cbranch_scc1 .LBB149_6
	s_branch .LBB149_76
.LBB149_7:
	s_andn2_saveexec_b64 s[0:1], s[44:45]
	s_cbranch_execz .LBB149_101
.LBB149_8:
	v_cndmask_b32_e64 v0, 0, 1, s[2:3]
	v_cmp_ne_u32_e64 s[0:1], 1, v0
	s_andn2_b64 vcc, exec, s[2:3]
	s_cbranch_vccnz .LBB149_20
; %bb.9:
	s_cmp_lg_u32 s33, 0
	s_mov_b32 s26, 0
	s_cbranch_scc0 .LBB149_23
; %bb.10:
	s_min_u32 s27, s58, 15
	s_add_i32 s27, s27, 1
	s_cmp_eq_u32 s58, 2
	s_cbranch_scc1 .LBB149_24
; %bb.11:
	s_and_b32 s26, s27, 28
	s_add_u32 s2, s34, 0xc4
	s_addc_u32 s3, s35, 0
	v_mov_b32_e32 v2, 0
	s_mov_b32 s28, 0
	s_mov_b64 s[24:25], s[34:35]
	v_mov_b32_e32 v0, 0
	v_mov_b32_e32 v1, v7
.LBB149_12:                             ; =>This Inner Loop Header: Depth=1
	s_load_dwordx8 s[12:19], s[24:25], 0x4
	s_load_dwordx4 s[20:23], s[24:25], 0x24
	s_load_dwordx8 s[4:11], s[2:3], 0x0
	s_add_u32 s24, s24, 48
	s_addc_u32 s25, s25, 0
	s_waitcnt lgkmcnt(0)
	v_mul_hi_u32 v3, s13, v1
	s_add_i32 s28, s28, 4
	s_add_u32 s2, s2, 32
	s_addc_u32 s3, s3, 0
	v_add_u32_e32 v3, v1, v3
	v_lshrrev_b32_e32 v3, s14, v3
	v_mul_lo_u32 v4, v3, s12
	v_mul_hi_u32 v5, s16, v3
	s_cmp_lg_u32 s26, s28
	v_sub_u32_e32 v1, v1, v4
	v_add_u32_e32 v4, v3, v5
	v_mul_lo_u32 v5, v1, s4
	v_mul_lo_u32 v6, v1, s5
	v_lshrrev_b32_e32 v1, s17, v4
	v_mul_lo_u32 v4, v1, s15
	v_mul_hi_u32 v8, s19, v1
	v_sub_u32_e32 v3, v3, v4
	v_add_u32_e32 v4, v1, v8
	v_lshrrev_b32_e32 v4, s20, v4
	v_mul_hi_u32 v9, s22, v4
	v_mul_lo_u32 v10, v4, s18
	v_mul_lo_u32 v8, v3, s6
	;; [unrolled: 1-line block ×3, first 2 shown]
	v_sub_u32_e32 v10, v1, v10
	v_add_u32_e32 v1, v4, v9
	v_lshrrev_b32_e32 v1, s23, v1
	v_mul_lo_u32 v9, v1, s21
	v_mul_lo_u32 v11, v10, s8
	;; [unrolled: 1-line block ×3, first 2 shown]
	v_add3_u32 v0, v5, v0, v8
	v_sub_u32_e32 v4, v4, v9
	v_mul_lo_u32 v9, v4, s10
	v_mul_lo_u32 v4, v4, s11
	v_add3_u32 v2, v6, v2, v3
	v_add3_u32 v0, v11, v0, v9
	;; [unrolled: 1-line block ×3, first 2 shown]
	s_cbranch_scc1 .LBB149_12
; %bb.13:
	s_and_b32 s6, s27, 3
	s_cmp_eq_u32 s6, 0
	s_cbranch_scc0 .LBB149_25
	s_branch .LBB149_27
.LBB149_14:
	s_or_b64 exec, exec, s[10:11]
	v_cmp_gt_i32_e32 vcc, s59, v7
	s_and_saveexec_b64 s[10:11], vcc
	s_cbranch_execz .LBB149_83
.LBB149_15:
	s_andn2_b64 vcc, exec, s[2:3]
	s_cbranch_vccnz .LBB149_22
; %bb.16:
	s_andn2_b64 vcc, exec, s[52:53]
	s_cbranch_vccnz .LBB149_74
; %bb.17:
	s_add_i32 s61, s60, 1
	s_cmp_eq_u32 s58, 2
	s_cbranch_scc1 .LBB149_91
; %bb.18:
	s_and_b32 s8, s61, 28
	v_mov_b32_e32 v2, 0
	s_mov_b32 s62, 0
	s_mov_b64 s[54:55], s[34:35]
	s_mov_b64 s[56:57], s[50:51]
	v_mov_b32_e32 v0, 0
	v_mov_b32_e32 v1, v7
.LBB149_19:                             ; =>This Inner Loop Header: Depth=1
	s_load_dwordx8 s[20:27], s[54:55], 0x4
	s_load_dwordx4 s[40:43], s[54:55], 0x24
	s_load_dwordx8 s[12:19], s[56:57], 0x0
	s_add_u32 s54, s54, 48
	s_addc_u32 s55, s55, 0
	s_waitcnt lgkmcnt(0)
	v_mul_hi_u32 v3, s21, v1
	s_add_i32 s62, s62, 4
	s_add_u32 s56, s56, 32
	s_addc_u32 s57, s57, 0
	v_add_u32_e32 v3, v1, v3
	v_lshrrev_b32_e32 v3, s22, v3
	v_mul_lo_u32 v4, v3, s20
	v_mul_hi_u32 v5, s24, v3
	s_cmp_eq_u32 s8, s62
	v_sub_u32_e32 v1, v1, v4
	v_add_u32_e32 v4, v3, v5
	v_mul_lo_u32 v5, v1, s12
	v_mul_lo_u32 v6, v1, s13
	v_lshrrev_b32_e32 v1, s25, v4
	v_mul_lo_u32 v4, v1, s23
	v_mul_hi_u32 v8, s27, v1
	v_sub_u32_e32 v3, v3, v4
	v_add_u32_e32 v4, v1, v8
	v_lshrrev_b32_e32 v4, s40, v4
	v_mul_hi_u32 v9, s42, v4
	v_mul_lo_u32 v10, v4, s26
	v_mul_lo_u32 v8, v3, s14
	;; [unrolled: 1-line block ×3, first 2 shown]
	v_sub_u32_e32 v10, v1, v10
	v_add_u32_e32 v1, v4, v9
	v_lshrrev_b32_e32 v1, s43, v1
	v_mul_lo_u32 v9, v1, s41
	v_mul_lo_u32 v11, v10, s16
	;; [unrolled: 1-line block ×3, first 2 shown]
	v_add3_u32 v0, v5, v0, v8
	v_sub_u32_e32 v4, v4, v9
	v_mul_lo_u32 v9, v4, s18
	v_mul_lo_u32 v4, v4, s19
	v_add3_u32 v2, v6, v2, v3
	v_add3_u32 v0, v11, v0, v9
	;; [unrolled: 1-line block ×3, first 2 shown]
	s_cbranch_scc0 .LBB149_19
	s_branch .LBB149_92
.LBB149_20:
                                        ; implicit-def: $vgpr0
                                        ; implicit-def: $vgpr2
	s_branch .LBB149_28
.LBB149_21:
                                        ; implicit-def: $vgpr0
                                        ; implicit-def: $vgpr2
	s_branch .LBB149_80
.LBB149_22:
                                        ; implicit-def: $vgpr0
                                        ; implicit-def: $vgpr2
	s_branch .LBB149_96
.LBB149_23:
	v_mov_b32_e32 v0, 0
	v_mov_b32_e32 v2, 0
	s_branch .LBB149_27
.LBB149_24:
	v_mov_b32_e32 v0, 0
	v_mov_b32_e32 v2, 0
	;; [unrolled: 1-line block ×3, first 2 shown]
	s_and_b32 s6, s27, 3
	s_cmp_eq_u32 s6, 0
	s_cbranch_scc1 .LBB149_27
.LBB149_25:
	s_lshl_b32 s2, s26, 3
	s_add_u32 s2, s34, s2
	s_addc_u32 s3, s35, 0
	s_add_u32 s2, s2, 0xc4
	s_addc_u32 s3, s3, 0
	s_mul_i32 s4, s26, 12
	s_add_u32 s4, s34, s4
	s_addc_u32 s5, s35, 0
.LBB149_26:                             ; =>This Inner Loop Header: Depth=1
	s_load_dwordx2 s[8:9], s[4:5], 0x4
	s_load_dword s7, s[4:5], 0xc
	s_load_dwordx2 s[10:11], s[2:3], 0x0
	s_add_u32 s4, s4, 12
	s_addc_u32 s5, s5, 0
	s_waitcnt lgkmcnt(0)
	v_mul_hi_u32 v4, s9, v1
	s_add_u32 s2, s2, 8
	s_addc_u32 s3, s3, 0
	s_add_i32 s6, s6, -1
	v_add_u32_e32 v4, v1, v4
	v_lshrrev_b32_e32 v4, s7, v4
	v_mul_lo_u32 v5, v4, s8
	s_cmp_lg_u32 s6, 0
	v_sub_u32_e32 v5, v1, v5
	v_mad_u64_u32 v[0:1], s[8:9], v5, s10, v[0:1]
	v_mad_u64_u32 v[2:3], s[8:9], v5, s11, v[2:3]
	v_mov_b32_e32 v1, v4
	s_cbranch_scc1 .LBB149_26
.LBB149_27:
	s_cbranch_execnz .LBB149_30
.LBB149_28:
	s_load_dwordx4 s[4:7], s[34:35], 0x4
	s_load_dwordx2 s[2:3], s[34:35], 0xc4
	s_cmp_lt_u32 s33, 2
	s_waitcnt lgkmcnt(0)
	v_mul_hi_u32 v0, s5, v7
	v_add_u32_e32 v0, v7, v0
	v_lshrrev_b32_e32 v1, s6, v0
	v_mul_lo_u32 v0, v1, s4
	v_sub_u32_e32 v2, v7, v0
	v_mul_lo_u32 v0, v2, s2
	v_mul_lo_u32 v2, v2, s3
	s_cbranch_scc1 .LBB149_30
; %bb.29:
	s_load_dwordx4 s[4:7], s[34:35], 0x10
	s_load_dwordx2 s[2:3], s[34:35], 0xcc
	s_waitcnt lgkmcnt(0)
	v_mul_hi_u32 v3, s5, v1
	v_add_u32_e32 v3, v1, v3
	v_lshrrev_b32_e32 v3, s6, v3
	v_mul_lo_u32 v3, v3, s4
	v_sub_u32_e32 v3, v1, v3
	v_mad_u64_u32 v[0:1], s[4:5], v3, s2, v[0:1]
	v_mad_u64_u32 v[2:3], s[2:3], v3, s3, v[2:3]
.LBB149_30:
	s_and_b64 vcc, exec, s[0:1]
	v_add_u32_e32 v1, 0x80, v7
	s_cbranch_vccnz .LBB149_36
; %bb.31:
	s_cmp_lg_u32 s33, 0
	s_mov_b32 s26, 0
	s_cbranch_scc0 .LBB149_37
; %bb.32:
	s_min_u32 s27, s58, 15
	s_add_i32 s27, s27, 1
	s_cmp_eq_u32 s58, 2
	s_cbranch_scc1 .LBB149_38
; %bb.33:
	s_and_b32 s26, s27, 28
	s_add_u32 s2, s34, 0xc4
	s_addc_u32 s3, s35, 0
	v_mov_b32_e32 v5, 0
	s_mov_b32 s28, 0
	s_mov_b64 s[24:25], s[34:35]
	v_mov_b32_e32 v3, 0
	v_mov_b32_e32 v4, v1
.LBB149_34:                             ; =>This Inner Loop Header: Depth=1
	s_load_dwordx8 s[12:19], s[24:25], 0x4
	s_load_dwordx4 s[20:23], s[24:25], 0x24
	s_load_dwordx8 s[4:11], s[2:3], 0x0
	s_add_u32 s24, s24, 48
	s_addc_u32 s25, s25, 0
	s_waitcnt lgkmcnt(0)
	v_mul_hi_u32 v6, s13, v4
	s_add_i32 s28, s28, 4
	s_add_u32 s2, s2, 32
	s_addc_u32 s3, s3, 0
	v_add_u32_e32 v6, v4, v6
	v_lshrrev_b32_e32 v6, s14, v6
	v_mul_lo_u32 v8, v6, s12
	v_mul_hi_u32 v9, s16, v6
	s_cmp_lg_u32 s26, s28
	v_sub_u32_e32 v4, v4, v8
	v_add_u32_e32 v8, v6, v9
	v_mul_lo_u32 v9, v4, s4
	v_mul_lo_u32 v10, v4, s5
	v_lshrrev_b32_e32 v4, s17, v8
	v_mul_lo_u32 v8, v4, s15
	v_mul_hi_u32 v11, s19, v4
	v_sub_u32_e32 v6, v6, v8
	v_add_u32_e32 v8, v4, v11
	v_lshrrev_b32_e32 v8, s20, v8
	v_mul_hi_u32 v12, s22, v8
	v_mul_lo_u32 v14, v8, s18
	v_mul_lo_u32 v11, v6, s6
	v_mul_lo_u32 v6, v6, s7
	v_sub_u32_e32 v14, v4, v14
	v_add_u32_e32 v4, v8, v12
	v_lshrrev_b32_e32 v4, s23, v4
	v_mul_lo_u32 v12, v4, s21
	v_mul_lo_u32 v15, v14, s8
	;; [unrolled: 1-line block ×3, first 2 shown]
	v_add3_u32 v3, v9, v3, v11
	v_sub_u32_e32 v8, v8, v12
	v_mul_lo_u32 v12, v8, s10
	v_mul_lo_u32 v8, v8, s11
	v_add3_u32 v5, v10, v5, v6
	v_add3_u32 v3, v15, v3, v12
	;; [unrolled: 1-line block ×3, first 2 shown]
	s_cbranch_scc1 .LBB149_34
; %bb.35:
	s_and_b32 s6, s27, 3
	s_cmp_eq_u32 s6, 0
	s_cbranch_scc0 .LBB149_39
	s_branch .LBB149_41
.LBB149_36:
                                        ; implicit-def: $vgpr3
                                        ; implicit-def: $vgpr5
	s_branch .LBB149_42
.LBB149_37:
	v_mov_b32_e32 v3, 0
	v_mov_b32_e32 v5, 0
	s_branch .LBB149_41
.LBB149_38:
	v_mov_b32_e32 v3, 0
	v_mov_b32_e32 v5, 0
	;; [unrolled: 1-line block ×3, first 2 shown]
	s_and_b32 s6, s27, 3
	s_cmp_eq_u32 s6, 0
	s_cbranch_scc1 .LBB149_41
.LBB149_39:
	s_lshl_b32 s2, s26, 3
	s_add_u32 s2, s34, s2
	s_addc_u32 s3, s35, 0
	s_add_u32 s2, s2, 0xc4
	s_addc_u32 s3, s3, 0
	s_mul_i32 s4, s26, 12
	s_add_u32 s4, s34, s4
	s_addc_u32 s5, s35, 0
.LBB149_40:                             ; =>This Inner Loop Header: Depth=1
	s_load_dwordx2 s[8:9], s[4:5], 0x4
	s_load_dword s7, s[4:5], 0xc
	s_load_dwordx2 s[10:11], s[2:3], 0x0
	s_add_u32 s4, s4, 12
	s_addc_u32 s5, s5, 0
	s_waitcnt lgkmcnt(0)
	v_mul_hi_u32 v8, s9, v4
	s_add_u32 s2, s2, 8
	s_addc_u32 s3, s3, 0
	s_add_i32 s6, s6, -1
	v_add_u32_e32 v8, v4, v8
	v_lshrrev_b32_e32 v8, s7, v8
	v_mul_lo_u32 v9, v8, s8
	s_cmp_lg_u32 s6, 0
	v_sub_u32_e32 v9, v4, v9
	v_mad_u64_u32 v[3:4], s[8:9], v9, s10, v[3:4]
	v_mad_u64_u32 v[5:6], s[8:9], v9, s11, v[5:6]
	v_mov_b32_e32 v4, v8
	s_cbranch_scc1 .LBB149_40
.LBB149_41:
	s_cbranch_execnz .LBB149_44
.LBB149_42:
	s_load_dwordx4 s[4:7], s[34:35], 0x4
	s_load_dwordx2 s[2:3], s[34:35], 0xc4
	s_cmp_lt_u32 s33, 2
	s_waitcnt lgkmcnt(0)
	v_mul_hi_u32 v3, s5, v1
	v_add_u32_e32 v3, v1, v3
	v_lshrrev_b32_e32 v4, s6, v3
	v_mul_lo_u32 v3, v4, s4
	v_sub_u32_e32 v1, v1, v3
	v_mul_lo_u32 v3, v1, s2
	v_mul_lo_u32 v5, v1, s3
	s_cbranch_scc1 .LBB149_44
; %bb.43:
	s_load_dwordx4 s[4:7], s[34:35], 0x10
	s_load_dwordx2 s[2:3], s[34:35], 0xcc
	s_waitcnt lgkmcnt(0)
	v_mul_hi_u32 v1, s5, v4
	v_add_u32_e32 v1, v4, v1
	v_lshrrev_b32_e32 v1, s6, v1
	v_mul_lo_u32 v1, v1, s4
	v_sub_u32_e32 v1, v4, v1
	v_mad_u64_u32 v[3:4], s[4:5], v1, s2, v[3:4]
	v_mad_u64_u32 v[5:6], s[2:3], v1, s3, v[5:6]
.LBB149_44:
	s_and_b64 vcc, exec, s[0:1]
	v_add_u32_e32 v1, 0x100, v7
	s_cbranch_vccnz .LBB149_50
; %bb.45:
	s_cmp_lg_u32 s33, 0
	s_mov_b32 s26, 0
	s_cbranch_scc0 .LBB149_51
; %bb.46:
	s_min_u32 s27, s58, 15
	s_add_i32 s27, s27, 1
	s_cmp_eq_u32 s58, 2
	s_cbranch_scc1 .LBB149_52
; %bb.47:
	s_and_b32 s26, s27, 28
	s_add_u32 s2, s34, 0xc4
	s_addc_u32 s3, s35, 0
	v_mov_b32_e32 v8, 0
	s_mov_b32 s28, 0
	s_mov_b64 s[24:25], s[34:35]
	v_mov_b32_e32 v6, 0
	v_mov_b32_e32 v4, v1
.LBB149_48:                             ; =>This Inner Loop Header: Depth=1
	s_load_dwordx8 s[12:19], s[24:25], 0x4
	s_load_dwordx4 s[20:23], s[24:25], 0x24
	s_load_dwordx8 s[4:11], s[2:3], 0x0
	s_add_u32 s24, s24, 48
	s_addc_u32 s25, s25, 0
	s_waitcnt lgkmcnt(0)
	v_mul_hi_u32 v7, s13, v4
	s_add_i32 s28, s28, 4
	s_add_u32 s2, s2, 32
	s_addc_u32 s3, s3, 0
	v_add_u32_e32 v7, v4, v7
	v_lshrrev_b32_e32 v7, s14, v7
	v_mul_lo_u32 v9, v7, s12
	v_mul_hi_u32 v10, s16, v7
	s_cmp_lg_u32 s26, s28
	v_sub_u32_e32 v4, v4, v9
	v_add_u32_e32 v9, v7, v10
	v_mul_lo_u32 v10, v4, s4
	v_mul_lo_u32 v11, v4, s5
	v_lshrrev_b32_e32 v4, s17, v9
	v_mul_lo_u32 v9, v4, s15
	v_mul_hi_u32 v12, s19, v4
	v_sub_u32_e32 v7, v7, v9
	v_add_u32_e32 v9, v4, v12
	v_lshrrev_b32_e32 v9, s20, v9
	v_mul_hi_u32 v14, s22, v9
	v_mul_lo_u32 v15, v9, s18
	v_mul_lo_u32 v12, v7, s6
	;; [unrolled: 1-line block ×3, first 2 shown]
	v_sub_u32_e32 v15, v4, v15
	v_add_u32_e32 v4, v9, v14
	v_lshrrev_b32_e32 v4, s23, v4
	v_mul_lo_u32 v14, v4, s21
	v_mul_lo_u32 v16, v15, s8
	;; [unrolled: 1-line block ×3, first 2 shown]
	v_add3_u32 v6, v10, v6, v12
	v_sub_u32_e32 v9, v9, v14
	v_mul_lo_u32 v14, v9, s10
	v_mul_lo_u32 v9, v9, s11
	v_add3_u32 v7, v11, v8, v7
	v_add3_u32 v6, v16, v6, v14
	;; [unrolled: 1-line block ×3, first 2 shown]
	s_cbranch_scc1 .LBB149_48
; %bb.49:
	s_and_b32 s6, s27, 3
	s_cmp_eq_u32 s6, 0
	s_cbranch_scc0 .LBB149_53
	s_branch .LBB149_55
.LBB149_50:
                                        ; implicit-def: $vgpr6
                                        ; implicit-def: $vgpr8
	s_branch .LBB149_56
.LBB149_51:
	v_mov_b32_e32 v6, 0
	v_mov_b32_e32 v8, 0
	s_branch .LBB149_55
.LBB149_52:
	v_mov_b32_e32 v6, 0
	v_mov_b32_e32 v8, 0
	;; [unrolled: 1-line block ×3, first 2 shown]
	s_and_b32 s6, s27, 3
	s_cmp_eq_u32 s6, 0
	s_cbranch_scc1 .LBB149_55
.LBB149_53:
	s_lshl_b32 s2, s26, 3
	s_add_u32 s2, s34, s2
	s_addc_u32 s3, s35, 0
	s_add_u32 s2, s2, 0xc4
	s_addc_u32 s3, s3, 0
	s_mul_i32 s4, s26, 12
	s_add_u32 s4, s34, s4
	s_addc_u32 s5, s35, 0
.LBB149_54:                             ; =>This Inner Loop Header: Depth=1
	s_load_dwordx2 s[8:9], s[4:5], 0x4
	s_load_dword s7, s[4:5], 0xc
	s_load_dwordx2 s[10:11], s[2:3], 0x0
	s_add_u32 s4, s4, 12
	s_addc_u32 s5, s5, 0
	s_waitcnt lgkmcnt(0)
	v_mul_hi_u32 v7, s9, v4
	s_add_u32 s2, s2, 8
	s_addc_u32 s3, s3, 0
	s_add_i32 s6, s6, -1
	v_add_u32_e32 v7, v4, v7
	v_lshrrev_b32_e32 v10, s7, v7
	v_mul_lo_u32 v7, v10, s8
	s_cmp_lg_u32 s6, 0
	v_sub_u32_e32 v4, v4, v7
	v_mad_u64_u32 v[6:7], s[8:9], v4, s10, v[6:7]
	v_mad_u64_u32 v[8:9], s[8:9], v4, s11, v[8:9]
	v_mov_b32_e32 v4, v10
	s_cbranch_scc1 .LBB149_54
.LBB149_55:
	s_cbranch_execnz .LBB149_58
.LBB149_56:
	s_load_dwordx4 s[4:7], s[34:35], 0x4
	s_load_dwordx2 s[2:3], s[34:35], 0xc4
	s_cmp_lt_u32 s33, 2
	s_waitcnt lgkmcnt(0)
	v_mul_hi_u32 v4, s5, v1
	v_add_u32_e32 v4, v1, v4
	v_lshrrev_b32_e32 v4, s6, v4
	v_mul_lo_u32 v6, v4, s4
	v_sub_u32_e32 v1, v1, v6
	v_mul_lo_u32 v6, v1, s2
	v_mul_lo_u32 v8, v1, s3
	s_cbranch_scc1 .LBB149_58
; %bb.57:
	s_load_dwordx4 s[4:7], s[34:35], 0x10
	s_load_dwordx2 s[2:3], s[34:35], 0xcc
	s_waitcnt lgkmcnt(0)
	v_mul_hi_u32 v1, s5, v4
	v_add_u32_e32 v1, v4, v1
	v_lshrrev_b32_e32 v1, s6, v1
	v_mul_lo_u32 v1, v1, s4
	v_sub_u32_e32 v1, v4, v1
	v_mad_u64_u32 v[6:7], s[4:5], v1, s2, v[6:7]
	v_mad_u64_u32 v[8:9], s[2:3], v1, s3, v[8:9]
.LBB149_58:
	s_and_b64 vcc, exec, s[0:1]
	s_cbranch_vccnz .LBB149_64
; %bb.59:
	s_cmp_lg_u32 s33, 0
	s_mov_b32 s24, 0
	s_cbranch_scc0 .LBB149_65
; %bb.60:
	s_min_u32 s25, s58, 15
	s_add_i32 s25, s25, 1
	s_cmp_eq_u32 s58, 2
	s_cbranch_scc1 .LBB149_66
; %bb.61:
	s_and_b32 s24, s25, 28
	s_add_u32 s20, s34, 0xc4
	s_addc_u32 s21, s35, 0
	v_mov_b32_e32 v11, 0
	s_mov_b32 s26, 0
	s_mov_b64 s[22:23], s[34:35]
	v_mov_b32_e32 v9, 0
	v_mov_b32_e32 v1, v13
.LBB149_62:                             ; =>This Inner Loop Header: Depth=1
	s_load_dwordx8 s[8:15], s[22:23], 0x4
	s_load_dwordx4 s[16:19], s[22:23], 0x24
	s_load_dwordx8 s[0:7], s[20:21], 0x0
	s_add_u32 s22, s22, 48
	s_addc_u32 s23, s23, 0
	s_waitcnt lgkmcnt(0)
	v_mul_hi_u32 v4, s9, v1
	s_add_i32 s26, s26, 4
	s_add_u32 s20, s20, 32
	s_addc_u32 s21, s21, 0
	v_add_u32_e32 v4, v1, v4
	v_lshrrev_b32_e32 v4, s10, v4
	v_mul_lo_u32 v7, v4, s8
	v_mul_hi_u32 v10, s12, v4
	s_cmp_lg_u32 s24, s26
	v_sub_u32_e32 v1, v1, v7
	v_add_u32_e32 v7, v4, v10
	v_mul_lo_u32 v10, v1, s0
	v_mul_lo_u32 v12, v1, s1
	v_lshrrev_b32_e32 v1, s13, v7
	v_mul_lo_u32 v7, v1, s11
	v_mul_hi_u32 v14, s15, v1
	v_sub_u32_e32 v4, v4, v7
	v_add_u32_e32 v7, v1, v14
	v_lshrrev_b32_e32 v7, s16, v7
	v_mul_hi_u32 v15, s18, v7
	v_mul_lo_u32 v16, v7, s14
	v_mul_lo_u32 v14, v4, s2
	;; [unrolled: 1-line block ×3, first 2 shown]
	v_sub_u32_e32 v16, v1, v16
	v_add_u32_e32 v1, v7, v15
	v_lshrrev_b32_e32 v1, s19, v1
	v_mul_lo_u32 v15, v1, s17
	v_mul_lo_u32 v17, v16, s4
	;; [unrolled: 1-line block ×3, first 2 shown]
	v_add3_u32 v9, v10, v9, v14
	v_sub_u32_e32 v7, v7, v15
	v_mul_lo_u32 v15, v7, s6
	v_mul_lo_u32 v7, v7, s7
	v_add3_u32 v4, v12, v11, v4
	v_add3_u32 v9, v17, v9, v15
	v_add3_u32 v11, v16, v4, v7
	s_cbranch_scc1 .LBB149_62
; %bb.63:
	s_and_b32 s4, s25, 3
	s_cmp_eq_u32 s4, 0
	s_cbranch_scc0 .LBB149_67
	s_branch .LBB149_69
.LBB149_64:
                                        ; implicit-def: $vgpr9
                                        ; implicit-def: $vgpr11
	s_branch .LBB149_70
.LBB149_65:
	v_mov_b32_e32 v9, 0
	v_mov_b32_e32 v11, 0
	s_branch .LBB149_69
.LBB149_66:
	v_mov_b32_e32 v9, 0
	v_mov_b32_e32 v11, 0
	;; [unrolled: 1-line block ×3, first 2 shown]
	s_and_b32 s4, s25, 3
	s_cmp_eq_u32 s4, 0
	s_cbranch_scc1 .LBB149_69
.LBB149_67:
	s_lshl_b32 s0, s24, 3
	s_add_u32 s0, s34, s0
	s_addc_u32 s1, s35, 0
	s_add_u32 s0, s0, 0xc4
	s_addc_u32 s1, s1, 0
	s_mul_i32 s2, s24, 12
	s_add_u32 s2, s34, s2
	s_addc_u32 s3, s35, 0
.LBB149_68:                             ; =>This Inner Loop Header: Depth=1
	s_load_dwordx2 s[6:7], s[2:3], 0x4
	s_load_dword s5, s[2:3], 0xc
	s_load_dwordx2 s[8:9], s[0:1], 0x0
	s_add_u32 s2, s2, 12
	s_addc_u32 s3, s3, 0
	s_waitcnt lgkmcnt(0)
	v_mul_hi_u32 v4, s7, v1
	s_add_u32 s0, s0, 8
	s_addc_u32 s1, s1, 0
	s_add_i32 s4, s4, -1
	v_add_u32_e32 v4, v1, v4
	v_lshrrev_b32_e32 v4, s5, v4
	v_mul_lo_u32 v7, v4, s6
	s_cmp_lg_u32 s4, 0
	v_sub_u32_e32 v1, v1, v7
	v_mad_u64_u32 v[9:10], s[6:7], v1, s8, v[9:10]
	v_mad_u64_u32 v[11:12], s[6:7], v1, s9, v[11:12]
	v_mov_b32_e32 v1, v4
	s_cbranch_scc1 .LBB149_68
.LBB149_69:
	s_cbranch_execnz .LBB149_72
.LBB149_70:
	s_load_dwordx4 s[0:3], s[34:35], 0x4
	s_load_dwordx2 s[4:5], s[34:35], 0xc4
	s_cmp_lt_u32 s33, 2
	s_waitcnt lgkmcnt(0)
	v_mul_hi_u32 v1, s1, v13
	v_add_u32_e32 v1, v13, v1
	v_lshrrev_b32_e32 v1, s2, v1
	v_mul_lo_u32 v4, v1, s0
	v_sub_u32_e32 v4, v13, v4
	v_mul_lo_u32 v9, v4, s4
	v_mul_lo_u32 v11, v4, s5
	s_cbranch_scc1 .LBB149_72
; %bb.71:
	s_load_dwordx4 s[0:3], s[34:35], 0x10
	s_load_dwordx2 s[4:5], s[34:35], 0xcc
	s_waitcnt lgkmcnt(0)
	v_mul_hi_u32 v4, s1, v1
	v_add_u32_e32 v4, v1, v4
	v_lshrrev_b32_e32 v4, s2, v4
	v_mul_lo_u32 v4, v4, s0
	v_sub_u32_e32 v1, v1, v4
	v_mad_u64_u32 v[9:10], s[0:1], v1, s4, v[9:10]
	v_mad_u64_u32 v[11:12], s[0:1], v1, s5, v[11:12]
.LBB149_72:
	s_load_dwordx8 s[0:7], s[34:35], 0x148
	s_waitcnt lgkmcnt(0)
	global_load_dword v1, v2, s[2:3]
	global_load_dword v4, v5, s[2:3]
	;; [unrolled: 1-line block ×4, first 2 shown]
	v_mov_b32_e32 v2, s4
	v_mov_b32_e32 v5, s5
	v_cmp_nle_f32_e32 vcc, s6, v2
	s_waitcnt vmcnt(3)
	v_cndmask_b32_e32 v1, v5, v1, vcc
	s_waitcnt vmcnt(2)
	v_cndmask_b32_e32 v2, v5, v4, vcc
	;; [unrolled: 2-line block ×4, first 2 shown]
	global_store_dword v0, v1, s[0:1]
	global_store_dword v3, v2, s[0:1]
	;; [unrolled: 1-line block ×4, first 2 shown]
	s_endpgm
.LBB149_73:
	v_mov_b32_e32 v0, 0
	v_mov_b32_e32 v2, 0
	s_branch .LBB149_79
.LBB149_74:
	v_mov_b32_e32 v0, 0
	v_mov_b32_e32 v2, 0
	s_branch .LBB149_95
.LBB149_75:
	s_mov_b32 s8, 0
	v_mov_b32_e32 v0, 0
	v_mov_b32_e32 v2, 0
	;; [unrolled: 1-line block ×3, first 2 shown]
.LBB149_76:
	s_and_b32 s16, s61, 3
	s_cmp_eq_u32 s16, 0
	s_cbranch_scc1 .LBB149_79
; %bb.77:
	s_lshl_b32 s12, s8, 3
	s_add_u32 s12, s34, s12
	s_addc_u32 s13, s35, 0
	s_add_u32 s12, s12, 0xc4
	s_addc_u32 s13, s13, 0
	s_mul_i32 s8, s8, 12
	s_add_u32 s14, s34, s8
	s_addc_u32 s15, s35, 0
.LBB149_78:                             ; =>This Inner Loop Header: Depth=1
	s_load_dwordx2 s[18:19], s[14:15], 0x4
	s_load_dword s8, s[14:15], 0xc
	s_load_dwordx2 s[20:21], s[12:13], 0x0
	s_add_u32 s14, s14, 12
	s_addc_u32 s15, s15, 0
	s_waitcnt lgkmcnt(0)
	v_mul_hi_u32 v3, s19, v1
	s_add_u32 s12, s12, 8
	s_addc_u32 s13, s13, 0
	s_add_i32 s16, s16, -1
	v_add_u32_e32 v3, v1, v3
	v_lshrrev_b32_e32 v4, s8, v3
	v_mul_lo_u32 v3, v4, s18
	s_cmp_lg_u32 s16, 0
	v_sub_u32_e32 v3, v1, v3
	v_mad_u64_u32 v[0:1], s[18:19], v3, s20, v[0:1]
	v_mad_u64_u32 v[2:3], s[18:19], v3, s21, v[2:3]
	v_mov_b32_e32 v1, v4
	s_cbranch_scc1 .LBB149_78
.LBB149_79:
	s_cbranch_execnz .LBB149_82
.LBB149_80:
	v_mul_hi_u32 v0, s37, v7
	s_andn2_b64 vcc, exec, s[48:49]
	v_add_u32_e32 v0, v7, v0
	v_lshrrev_b32_e32 v1, s38, v0
	v_mul_lo_u32 v0, v1, s36
	v_sub_u32_e32 v2, v7, v0
	v_mul_lo_u32 v0, v2, s28
	v_mul_lo_u32 v2, v2, s29
	s_cbranch_vccnz .LBB149_82
; %bb.81:
	v_mul_hi_u32 v3, s46, v1
	v_add_u32_e32 v3, v1, v3
	v_lshrrev_b32_e32 v3, s47, v3
	v_mul_lo_u32 v3, v3, s39
	v_sub_u32_e32 v3, v1, v3
	v_mad_u64_u32 v[0:1], s[12:13], v3, s30, v[0:1]
	v_mad_u64_u32 v[2:3], s[12:13], v3, s31, v[2:3]
.LBB149_82:
	global_load_dword v1, v2, s[6:7]
	v_mov_b32_e32 v2, s9
	v_add_u32_e32 v7, 0x80, v7
	s_waitcnt vmcnt(0)
	v_cndmask_b32_e64 v1, v2, v1, s[0:1]
	global_store_dword v0, v1, s[4:5]
	s_or_b64 exec, exec, s[10:11]
	v_cmp_gt_i32_e32 vcc, s59, v7
	s_and_saveexec_b64 s[10:11], vcc
	s_cbranch_execnz .LBB149_15
.LBB149_83:
	s_or_b64 exec, exec, s[10:11]
	v_cmp_gt_i32_e32 vcc, s59, v7
	s_and_saveexec_b64 s[10:11], vcc
	s_cbranch_execz .LBB149_99
.LBB149_84:
	s_andn2_b64 vcc, exec, s[2:3]
	s_cbranch_vccnz .LBB149_89
; %bb.85:
	s_andn2_b64 vcc, exec, s[52:53]
	s_cbranch_vccnz .LBB149_90
; %bb.86:
	s_add_i32 s61, s60, 1
	s_cmp_eq_u32 s58, 2
	s_cbranch_scc1 .LBB149_102
; %bb.87:
	s_and_b32 s8, s61, 28
	v_mov_b32_e32 v2, 0
	s_mov_b32 s62, 0
	s_mov_b64 s[54:55], s[34:35]
	s_mov_b64 s[56:57], s[50:51]
	v_mov_b32_e32 v0, 0
	v_mov_b32_e32 v1, v7
.LBB149_88:                             ; =>This Inner Loop Header: Depth=1
	s_load_dwordx8 s[20:27], s[54:55], 0x4
	s_load_dwordx4 s[40:43], s[54:55], 0x24
	s_load_dwordx8 s[12:19], s[56:57], 0x0
	s_add_u32 s54, s54, 48
	s_addc_u32 s55, s55, 0
	s_waitcnt lgkmcnt(0)
	v_mul_hi_u32 v3, s21, v1
	s_add_i32 s62, s62, 4
	s_add_u32 s56, s56, 32
	s_addc_u32 s57, s57, 0
	v_add_u32_e32 v3, v1, v3
	v_lshrrev_b32_e32 v3, s22, v3
	v_mul_lo_u32 v4, v3, s20
	v_mul_hi_u32 v5, s24, v3
	s_cmp_eq_u32 s8, s62
	v_sub_u32_e32 v1, v1, v4
	v_add_u32_e32 v4, v3, v5
	v_mul_lo_u32 v5, v1, s12
	v_mul_lo_u32 v6, v1, s13
	v_lshrrev_b32_e32 v1, s25, v4
	v_mul_lo_u32 v4, v1, s23
	v_mul_hi_u32 v8, s27, v1
	v_sub_u32_e32 v3, v3, v4
	v_add_u32_e32 v4, v1, v8
	v_lshrrev_b32_e32 v4, s40, v4
	v_mul_hi_u32 v9, s42, v4
	v_mul_lo_u32 v10, v4, s26
	v_mul_lo_u32 v8, v3, s14
	;; [unrolled: 1-line block ×3, first 2 shown]
	v_sub_u32_e32 v10, v1, v10
	v_add_u32_e32 v1, v4, v9
	v_lshrrev_b32_e32 v1, s43, v1
	v_mul_lo_u32 v9, v1, s41
	v_mul_lo_u32 v11, v10, s16
	;; [unrolled: 1-line block ×3, first 2 shown]
	v_add3_u32 v0, v5, v0, v8
	v_sub_u32_e32 v4, v4, v9
	v_mul_lo_u32 v9, v4, s18
	v_mul_lo_u32 v4, v4, s19
	v_add3_u32 v2, v6, v2, v3
	v_add3_u32 v0, v11, v0, v9
	;; [unrolled: 1-line block ×3, first 2 shown]
	s_cbranch_scc0 .LBB149_88
	s_branch .LBB149_103
.LBB149_89:
                                        ; implicit-def: $vgpr0
                                        ; implicit-def: $vgpr2
	s_branch .LBB149_107
.LBB149_90:
	v_mov_b32_e32 v0, 0
	v_mov_b32_e32 v2, 0
	s_branch .LBB149_106
.LBB149_91:
	s_mov_b32 s8, 0
	v_mov_b32_e32 v0, 0
	v_mov_b32_e32 v2, 0
	;; [unrolled: 1-line block ×3, first 2 shown]
.LBB149_92:
	s_and_b32 s16, s61, 3
	s_cmp_eq_u32 s16, 0
	s_cbranch_scc1 .LBB149_95
; %bb.93:
	s_lshl_b32 s12, s8, 3
	s_add_u32 s12, s34, s12
	s_addc_u32 s13, s35, 0
	s_add_u32 s12, s12, 0xc4
	s_addc_u32 s13, s13, 0
	s_mul_i32 s8, s8, 12
	s_add_u32 s14, s34, s8
	s_addc_u32 s15, s35, 0
.LBB149_94:                             ; =>This Inner Loop Header: Depth=1
	s_load_dwordx2 s[18:19], s[14:15], 0x4
	s_load_dword s8, s[14:15], 0xc
	s_load_dwordx2 s[20:21], s[12:13], 0x0
	s_add_u32 s14, s14, 12
	s_addc_u32 s15, s15, 0
	s_waitcnt lgkmcnt(0)
	v_mul_hi_u32 v3, s19, v1
	s_add_u32 s12, s12, 8
	s_addc_u32 s13, s13, 0
	s_add_i32 s16, s16, -1
	v_add_u32_e32 v3, v1, v3
	v_lshrrev_b32_e32 v4, s8, v3
	v_mul_lo_u32 v3, v4, s18
	s_cmp_lg_u32 s16, 0
	v_sub_u32_e32 v3, v1, v3
	v_mad_u64_u32 v[0:1], s[18:19], v3, s20, v[0:1]
	v_mad_u64_u32 v[2:3], s[18:19], v3, s21, v[2:3]
	v_mov_b32_e32 v1, v4
	s_cbranch_scc1 .LBB149_94
.LBB149_95:
	s_cbranch_execnz .LBB149_98
.LBB149_96:
	v_mul_hi_u32 v0, s37, v7
	s_andn2_b64 vcc, exec, s[48:49]
	v_add_u32_e32 v0, v7, v0
	v_lshrrev_b32_e32 v1, s38, v0
	v_mul_lo_u32 v0, v1, s36
	v_sub_u32_e32 v2, v7, v0
	v_mul_lo_u32 v0, v2, s28
	v_mul_lo_u32 v2, v2, s29
	s_cbranch_vccnz .LBB149_98
; %bb.97:
	v_mul_hi_u32 v3, s46, v1
	v_add_u32_e32 v3, v1, v3
	v_lshrrev_b32_e32 v3, s47, v3
	v_mul_lo_u32 v3, v3, s39
	v_sub_u32_e32 v3, v1, v3
	v_mad_u64_u32 v[0:1], s[12:13], v3, s30, v[0:1]
	v_mad_u64_u32 v[2:3], s[12:13], v3, s31, v[2:3]
.LBB149_98:
	global_load_dword v1, v2, s[6:7]
	v_mov_b32_e32 v2, s9
	v_add_u32_e32 v7, 0x80, v7
	s_waitcnt vmcnt(0)
	v_cndmask_b32_e64 v1, v2, v1, s[0:1]
	global_store_dword v0, v1, s[4:5]
	s_or_b64 exec, exec, s[10:11]
	v_cmp_gt_i32_e32 vcc, s59, v7
	s_and_saveexec_b64 s[10:11], vcc
	s_cbranch_execnz .LBB149_84
.LBB149_99:
	s_or_b64 exec, exec, s[10:11]
	v_cmp_gt_i32_e32 vcc, s59, v7
	s_and_saveexec_b64 s[10:11], vcc
	s_cbranch_execnz .LBB149_110
.LBB149_100:
	s_or_b64 exec, exec, s[10:11]
                                        ; implicit-def: $vgpr13
                                        ; implicit-def: $vgpr7
	s_andn2_saveexec_b64 s[0:1], s[44:45]
	s_cbranch_execnz .LBB149_8
.LBB149_101:
	s_endpgm
.LBB149_102:
	s_mov_b32 s8, 0
	v_mov_b32_e32 v0, 0
	v_mov_b32_e32 v2, 0
	;; [unrolled: 1-line block ×3, first 2 shown]
.LBB149_103:
	s_and_b32 s16, s61, 3
	s_cmp_eq_u32 s16, 0
	s_cbranch_scc1 .LBB149_106
; %bb.104:
	s_lshl_b32 s12, s8, 3
	s_add_u32 s12, s34, s12
	s_addc_u32 s13, s35, 0
	s_add_u32 s12, s12, 0xc4
	s_addc_u32 s13, s13, 0
	s_mul_i32 s8, s8, 12
	s_add_u32 s14, s34, s8
	s_addc_u32 s15, s35, 0
.LBB149_105:                            ; =>This Inner Loop Header: Depth=1
	s_load_dwordx2 s[18:19], s[14:15], 0x4
	s_load_dword s8, s[14:15], 0xc
	s_load_dwordx2 s[20:21], s[12:13], 0x0
	s_add_u32 s14, s14, 12
	s_addc_u32 s15, s15, 0
	s_waitcnt lgkmcnt(0)
	v_mul_hi_u32 v3, s19, v1
	s_add_u32 s12, s12, 8
	s_addc_u32 s13, s13, 0
	s_add_i32 s16, s16, -1
	v_add_u32_e32 v3, v1, v3
	v_lshrrev_b32_e32 v4, s8, v3
	v_mul_lo_u32 v3, v4, s18
	s_cmp_lg_u32 s16, 0
	v_sub_u32_e32 v3, v1, v3
	v_mad_u64_u32 v[0:1], s[18:19], v3, s20, v[0:1]
	v_mad_u64_u32 v[2:3], s[18:19], v3, s21, v[2:3]
	v_mov_b32_e32 v1, v4
	s_cbranch_scc1 .LBB149_105
.LBB149_106:
	s_cbranch_execnz .LBB149_109
.LBB149_107:
	v_mul_hi_u32 v0, s37, v7
	s_andn2_b64 vcc, exec, s[48:49]
	v_add_u32_e32 v0, v7, v0
	v_lshrrev_b32_e32 v1, s38, v0
	v_mul_lo_u32 v0, v1, s36
	v_sub_u32_e32 v2, v7, v0
	v_mul_lo_u32 v0, v2, s28
	v_mul_lo_u32 v2, v2, s29
	s_cbranch_vccnz .LBB149_109
; %bb.108:
	v_mul_hi_u32 v3, s46, v1
	v_add_u32_e32 v3, v1, v3
	v_lshrrev_b32_e32 v3, s47, v3
	v_mul_lo_u32 v3, v3, s39
	v_sub_u32_e32 v3, v1, v3
	v_mad_u64_u32 v[0:1], s[12:13], v3, s30, v[0:1]
	v_mad_u64_u32 v[2:3], s[12:13], v3, s31, v[2:3]
.LBB149_109:
	global_load_dword v1, v2, s[6:7]
	v_mov_b32_e32 v2, s9
	v_add_u32_e32 v7, 0x80, v7
	s_waitcnt vmcnt(0)
	v_cndmask_b32_e64 v1, v2, v1, s[0:1]
	global_store_dword v0, v1, s[4:5]
	s_or_b64 exec, exec, s[10:11]
	v_cmp_gt_i32_e32 vcc, s59, v7
	s_and_saveexec_b64 s[10:11], vcc
	s_cbranch_execz .LBB149_100
.LBB149_110:
	s_andn2_b64 vcc, exec, s[2:3]
	s_cbranch_vccnz .LBB149_115
; %bb.111:
	s_andn2_b64 vcc, exec, s[52:53]
	s_cbranch_vccnz .LBB149_116
; %bb.112:
	s_add_i32 s60, s60, 1
	s_cmp_eq_u32 s58, 2
	s_cbranch_scc1 .LBB149_117
; %bb.113:
	s_and_b32 s8, s60, 28
	v_mov_b32_e32 v2, 0
	s_mov_b32 s54, 0
	s_mov_b64 s[52:53], s[34:35]
	v_mov_b32_e32 v0, 0
	v_mov_b32_e32 v1, v7
.LBB149_114:                            ; =>This Inner Loop Header: Depth=1
	s_load_dwordx8 s[20:27], s[52:53], 0x4
	s_load_dwordx4 s[40:43], s[52:53], 0x24
	s_load_dwordx8 s[12:19], s[50:51], 0x0
	s_add_u32 s52, s52, 48
	s_addc_u32 s53, s53, 0
	s_waitcnt lgkmcnt(0)
	v_mul_hi_u32 v3, s21, v1
	s_add_i32 s54, s54, 4
	s_add_u32 s50, s50, 32
	s_addc_u32 s51, s51, 0
	v_add_u32_e32 v3, v1, v3
	v_lshrrev_b32_e32 v3, s22, v3
	v_mul_lo_u32 v4, v3, s20
	v_mul_hi_u32 v5, s24, v3
	s_cmp_eq_u32 s8, s54
	v_sub_u32_e32 v1, v1, v4
	v_add_u32_e32 v4, v3, v5
	v_mul_lo_u32 v5, v1, s12
	v_mul_lo_u32 v6, v1, s13
	v_lshrrev_b32_e32 v1, s25, v4
	v_mul_lo_u32 v4, v1, s23
	v_mul_hi_u32 v8, s27, v1
	v_sub_u32_e32 v3, v3, v4
	v_add_u32_e32 v4, v1, v8
	v_lshrrev_b32_e32 v4, s40, v4
	v_mul_hi_u32 v9, s42, v4
	v_mul_lo_u32 v10, v4, s26
	v_mul_lo_u32 v8, v3, s14
	;; [unrolled: 1-line block ×3, first 2 shown]
	v_sub_u32_e32 v10, v1, v10
	v_add_u32_e32 v1, v4, v9
	v_lshrrev_b32_e32 v1, s43, v1
	v_mul_lo_u32 v9, v1, s41
	v_mul_lo_u32 v11, v10, s16
	;; [unrolled: 1-line block ×3, first 2 shown]
	v_add3_u32 v0, v5, v0, v8
	v_sub_u32_e32 v4, v4, v9
	v_mul_lo_u32 v9, v4, s18
	v_mul_lo_u32 v4, v4, s19
	v_add3_u32 v2, v6, v2, v3
	v_add3_u32 v0, v11, v0, v9
	;; [unrolled: 1-line block ×3, first 2 shown]
	s_cbranch_scc0 .LBB149_114
	s_branch .LBB149_118
.LBB149_115:
                                        ; implicit-def: $vgpr0
                                        ; implicit-def: $vgpr2
	s_branch .LBB149_122
.LBB149_116:
	v_mov_b32_e32 v0, 0
	v_mov_b32_e32 v2, 0
	s_branch .LBB149_121
.LBB149_117:
	s_mov_b32 s8, 0
	v_mov_b32_e32 v0, 0
	v_mov_b32_e32 v2, 0
	;; [unrolled: 1-line block ×3, first 2 shown]
.LBB149_118:
	s_and_b32 s16, s60, 3
	s_cmp_eq_u32 s16, 0
	s_cbranch_scc1 .LBB149_121
; %bb.119:
	s_lshl_b32 s12, s8, 3
	s_add_u32 s12, s34, s12
	s_addc_u32 s13, s35, 0
	s_add_u32 s12, s12, 0xc4
	s_addc_u32 s13, s13, 0
	s_mul_i32 s8, s8, 12
	s_add_u32 s14, s34, s8
	s_addc_u32 s15, s35, 0
.LBB149_120:                            ; =>This Inner Loop Header: Depth=1
	s_load_dwordx2 s[18:19], s[14:15], 0x4
	s_load_dword s8, s[14:15], 0xc
	s_load_dwordx2 s[20:21], s[12:13], 0x0
	s_add_u32 s14, s14, 12
	s_addc_u32 s15, s15, 0
	s_waitcnt lgkmcnt(0)
	v_mul_hi_u32 v3, s19, v1
	s_add_u32 s12, s12, 8
	s_addc_u32 s13, s13, 0
	s_add_i32 s16, s16, -1
	v_add_u32_e32 v3, v1, v3
	v_lshrrev_b32_e32 v4, s8, v3
	v_mul_lo_u32 v3, v4, s18
	s_cmp_lg_u32 s16, 0
	v_sub_u32_e32 v3, v1, v3
	v_mad_u64_u32 v[0:1], s[18:19], v3, s20, v[0:1]
	v_mad_u64_u32 v[2:3], s[18:19], v3, s21, v[2:3]
	v_mov_b32_e32 v1, v4
	s_cbranch_scc1 .LBB149_120
.LBB149_121:
	s_cbranch_execnz .LBB149_124
.LBB149_122:
	v_mul_hi_u32 v0, s37, v7
	s_andn2_b64 vcc, exec, s[48:49]
	v_add_u32_e32 v0, v7, v0
	v_lshrrev_b32_e32 v1, s38, v0
	v_mul_lo_u32 v0, v1, s36
	v_sub_u32_e32 v2, v7, v0
	v_mul_lo_u32 v0, v2, s28
	v_mul_lo_u32 v2, v2, s29
	s_cbranch_vccnz .LBB149_124
; %bb.123:
	v_mul_hi_u32 v3, s46, v1
	v_add_u32_e32 v3, v1, v3
	v_lshrrev_b32_e32 v3, s47, v3
	v_mul_lo_u32 v3, v3, s39
	v_sub_u32_e32 v3, v1, v3
	v_mad_u64_u32 v[0:1], s[12:13], v3, s30, v[0:1]
	v_mad_u64_u32 v[2:3], s[12:13], v3, s31, v[2:3]
.LBB149_124:
	global_load_dword v1, v2, s[6:7]
	v_mov_b32_e32 v2, s9
	s_waitcnt vmcnt(0)
	v_cndmask_b32_e64 v1, v2, v1, s[0:1]
	global_store_dword v0, v1, s[4:5]
	s_or_b64 exec, exec, s[10:11]
                                        ; implicit-def: $vgpr13
                                        ; implicit-def: $vgpr7
	s_andn2_saveexec_b64 s[0:1], s[44:45]
	s_cbranch_execz .LBB149_101
	s_branch .LBB149_8
	.section	.rodata,"a",@progbits
	.p2align	6, 0x0
	.amdhsa_kernel _ZN2at6native32elementwise_kernel_manual_unrollILi128ELi4EZNS0_22gpu_kernel_impl_nocastINS0_13AUnaryFunctorIfffZNS0_12_GLOBAL__N_121threshold_kernel_implIfEEvRNS_18TensorIteratorBaseET_S8_EUlffE_EEEEvS7_RKS8_EUlibE_EEviT1_
		.amdhsa_group_segment_fixed_size 0
		.amdhsa_private_segment_fixed_size 0
		.amdhsa_kernarg_size 368
		.amdhsa_user_sgpr_count 6
		.amdhsa_user_sgpr_private_segment_buffer 1
		.amdhsa_user_sgpr_dispatch_ptr 0
		.amdhsa_user_sgpr_queue_ptr 0
		.amdhsa_user_sgpr_kernarg_segment_ptr 1
		.amdhsa_user_sgpr_dispatch_id 0
		.amdhsa_user_sgpr_flat_scratch_init 0
		.amdhsa_user_sgpr_private_segment_size 0
		.amdhsa_uses_dynamic_stack 0
		.amdhsa_system_sgpr_private_segment_wavefront_offset 0
		.amdhsa_system_sgpr_workgroup_id_x 1
		.amdhsa_system_sgpr_workgroup_id_y 0
		.amdhsa_system_sgpr_workgroup_id_z 0
		.amdhsa_system_sgpr_workgroup_info 0
		.amdhsa_system_vgpr_workitem_id 0
		.amdhsa_next_free_vgpr 18
		.amdhsa_next_free_sgpr 63
		.amdhsa_reserve_vcc 1
		.amdhsa_reserve_flat_scratch 0
		.amdhsa_float_round_mode_32 0
		.amdhsa_float_round_mode_16_64 0
		.amdhsa_float_denorm_mode_32 3
		.amdhsa_float_denorm_mode_16_64 3
		.amdhsa_dx10_clamp 1
		.amdhsa_ieee_mode 1
		.amdhsa_fp16_overflow 0
		.amdhsa_exception_fp_ieee_invalid_op 0
		.amdhsa_exception_fp_denorm_src 0
		.amdhsa_exception_fp_ieee_div_zero 0
		.amdhsa_exception_fp_ieee_overflow 0
		.amdhsa_exception_fp_ieee_underflow 0
		.amdhsa_exception_fp_ieee_inexact 0
		.amdhsa_exception_int_div_zero 0
	.end_amdhsa_kernel
	.section	.text._ZN2at6native32elementwise_kernel_manual_unrollILi128ELi4EZNS0_22gpu_kernel_impl_nocastINS0_13AUnaryFunctorIfffZNS0_12_GLOBAL__N_121threshold_kernel_implIfEEvRNS_18TensorIteratorBaseET_S8_EUlffE_EEEEvS7_RKS8_EUlibE_EEviT1_,"axG",@progbits,_ZN2at6native32elementwise_kernel_manual_unrollILi128ELi4EZNS0_22gpu_kernel_impl_nocastINS0_13AUnaryFunctorIfffZNS0_12_GLOBAL__N_121threshold_kernel_implIfEEvRNS_18TensorIteratorBaseET_S8_EUlffE_EEEEvS7_RKS8_EUlibE_EEviT1_,comdat
.Lfunc_end149:
	.size	_ZN2at6native32elementwise_kernel_manual_unrollILi128ELi4EZNS0_22gpu_kernel_impl_nocastINS0_13AUnaryFunctorIfffZNS0_12_GLOBAL__N_121threshold_kernel_implIfEEvRNS_18TensorIteratorBaseET_S8_EUlffE_EEEEvS7_RKS8_EUlibE_EEviT1_, .Lfunc_end149-_ZN2at6native32elementwise_kernel_manual_unrollILi128ELi4EZNS0_22gpu_kernel_impl_nocastINS0_13AUnaryFunctorIfffZNS0_12_GLOBAL__N_121threshold_kernel_implIfEEvRNS_18TensorIteratorBaseET_S8_EUlffE_EEEEvS7_RKS8_EUlibE_EEviT1_
                                        ; -- End function
	.set _ZN2at6native32elementwise_kernel_manual_unrollILi128ELi4EZNS0_22gpu_kernel_impl_nocastINS0_13AUnaryFunctorIfffZNS0_12_GLOBAL__N_121threshold_kernel_implIfEEvRNS_18TensorIteratorBaseET_S8_EUlffE_EEEEvS7_RKS8_EUlibE_EEviT1_.num_vgpr, 18
	.set _ZN2at6native32elementwise_kernel_manual_unrollILi128ELi4EZNS0_22gpu_kernel_impl_nocastINS0_13AUnaryFunctorIfffZNS0_12_GLOBAL__N_121threshold_kernel_implIfEEvRNS_18TensorIteratorBaseET_S8_EUlffE_EEEEvS7_RKS8_EUlibE_EEviT1_.num_agpr, 0
	.set _ZN2at6native32elementwise_kernel_manual_unrollILi128ELi4EZNS0_22gpu_kernel_impl_nocastINS0_13AUnaryFunctorIfffZNS0_12_GLOBAL__N_121threshold_kernel_implIfEEvRNS_18TensorIteratorBaseET_S8_EUlffE_EEEEvS7_RKS8_EUlibE_EEviT1_.numbered_sgpr, 63
	.set _ZN2at6native32elementwise_kernel_manual_unrollILi128ELi4EZNS0_22gpu_kernel_impl_nocastINS0_13AUnaryFunctorIfffZNS0_12_GLOBAL__N_121threshold_kernel_implIfEEvRNS_18TensorIteratorBaseET_S8_EUlffE_EEEEvS7_RKS8_EUlibE_EEviT1_.num_named_barrier, 0
	.set _ZN2at6native32elementwise_kernel_manual_unrollILi128ELi4EZNS0_22gpu_kernel_impl_nocastINS0_13AUnaryFunctorIfffZNS0_12_GLOBAL__N_121threshold_kernel_implIfEEvRNS_18TensorIteratorBaseET_S8_EUlffE_EEEEvS7_RKS8_EUlibE_EEviT1_.private_seg_size, 0
	.set _ZN2at6native32elementwise_kernel_manual_unrollILi128ELi4EZNS0_22gpu_kernel_impl_nocastINS0_13AUnaryFunctorIfffZNS0_12_GLOBAL__N_121threshold_kernel_implIfEEvRNS_18TensorIteratorBaseET_S8_EUlffE_EEEEvS7_RKS8_EUlibE_EEviT1_.uses_vcc, 1
	.set _ZN2at6native32elementwise_kernel_manual_unrollILi128ELi4EZNS0_22gpu_kernel_impl_nocastINS0_13AUnaryFunctorIfffZNS0_12_GLOBAL__N_121threshold_kernel_implIfEEvRNS_18TensorIteratorBaseET_S8_EUlffE_EEEEvS7_RKS8_EUlibE_EEviT1_.uses_flat_scratch, 0
	.set _ZN2at6native32elementwise_kernel_manual_unrollILi128ELi4EZNS0_22gpu_kernel_impl_nocastINS0_13AUnaryFunctorIfffZNS0_12_GLOBAL__N_121threshold_kernel_implIfEEvRNS_18TensorIteratorBaseET_S8_EUlffE_EEEEvS7_RKS8_EUlibE_EEviT1_.has_dyn_sized_stack, 0
	.set _ZN2at6native32elementwise_kernel_manual_unrollILi128ELi4EZNS0_22gpu_kernel_impl_nocastINS0_13AUnaryFunctorIfffZNS0_12_GLOBAL__N_121threshold_kernel_implIfEEvRNS_18TensorIteratorBaseET_S8_EUlffE_EEEEvS7_RKS8_EUlibE_EEviT1_.has_recursion, 0
	.set _ZN2at6native32elementwise_kernel_manual_unrollILi128ELi4EZNS0_22gpu_kernel_impl_nocastINS0_13AUnaryFunctorIfffZNS0_12_GLOBAL__N_121threshold_kernel_implIfEEvRNS_18TensorIteratorBaseET_S8_EUlffE_EEEEvS7_RKS8_EUlibE_EEviT1_.has_indirect_call, 0
	.section	.AMDGPU.csdata,"",@progbits
; Kernel info:
; codeLenInByte = 5724
; TotalNumSgprs: 67
; NumVgprs: 18
; ScratchSize: 0
; MemoryBound: 0
; FloatMode: 240
; IeeeMode: 1
; LDSByteSize: 0 bytes/workgroup (compile time only)
; SGPRBlocks: 8
; VGPRBlocks: 4
; NumSGPRsForWavesPerEU: 67
; NumVGPRsForWavesPerEU: 18
; Occupancy: 10
; WaveLimiterHint : 1
; COMPUTE_PGM_RSRC2:SCRATCH_EN: 0
; COMPUTE_PGM_RSRC2:USER_SGPR: 6
; COMPUTE_PGM_RSRC2:TRAP_HANDLER: 0
; COMPUTE_PGM_RSRC2:TGID_X_EN: 1
; COMPUTE_PGM_RSRC2:TGID_Y_EN: 0
; COMPUTE_PGM_RSRC2:TGID_Z_EN: 0
; COMPUTE_PGM_RSRC2:TIDIG_COMP_CNT: 0
	.section	.text._ZN2at6native32elementwise_kernel_manual_unrollILi128ELi4EZNS0_15gpu_kernel_implINS0_13AUnaryFunctorIfffZNS0_12_GLOBAL__N_121threshold_kernel_implIfEEvRNS_18TensorIteratorBaseET_S8_EUlffE_EEEEvS7_RKS8_EUlibE_EEviT1_,"axG",@progbits,_ZN2at6native32elementwise_kernel_manual_unrollILi128ELi4EZNS0_15gpu_kernel_implINS0_13AUnaryFunctorIfffZNS0_12_GLOBAL__N_121threshold_kernel_implIfEEvRNS_18TensorIteratorBaseET_S8_EUlffE_EEEEvS7_RKS8_EUlibE_EEviT1_,comdat
	.globl	_ZN2at6native32elementwise_kernel_manual_unrollILi128ELi4EZNS0_15gpu_kernel_implINS0_13AUnaryFunctorIfffZNS0_12_GLOBAL__N_121threshold_kernel_implIfEEvRNS_18TensorIteratorBaseET_S8_EUlffE_EEEEvS7_RKS8_EUlibE_EEviT1_ ; -- Begin function _ZN2at6native32elementwise_kernel_manual_unrollILi128ELi4EZNS0_15gpu_kernel_implINS0_13AUnaryFunctorIfffZNS0_12_GLOBAL__N_121threshold_kernel_implIfEEvRNS_18TensorIteratorBaseET_S8_EUlffE_EEEEvS7_RKS8_EUlibE_EEviT1_
	.p2align	8
	.type	_ZN2at6native32elementwise_kernel_manual_unrollILi128ELi4EZNS0_15gpu_kernel_implINS0_13AUnaryFunctorIfffZNS0_12_GLOBAL__N_121threshold_kernel_implIfEEvRNS_18TensorIteratorBaseET_S8_EUlffE_EEEEvS7_RKS8_EUlibE_EEviT1_,@function
_ZN2at6native32elementwise_kernel_manual_unrollILi128ELi4EZNS0_15gpu_kernel_implINS0_13AUnaryFunctorIfffZNS0_12_GLOBAL__N_121threshold_kernel_implIfEEvRNS_18TensorIteratorBaseET_S8_EUlffE_EEEEvS7_RKS8_EUlibE_EEviT1_: ; @_ZN2at6native32elementwise_kernel_manual_unrollILi128ELi4EZNS0_15gpu_kernel_implINS0_13AUnaryFunctorIfffZNS0_12_GLOBAL__N_121threshold_kernel_implIfEEvRNS_18TensorIteratorBaseET_S8_EUlffE_EEEEvS7_RKS8_EUlibE_EEviT1_
; %bb.0:
	s_load_dwordx2 s[16:17], s[4:5], 0x28
	s_load_dword s44, s[4:5], 0x0
	s_load_dwordx8 s[8:15], s[4:5], 0x8
	v_lshl_or_b32 v4, s6, 9, v0
	v_or_b32_e32 v0, 0x180, v4
	s_waitcnt lgkmcnt(0)
	s_bfe_u32 s33, s17, 0x80008
	v_cmp_le_i32_e32 vcc, s44, v0
	s_mov_b64 s[4:5], 0
	s_mov_b64 s[18:19], 0
	s_and_saveexec_b64 s[0:1], vcc
	s_xor_b64 s[6:7], exec, s[0:1]
	s_cbranch_execz .LBB150_1027
; %bb.1:
	v_mov_b32_e32 v0, s14
	v_cmp_nle_f32_e64 s[0:1], s16, v0
	v_cmp_gt_i32_e32 vcc, s44, v4
	s_mov_b64 s[2:3], -1
	s_mov_b64 s[26:27], 0
	s_mov_b64 s[20:21], 0
	s_and_saveexec_b64 s[22:23], vcc
	s_cbranch_execz .LBB150_252
; %bb.2:
	v_mul_lo_u32 v0, v4, s13
	v_mov_b32_e32 v1, s11
	s_and_b32 s28, 0xffff, s33
	s_cmp_lt_i32 s28, 11
	v_ashrrev_i32_e32 v2, 31, v0
	v_add_co_u32_e32 v0, vcc, s10, v0
	v_addc_co_u32_e32 v1, vcc, v1, v2, vcc
	s_cbranch_scc1 .LBB150_9
; %bb.3:
	s_cmp_gt_i32 s28, 25
	s_cbranch_scc0 .LBB150_18
; %bb.4:
	s_cmp_gt_i32 s28, 28
	s_cbranch_scc0 .LBB150_22
	;; [unrolled: 3-line block ×4, first 2 shown]
; %bb.7:
	s_cmp_eq_u32 s28, 46
	s_cbranch_scc0 .LBB150_28
; %bb.8:
	global_load_dword v2, v[0:1], off
	s_waitcnt vmcnt(0)
	v_lshlrev_b32_e32 v2, 16, v2
	s_branch .LBB150_30
.LBB150_9:
                                        ; implicit-def: $vgpr2
	s_mov_b64 s[2:3], 0
	s_cbranch_execnz .LBB150_203
.LBB150_10:
	s_andn2_b64 vcc, exec, s[2:3]
	s_cbranch_vccnz .LBB150_250
.LBB150_11:
	v_mul_lo_u32 v0, v4, s12
	v_mov_b32_e32 v1, s15
	v_mov_b32_e32 v3, s9
	s_waitcnt vmcnt(0)
	v_cndmask_b32_e64 v2, v1, v2, s[0:1]
	v_ashrrev_i32_e32 v1, 31, v0
	s_and_b32 s30, s17, 0xff
	v_add_co_u32_e32 v0, vcc, s8, v0
	s_cmp_lt_i32 s30, 11
	v_addc_co_u32_e32 v1, vcc, v3, v1, vcc
	s_cbranch_scc1 .LBB150_19
; %bb.12:
	s_and_b32 s31, 0xffff, s30
	s_cmp_gt_i32 s31, 25
	s_cbranch_scc0 .LBB150_23
; %bb.13:
	s_cmp_gt_i32 s31, 28
	s_cbranch_scc0 .LBB150_25
; %bb.14:
	;; [unrolled: 3-line block ×4, first 2 shown]
	s_mov_b64 s[24:25], 0
	s_mov_b64 s[2:3], -1
	s_cmp_eq_u32 s31, 46
	s_mov_b64 s[18:19], 0
	s_cbranch_scc0 .LBB150_34
; %bb.17:
	v_bfe_u32 v3, v2, 16, 1
	s_movk_i32 s2, 0x7fff
	v_add3_u32 v3, v2, v3, s2
	v_cmp_o_f32_e32 vcc, v2, v2
	v_mov_b32_e32 v5, 0x7fc0
	v_cndmask_b32_sdwa v3, v5, v3, vcc dst_sel:DWORD dst_unused:UNUSED_PAD src0_sel:DWORD src1_sel:WORD_1
	global_store_dword v[0:1], v3, off
	s_mov_b64 s[18:19], -1
	s_mov_b64 s[2:3], 0
	s_branch .LBB150_34
.LBB150_18:
	s_mov_b64 s[2:3], 0
                                        ; implicit-def: $vgpr2
	s_cbranch_execnz .LBB150_168
	s_branch .LBB150_202
.LBB150_19:
	s_mov_b64 s[2:3], 0
	s_mov_b64 s[18:19], 0
	s_cbranch_execnz .LBB150_103
.LBB150_20:
	s_andn2_b64 vcc, exec, s[18:19]
	s_cbranch_vccnz .LBB150_141
.LBB150_21:
	v_add_u32_e32 v4, 0x80, v4
	s_mov_b64 s[24:25], -1
	s_branch .LBB150_251
.LBB150_22:
	s_mov_b64 s[18:19], -1
	s_mov_b64 s[2:3], 0
                                        ; implicit-def: $vgpr2
	s_branch .LBB150_149
.LBB150_23:
	s_mov_b64 s[24:25], -1
	s_mov_b64 s[2:3], 0
	s_mov_b64 s[18:19], 0
	s_branch .LBB150_61
.LBB150_24:
	s_mov_b64 s[18:19], -1
	s_mov_b64 s[2:3], 0
                                        ; implicit-def: $vgpr2
	s_branch .LBB150_144
.LBB150_25:
	s_mov_b64 s[24:25], -1
	s_mov_b64 s[2:3], 0
	s_mov_b64 s[18:19], 0
	s_branch .LBB150_44
.LBB150_26:
	s_mov_b64 s[18:19], -1
	s_branch .LBB150_29
.LBB150_27:
	s_mov_b64 s[24:25], -1
	s_mov_b64 s[2:3], 0
	s_mov_b64 s[18:19], 0
	s_branch .LBB150_40
.LBB150_28:
	s_mov_b64 s[20:21], -1
.LBB150_29:
	s_mov_b64 s[2:3], 0
                                        ; implicit-def: $vgpr2
.LBB150_30:
	s_and_b64 vcc, exec, s[18:19]
	s_cbranch_vccz .LBB150_143
; %bb.31:
	s_cmp_eq_u32 s28, 44
	s_cbranch_scc0 .LBB150_142
; %bb.32:
	global_load_ubyte v2, v[0:1], off
	s_movk_i32 s18, 0xff
	v_mov_b32_e32 v3, 0x7f800001
	v_mov_b32_e32 v5, 0x400000
	s_mov_b64 s[2:3], -1
	s_mov_b64 s[20:21], 0
	s_waitcnt vmcnt(0)
	v_lshlrev_b32_e32 v6, 23, v2
	v_cmp_ne_u32_e32 vcc, s18, v2
	v_cndmask_b32_e32 v3, v3, v6, vcc
	v_cmp_ne_u32_e32 vcc, 0, v2
	v_cndmask_b32_e32 v2, v5, v3, vcc
	s_branch .LBB150_143
.LBB150_33:
	s_mov_b64 s[24:25], -1
	s_mov_b64 s[2:3], 0
	s_mov_b64 s[18:19], 0
.LBB150_34:
	s_and_b64 vcc, exec, s[24:25]
	s_cbranch_vccz .LBB150_39
; %bb.35:
	s_cmp_eq_u32 s31, 44
	s_mov_b64 s[2:3], -1
	s_cbranch_scc0 .LBB150_39
; %bb.36:
	v_bfe_u32 v3, v2, 23, 8
	s_movk_i32 s2, 0xff
	v_cmp_ne_u32_e32 vcc, s2, v3
	v_mov_b32_e32 v5, 0xff
	s_and_saveexec_b64 s[18:19], vcc
; %bb.37:
	s_mov_b32 s2, 0x3fffff
	v_and_b32_e32 v6, 0x400000, v2
	v_and_or_b32 v3, v2, s2, v3
	v_cmp_ne_u32_e32 vcc, 0, v6
	v_cmp_ne_u32_e64 s[2:3], 0, v3
	s_and_b64 s[2:3], vcc, s[2:3]
	v_lshrrev_b32_e32 v5, 23, v2
	v_cndmask_b32_e64 v3, 0, 1, s[2:3]
	v_add_u32_e32 v5, v5, v3
; %bb.38:
	s_or_b64 exec, exec, s[18:19]
	s_mov_b64 s[18:19], -1
	s_mov_b64 s[2:3], 0
	global_store_byte v[0:1], v5, off
.LBB150_39:
	s_mov_b64 s[24:25], 0
.LBB150_40:
	s_and_b64 vcc, exec, s[24:25]
	s_cbranch_vccz .LBB150_43
; %bb.41:
	s_cmp_eq_u32 s31, 29
	s_mov_b64 s[2:3], -1
	s_cbranch_scc0 .LBB150_43
; %bb.42:
	v_trunc_f32_e32 v3, v2
	v_mul_f32_e32 v5, 0x2f800000, v3
	v_floor_f32_e32 v5, v5
	v_fmac_f32_e32 v3, 0xcf800000, v5
	v_cvt_u32_f32_e32 v6, v5
	v_cvt_u32_f32_e32 v5, v3
	s_mov_b64 s[18:19], -1
	s_mov_b64 s[2:3], 0
	s_mov_b64 s[24:25], 0
	global_store_dwordx2 v[0:1], v[5:6], off
	s_branch .LBB150_44
.LBB150_43:
	s_mov_b64 s[24:25], 0
.LBB150_44:
	s_and_b64 vcc, exec, s[24:25]
	s_cbranch_vccz .LBB150_60
; %bb.45:
	s_cmp_lt_i32 s31, 27
	s_mov_b64 s[18:19], -1
	s_cbranch_scc1 .LBB150_51
; %bb.46:
	v_cvt_u32_f32_e32 v3, v2
	s_cmp_gt_i32 s31, 27
	s_cbranch_scc0 .LBB150_48
; %bb.47:
	s_mov_b64 s[18:19], 0
	global_store_dword v[0:1], v3, off
.LBB150_48:
	s_andn2_b64 vcc, exec, s[18:19]
	s_cbranch_vccnz .LBB150_50
; %bb.49:
	global_store_short v[0:1], v3, off
.LBB150_50:
	s_mov_b64 s[18:19], 0
.LBB150_51:
	s_andn2_b64 vcc, exec, s[18:19]
	s_cbranch_vccnz .LBB150_59
; %bb.52:
	v_and_b32_e32 v3, 0x7fffffff, v2
	s_mov_b32 s18, 0x43800000
	v_cmp_gt_u32_e32 vcc, s18, v3
	v_mov_b32_e32 v5, 0x80
	s_and_saveexec_b64 s[18:19], vcc
	s_cbranch_execz .LBB150_58
; %bb.53:
	s_mov_b32 s24, 0x3bffffff
	v_cmp_lt_u32_e32 vcc, s24, v3
	s_mov_b64 s[24:25], 0
                                        ; implicit-def: $vgpr3
	s_and_saveexec_b64 s[28:29], vcc
	s_xor_b64 s[28:29], exec, s[28:29]
	s_cbranch_execz .LBB150_279
; %bb.54:
	v_bfe_u32 v3, v2, 20, 1
	s_mov_b32 s34, 0x487ffff
	v_add3_u32 v3, v2, v3, s34
	s_mov_b64 s[24:25], exec
	v_lshrrev_b32_e32 v3, 20, v3
	s_andn2_saveexec_b64 s[28:29], s[28:29]
	s_cbranch_execnz .LBB150_280
.LBB150_55:
	s_or_b64 exec, exec, s[28:29]
	v_mov_b32_e32 v5, 0
	s_and_saveexec_b64 s[28:29], s[24:25]
.LBB150_56:
	v_lshrrev_b32_e32 v5, 24, v2
	s_movk_i32 s24, 0x80
	v_and_or_b32 v5, v5, s24, v3
.LBB150_57:
	s_or_b64 exec, exec, s[28:29]
.LBB150_58:
	s_or_b64 exec, exec, s[18:19]
	global_store_byte v[0:1], v5, off
.LBB150_59:
	s_mov_b64 s[18:19], -1
.LBB150_60:
	s_mov_b64 s[24:25], 0
.LBB150_61:
	s_and_b64 vcc, exec, s[24:25]
	s_cbranch_vccz .LBB150_102
; %bb.62:
	s_cmp_gt_i32 s31, 22
	s_mov_b64 s[24:25], -1
	s_cbranch_scc0 .LBB150_94
; %bb.63:
	s_cmp_lt_i32 s31, 24
	s_mov_b64 s[18:19], -1
	s_cbranch_scc1 .LBB150_83
; %bb.64:
	s_cmp_gt_i32 s31, 24
	s_cbranch_scc0 .LBB150_72
; %bb.65:
	v_and_b32_e32 v3, 0x7fffffff, v2
	s_mov_b32 s18, 0x47800000
	v_cmp_gt_u32_e32 vcc, s18, v3
	v_mov_b32_e32 v5, 0x80
	s_and_saveexec_b64 s[18:19], vcc
	s_cbranch_execz .LBB150_71
; %bb.66:
	s_mov_b32 s24, 0x37ffffff
	v_cmp_lt_u32_e32 vcc, s24, v3
	s_mov_b64 s[24:25], 0
                                        ; implicit-def: $vgpr3
	s_and_saveexec_b64 s[28:29], vcc
	s_xor_b64 s[28:29], exec, s[28:29]
	s_cbranch_execz .LBB150_283
; %bb.67:
	v_bfe_u32 v3, v2, 21, 1
	s_mov_b32 s34, 0x88fffff
	v_add3_u32 v3, v2, v3, s34
	s_mov_b64 s[24:25], exec
	v_lshrrev_b32_e32 v3, 21, v3
	s_andn2_saveexec_b64 s[28:29], s[28:29]
	s_cbranch_execnz .LBB150_284
.LBB150_68:
	s_or_b64 exec, exec, s[28:29]
	v_mov_b32_e32 v5, 0
	s_and_saveexec_b64 s[28:29], s[24:25]
.LBB150_69:
	v_lshrrev_b32_e32 v5, 24, v2
	s_movk_i32 s24, 0x80
	v_and_or_b32 v5, v5, s24, v3
.LBB150_70:
	s_or_b64 exec, exec, s[28:29]
.LBB150_71:
	s_or_b64 exec, exec, s[18:19]
	s_mov_b64 s[18:19], 0
	global_store_byte v[0:1], v5, off
.LBB150_72:
	s_and_b64 vcc, exec, s[18:19]
	s_cbranch_vccz .LBB150_82
; %bb.73:
	v_and_b32_e32 v5, 0x7fffffff, v2
	s_mov_b32 s18, 0x43f00000
	v_cmp_gt_u32_e32 vcc, s18, v5
                                        ; implicit-def: $vgpr3
	s_and_saveexec_b64 s[18:19], vcc
	s_xor_b64 s[18:19], exec, s[18:19]
	s_cbranch_execz .LBB150_79
; %bb.74:
	s_mov_b32 s24, 0x3c7fffff
	v_cmp_lt_u32_e32 vcc, s24, v5
                                        ; implicit-def: $vgpr3
	s_and_saveexec_b64 s[24:25], vcc
	s_xor_b64 s[24:25], exec, s[24:25]
; %bb.75:
	v_bfe_u32 v3, v2, 20, 1
	s_mov_b32 s28, 0x407ffff
	v_add3_u32 v3, v2, v3, s28
	v_lshrrev_b32_e32 v5, 20, v3
	v_and_b32_e32 v3, 0xff00000, v3
	s_mov_b32 s28, 0x7f00000
	v_mov_b32_e32 v6, 0x7e
	v_cmp_ne_u32_e32 vcc, s28, v3
	v_cndmask_b32_e32 v3, v6, v5, vcc
; %bb.76:
	s_andn2_saveexec_b64 s[24:25], s[24:25]
; %bb.77:
	s_mov_b32 s28, 0x46800000
	v_add_f32_e64 v3, |v2|, s28
; %bb.78:
	s_or_b64 exec, exec, s[24:25]
                                        ; implicit-def: $vgpr5
.LBB150_79:
	s_andn2_saveexec_b64 s[18:19], s[18:19]
; %bb.80:
	s_mov_b32 s24, 0x7f800000
	v_mov_b32_e32 v3, 0x7e
	v_mov_b32_e32 v6, 0x7f
	v_cmp_lt_u32_e32 vcc, s24, v5
	v_cndmask_b32_e32 v3, v3, v6, vcc
; %bb.81:
	s_or_b64 exec, exec, s[18:19]
	v_lshrrev_b32_e32 v5, 24, v2
	s_movk_i32 s18, 0x80
	v_and_or_b32 v3, v5, s18, v3
	global_store_byte v[0:1], v3, off
.LBB150_82:
	s_mov_b64 s[18:19], 0
.LBB150_83:
	s_andn2_b64 vcc, exec, s[18:19]
	s_cbranch_vccnz .LBB150_93
; %bb.84:
	v_and_b32_e32 v5, 0x7fffffff, v2
	s_mov_b32 s18, 0x47800000
	v_cmp_gt_u32_e32 vcc, s18, v5
                                        ; implicit-def: $vgpr3
	s_and_saveexec_b64 s[18:19], vcc
	s_xor_b64 s[18:19], exec, s[18:19]
	s_cbranch_execz .LBB150_90
; %bb.85:
	s_mov_b32 s24, 0x387fffff
	v_cmp_lt_u32_e32 vcc, s24, v5
                                        ; implicit-def: $vgpr3
	s_and_saveexec_b64 s[24:25], vcc
	s_xor_b64 s[24:25], exec, s[24:25]
; %bb.86:
	v_bfe_u32 v3, v2, 21, 1
	s_mov_b32 s28, 0x80fffff
	v_add3_u32 v3, v2, v3, s28
	v_lshrrev_b32_e32 v3, 21, v3
; %bb.87:
	s_andn2_saveexec_b64 s[24:25], s[24:25]
; %bb.88:
	s_mov_b32 s28, 0x43000000
	v_add_f32_e64 v3, |v2|, s28
; %bb.89:
	s_or_b64 exec, exec, s[24:25]
                                        ; implicit-def: $vgpr5
.LBB150_90:
	s_andn2_saveexec_b64 s[18:19], s[18:19]
; %bb.91:
	s_mov_b32 s24, 0x7f800000
	v_mov_b32_e32 v3, 0x7c
	v_mov_b32_e32 v6, 0x7f
	v_cmp_lt_u32_e32 vcc, s24, v5
	v_cndmask_b32_e32 v3, v3, v6, vcc
; %bb.92:
	s_or_b64 exec, exec, s[18:19]
	v_lshrrev_b32_e32 v5, 24, v2
	s_movk_i32 s18, 0x80
	v_and_or_b32 v3, v5, s18, v3
	global_store_byte v[0:1], v3, off
.LBB150_93:
	s_mov_b64 s[24:25], 0
	s_mov_b64 s[18:19], -1
.LBB150_94:
	s_andn2_b64 vcc, exec, s[24:25]
	s_cbranch_vccnz .LBB150_102
; %bb.95:
	s_cmp_gt_i32 s31, 14
	s_mov_b64 s[24:25], -1
	s_cbranch_scc0 .LBB150_99
; %bb.96:
	s_cmp_eq_u32 s31, 15
	s_mov_b64 s[2:3], -1
	s_cbranch_scc0 .LBB150_98
; %bb.97:
	v_bfe_u32 v3, v2, 16, 1
	s_movk_i32 s2, 0x7fff
	v_add3_u32 v3, v2, v3, s2
	v_cmp_o_f32_e32 vcc, v2, v2
	v_mov_b32_e32 v5, 0x7fc0
	v_cndmask_b32_sdwa v3, v5, v3, vcc dst_sel:DWORD dst_unused:UNUSED_PAD src0_sel:DWORD src1_sel:WORD_1
	global_store_short v[0:1], v3, off
	s_mov_b64 s[18:19], -1
	s_mov_b64 s[2:3], 0
.LBB150_98:
	s_mov_b64 s[24:25], 0
.LBB150_99:
	s_and_b64 vcc, exec, s[24:25]
	s_cbranch_vccz .LBB150_102
; %bb.100:
	s_cmp_eq_u32 s31, 11
	s_mov_b64 s[2:3], -1
	s_cbranch_scc0 .LBB150_102
; %bb.101:
	v_cmp_neq_f32_e32 vcc, 0, v2
	v_cndmask_b32_e64 v3, 0, 1, vcc
	s_mov_b64 s[18:19], -1
	s_mov_b64 s[2:3], 0
	global_store_byte v[0:1], v3, off
.LBB150_102:
	s_branch .LBB150_20
.LBB150_103:
	s_and_b32 s24, 0xffff, s30
	s_cmp_lt_i32 s24, 5
	s_mov_b64 s[18:19], -1
	s_cbranch_scc1 .LBB150_124
; %bb.104:
	s_cmp_lt_i32 s24, 8
	s_cbranch_scc1 .LBB150_114
; %bb.105:
	s_cmp_lt_i32 s24, 9
	s_cbranch_scc1 .LBB150_111
; %bb.106:
	s_cmp_gt_i32 s24, 9
	s_cbranch_scc0 .LBB150_108
; %bb.107:
	v_cvt_f64_f32_e32 v[5:6], v2
	v_mov_b32_e32 v7, 0
	v_mov_b32_e32 v8, v7
	s_mov_b64 s[18:19], 0
	global_store_dwordx4 v[0:1], v[5:8], off
.LBB150_108:
	s_andn2_b64 vcc, exec, s[18:19]
	s_cbranch_vccnz .LBB150_110
; %bb.109:
	v_mov_b32_e32 v3, 0
	global_store_dwordx2 v[0:1], v[2:3], off
.LBB150_110:
	s_mov_b64 s[18:19], 0
.LBB150_111:
	s_andn2_b64 vcc, exec, s[18:19]
	s_cbranch_vccnz .LBB150_113
; %bb.112:
	v_cvt_f16_f32_e32 v3, v2
	global_store_dword v[0:1], v3, off
.LBB150_113:
	s_mov_b64 s[18:19], 0
.LBB150_114:
	s_andn2_b64 vcc, exec, s[18:19]
	s_cbranch_vccnz .LBB150_123
; %bb.115:
	s_cmp_lt_i32 s24, 6
	s_mov_b64 s[18:19], -1
	s_cbranch_scc1 .LBB150_121
; %bb.116:
	s_cmp_gt_i32 s24, 6
	s_cbranch_scc0 .LBB150_118
; %bb.117:
	v_cvt_f64_f32_e32 v[5:6], v2
	s_mov_b64 s[18:19], 0
	global_store_dwordx2 v[0:1], v[5:6], off
.LBB150_118:
	s_andn2_b64 vcc, exec, s[18:19]
	s_cbranch_vccnz .LBB150_120
; %bb.119:
	global_store_dword v[0:1], v2, off
.LBB150_120:
	s_mov_b64 s[18:19], 0
.LBB150_121:
	s_andn2_b64 vcc, exec, s[18:19]
	s_cbranch_vccnz .LBB150_123
; %bb.122:
	v_cvt_f16_f32_e32 v3, v2
	global_store_short v[0:1], v3, off
.LBB150_123:
	s_mov_b64 s[18:19], 0
.LBB150_124:
	s_andn2_b64 vcc, exec, s[18:19]
	s_cbranch_vccnz .LBB150_140
; %bb.125:
	s_cmp_lt_i32 s24, 2
	s_mov_b64 s[18:19], -1
	s_cbranch_scc1 .LBB150_135
; %bb.126:
	s_cmp_lt_i32 s24, 3
	s_cbranch_scc1 .LBB150_132
; %bb.127:
	s_cmp_gt_i32 s24, 3
	s_cbranch_scc0 .LBB150_129
; %bb.128:
	v_trunc_f32_e32 v3, v2
	s_mov_b32 s18, 0x2f800000
	v_mul_f32_e64 v5, |v3|, s18
	v_floor_f32_e32 v5, v5
	s_mov_b32 s18, 0xcf800000
	v_cvt_u32_f32_e32 v6, v5
	v_fma_f32 v5, v5, s18, |v3|
	v_cvt_u32_f32_e32 v5, v5
	v_ashrrev_i32_e32 v3, 31, v3
	v_xor_b32_e32 v6, v6, v3
	s_mov_b64 s[18:19], 0
	v_xor_b32_e32 v5, v5, v3
	v_sub_co_u32_e32 v5, vcc, v5, v3
	v_subb_co_u32_e32 v6, vcc, v6, v3, vcc
	global_store_dwordx2 v[0:1], v[5:6], off
.LBB150_129:
	s_andn2_b64 vcc, exec, s[18:19]
	s_cbranch_vccnz .LBB150_131
; %bb.130:
	v_cvt_i32_f32_e32 v3, v2
	global_store_dword v[0:1], v3, off
.LBB150_131:
	s_mov_b64 s[18:19], 0
.LBB150_132:
	s_andn2_b64 vcc, exec, s[18:19]
	s_cbranch_vccnz .LBB150_134
; %bb.133:
	v_cvt_i32_f32_e32 v3, v2
	global_store_short v[0:1], v3, off
.LBB150_134:
	s_mov_b64 s[18:19], 0
.LBB150_135:
	s_andn2_b64 vcc, exec, s[18:19]
	s_cbranch_vccnz .LBB150_140
; %bb.136:
	s_cmp_gt_i32 s24, 0
	s_mov_b64 s[18:19], -1
	s_cbranch_scc0 .LBB150_138
; %bb.137:
	v_cvt_i32_f32_e32 v3, v2
	s_mov_b64 s[18:19], 0
	global_store_byte v[0:1], v3, off
.LBB150_138:
	s_andn2_b64 vcc, exec, s[18:19]
	s_cbranch_vccnz .LBB150_140
; %bb.139:
	v_trunc_f32_e32 v2, v2
	s_mov_b32 s18, 0x2f800000
	v_mul_f32_e64 v3, |v2|, s18
	v_floor_f32_e32 v3, v3
	s_mov_b32 s18, 0xcf800000
	v_fma_f32 v3, v3, s18, |v2|
	v_cvt_u32_f32_e32 v3, v3
	v_ashrrev_i32_e32 v2, 31, v2
	v_xor_b32_e32 v3, v3, v2
	v_sub_u32_e32 v2, v3, v2
	global_store_byte v[0:1], v2, off
.LBB150_140:
	s_branch .LBB150_21
.LBB150_141:
	s_mov_b64 s[24:25], 0
                                        ; implicit-def: $vgpr4
	s_branch .LBB150_251
.LBB150_142:
	s_mov_b64 s[20:21], -1
                                        ; implicit-def: $vgpr2
.LBB150_143:
	s_mov_b64 s[18:19], 0
.LBB150_144:
	s_and_b64 vcc, exec, s[18:19]
	s_cbranch_vccz .LBB150_148
; %bb.145:
	s_cmp_eq_u32 s28, 29
	s_cbranch_scc0 .LBB150_147
; %bb.146:
	global_load_dwordx2 v[2:3], v[0:1], off
	s_mov_b64 s[2:3], -1
	s_mov_b64 s[20:21], 0
	s_mov_b64 s[18:19], 0
	s_waitcnt vmcnt(0)
	v_ffbh_u32_e32 v5, v3
	v_min_u32_e32 v5, 32, v5
	v_lshlrev_b64 v[2:3], v5, v[2:3]
	v_min_u32_e32 v2, 1, v2
	v_or_b32_e32 v2, v3, v2
	v_cvt_f32_u32_e32 v2, v2
	v_sub_u32_e32 v3, 32, v5
	v_ldexp_f32 v2, v2, v3
	s_branch .LBB150_149
.LBB150_147:
	s_mov_b64 s[20:21], -1
                                        ; implicit-def: $vgpr2
.LBB150_148:
	s_mov_b64 s[18:19], 0
.LBB150_149:
	s_and_b64 vcc, exec, s[18:19]
	s_cbranch_vccz .LBB150_167
; %bb.150:
	s_cmp_lt_i32 s28, 27
	s_cbranch_scc1 .LBB150_153
; %bb.151:
	s_cmp_gt_i32 s28, 27
	s_cbranch_scc0 .LBB150_154
; %bb.152:
	global_load_dword v2, v[0:1], off
	s_mov_b64 s[2:3], 0
	s_waitcnt vmcnt(0)
	v_cvt_f32_u32_e32 v2, v2
	s_branch .LBB150_155
.LBB150_153:
	s_mov_b64 s[2:3], -1
                                        ; implicit-def: $vgpr2
	s_branch .LBB150_158
.LBB150_154:
	s_mov_b64 s[2:3], -1
                                        ; implicit-def: $vgpr2
.LBB150_155:
	s_andn2_b64 vcc, exec, s[2:3]
	s_cbranch_vccnz .LBB150_157
; %bb.156:
	global_load_ushort v2, v[0:1], off
	s_waitcnt vmcnt(0)
	v_cvt_f32_u32_e32 v2, v2
.LBB150_157:
	s_mov_b64 s[2:3], 0
.LBB150_158:
	s_andn2_b64 vcc, exec, s[2:3]
	s_cbranch_vccnz .LBB150_166
; %bb.159:
	global_load_ubyte v3, v[0:1], off
	s_movk_i32 s2, 0x7f
	s_waitcnt vmcnt(0)
	v_cmp_lt_i16_e32 vcc, s2, v3
	s_mov_b64 s[2:3], 0
	s_and_saveexec_b64 s[18:19], vcc
	s_xor_b64 s[18:19], exec, s[18:19]
	s_cbranch_execz .LBB150_179
; %bb.160:
	s_movk_i32 s2, 0x80
	v_cmp_eq_u16_e32 vcc, s2, v3
	s_mov_b64 s[2:3], -1
	s_and_saveexec_b64 s[24:25], vcc
; %bb.161:
	s_xor_b64 s[2:3], exec, -1
; %bb.162:
	s_or_b64 exec, exec, s[24:25]
	s_and_b64 s[2:3], s[2:3], exec
	s_or_saveexec_b64 s[18:19], s[18:19]
	v_mov_b32_e32 v2, 0x7f800001
	s_xor_b64 exec, exec, s[18:19]
	s_cbranch_execnz .LBB150_180
.LBB150_163:
	s_or_b64 exec, exec, s[18:19]
	s_and_saveexec_b64 s[18:19], s[2:3]
	s_cbranch_execz .LBB150_165
.LBB150_164:
	v_lshlrev_b32_e32 v2, 24, v3
	v_and_b32_e32 v3, 0xffff, v3
	v_and_b32_e32 v5, 7, v3
	v_ffbh_u32_e32 v7, v5
	v_min_u32_e32 v7, 32, v7
	v_subrev_u32_e32 v8, 28, v7
	v_bfe_u32 v6, v3, 3, 4
	v_lshlrev_b32_e32 v3, v8, v3
	v_sub_u32_e32 v7, 29, v7
	v_and_b32_e32 v3, 7, v3
	v_cmp_eq_u32_e32 vcc, 0, v6
	v_cndmask_b32_e32 v6, v6, v7, vcc
	v_cndmask_b32_e32 v3, v5, v3, vcc
	v_mov_b32_e32 v5, 0x3b800000
	v_lshlrev_b32_e32 v3, 20, v3
	v_and_b32_e32 v2, 0x80000000, v2
	v_lshl_add_u32 v5, v6, 23, v5
	v_or3_b32 v2, v2, v5, v3
.LBB150_165:
	s_or_b64 exec, exec, s[18:19]
.LBB150_166:
	s_mov_b64 s[2:3], -1
.LBB150_167:
	s_branch .LBB150_202
.LBB150_168:
	s_cmp_gt_i32 s28, 22
	s_cbranch_scc0 .LBB150_178
; %bb.169:
	s_cmp_lt_i32 s28, 24
	s_cbranch_scc1 .LBB150_181
; %bb.170:
	s_cmp_gt_i32 s28, 24
	s_cbranch_scc0 .LBB150_182
; %bb.171:
	global_load_ubyte v3, v[0:1], off
	s_movk_i32 s2, 0x7f
	s_waitcnt vmcnt(0)
	v_cmp_lt_i16_e32 vcc, s2, v3
	s_mov_b64 s[2:3], 0
	s_and_saveexec_b64 s[18:19], vcc
	s_xor_b64 s[18:19], exec, s[18:19]
	s_cbranch_execz .LBB150_194
; %bb.172:
	s_movk_i32 s2, 0x80
	v_cmp_eq_u16_e32 vcc, s2, v3
	s_mov_b64 s[2:3], -1
	s_and_saveexec_b64 s[24:25], vcc
; %bb.173:
	s_xor_b64 s[2:3], exec, -1
; %bb.174:
	s_or_b64 exec, exec, s[24:25]
	s_and_b64 s[2:3], s[2:3], exec
	s_or_saveexec_b64 s[18:19], s[18:19]
	v_mov_b32_e32 v2, 0x7f800001
	s_xor_b64 exec, exec, s[18:19]
	s_cbranch_execnz .LBB150_195
.LBB150_175:
	s_or_b64 exec, exec, s[18:19]
	s_and_saveexec_b64 s[18:19], s[2:3]
	s_cbranch_execz .LBB150_177
.LBB150_176:
	v_lshlrev_b32_e32 v2, 24, v3
	v_and_b32_e32 v3, 0xffff, v3
	v_and_b32_e32 v5, 3, v3
	v_ffbh_u32_e32 v7, v5
	v_min_u32_e32 v7, 32, v7
	v_subrev_u32_e32 v8, 29, v7
	v_bfe_u32 v6, v3, 2, 5
	v_lshlrev_b32_e32 v3, v8, v3
	v_sub_u32_e32 v7, 30, v7
	v_and_b32_e32 v3, 3, v3
	v_cmp_eq_u32_e32 vcc, 0, v6
	v_cndmask_b32_e32 v6, v6, v7, vcc
	v_cndmask_b32_e32 v3, v5, v3, vcc
	v_mov_b32_e32 v5, 0x37800000
	v_lshlrev_b32_e32 v3, 21, v3
	v_and_b32_e32 v2, 0x80000000, v2
	v_lshl_add_u32 v5, v6, 23, v5
	v_or3_b32 v2, v2, v5, v3
.LBB150_177:
	s_or_b64 exec, exec, s[18:19]
	s_mov_b64 s[2:3], 0
	s_branch .LBB150_183
.LBB150_178:
	s_mov_b64 s[18:19], -1
                                        ; implicit-def: $vgpr2
	s_branch .LBB150_189
.LBB150_179:
	s_or_saveexec_b64 s[18:19], s[18:19]
	v_mov_b32_e32 v2, 0x7f800001
	s_xor_b64 exec, exec, s[18:19]
	s_cbranch_execz .LBB150_163
.LBB150_180:
	v_cmp_ne_u16_e32 vcc, 0, v3
	s_andn2_b64 s[2:3], s[2:3], exec
	s_and_b64 s[24:25], vcc, exec
	v_mov_b32_e32 v2, 0
	s_or_b64 s[2:3], s[2:3], s[24:25]
	s_or_b64 exec, exec, s[18:19]
	s_and_saveexec_b64 s[18:19], s[2:3]
	s_cbranch_execnz .LBB150_164
	s_branch .LBB150_165
.LBB150_181:
	s_mov_b64 s[2:3], -1
                                        ; implicit-def: $vgpr2
	s_branch .LBB150_186
.LBB150_182:
	s_mov_b64 s[2:3], -1
                                        ; implicit-def: $vgpr2
.LBB150_183:
	s_and_b64 vcc, exec, s[2:3]
	s_cbranch_vccz .LBB150_185
; %bb.184:
	global_load_ubyte v2, v[0:1], off
	s_mov_b32 s2, 0x7f800000
	s_waitcnt vmcnt(0)
	v_lshlrev_b32_e32 v2, 24, v2
	v_and_b32_e32 v3, 0x7f000000, v2
	v_ffbh_u32_e32 v5, v3
	v_min_u32_e32 v5, 32, v5
	v_sub_u32_e64 v5, v5, 4 clamp
	v_lshlrev_b32_e32 v7, v5, v3
	v_lshlrev_b32_e32 v5, 23, v5
	v_lshrrev_b32_e32 v7, 4, v7
	v_add_u32_e32 v6, 0x1000000, v3
	v_sub_u32_e32 v5, v7, v5
	v_ashrrev_i32_e32 v6, 8, v6
	v_add_u32_e32 v5, 0x3c000000, v5
	v_and_or_b32 v5, v6, s2, v5
	v_cmp_ne_u32_e32 vcc, 0, v3
	v_cndmask_b32_e32 v3, 0, v5, vcc
	s_brev_b32 s2, 1
	v_and_or_b32 v2, v2, s2, v3
.LBB150_185:
	s_mov_b64 s[2:3], 0
.LBB150_186:
	s_andn2_b64 vcc, exec, s[2:3]
	s_cbranch_vccnz .LBB150_188
; %bb.187:
	global_load_ubyte v2, v[0:1], off
	s_movk_i32 s2, 0x7f00
	s_brev_b32 s3, 16
	s_waitcnt vmcnt(0)
	v_lshlrev_b16_e32 v3, 8, v2
	v_lshlrev_b32_e32 v2, 25, v2
	v_lshrrev_b32_e32 v5, 4, v2
	v_and_or_b32 v6, v3, s2, 0.5
	v_or_b32_e32 v5, 0x70000000, v5
	v_add_f32_e32 v6, -0.5, v6
	v_mul_f32_e32 v5, 0x7800000, v5
	v_cmp_gt_u32_e32 vcc, s3, v2
	v_bfe_i32 v3, v3, 0, 16
	v_cndmask_b32_e32 v2, v5, v6, vcc
	s_brev_b32 s2, 1
	v_and_or_b32 v2, v3, s2, v2
.LBB150_188:
	s_mov_b64 s[18:19], 0
	s_mov_b64 s[2:3], -1
.LBB150_189:
	s_andn2_b64 vcc, exec, s[18:19]
	s_cbranch_vccnz .LBB150_202
; %bb.190:
	s_cmp_gt_i32 s28, 14
	s_cbranch_scc0 .LBB150_193
; %bb.191:
	s_cmp_eq_u32 s28, 15
	s_cbranch_scc0 .LBB150_196
; %bb.192:
	global_load_ushort v2, v[0:1], off
	s_mov_b64 s[2:3], -1
	s_mov_b64 s[20:21], 0
	s_waitcnt vmcnt(0)
	v_lshlrev_b32_e32 v2, 16, v2
	s_branch .LBB150_197
.LBB150_193:
	s_mov_b64 s[18:19], -1
                                        ; implicit-def: $vgpr2
	s_branch .LBB150_198
.LBB150_194:
	s_or_saveexec_b64 s[18:19], s[18:19]
	v_mov_b32_e32 v2, 0x7f800001
	s_xor_b64 exec, exec, s[18:19]
	s_cbranch_execz .LBB150_175
.LBB150_195:
	v_cmp_ne_u16_e32 vcc, 0, v3
	s_andn2_b64 s[2:3], s[2:3], exec
	s_and_b64 s[24:25], vcc, exec
	v_mov_b32_e32 v2, 0
	s_or_b64 s[2:3], s[2:3], s[24:25]
	s_or_b64 exec, exec, s[18:19]
	s_and_saveexec_b64 s[18:19], s[2:3]
	s_cbranch_execnz .LBB150_176
	s_branch .LBB150_177
.LBB150_196:
	s_mov_b64 s[20:21], -1
                                        ; implicit-def: $vgpr2
.LBB150_197:
	s_mov_b64 s[18:19], 0
.LBB150_198:
	s_and_b64 vcc, exec, s[18:19]
	s_cbranch_vccz .LBB150_202
; %bb.199:
	s_cmp_eq_u32 s28, 11
	s_cbranch_scc0 .LBB150_201
; %bb.200:
	global_load_ubyte v2, v[0:1], off
	s_mov_b64 s[2:3], -1
	s_mov_b64 s[20:21], 0
	s_waitcnt vmcnt(0)
	v_cmp_ne_u16_e32 vcc, 0, v2
	v_cndmask_b32_e64 v2, 0, 1.0, vcc
	s_branch .LBB150_202
.LBB150_201:
	s_mov_b64 s[20:21], -1
                                        ; implicit-def: $vgpr2
.LBB150_202:
	s_branch .LBB150_10
.LBB150_203:
	s_cmp_lt_i32 s28, 5
	s_cbranch_scc1 .LBB150_208
; %bb.204:
	s_cmp_lt_i32 s28, 8
	s_cbranch_scc1 .LBB150_209
; %bb.205:
	;; [unrolled: 3-line block ×3, first 2 shown]
	s_cmp_gt_i32 s28, 9
	s_cbranch_scc0 .LBB150_211
; %bb.207:
	global_load_dwordx2 v[2:3], v[0:1], off
	s_mov_b64 s[2:3], 0
	s_waitcnt vmcnt(0)
	v_cvt_f32_f64_e32 v2, v[2:3]
	s_branch .LBB150_212
.LBB150_208:
                                        ; implicit-def: $vgpr2
	s_branch .LBB150_230
.LBB150_209:
	s_mov_b64 s[2:3], -1
                                        ; implicit-def: $vgpr2
	s_branch .LBB150_218
.LBB150_210:
	s_mov_b64 s[2:3], -1
                                        ; implicit-def: $vgpr2
	s_branch .LBB150_215
.LBB150_211:
	s_mov_b64 s[2:3], -1
                                        ; implicit-def: $vgpr2
.LBB150_212:
	s_andn2_b64 vcc, exec, s[2:3]
	s_cbranch_vccnz .LBB150_214
; %bb.213:
	global_load_dword v2, v[0:1], off
.LBB150_214:
	s_mov_b64 s[2:3], 0
.LBB150_215:
	s_andn2_b64 vcc, exec, s[2:3]
	s_cbranch_vccnz .LBB150_217
; %bb.216:
	global_load_dword v2, v[0:1], off
	s_waitcnt vmcnt(0)
	v_cvt_f32_f16_e32 v2, v2
.LBB150_217:
	s_mov_b64 s[2:3], 0
.LBB150_218:
	s_andn2_b64 vcc, exec, s[2:3]
	s_cbranch_vccnz .LBB150_229
; %bb.219:
	s_cmp_lt_i32 s28, 6
	s_cbranch_scc1 .LBB150_222
; %bb.220:
	s_cmp_gt_i32 s28, 6
	s_cbranch_scc0 .LBB150_223
; %bb.221:
	global_load_dwordx2 v[2:3], v[0:1], off
	s_mov_b64 s[2:3], 0
	s_waitcnt vmcnt(0)
	v_cvt_f32_f64_e32 v2, v[2:3]
	s_branch .LBB150_224
.LBB150_222:
	s_mov_b64 s[2:3], -1
                                        ; implicit-def: $vgpr2
	s_branch .LBB150_227
.LBB150_223:
	s_mov_b64 s[2:3], -1
                                        ; implicit-def: $vgpr2
.LBB150_224:
	s_andn2_b64 vcc, exec, s[2:3]
	s_cbranch_vccnz .LBB150_226
; %bb.225:
	global_load_dword v2, v[0:1], off
.LBB150_226:
	s_mov_b64 s[2:3], 0
.LBB150_227:
	s_andn2_b64 vcc, exec, s[2:3]
	s_cbranch_vccnz .LBB150_229
; %bb.228:
	global_load_ushort v2, v[0:1], off
	s_waitcnt vmcnt(0)
	v_cvt_f32_f16_e32 v2, v2
.LBB150_229:
	s_cbranch_execnz .LBB150_249
.LBB150_230:
	s_cmp_lt_i32 s28, 2
	s_cbranch_scc1 .LBB150_234
; %bb.231:
	s_cmp_lt_i32 s28, 3
	s_cbranch_scc1 .LBB150_235
; %bb.232:
	s_cmp_gt_i32 s28, 3
	s_cbranch_scc0 .LBB150_236
; %bb.233:
	global_load_dwordx2 v[2:3], v[0:1], off
	s_mov_b64 s[2:3], 0
	s_waitcnt vmcnt(0)
	v_xor_b32_e32 v6, v2, v3
	v_ffbh_i32_e32 v5, v3
	v_ashrrev_i32_e32 v6, 31, v6
	v_add_u32_e32 v5, -1, v5
	v_add_u32_e32 v6, 32, v6
	v_min_u32_e32 v5, v5, v6
	v_lshlrev_b64 v[2:3], v5, v[2:3]
	v_min_u32_e32 v2, 1, v2
	v_or_b32_e32 v2, v3, v2
	v_cvt_f32_i32_e32 v2, v2
	v_sub_u32_e32 v3, 32, v5
	v_ldexp_f32 v2, v2, v3
	s_branch .LBB150_237
.LBB150_234:
	s_mov_b64 s[2:3], -1
                                        ; implicit-def: $vgpr2
	s_branch .LBB150_243
.LBB150_235:
	s_mov_b64 s[2:3], -1
                                        ; implicit-def: $vgpr2
	s_branch .LBB150_240
.LBB150_236:
	s_mov_b64 s[2:3], -1
                                        ; implicit-def: $vgpr2
.LBB150_237:
	s_andn2_b64 vcc, exec, s[2:3]
	s_cbranch_vccnz .LBB150_239
; %bb.238:
	global_load_dword v2, v[0:1], off
	s_waitcnt vmcnt(0)
	v_cvt_f32_i32_e32 v2, v2
.LBB150_239:
	s_mov_b64 s[2:3], 0
.LBB150_240:
	s_andn2_b64 vcc, exec, s[2:3]
	s_cbranch_vccnz .LBB150_242
; %bb.241:
	global_load_sshort v2, v[0:1], off
	s_waitcnt vmcnt(0)
	v_cvt_f32_i32_e32 v2, v2
.LBB150_242:
	s_mov_b64 s[2:3], 0
.LBB150_243:
	s_andn2_b64 vcc, exec, s[2:3]
	s_cbranch_vccnz .LBB150_249
; %bb.244:
	s_cmp_gt_i32 s28, 0
	s_cbranch_scc0 .LBB150_246
; %bb.245:
	global_load_sbyte v2, v[0:1], off
	s_mov_b64 s[2:3], 0
	s_waitcnt vmcnt(0)
	v_cvt_f32_i32_e32 v2, v2
	s_branch .LBB150_247
.LBB150_246:
	s_mov_b64 s[2:3], -1
                                        ; implicit-def: $vgpr2
.LBB150_247:
	s_andn2_b64 vcc, exec, s[2:3]
	s_cbranch_vccnz .LBB150_249
; %bb.248:
	global_load_ubyte v0, v[0:1], off
	s_waitcnt vmcnt(0)
	v_cvt_f32_ubyte0_e32 v2, v0
.LBB150_249:
	s_branch .LBB150_11
.LBB150_250:
	s_mov_b64 s[2:3], 0
                                        ; implicit-def: $vgpr4
	s_mov_b64 s[24:25], 0
.LBB150_251:
	s_and_b64 s[18:19], s[2:3], exec
	s_and_b64 s[20:21], s[20:21], exec
	s_orn2_b64 s[2:3], s[24:25], exec
.LBB150_252:
	s_or_b64 exec, exec, s[22:23]
	s_mov_b64 s[30:31], 0
	s_mov_b64 s[28:29], 0
                                        ; implicit-def: $vgpr0_vgpr1
                                        ; implicit-def: $vgpr3
	s_and_saveexec_b64 s[22:23], s[2:3]
	s_cbranch_execz .LBB150_261
; %bb.253:
	v_cmp_gt_i32_e32 vcc, s44, v4
	s_mov_b64 s[2:3], -1
	s_mov_b64 s[24:25], s[20:21]
	s_mov_b64 s[26:27], s[18:19]
	s_and_saveexec_b64 s[28:29], vcc
	s_cbranch_execz .LBB150_513
; %bb.254:
	v_mul_lo_u32 v0, v4, s13
	v_mov_b32_e32 v1, s11
	s_and_b32 s34, 0xffff, s33
	s_cmp_lt_i32 s34, 11
	s_waitcnt vmcnt(0)
	v_ashrrev_i32_e32 v2, 31, v0
	v_add_co_u32_e32 v0, vcc, s10, v0
	v_addc_co_u32_e32 v1, vcc, v1, v2, vcc
	s_cbranch_scc1 .LBB150_264
; %bb.255:
	s_cmp_gt_i32 s34, 25
	s_cbranch_scc0 .LBB150_273
; %bb.256:
	s_cmp_gt_i32 s34, 28
	s_cbranch_scc0 .LBB150_275
	;; [unrolled: 3-line block ×4, first 2 shown]
; %bb.259:
	s_cmp_eq_u32 s34, 46
	s_mov_b64 s[26:27], 0
	s_cbranch_scc0 .LBB150_285
; %bb.260:
	global_load_dword v2, v[0:1], off
	s_mov_b64 s[24:25], 0
	s_waitcnt vmcnt(0)
	v_lshlrev_b32_e32 v2, 16, v2
	s_branch .LBB150_286
.LBB150_261:
	s_or_b64 exec, exec, s[22:23]
	s_mov_b64 s[2:3], 0
	s_and_saveexec_b64 s[22:23], s[20:21]
	s_cbranch_execnz .LBB150_859
.LBB150_262:
	s_or_b64 exec, exec, s[22:23]
	s_and_saveexec_b64 s[20:21], s[26:27]
	s_xor_b64 s[20:21], exec, s[20:21]
	s_cbranch_execz .LBB150_860
.LBB150_263:
	global_load_ubyte v2, v[0:1], off
	s_or_b64 s[28:29], s[28:29], exec
	s_waitcnt vmcnt(0)
	v_cmp_ne_u16_e32 vcc, 0, v2
	v_cndmask_b32_e64 v3, 0, 1.0, vcc
	s_or_b64 exec, exec, s[20:21]
	s_and_saveexec_b64 s[20:21], s[30:31]
	s_cbranch_execz .LBB150_906
	s_branch .LBB150_861
.LBB150_264:
	s_mov_b64 s[2:3], 0
                                        ; implicit-def: $vgpr2
	s_mov_b64 s[24:25], s[20:21]
	s_cbranch_execnz .LBB150_463
.LBB150_265:
	s_andn2_b64 vcc, exec, s[2:3]
	s_cbranch_vccnz .LBB150_511
.LBB150_266:
	v_mul_lo_u32 v0, v4, s12
	v_mov_b32_e32 v1, s15
	v_mov_b32_e32 v3, s9
	s_waitcnt vmcnt(0)
	v_cndmask_b32_e64 v2, v1, v2, s[0:1]
	v_ashrrev_i32_e32 v1, 31, v0
	s_and_b32 s36, s17, 0xff
	v_add_co_u32_e32 v0, vcc, s8, v0
	s_cmp_lt_i32 s36, 11
	v_addc_co_u32_e32 v1, vcc, v3, v1, vcc
	s_cbranch_scc1 .LBB150_274
; %bb.267:
	s_and_b32 s37, 0xffff, s36
	s_cmp_gt_i32 s37, 25
	s_cbranch_scc0 .LBB150_276
; %bb.268:
	s_cmp_gt_i32 s37, 28
	s_cbranch_scc0 .LBB150_278
; %bb.269:
	;; [unrolled: 3-line block ×4, first 2 shown]
	s_mov_b64 s[30:31], 0
	s_mov_b64 s[2:3], -1
	s_cmp_eq_u32 s37, 46
	s_mov_b64 s[26:27], 0
	s_cbranch_scc0 .LBB150_290
; %bb.272:
	v_bfe_u32 v3, v2, 16, 1
	s_movk_i32 s2, 0x7fff
	v_add3_u32 v3, v2, v3, s2
	v_cmp_o_f32_e32 vcc, v2, v2
	v_mov_b32_e32 v5, 0x7fc0
	v_cndmask_b32_sdwa v3, v5, v3, vcc dst_sel:DWORD dst_unused:UNUSED_PAD src0_sel:DWORD src1_sel:WORD_1
	global_store_dword v[0:1], v3, off
	s_mov_b64 s[26:27], -1
	s_mov_b64 s[2:3], 0
	s_branch .LBB150_290
.LBB150_273:
	s_mov_b64 s[26:27], -1
	s_mov_b64 s[2:3], 0
	s_mov_b64 s[24:25], s[20:21]
                                        ; implicit-def: $vgpr2
	s_branch .LBB150_427
.LBB150_274:
	s_mov_b64 s[30:31], -1
	s_mov_b64 s[26:27], 0
	s_mov_b64 s[2:3], s[18:19]
	s_branch .LBB150_359
.LBB150_275:
	s_mov_b64 s[26:27], -1
	s_mov_b64 s[2:3], 0
	s_mov_b64 s[24:25], s[20:21]
                                        ; implicit-def: $vgpr2
	s_branch .LBB150_408
.LBB150_276:
	s_mov_b64 s[30:31], -1
	s_mov_b64 s[26:27], 0
	s_mov_b64 s[2:3], s[18:19]
	s_branch .LBB150_317
.LBB150_277:
	s_mov_b64 s[26:27], -1
	s_mov_b64 s[2:3], 0
	s_mov_b64 s[24:25], s[20:21]
                                        ; implicit-def: $vgpr2
	s_branch .LBB150_403
.LBB150_278:
	s_mov_b64 s[30:31], -1
	s_mov_b64 s[26:27], 0
	s_mov_b64 s[2:3], s[18:19]
	s_branch .LBB150_300
.LBB150_279:
	s_andn2_saveexec_b64 s[28:29], s[28:29]
	s_cbranch_execz .LBB150_55
.LBB150_280:
	s_mov_b32 s34, 0x46000000
	v_add_f32_e64 v3, |v2|, s34
	v_and_b32_e32 v3, 0xff, v3
	v_cmp_ne_u32_e32 vcc, 0, v3
	s_andn2_b64 s[24:25], s[24:25], exec
	s_and_b64 s[34:35], vcc, exec
	s_or_b64 s[24:25], s[24:25], s[34:35]
	s_or_b64 exec, exec, s[28:29]
	v_mov_b32_e32 v5, 0
	s_and_saveexec_b64 s[28:29], s[24:25]
	s_cbranch_execnz .LBB150_56
	s_branch .LBB150_57
.LBB150_281:
	s_mov_b64 s[26:27], -1
	s_mov_b64 s[2:3], 0
	s_mov_b64 s[24:25], s[20:21]
                                        ; implicit-def: $vgpr2
	s_branch .LBB150_286
.LBB150_282:
	s_mov_b64 s[30:31], -1
	s_mov_b64 s[26:27], 0
	s_mov_b64 s[2:3], s[18:19]
	s_branch .LBB150_296
.LBB150_283:
	s_andn2_saveexec_b64 s[28:29], s[28:29]
	s_cbranch_execz .LBB150_68
.LBB150_284:
	s_mov_b32 s34, 0x42800000
	v_add_f32_e64 v3, |v2|, s34
	v_and_b32_e32 v3, 0xff, v3
	v_cmp_ne_u32_e32 vcc, 0, v3
	s_andn2_b64 s[24:25], s[24:25], exec
	s_and_b64 s[34:35], vcc, exec
	s_or_b64 s[24:25], s[24:25], s[34:35]
	s_or_b64 exec, exec, s[28:29]
	v_mov_b32_e32 v5, 0
	s_and_saveexec_b64 s[28:29], s[24:25]
	s_cbranch_execnz .LBB150_69
	s_branch .LBB150_70
.LBB150_285:
	s_mov_b64 s[24:25], -1
                                        ; implicit-def: $vgpr2
	s_mov_b64 s[2:3], 0
.LBB150_286:
	s_and_b64 vcc, exec, s[26:27]
	s_cbranch_vccz .LBB150_402
; %bb.287:
	s_cmp_eq_u32 s34, 44
	s_cbranch_scc0 .LBB150_401
; %bb.288:
	global_load_ubyte v2, v[0:1], off
	s_movk_i32 s24, 0xff
	v_mov_b32_e32 v3, 0x7f800001
	v_mov_b32_e32 v5, 0x400000
	s_mov_b64 s[2:3], -1
	s_waitcnt vmcnt(0)
	v_lshlrev_b32_e32 v6, 23, v2
	v_cmp_ne_u32_e32 vcc, s24, v2
	v_cndmask_b32_e32 v3, v3, v6, vcc
	v_cmp_ne_u32_e32 vcc, 0, v2
	v_cndmask_b32_e32 v2, v5, v3, vcc
	s_mov_b64 s[24:25], 0
	s_branch .LBB150_402
.LBB150_289:
	s_mov_b64 s[30:31], -1
	s_mov_b64 s[26:27], 0
	s_mov_b64 s[2:3], s[18:19]
.LBB150_290:
	s_and_b64 vcc, exec, s[30:31]
	s_cbranch_vccz .LBB150_295
; %bb.291:
	s_cmp_eq_u32 s37, 44
	s_mov_b64 s[2:3], -1
	s_cbranch_scc0 .LBB150_295
; %bb.292:
	v_bfe_u32 v3, v2, 23, 8
	s_movk_i32 s2, 0xff
	v_cmp_ne_u32_e32 vcc, s2, v3
	v_mov_b32_e32 v5, 0xff
	s_and_saveexec_b64 s[26:27], vcc
; %bb.293:
	s_mov_b32 s2, 0x3fffff
	v_and_b32_e32 v6, 0x400000, v2
	v_and_or_b32 v3, v2, s2, v3
	v_cmp_ne_u32_e32 vcc, 0, v6
	v_cmp_ne_u32_e64 s[2:3], 0, v3
	s_and_b64 s[2:3], vcc, s[2:3]
	v_lshrrev_b32_e32 v5, 23, v2
	v_cndmask_b32_e64 v3, 0, 1, s[2:3]
	v_add_u32_e32 v5, v5, v3
; %bb.294:
	s_or_b64 exec, exec, s[26:27]
	s_mov_b64 s[26:27], -1
	s_mov_b64 s[2:3], 0
	global_store_byte v[0:1], v5, off
.LBB150_295:
	s_mov_b64 s[30:31], 0
.LBB150_296:
	s_and_b64 vcc, exec, s[30:31]
	s_cbranch_vccz .LBB150_299
; %bb.297:
	s_cmp_eq_u32 s37, 29
	s_mov_b64 s[2:3], -1
	s_cbranch_scc0 .LBB150_299
; %bb.298:
	v_trunc_f32_e32 v3, v2
	v_mul_f32_e32 v5, 0x2f800000, v3
	v_floor_f32_e32 v5, v5
	v_fmac_f32_e32 v3, 0xcf800000, v5
	v_cvt_u32_f32_e32 v6, v5
	v_cvt_u32_f32_e32 v5, v3
	s_mov_b64 s[26:27], -1
	s_mov_b64 s[2:3], 0
	s_mov_b64 s[30:31], 0
	global_store_dwordx2 v[0:1], v[5:6], off
	s_branch .LBB150_300
.LBB150_299:
	s_mov_b64 s[30:31], 0
.LBB150_300:
	s_and_b64 vcc, exec, s[30:31]
	s_cbranch_vccz .LBB150_316
; %bb.301:
	s_cmp_lt_i32 s37, 27
	s_mov_b64 s[26:27], -1
	s_cbranch_scc1 .LBB150_307
; %bb.302:
	v_cvt_u32_f32_e32 v3, v2
	s_cmp_gt_i32 s37, 27
	s_cbranch_scc0 .LBB150_304
; %bb.303:
	s_mov_b64 s[26:27], 0
	global_store_dword v[0:1], v3, off
.LBB150_304:
	s_andn2_b64 vcc, exec, s[26:27]
	s_cbranch_vccnz .LBB150_306
; %bb.305:
	global_store_short v[0:1], v3, off
.LBB150_306:
	s_mov_b64 s[26:27], 0
.LBB150_307:
	s_andn2_b64 vcc, exec, s[26:27]
	s_cbranch_vccnz .LBB150_315
; %bb.308:
	v_and_b32_e32 v3, 0x7fffffff, v2
	s_mov_b32 s26, 0x43800000
	v_cmp_gt_u32_e32 vcc, s26, v3
	v_mov_b32_e32 v5, 0x80
	s_and_saveexec_b64 s[26:27], vcc
	s_cbranch_execz .LBB150_314
; %bb.309:
	s_mov_b32 s30, 0x3bffffff
	v_cmp_lt_u32_e32 vcc, s30, v3
	s_mov_b64 s[30:31], 0
                                        ; implicit-def: $vgpr3
	s_and_saveexec_b64 s[34:35], vcc
	s_xor_b64 s[34:35], exec, s[34:35]
	s_cbranch_execz .LBB150_526
; %bb.310:
	v_bfe_u32 v3, v2, 20, 1
	s_mov_b32 s38, 0x487ffff
	v_add3_u32 v3, v2, v3, s38
	s_mov_b64 s[30:31], exec
	v_lshrrev_b32_e32 v3, 20, v3
	s_andn2_saveexec_b64 s[34:35], s[34:35]
	s_cbranch_execnz .LBB150_527
.LBB150_311:
	s_or_b64 exec, exec, s[34:35]
	v_mov_b32_e32 v5, 0
	s_and_saveexec_b64 s[34:35], s[30:31]
.LBB150_312:
	v_lshrrev_b32_e32 v5, 24, v2
	s_movk_i32 s30, 0x80
	v_and_or_b32 v5, v5, s30, v3
.LBB150_313:
	s_or_b64 exec, exec, s[34:35]
.LBB150_314:
	s_or_b64 exec, exec, s[26:27]
	global_store_byte v[0:1], v5, off
.LBB150_315:
	s_mov_b64 s[26:27], -1
.LBB150_316:
	s_mov_b64 s[30:31], 0
.LBB150_317:
	s_and_b64 vcc, exec, s[30:31]
	s_cbranch_vccz .LBB150_358
; %bb.318:
	s_cmp_gt_i32 s37, 22
	s_mov_b64 s[30:31], -1
	s_cbranch_scc0 .LBB150_350
; %bb.319:
	s_cmp_lt_i32 s37, 24
	s_mov_b64 s[26:27], -1
	s_cbranch_scc1 .LBB150_339
; %bb.320:
	s_cmp_gt_i32 s37, 24
	s_cbranch_scc0 .LBB150_328
; %bb.321:
	v_and_b32_e32 v3, 0x7fffffff, v2
	s_mov_b32 s26, 0x47800000
	v_cmp_gt_u32_e32 vcc, s26, v3
	v_mov_b32_e32 v5, 0x80
	s_and_saveexec_b64 s[26:27], vcc
	s_cbranch_execz .LBB150_327
; %bb.322:
	s_mov_b32 s30, 0x37ffffff
	v_cmp_lt_u32_e32 vcc, s30, v3
	s_mov_b64 s[30:31], 0
                                        ; implicit-def: $vgpr3
	s_and_saveexec_b64 s[34:35], vcc
	s_xor_b64 s[34:35], exec, s[34:35]
	s_cbranch_execz .LBB150_529
; %bb.323:
	v_bfe_u32 v3, v2, 21, 1
	s_mov_b32 s38, 0x88fffff
	v_add3_u32 v3, v2, v3, s38
	s_mov_b64 s[30:31], exec
	v_lshrrev_b32_e32 v3, 21, v3
	s_andn2_saveexec_b64 s[34:35], s[34:35]
	s_cbranch_execnz .LBB150_530
.LBB150_324:
	s_or_b64 exec, exec, s[34:35]
	v_mov_b32_e32 v5, 0
	s_and_saveexec_b64 s[34:35], s[30:31]
.LBB150_325:
	v_lshrrev_b32_e32 v5, 24, v2
	s_movk_i32 s30, 0x80
	v_and_or_b32 v5, v5, s30, v3
.LBB150_326:
	s_or_b64 exec, exec, s[34:35]
.LBB150_327:
	s_or_b64 exec, exec, s[26:27]
	s_mov_b64 s[26:27], 0
	global_store_byte v[0:1], v5, off
.LBB150_328:
	s_and_b64 vcc, exec, s[26:27]
	s_cbranch_vccz .LBB150_338
; %bb.329:
	v_and_b32_e32 v5, 0x7fffffff, v2
	s_mov_b32 s26, 0x43f00000
	v_cmp_gt_u32_e32 vcc, s26, v5
                                        ; implicit-def: $vgpr3
	s_and_saveexec_b64 s[26:27], vcc
	s_xor_b64 s[26:27], exec, s[26:27]
	s_cbranch_execz .LBB150_335
; %bb.330:
	s_mov_b32 s30, 0x3c7fffff
	v_cmp_lt_u32_e32 vcc, s30, v5
                                        ; implicit-def: $vgpr3
	s_and_saveexec_b64 s[30:31], vcc
	s_xor_b64 s[30:31], exec, s[30:31]
; %bb.331:
	v_bfe_u32 v3, v2, 20, 1
	s_mov_b32 s34, 0x407ffff
	v_add3_u32 v3, v2, v3, s34
	v_lshrrev_b32_e32 v5, 20, v3
	v_and_b32_e32 v3, 0xff00000, v3
	s_mov_b32 s34, 0x7f00000
	v_mov_b32_e32 v6, 0x7e
	v_cmp_ne_u32_e32 vcc, s34, v3
	v_cndmask_b32_e32 v3, v6, v5, vcc
; %bb.332:
	s_andn2_saveexec_b64 s[30:31], s[30:31]
; %bb.333:
	s_mov_b32 s34, 0x46800000
	v_add_f32_e64 v3, |v2|, s34
; %bb.334:
	s_or_b64 exec, exec, s[30:31]
                                        ; implicit-def: $vgpr5
.LBB150_335:
	s_andn2_saveexec_b64 s[26:27], s[26:27]
; %bb.336:
	s_mov_b32 s30, 0x7f800000
	v_mov_b32_e32 v3, 0x7e
	v_mov_b32_e32 v6, 0x7f
	v_cmp_lt_u32_e32 vcc, s30, v5
	v_cndmask_b32_e32 v3, v3, v6, vcc
; %bb.337:
	s_or_b64 exec, exec, s[26:27]
	v_lshrrev_b32_e32 v5, 24, v2
	s_movk_i32 s26, 0x80
	v_and_or_b32 v3, v5, s26, v3
	global_store_byte v[0:1], v3, off
.LBB150_338:
	s_mov_b64 s[26:27], 0
.LBB150_339:
	s_andn2_b64 vcc, exec, s[26:27]
	s_cbranch_vccnz .LBB150_349
; %bb.340:
	v_and_b32_e32 v5, 0x7fffffff, v2
	s_mov_b32 s26, 0x47800000
	v_cmp_gt_u32_e32 vcc, s26, v5
                                        ; implicit-def: $vgpr3
	s_and_saveexec_b64 s[26:27], vcc
	s_xor_b64 s[26:27], exec, s[26:27]
	s_cbranch_execz .LBB150_346
; %bb.341:
	s_mov_b32 s30, 0x387fffff
	v_cmp_lt_u32_e32 vcc, s30, v5
                                        ; implicit-def: $vgpr3
	s_and_saveexec_b64 s[30:31], vcc
	s_xor_b64 s[30:31], exec, s[30:31]
; %bb.342:
	v_bfe_u32 v3, v2, 21, 1
	s_mov_b32 s34, 0x80fffff
	v_add3_u32 v3, v2, v3, s34
	v_lshrrev_b32_e32 v3, 21, v3
; %bb.343:
	s_andn2_saveexec_b64 s[30:31], s[30:31]
; %bb.344:
	s_mov_b32 s34, 0x43000000
	v_add_f32_e64 v3, |v2|, s34
; %bb.345:
	s_or_b64 exec, exec, s[30:31]
                                        ; implicit-def: $vgpr5
.LBB150_346:
	s_andn2_saveexec_b64 s[26:27], s[26:27]
; %bb.347:
	s_mov_b32 s30, 0x7f800000
	v_mov_b32_e32 v3, 0x7c
	v_mov_b32_e32 v6, 0x7f
	v_cmp_lt_u32_e32 vcc, s30, v5
	v_cndmask_b32_e32 v3, v3, v6, vcc
; %bb.348:
	s_or_b64 exec, exec, s[26:27]
	v_lshrrev_b32_e32 v5, 24, v2
	s_movk_i32 s26, 0x80
	v_and_or_b32 v3, v5, s26, v3
	global_store_byte v[0:1], v3, off
.LBB150_349:
	s_mov_b64 s[30:31], 0
	s_mov_b64 s[26:27], -1
.LBB150_350:
	s_andn2_b64 vcc, exec, s[30:31]
	s_cbranch_vccnz .LBB150_358
; %bb.351:
	s_cmp_gt_i32 s37, 14
	s_mov_b64 s[30:31], -1
	s_cbranch_scc0 .LBB150_355
; %bb.352:
	s_cmp_eq_u32 s37, 15
	s_mov_b64 s[2:3], -1
	s_cbranch_scc0 .LBB150_354
; %bb.353:
	v_bfe_u32 v3, v2, 16, 1
	s_movk_i32 s2, 0x7fff
	v_add3_u32 v3, v2, v3, s2
	v_cmp_o_f32_e32 vcc, v2, v2
	v_mov_b32_e32 v5, 0x7fc0
	v_cndmask_b32_sdwa v3, v5, v3, vcc dst_sel:DWORD dst_unused:UNUSED_PAD src0_sel:DWORD src1_sel:WORD_1
	global_store_short v[0:1], v3, off
	s_mov_b64 s[26:27], -1
	s_mov_b64 s[2:3], 0
.LBB150_354:
	s_mov_b64 s[30:31], 0
.LBB150_355:
	s_and_b64 vcc, exec, s[30:31]
	s_cbranch_vccz .LBB150_358
; %bb.356:
	s_cmp_eq_u32 s37, 11
	s_mov_b64 s[2:3], -1
	s_cbranch_scc0 .LBB150_358
; %bb.357:
	v_cmp_neq_f32_e32 vcc, 0, v2
	v_cndmask_b32_e64 v3, 0, 1, vcc
	s_mov_b64 s[26:27], -1
	s_mov_b64 s[2:3], 0
	global_store_byte v[0:1], v3, off
.LBB150_358:
	s_mov_b64 s[30:31], 0
.LBB150_359:
	s_and_b64 vcc, exec, s[30:31]
	s_cbranch_vccz .LBB150_398
; %bb.360:
	s_and_b32 s30, 0xffff, s36
	s_cmp_lt_i32 s30, 5
	s_mov_b64 s[26:27], -1
	s_cbranch_scc1 .LBB150_381
; %bb.361:
	s_cmp_lt_i32 s30, 8
	s_cbranch_scc1 .LBB150_371
; %bb.362:
	s_cmp_lt_i32 s30, 9
	s_cbranch_scc1 .LBB150_368
; %bb.363:
	s_cmp_gt_i32 s30, 9
	s_cbranch_scc0 .LBB150_365
; %bb.364:
	v_cvt_f64_f32_e32 v[5:6], v2
	v_mov_b32_e32 v7, 0
	v_mov_b32_e32 v8, v7
	s_mov_b64 s[26:27], 0
	global_store_dwordx4 v[0:1], v[5:8], off
.LBB150_365:
	s_andn2_b64 vcc, exec, s[26:27]
	s_cbranch_vccnz .LBB150_367
; %bb.366:
	v_mov_b32_e32 v3, 0
	global_store_dwordx2 v[0:1], v[2:3], off
.LBB150_367:
	s_mov_b64 s[26:27], 0
.LBB150_368:
	s_andn2_b64 vcc, exec, s[26:27]
	s_cbranch_vccnz .LBB150_370
; %bb.369:
	v_cvt_f16_f32_e32 v3, v2
	global_store_dword v[0:1], v3, off
.LBB150_370:
	s_mov_b64 s[26:27], 0
.LBB150_371:
	s_andn2_b64 vcc, exec, s[26:27]
	s_cbranch_vccnz .LBB150_380
; %bb.372:
	s_cmp_lt_i32 s30, 6
	s_mov_b64 s[26:27], -1
	s_cbranch_scc1 .LBB150_378
; %bb.373:
	s_cmp_gt_i32 s30, 6
	s_cbranch_scc0 .LBB150_375
; %bb.374:
	v_cvt_f64_f32_e32 v[5:6], v2
	s_mov_b64 s[26:27], 0
	global_store_dwordx2 v[0:1], v[5:6], off
.LBB150_375:
	s_andn2_b64 vcc, exec, s[26:27]
	s_cbranch_vccnz .LBB150_377
; %bb.376:
	global_store_dword v[0:1], v2, off
.LBB150_377:
	s_mov_b64 s[26:27], 0
.LBB150_378:
	s_andn2_b64 vcc, exec, s[26:27]
	s_cbranch_vccnz .LBB150_380
; %bb.379:
	v_cvt_f16_f32_e32 v3, v2
	global_store_short v[0:1], v3, off
.LBB150_380:
	s_mov_b64 s[26:27], 0
.LBB150_381:
	s_andn2_b64 vcc, exec, s[26:27]
	s_cbranch_vccnz .LBB150_397
; %bb.382:
	s_cmp_lt_i32 s30, 2
	s_mov_b64 s[26:27], -1
	s_cbranch_scc1 .LBB150_392
; %bb.383:
	s_cmp_lt_i32 s30, 3
	s_cbranch_scc1 .LBB150_389
; %bb.384:
	s_cmp_gt_i32 s30, 3
	s_cbranch_scc0 .LBB150_386
; %bb.385:
	v_trunc_f32_e32 v3, v2
	s_mov_b32 s26, 0x2f800000
	v_mul_f32_e64 v5, |v3|, s26
	v_floor_f32_e32 v5, v5
	s_mov_b32 s26, 0xcf800000
	v_cvt_u32_f32_e32 v6, v5
	v_fma_f32 v5, v5, s26, |v3|
	v_cvt_u32_f32_e32 v5, v5
	v_ashrrev_i32_e32 v3, 31, v3
	v_xor_b32_e32 v6, v6, v3
	s_mov_b64 s[26:27], 0
	v_xor_b32_e32 v5, v5, v3
	v_sub_co_u32_e32 v5, vcc, v5, v3
	v_subb_co_u32_e32 v6, vcc, v6, v3, vcc
	global_store_dwordx2 v[0:1], v[5:6], off
.LBB150_386:
	s_andn2_b64 vcc, exec, s[26:27]
	s_cbranch_vccnz .LBB150_388
; %bb.387:
	v_cvt_i32_f32_e32 v3, v2
	global_store_dword v[0:1], v3, off
.LBB150_388:
	s_mov_b64 s[26:27], 0
.LBB150_389:
	s_andn2_b64 vcc, exec, s[26:27]
	s_cbranch_vccnz .LBB150_391
; %bb.390:
	v_cvt_i32_f32_e32 v3, v2
	global_store_short v[0:1], v3, off
.LBB150_391:
	s_mov_b64 s[26:27], 0
.LBB150_392:
	s_andn2_b64 vcc, exec, s[26:27]
	s_cbranch_vccnz .LBB150_397
; %bb.393:
	s_cmp_gt_i32 s30, 0
	s_mov_b64 s[26:27], -1
	s_cbranch_scc0 .LBB150_395
; %bb.394:
	v_cvt_i32_f32_e32 v3, v2
	s_mov_b64 s[26:27], 0
	global_store_byte v[0:1], v3, off
.LBB150_395:
	s_andn2_b64 vcc, exec, s[26:27]
	s_cbranch_vccnz .LBB150_397
; %bb.396:
	v_trunc_f32_e32 v2, v2
	s_mov_b32 s26, 0x2f800000
	v_mul_f32_e64 v3, |v2|, s26
	v_floor_f32_e32 v3, v3
	s_mov_b32 s26, 0xcf800000
	v_fma_f32 v3, v3, s26, |v2|
	v_cvt_u32_f32_e32 v3, v3
	v_ashrrev_i32_e32 v2, 31, v2
	v_xor_b32_e32 v3, v3, v2
	v_sub_u32_e32 v2, v3, v2
	global_store_byte v[0:1], v2, off
.LBB150_397:
	s_mov_b64 s[26:27], -1
.LBB150_398:
	s_andn2_b64 vcc, exec, s[26:27]
	s_cbranch_vccnz .LBB150_400
; %bb.399:
	v_add_u32_e32 v4, 0x80, v4
	s_mov_b64 s[30:31], -1
	s_branch .LBB150_512
.LBB150_400:
	s_mov_b64 s[30:31], 0
                                        ; implicit-def: $vgpr4
	s_branch .LBB150_512
.LBB150_401:
	s_mov_b64 s[24:25], -1
                                        ; implicit-def: $vgpr2
.LBB150_402:
	s_mov_b64 s[26:27], 0
.LBB150_403:
	s_and_b64 vcc, exec, s[26:27]
	s_cbranch_vccz .LBB150_407
; %bb.404:
	s_cmp_eq_u32 s34, 29
	s_cbranch_scc0 .LBB150_406
; %bb.405:
	global_load_dwordx2 v[2:3], v[0:1], off
	s_mov_b64 s[2:3], -1
	s_mov_b64 s[24:25], 0
	s_mov_b64 s[26:27], 0
	s_waitcnt vmcnt(0)
	v_ffbh_u32_e32 v5, v3
	v_min_u32_e32 v5, 32, v5
	v_lshlrev_b64 v[2:3], v5, v[2:3]
	v_min_u32_e32 v2, 1, v2
	v_or_b32_e32 v2, v3, v2
	v_cvt_f32_u32_e32 v2, v2
	v_sub_u32_e32 v3, 32, v5
	v_ldexp_f32 v2, v2, v3
	s_branch .LBB150_408
.LBB150_406:
	s_mov_b64 s[24:25], -1
                                        ; implicit-def: $vgpr2
.LBB150_407:
	s_mov_b64 s[26:27], 0
.LBB150_408:
	s_and_b64 vcc, exec, s[26:27]
	s_cbranch_vccz .LBB150_426
; %bb.409:
	s_cmp_lt_i32 s34, 27
	s_cbranch_scc1 .LBB150_412
; %bb.410:
	s_cmp_gt_i32 s34, 27
	s_cbranch_scc0 .LBB150_413
; %bb.411:
	global_load_dword v2, v[0:1], off
	s_mov_b64 s[2:3], 0
	s_waitcnt vmcnt(0)
	v_cvt_f32_u32_e32 v2, v2
	s_branch .LBB150_414
.LBB150_412:
	s_mov_b64 s[2:3], -1
                                        ; implicit-def: $vgpr2
	s_branch .LBB150_417
.LBB150_413:
	s_mov_b64 s[2:3], -1
                                        ; implicit-def: $vgpr2
.LBB150_414:
	s_andn2_b64 vcc, exec, s[2:3]
	s_cbranch_vccnz .LBB150_416
; %bb.415:
	global_load_ushort v2, v[0:1], off
	s_waitcnt vmcnt(0)
	v_cvt_f32_u32_e32 v2, v2
.LBB150_416:
	s_mov_b64 s[2:3], 0
.LBB150_417:
	s_andn2_b64 vcc, exec, s[2:3]
	s_cbranch_vccnz .LBB150_425
; %bb.418:
	global_load_ubyte v3, v[0:1], off
	s_movk_i32 s2, 0x7f
	s_waitcnt vmcnt(0)
	v_cmp_lt_i16_e32 vcc, s2, v3
	s_mov_b64 s[2:3], 0
	s_and_saveexec_b64 s[26:27], vcc
	s_xor_b64 s[26:27], exec, s[26:27]
	s_cbranch_execz .LBB150_439
; %bb.419:
	s_movk_i32 s2, 0x80
	v_cmp_eq_u16_e32 vcc, s2, v3
	s_mov_b64 s[2:3], -1
	s_and_saveexec_b64 s[30:31], vcc
; %bb.420:
	s_xor_b64 s[2:3], exec, -1
; %bb.421:
	s_or_b64 exec, exec, s[30:31]
	s_and_b64 s[2:3], s[2:3], exec
	s_or_saveexec_b64 s[26:27], s[26:27]
	v_mov_b32_e32 v2, 0x7f800001
	s_xor_b64 exec, exec, s[26:27]
	s_cbranch_execnz .LBB150_440
.LBB150_422:
	s_or_b64 exec, exec, s[26:27]
	s_and_saveexec_b64 s[26:27], s[2:3]
	s_cbranch_execz .LBB150_424
.LBB150_423:
	v_lshlrev_b32_e32 v2, 24, v3
	v_and_b32_e32 v3, 0xffff, v3
	v_and_b32_e32 v5, 7, v3
	v_ffbh_u32_e32 v7, v5
	v_min_u32_e32 v7, 32, v7
	v_subrev_u32_e32 v8, 28, v7
	v_bfe_u32 v6, v3, 3, 4
	v_lshlrev_b32_e32 v3, v8, v3
	v_sub_u32_e32 v7, 29, v7
	v_and_b32_e32 v3, 7, v3
	v_cmp_eq_u32_e32 vcc, 0, v6
	v_cndmask_b32_e32 v6, v6, v7, vcc
	v_cndmask_b32_e32 v3, v5, v3, vcc
	v_mov_b32_e32 v5, 0x3b800000
	v_lshlrev_b32_e32 v3, 20, v3
	v_and_b32_e32 v2, 0x80000000, v2
	v_lshl_add_u32 v5, v6, 23, v5
	v_or3_b32 v2, v2, v5, v3
.LBB150_424:
	s_or_b64 exec, exec, s[26:27]
.LBB150_425:
	s_mov_b64 s[2:3], -1
.LBB150_426:
	s_mov_b64 s[26:27], 0
.LBB150_427:
	s_and_b64 vcc, exec, s[26:27]
	s_cbranch_vccz .LBB150_462
; %bb.428:
	s_cmp_gt_i32 s34, 22
	s_cbranch_scc0 .LBB150_438
; %bb.429:
	s_cmp_lt_i32 s34, 24
	s_cbranch_scc1 .LBB150_441
; %bb.430:
	s_cmp_gt_i32 s34, 24
	s_cbranch_scc0 .LBB150_442
; %bb.431:
	global_load_ubyte v3, v[0:1], off
	s_movk_i32 s2, 0x7f
	s_waitcnt vmcnt(0)
	v_cmp_lt_i16_e32 vcc, s2, v3
	s_mov_b64 s[2:3], 0
	s_and_saveexec_b64 s[26:27], vcc
	s_xor_b64 s[26:27], exec, s[26:27]
	s_cbranch_execz .LBB150_454
; %bb.432:
	s_movk_i32 s2, 0x80
	v_cmp_eq_u16_e32 vcc, s2, v3
	s_mov_b64 s[2:3], -1
	s_and_saveexec_b64 s[30:31], vcc
; %bb.433:
	s_xor_b64 s[2:3], exec, -1
; %bb.434:
	s_or_b64 exec, exec, s[30:31]
	s_and_b64 s[2:3], s[2:3], exec
	s_or_saveexec_b64 s[26:27], s[26:27]
	v_mov_b32_e32 v2, 0x7f800001
	s_xor_b64 exec, exec, s[26:27]
	s_cbranch_execnz .LBB150_455
.LBB150_435:
	s_or_b64 exec, exec, s[26:27]
	s_and_saveexec_b64 s[26:27], s[2:3]
	s_cbranch_execz .LBB150_437
.LBB150_436:
	v_lshlrev_b32_e32 v2, 24, v3
	v_and_b32_e32 v3, 0xffff, v3
	v_and_b32_e32 v5, 3, v3
	v_ffbh_u32_e32 v7, v5
	v_min_u32_e32 v7, 32, v7
	v_subrev_u32_e32 v8, 29, v7
	v_bfe_u32 v6, v3, 2, 5
	v_lshlrev_b32_e32 v3, v8, v3
	v_sub_u32_e32 v7, 30, v7
	v_and_b32_e32 v3, 3, v3
	v_cmp_eq_u32_e32 vcc, 0, v6
	v_cndmask_b32_e32 v6, v6, v7, vcc
	v_cndmask_b32_e32 v3, v5, v3, vcc
	v_mov_b32_e32 v5, 0x37800000
	v_lshlrev_b32_e32 v3, 21, v3
	v_and_b32_e32 v2, 0x80000000, v2
	v_lshl_add_u32 v5, v6, 23, v5
	v_or3_b32 v2, v2, v5, v3
.LBB150_437:
	s_or_b64 exec, exec, s[26:27]
	s_mov_b64 s[2:3], 0
	s_branch .LBB150_443
.LBB150_438:
	s_mov_b64 s[26:27], -1
                                        ; implicit-def: $vgpr2
	s_branch .LBB150_449
.LBB150_439:
	s_or_saveexec_b64 s[26:27], s[26:27]
	v_mov_b32_e32 v2, 0x7f800001
	s_xor_b64 exec, exec, s[26:27]
	s_cbranch_execz .LBB150_422
.LBB150_440:
	v_cmp_ne_u16_e32 vcc, 0, v3
	s_andn2_b64 s[2:3], s[2:3], exec
	s_and_b64 s[30:31], vcc, exec
	v_mov_b32_e32 v2, 0
	s_or_b64 s[2:3], s[2:3], s[30:31]
	s_or_b64 exec, exec, s[26:27]
	s_and_saveexec_b64 s[26:27], s[2:3]
	s_cbranch_execnz .LBB150_423
	s_branch .LBB150_424
.LBB150_441:
	s_mov_b64 s[2:3], -1
                                        ; implicit-def: $vgpr2
	s_branch .LBB150_446
.LBB150_442:
	s_mov_b64 s[2:3], -1
                                        ; implicit-def: $vgpr2
.LBB150_443:
	s_and_b64 vcc, exec, s[2:3]
	s_cbranch_vccz .LBB150_445
; %bb.444:
	global_load_ubyte v2, v[0:1], off
	s_mov_b32 s2, 0x7f800000
	s_waitcnt vmcnt(0)
	v_lshlrev_b32_e32 v2, 24, v2
	v_and_b32_e32 v3, 0x7f000000, v2
	v_ffbh_u32_e32 v5, v3
	v_min_u32_e32 v5, 32, v5
	v_sub_u32_e64 v5, v5, 4 clamp
	v_lshlrev_b32_e32 v7, v5, v3
	v_lshlrev_b32_e32 v5, 23, v5
	v_lshrrev_b32_e32 v7, 4, v7
	v_add_u32_e32 v6, 0x1000000, v3
	v_sub_u32_e32 v5, v7, v5
	v_ashrrev_i32_e32 v6, 8, v6
	v_add_u32_e32 v5, 0x3c000000, v5
	v_and_or_b32 v5, v6, s2, v5
	v_cmp_ne_u32_e32 vcc, 0, v3
	v_cndmask_b32_e32 v3, 0, v5, vcc
	s_brev_b32 s2, 1
	v_and_or_b32 v2, v2, s2, v3
.LBB150_445:
	s_mov_b64 s[2:3], 0
.LBB150_446:
	s_andn2_b64 vcc, exec, s[2:3]
	s_cbranch_vccnz .LBB150_448
; %bb.447:
	global_load_ubyte v2, v[0:1], off
	s_movk_i32 s2, 0x7f00
	s_brev_b32 s3, 16
	s_waitcnt vmcnt(0)
	v_lshlrev_b16_e32 v3, 8, v2
	v_lshlrev_b32_e32 v2, 25, v2
	v_lshrrev_b32_e32 v5, 4, v2
	v_and_or_b32 v6, v3, s2, 0.5
	v_or_b32_e32 v5, 0x70000000, v5
	v_add_f32_e32 v6, -0.5, v6
	v_mul_f32_e32 v5, 0x7800000, v5
	v_cmp_gt_u32_e32 vcc, s3, v2
	v_bfe_i32 v3, v3, 0, 16
	v_cndmask_b32_e32 v2, v5, v6, vcc
	s_brev_b32 s2, 1
	v_and_or_b32 v2, v3, s2, v2
.LBB150_448:
	s_mov_b64 s[26:27], 0
	s_mov_b64 s[2:3], -1
.LBB150_449:
	s_andn2_b64 vcc, exec, s[26:27]
	s_cbranch_vccnz .LBB150_462
; %bb.450:
	s_cmp_gt_i32 s34, 14
	s_cbranch_scc0 .LBB150_453
; %bb.451:
	s_cmp_eq_u32 s34, 15
	s_cbranch_scc0 .LBB150_456
; %bb.452:
	global_load_ushort v2, v[0:1], off
	s_mov_b64 s[2:3], -1
	s_mov_b64 s[24:25], 0
	s_waitcnt vmcnt(0)
	v_lshlrev_b32_e32 v2, 16, v2
	s_branch .LBB150_457
.LBB150_453:
	s_mov_b64 s[26:27], -1
                                        ; implicit-def: $vgpr2
	s_branch .LBB150_458
.LBB150_454:
	s_or_saveexec_b64 s[26:27], s[26:27]
	v_mov_b32_e32 v2, 0x7f800001
	s_xor_b64 exec, exec, s[26:27]
	s_cbranch_execz .LBB150_435
.LBB150_455:
	v_cmp_ne_u16_e32 vcc, 0, v3
	s_andn2_b64 s[2:3], s[2:3], exec
	s_and_b64 s[30:31], vcc, exec
	v_mov_b32_e32 v2, 0
	s_or_b64 s[2:3], s[2:3], s[30:31]
	s_or_b64 exec, exec, s[26:27]
	s_and_saveexec_b64 s[26:27], s[2:3]
	s_cbranch_execnz .LBB150_436
	s_branch .LBB150_437
.LBB150_456:
	s_mov_b64 s[24:25], -1
                                        ; implicit-def: $vgpr2
.LBB150_457:
	s_mov_b64 s[26:27], 0
.LBB150_458:
	s_and_b64 vcc, exec, s[26:27]
	s_cbranch_vccz .LBB150_462
; %bb.459:
	s_cmp_eq_u32 s34, 11
	s_cbranch_scc0 .LBB150_461
; %bb.460:
	global_load_ubyte v2, v[0:1], off
	s_mov_b64 s[2:3], -1
	s_mov_b64 s[24:25], 0
	s_waitcnt vmcnt(0)
	v_cmp_ne_u16_e32 vcc, 0, v2
	v_cndmask_b32_e64 v2, 0, 1.0, vcc
	s_branch .LBB150_462
.LBB150_461:
	s_mov_b64 s[24:25], -1
                                        ; implicit-def: $vgpr2
.LBB150_462:
	s_branch .LBB150_265
.LBB150_463:
	s_cmp_lt_i32 s34, 5
	s_cbranch_scc1 .LBB150_468
; %bb.464:
	s_cmp_lt_i32 s34, 8
	s_cbranch_scc1 .LBB150_469
; %bb.465:
	;; [unrolled: 3-line block ×3, first 2 shown]
	s_cmp_gt_i32 s34, 9
	s_cbranch_scc0 .LBB150_471
; %bb.467:
	global_load_dwordx2 v[2:3], v[0:1], off
	s_mov_b64 s[2:3], 0
	s_waitcnt vmcnt(0)
	v_cvt_f32_f64_e32 v2, v[2:3]
	s_branch .LBB150_472
.LBB150_468:
	s_mov_b64 s[2:3], -1
                                        ; implicit-def: $vgpr2
	s_branch .LBB150_490
.LBB150_469:
	s_mov_b64 s[2:3], -1
                                        ; implicit-def: $vgpr2
	s_branch .LBB150_478
.LBB150_470:
	s_mov_b64 s[2:3], -1
                                        ; implicit-def: $vgpr2
	s_branch .LBB150_475
.LBB150_471:
	s_mov_b64 s[2:3], -1
                                        ; implicit-def: $vgpr2
.LBB150_472:
	s_andn2_b64 vcc, exec, s[2:3]
	s_cbranch_vccnz .LBB150_474
; %bb.473:
	global_load_dword v2, v[0:1], off
.LBB150_474:
	s_mov_b64 s[2:3], 0
.LBB150_475:
	s_andn2_b64 vcc, exec, s[2:3]
	s_cbranch_vccnz .LBB150_477
; %bb.476:
	global_load_dword v2, v[0:1], off
	s_waitcnt vmcnt(0)
	v_cvt_f32_f16_e32 v2, v2
.LBB150_477:
	s_mov_b64 s[2:3], 0
.LBB150_478:
	s_andn2_b64 vcc, exec, s[2:3]
	s_cbranch_vccnz .LBB150_489
; %bb.479:
	s_cmp_lt_i32 s34, 6
	s_cbranch_scc1 .LBB150_482
; %bb.480:
	s_cmp_gt_i32 s34, 6
	s_cbranch_scc0 .LBB150_483
; %bb.481:
	global_load_dwordx2 v[2:3], v[0:1], off
	s_mov_b64 s[2:3], 0
	s_waitcnt vmcnt(0)
	v_cvt_f32_f64_e32 v2, v[2:3]
	s_branch .LBB150_484
.LBB150_482:
	s_mov_b64 s[2:3], -1
                                        ; implicit-def: $vgpr2
	s_branch .LBB150_487
.LBB150_483:
	s_mov_b64 s[2:3], -1
                                        ; implicit-def: $vgpr2
.LBB150_484:
	s_andn2_b64 vcc, exec, s[2:3]
	s_cbranch_vccnz .LBB150_486
; %bb.485:
	global_load_dword v2, v[0:1], off
.LBB150_486:
	s_mov_b64 s[2:3], 0
.LBB150_487:
	s_andn2_b64 vcc, exec, s[2:3]
	s_cbranch_vccnz .LBB150_489
; %bb.488:
	global_load_ushort v2, v[0:1], off
	s_waitcnt vmcnt(0)
	v_cvt_f32_f16_e32 v2, v2
.LBB150_489:
	s_mov_b64 s[2:3], 0
.LBB150_490:
	s_andn2_b64 vcc, exec, s[2:3]
	s_cbranch_vccnz .LBB150_510
; %bb.491:
	s_cmp_lt_i32 s34, 2
	s_cbranch_scc1 .LBB150_495
; %bb.492:
	s_cmp_lt_i32 s34, 3
	s_cbranch_scc1 .LBB150_496
; %bb.493:
	s_cmp_gt_i32 s34, 3
	s_cbranch_scc0 .LBB150_497
; %bb.494:
	global_load_dwordx2 v[2:3], v[0:1], off
	s_mov_b64 s[2:3], 0
	s_waitcnt vmcnt(0)
	v_xor_b32_e32 v6, v2, v3
	v_ffbh_i32_e32 v5, v3
	v_ashrrev_i32_e32 v6, 31, v6
	v_add_u32_e32 v5, -1, v5
	v_add_u32_e32 v6, 32, v6
	v_min_u32_e32 v5, v5, v6
	v_lshlrev_b64 v[2:3], v5, v[2:3]
	v_min_u32_e32 v2, 1, v2
	v_or_b32_e32 v2, v3, v2
	v_cvt_f32_i32_e32 v2, v2
	v_sub_u32_e32 v3, 32, v5
	v_ldexp_f32 v2, v2, v3
	s_branch .LBB150_498
.LBB150_495:
	s_mov_b64 s[2:3], -1
                                        ; implicit-def: $vgpr2
	s_branch .LBB150_504
.LBB150_496:
	s_mov_b64 s[2:3], -1
                                        ; implicit-def: $vgpr2
	s_branch .LBB150_501
.LBB150_497:
	s_mov_b64 s[2:3], -1
                                        ; implicit-def: $vgpr2
.LBB150_498:
	s_andn2_b64 vcc, exec, s[2:3]
	s_cbranch_vccnz .LBB150_500
; %bb.499:
	global_load_dword v2, v[0:1], off
	s_waitcnt vmcnt(0)
	v_cvt_f32_i32_e32 v2, v2
.LBB150_500:
	s_mov_b64 s[2:3], 0
.LBB150_501:
	s_andn2_b64 vcc, exec, s[2:3]
	s_cbranch_vccnz .LBB150_503
; %bb.502:
	global_load_sshort v2, v[0:1], off
	s_waitcnt vmcnt(0)
	v_cvt_f32_i32_e32 v2, v2
.LBB150_503:
	s_mov_b64 s[2:3], 0
.LBB150_504:
	s_andn2_b64 vcc, exec, s[2:3]
	s_cbranch_vccnz .LBB150_510
; %bb.505:
	s_cmp_gt_i32 s34, 0
	s_cbranch_scc0 .LBB150_507
; %bb.506:
	global_load_sbyte v2, v[0:1], off
	s_mov_b64 s[2:3], 0
	s_waitcnt vmcnt(0)
	v_cvt_f32_i32_e32 v2, v2
	s_branch .LBB150_508
.LBB150_507:
	s_mov_b64 s[2:3], -1
                                        ; implicit-def: $vgpr2
.LBB150_508:
	s_andn2_b64 vcc, exec, s[2:3]
	s_cbranch_vccnz .LBB150_510
; %bb.509:
	global_load_ubyte v0, v[0:1], off
	s_waitcnt vmcnt(0)
	v_cvt_f32_ubyte0_e32 v2, v0
.LBB150_510:
	s_branch .LBB150_266
.LBB150_511:
	s_mov_b64 s[30:31], 0
                                        ; implicit-def: $vgpr4
	s_mov_b64 s[2:3], s[18:19]
.LBB150_512:
	s_andn2_b64 s[26:27], s[18:19], exec
	s_and_b64 s[2:3], s[2:3], exec
	s_or_b64 s[26:27], s[26:27], s[2:3]
	s_andn2_b64 s[2:3], s[20:21], exec
	s_and_b64 s[24:25], s[24:25], exec
	s_or_b64 s[24:25], s[2:3], s[24:25]
	s_orn2_b64 s[2:3], s[30:31], exec
.LBB150_513:
	s_or_b64 exec, exec, s[28:29]
	s_mov_b64 s[34:35], 0
	s_mov_b64 s[30:31], 0
	;; [unrolled: 1-line block ×3, first 2 shown]
                                        ; implicit-def: $vgpr0_vgpr1
                                        ; implicit-def: $vgpr3
	s_and_saveexec_b64 s[28:29], s[2:3]
	s_cbranch_execz .LBB150_858
; %bb.514:
	v_cmp_gt_i32_e32 vcc, s44, v4
	s_mov_b64 s[40:41], -1
	s_mov_b64 s[2:3], s[24:25]
	s_mov_b64 s[36:37], s[26:27]
	s_and_saveexec_b64 s[30:31], vcc
	s_cbranch_execz .LBB150_772
; %bb.515:
	v_mul_lo_u32 v0, v4, s13
	v_mov_b32_e32 v1, s11
	s_and_b32 s40, 0xffff, s33
	s_cmp_lt_i32 s40, 11
	s_waitcnt vmcnt(0)
	v_ashrrev_i32_e32 v2, 31, v0
	v_add_co_u32_e32 v0, vcc, s10, v0
	v_addc_co_u32_e32 v1, vcc, v1, v2, vcc
	s_cbranch_scc1 .LBB150_522
; %bb.516:
	s_cmp_gt_i32 s40, 25
	s_cbranch_scc0 .LBB150_523
; %bb.517:
	s_cmp_gt_i32 s40, 28
	s_cbranch_scc0 .LBB150_524
	;; [unrolled: 3-line block ×4, first 2 shown]
; %bb.520:
	s_cmp_eq_u32 s40, 46
	s_mov_b64 s[36:37], 0
	s_cbranch_scc0 .LBB150_531
; %bb.521:
	global_load_dword v2, v[0:1], off
	s_mov_b64 s[2:3], -1
	s_waitcnt vmcnt(0)
	v_lshlrev_b32_e32 v2, 16, v2
	s_branch .LBB150_532
.LBB150_522:
	s_mov_b64 s[36:37], -1
	s_mov_b64 s[2:3], 0
                                        ; implicit-def: $vgpr2
	s_mov_b64 s[34:35], s[24:25]
	s_branch .LBB150_597
.LBB150_523:
	s_mov_b64 s[36:37], -1
	s_mov_b64 s[2:3], 0
	s_mov_b64 s[34:35], s[24:25]
                                        ; implicit-def: $vgpr2
	s_branch .LBB150_561
.LBB150_524:
	s_mov_b64 s[36:37], -1
	s_mov_b64 s[2:3], 0
	s_mov_b64 s[34:35], s[24:25]
                                        ; implicit-def: $vgpr2
	s_branch .LBB150_542
.LBB150_525:
	s_mov_b64 s[36:37], -1
	s_mov_b64 s[2:3], 0
	s_mov_b64 s[34:35], s[24:25]
                                        ; implicit-def: $vgpr2
	s_branch .LBB150_537
.LBB150_526:
	s_andn2_saveexec_b64 s[34:35], s[34:35]
	s_cbranch_execz .LBB150_311
.LBB150_527:
	s_mov_b32 s38, 0x46000000
	v_add_f32_e64 v3, |v2|, s38
	v_and_b32_e32 v3, 0xff, v3
	v_cmp_ne_u32_e32 vcc, 0, v3
	s_andn2_b64 s[30:31], s[30:31], exec
	s_and_b64 s[38:39], vcc, exec
	s_or_b64 s[30:31], s[30:31], s[38:39]
	s_or_b64 exec, exec, s[34:35]
	v_mov_b32_e32 v5, 0
	s_and_saveexec_b64 s[34:35], s[30:31]
	s_cbranch_execnz .LBB150_312
	s_branch .LBB150_313
.LBB150_528:
	s_mov_b64 s[36:37], -1
	s_mov_b64 s[2:3], 0
	s_mov_b64 s[34:35], s[24:25]
                                        ; implicit-def: $vgpr2
	s_branch .LBB150_532
.LBB150_529:
	s_andn2_saveexec_b64 s[34:35], s[34:35]
	s_cbranch_execz .LBB150_324
.LBB150_530:
	s_mov_b32 s38, 0x42800000
	v_add_f32_e64 v3, |v2|, s38
	v_and_b32_e32 v3, 0xff, v3
	v_cmp_ne_u32_e32 vcc, 0, v3
	s_andn2_b64 s[30:31], s[30:31], exec
	s_and_b64 s[38:39], vcc, exec
	s_or_b64 s[30:31], s[30:31], s[38:39]
	s_or_b64 exec, exec, s[34:35]
	v_mov_b32_e32 v5, 0
	s_and_saveexec_b64 s[34:35], s[30:31]
	s_cbranch_execnz .LBB150_325
	s_branch .LBB150_326
.LBB150_531:
	s_mov_b64 s[34:35], -1
                                        ; implicit-def: $vgpr2
	s_mov_b64 s[2:3], 0
.LBB150_532:
	s_and_b64 vcc, exec, s[36:37]
	s_cbranch_vccz .LBB150_536
; %bb.533:
	s_cmp_eq_u32 s40, 44
	s_cbranch_scc0 .LBB150_535
; %bb.534:
	global_load_ubyte v2, v[0:1], off
	s_movk_i32 s34, 0xff
	v_mov_b32_e32 v3, 0x7f800001
	v_mov_b32_e32 v5, 0x400000
	s_mov_b64 s[2:3], -1
	s_waitcnt vmcnt(0)
	v_lshlrev_b32_e32 v6, 23, v2
	v_cmp_ne_u32_e32 vcc, s34, v2
	v_cndmask_b32_e32 v3, v3, v6, vcc
	v_cmp_ne_u32_e32 vcc, 0, v2
	v_cndmask_b32_e32 v2, v5, v3, vcc
	s_mov_b64 s[34:35], 0
	s_branch .LBB150_536
.LBB150_535:
	s_mov_b64 s[34:35], -1
                                        ; implicit-def: $vgpr2
.LBB150_536:
	s_mov_b64 s[36:37], 0
.LBB150_537:
	s_and_b64 vcc, exec, s[36:37]
	s_cbranch_vccz .LBB150_541
; %bb.538:
	s_cmp_eq_u32 s40, 29
	s_cbranch_scc0 .LBB150_540
; %bb.539:
	global_load_dwordx2 v[2:3], v[0:1], off
	s_mov_b64 s[2:3], -1
	s_mov_b64 s[34:35], 0
	s_mov_b64 s[36:37], 0
	s_waitcnt vmcnt(0)
	v_ffbh_u32_e32 v5, v3
	v_min_u32_e32 v5, 32, v5
	v_lshlrev_b64 v[2:3], v5, v[2:3]
	v_min_u32_e32 v2, 1, v2
	v_or_b32_e32 v2, v3, v2
	v_cvt_f32_u32_e32 v2, v2
	v_sub_u32_e32 v3, 32, v5
	v_ldexp_f32 v2, v2, v3
	s_branch .LBB150_542
.LBB150_540:
	s_mov_b64 s[34:35], -1
                                        ; implicit-def: $vgpr2
.LBB150_541:
	s_mov_b64 s[36:37], 0
.LBB150_542:
	s_and_b64 vcc, exec, s[36:37]
	s_cbranch_vccz .LBB150_560
; %bb.543:
	s_cmp_lt_i32 s40, 27
	s_cbranch_scc1 .LBB150_546
; %bb.544:
	s_cmp_gt_i32 s40, 27
	s_cbranch_scc0 .LBB150_547
; %bb.545:
	global_load_dword v2, v[0:1], off
	s_mov_b64 s[2:3], 0
	s_waitcnt vmcnt(0)
	v_cvt_f32_u32_e32 v2, v2
	s_branch .LBB150_548
.LBB150_546:
	s_mov_b64 s[2:3], -1
                                        ; implicit-def: $vgpr2
	s_branch .LBB150_551
.LBB150_547:
	s_mov_b64 s[2:3], -1
                                        ; implicit-def: $vgpr2
.LBB150_548:
	s_andn2_b64 vcc, exec, s[2:3]
	s_cbranch_vccnz .LBB150_550
; %bb.549:
	global_load_ushort v2, v[0:1], off
	s_waitcnt vmcnt(0)
	v_cvt_f32_u32_e32 v2, v2
.LBB150_550:
	s_mov_b64 s[2:3], 0
.LBB150_551:
	s_andn2_b64 vcc, exec, s[2:3]
	s_cbranch_vccnz .LBB150_559
; %bb.552:
	global_load_ubyte v3, v[0:1], off
	s_movk_i32 s2, 0x7f
	s_waitcnt vmcnt(0)
	v_cmp_lt_i16_e32 vcc, s2, v3
	s_mov_b64 s[2:3], 0
	s_and_saveexec_b64 s[36:37], vcc
	s_xor_b64 s[36:37], exec, s[36:37]
	s_cbranch_execz .LBB150_573
; %bb.553:
	s_movk_i32 s2, 0x80
	v_cmp_eq_u16_e32 vcc, s2, v3
	s_mov_b64 s[2:3], -1
	s_and_saveexec_b64 s[38:39], vcc
; %bb.554:
	s_xor_b64 s[2:3], exec, -1
; %bb.555:
	s_or_b64 exec, exec, s[38:39]
	s_and_b64 s[2:3], s[2:3], exec
	s_or_saveexec_b64 s[36:37], s[36:37]
	v_mov_b32_e32 v2, 0x7f800001
	s_xor_b64 exec, exec, s[36:37]
	s_cbranch_execnz .LBB150_574
.LBB150_556:
	s_or_b64 exec, exec, s[36:37]
	s_and_saveexec_b64 s[36:37], s[2:3]
	s_cbranch_execz .LBB150_558
.LBB150_557:
	v_lshlrev_b32_e32 v2, 24, v3
	v_and_b32_e32 v3, 0xffff, v3
	v_and_b32_e32 v5, 7, v3
	v_ffbh_u32_e32 v7, v5
	v_min_u32_e32 v7, 32, v7
	v_subrev_u32_e32 v8, 28, v7
	v_bfe_u32 v6, v3, 3, 4
	v_lshlrev_b32_e32 v3, v8, v3
	v_sub_u32_e32 v7, 29, v7
	v_and_b32_e32 v3, 7, v3
	v_cmp_eq_u32_e32 vcc, 0, v6
	v_cndmask_b32_e32 v6, v6, v7, vcc
	v_cndmask_b32_e32 v3, v5, v3, vcc
	v_mov_b32_e32 v5, 0x3b800000
	v_lshlrev_b32_e32 v3, 20, v3
	v_and_b32_e32 v2, 0x80000000, v2
	v_lshl_add_u32 v5, v6, 23, v5
	v_or3_b32 v2, v2, v5, v3
.LBB150_558:
	s_or_b64 exec, exec, s[36:37]
.LBB150_559:
	s_mov_b64 s[2:3], -1
.LBB150_560:
	s_mov_b64 s[36:37], 0
.LBB150_561:
	s_and_b64 vcc, exec, s[36:37]
	s_cbranch_vccz .LBB150_596
; %bb.562:
	s_cmp_gt_i32 s40, 22
	s_cbranch_scc0 .LBB150_572
; %bb.563:
	s_cmp_lt_i32 s40, 24
	s_cbranch_scc1 .LBB150_575
; %bb.564:
	s_cmp_gt_i32 s40, 24
	s_cbranch_scc0 .LBB150_576
; %bb.565:
	global_load_ubyte v3, v[0:1], off
	s_movk_i32 s2, 0x7f
	s_waitcnt vmcnt(0)
	v_cmp_lt_i16_e32 vcc, s2, v3
	s_mov_b64 s[2:3], 0
	s_and_saveexec_b64 s[36:37], vcc
	s_xor_b64 s[36:37], exec, s[36:37]
	s_cbranch_execz .LBB150_588
; %bb.566:
	s_movk_i32 s2, 0x80
	v_cmp_eq_u16_e32 vcc, s2, v3
	s_mov_b64 s[2:3], -1
	s_and_saveexec_b64 s[38:39], vcc
; %bb.567:
	s_xor_b64 s[2:3], exec, -1
; %bb.568:
	s_or_b64 exec, exec, s[38:39]
	s_and_b64 s[2:3], s[2:3], exec
	s_or_saveexec_b64 s[36:37], s[36:37]
	v_mov_b32_e32 v2, 0x7f800001
	s_xor_b64 exec, exec, s[36:37]
	s_cbranch_execnz .LBB150_589
.LBB150_569:
	s_or_b64 exec, exec, s[36:37]
	s_and_saveexec_b64 s[36:37], s[2:3]
	s_cbranch_execz .LBB150_571
.LBB150_570:
	v_lshlrev_b32_e32 v2, 24, v3
	v_and_b32_e32 v3, 0xffff, v3
	v_and_b32_e32 v5, 3, v3
	v_ffbh_u32_e32 v7, v5
	v_min_u32_e32 v7, 32, v7
	v_subrev_u32_e32 v8, 29, v7
	v_bfe_u32 v6, v3, 2, 5
	v_lshlrev_b32_e32 v3, v8, v3
	v_sub_u32_e32 v7, 30, v7
	v_and_b32_e32 v3, 3, v3
	v_cmp_eq_u32_e32 vcc, 0, v6
	v_cndmask_b32_e32 v6, v6, v7, vcc
	v_cndmask_b32_e32 v3, v5, v3, vcc
	v_mov_b32_e32 v5, 0x37800000
	v_lshlrev_b32_e32 v3, 21, v3
	v_and_b32_e32 v2, 0x80000000, v2
	v_lshl_add_u32 v5, v6, 23, v5
	v_or3_b32 v2, v2, v5, v3
.LBB150_571:
	s_or_b64 exec, exec, s[36:37]
	s_mov_b64 s[2:3], 0
	s_branch .LBB150_577
.LBB150_572:
	s_mov_b64 s[36:37], -1
                                        ; implicit-def: $vgpr2
	s_branch .LBB150_583
.LBB150_573:
	s_or_saveexec_b64 s[36:37], s[36:37]
	v_mov_b32_e32 v2, 0x7f800001
	s_xor_b64 exec, exec, s[36:37]
	s_cbranch_execz .LBB150_556
.LBB150_574:
	v_cmp_ne_u16_e32 vcc, 0, v3
	s_andn2_b64 s[2:3], s[2:3], exec
	s_and_b64 s[38:39], vcc, exec
	v_mov_b32_e32 v2, 0
	s_or_b64 s[2:3], s[2:3], s[38:39]
	s_or_b64 exec, exec, s[36:37]
	s_and_saveexec_b64 s[36:37], s[2:3]
	s_cbranch_execnz .LBB150_557
	s_branch .LBB150_558
.LBB150_575:
	s_mov_b64 s[2:3], -1
                                        ; implicit-def: $vgpr2
	s_branch .LBB150_580
.LBB150_576:
	s_mov_b64 s[2:3], -1
                                        ; implicit-def: $vgpr2
.LBB150_577:
	s_and_b64 vcc, exec, s[2:3]
	s_cbranch_vccz .LBB150_579
; %bb.578:
	global_load_ubyte v2, v[0:1], off
	s_mov_b32 s2, 0x7f800000
	s_waitcnt vmcnt(0)
	v_lshlrev_b32_e32 v2, 24, v2
	v_and_b32_e32 v3, 0x7f000000, v2
	v_ffbh_u32_e32 v5, v3
	v_min_u32_e32 v5, 32, v5
	v_sub_u32_e64 v5, v5, 4 clamp
	v_lshlrev_b32_e32 v7, v5, v3
	v_lshlrev_b32_e32 v5, 23, v5
	v_lshrrev_b32_e32 v7, 4, v7
	v_add_u32_e32 v6, 0x1000000, v3
	v_sub_u32_e32 v5, v7, v5
	v_ashrrev_i32_e32 v6, 8, v6
	v_add_u32_e32 v5, 0x3c000000, v5
	v_and_or_b32 v5, v6, s2, v5
	v_cmp_ne_u32_e32 vcc, 0, v3
	v_cndmask_b32_e32 v3, 0, v5, vcc
	s_brev_b32 s2, 1
	v_and_or_b32 v2, v2, s2, v3
.LBB150_579:
	s_mov_b64 s[2:3], 0
.LBB150_580:
	s_andn2_b64 vcc, exec, s[2:3]
	s_cbranch_vccnz .LBB150_582
; %bb.581:
	global_load_ubyte v2, v[0:1], off
	s_movk_i32 s2, 0x7f00
	s_brev_b32 s3, 16
	s_waitcnt vmcnt(0)
	v_lshlrev_b16_e32 v3, 8, v2
	v_lshlrev_b32_e32 v2, 25, v2
	v_lshrrev_b32_e32 v5, 4, v2
	v_and_or_b32 v6, v3, s2, 0.5
	v_or_b32_e32 v5, 0x70000000, v5
	v_add_f32_e32 v6, -0.5, v6
	v_mul_f32_e32 v5, 0x7800000, v5
	v_cmp_gt_u32_e32 vcc, s3, v2
	v_bfe_i32 v3, v3, 0, 16
	v_cndmask_b32_e32 v2, v5, v6, vcc
	s_brev_b32 s2, 1
	v_and_or_b32 v2, v3, s2, v2
.LBB150_582:
	s_mov_b64 s[36:37], 0
	s_mov_b64 s[2:3], -1
.LBB150_583:
	s_andn2_b64 vcc, exec, s[36:37]
	s_cbranch_vccnz .LBB150_596
; %bb.584:
	s_cmp_gt_i32 s40, 14
	s_cbranch_scc0 .LBB150_587
; %bb.585:
	s_cmp_eq_u32 s40, 15
	s_cbranch_scc0 .LBB150_590
; %bb.586:
	global_load_ushort v2, v[0:1], off
	s_mov_b64 s[2:3], -1
	s_mov_b64 s[34:35], 0
	s_waitcnt vmcnt(0)
	v_lshlrev_b32_e32 v2, 16, v2
	s_branch .LBB150_591
.LBB150_587:
	s_mov_b64 s[36:37], -1
                                        ; implicit-def: $vgpr2
	s_branch .LBB150_592
.LBB150_588:
	s_or_saveexec_b64 s[36:37], s[36:37]
	v_mov_b32_e32 v2, 0x7f800001
	s_xor_b64 exec, exec, s[36:37]
	s_cbranch_execz .LBB150_569
.LBB150_589:
	v_cmp_ne_u16_e32 vcc, 0, v3
	s_andn2_b64 s[2:3], s[2:3], exec
	s_and_b64 s[38:39], vcc, exec
	v_mov_b32_e32 v2, 0
	s_or_b64 s[2:3], s[2:3], s[38:39]
	s_or_b64 exec, exec, s[36:37]
	s_and_saveexec_b64 s[36:37], s[2:3]
	s_cbranch_execnz .LBB150_570
	s_branch .LBB150_571
.LBB150_590:
	s_mov_b64 s[34:35], -1
                                        ; implicit-def: $vgpr2
.LBB150_591:
	s_mov_b64 s[36:37], 0
.LBB150_592:
	s_and_b64 vcc, exec, s[36:37]
	s_cbranch_vccz .LBB150_596
; %bb.593:
	s_cmp_eq_u32 s40, 11
	s_cbranch_scc0 .LBB150_595
; %bb.594:
	global_load_ubyte v2, v[0:1], off
	s_mov_b64 s[2:3], -1
	s_mov_b64 s[34:35], 0
	s_waitcnt vmcnt(0)
	v_cmp_ne_u16_e32 vcc, 0, v2
	v_cndmask_b32_e64 v2, 0, 1.0, vcc
	s_branch .LBB150_596
.LBB150_595:
	s_mov_b64 s[34:35], -1
                                        ; implicit-def: $vgpr2
.LBB150_596:
	s_mov_b64 s[36:37], 0
.LBB150_597:
	s_and_b64 vcc, exec, s[36:37]
	s_cbranch_vccz .LBB150_646
; %bb.598:
	s_cmp_lt_i32 s40, 5
	s_cbranch_scc1 .LBB150_603
; %bb.599:
	s_cmp_lt_i32 s40, 8
	s_cbranch_scc1 .LBB150_604
	;; [unrolled: 3-line block ×3, first 2 shown]
; %bb.601:
	s_cmp_gt_i32 s40, 9
	s_cbranch_scc0 .LBB150_606
; %bb.602:
	global_load_dwordx2 v[2:3], v[0:1], off
	s_mov_b64 s[2:3], 0
	s_waitcnt vmcnt(0)
	v_cvt_f32_f64_e32 v2, v[2:3]
	s_branch .LBB150_607
.LBB150_603:
	s_mov_b64 s[2:3], -1
                                        ; implicit-def: $vgpr2
	s_branch .LBB150_625
.LBB150_604:
	s_mov_b64 s[2:3], -1
                                        ; implicit-def: $vgpr2
	s_branch .LBB150_613
.LBB150_605:
	s_mov_b64 s[2:3], -1
                                        ; implicit-def: $vgpr2
	s_branch .LBB150_610
.LBB150_606:
	s_mov_b64 s[2:3], -1
                                        ; implicit-def: $vgpr2
.LBB150_607:
	s_andn2_b64 vcc, exec, s[2:3]
	s_cbranch_vccnz .LBB150_609
; %bb.608:
	global_load_dword v2, v[0:1], off
.LBB150_609:
	s_mov_b64 s[2:3], 0
.LBB150_610:
	s_andn2_b64 vcc, exec, s[2:3]
	s_cbranch_vccnz .LBB150_612
; %bb.611:
	global_load_dword v2, v[0:1], off
	s_waitcnt vmcnt(0)
	v_cvt_f32_f16_e32 v2, v2
.LBB150_612:
	s_mov_b64 s[2:3], 0
.LBB150_613:
	s_andn2_b64 vcc, exec, s[2:3]
	s_cbranch_vccnz .LBB150_624
; %bb.614:
	s_cmp_lt_i32 s40, 6
	s_cbranch_scc1 .LBB150_617
; %bb.615:
	s_cmp_gt_i32 s40, 6
	s_cbranch_scc0 .LBB150_618
; %bb.616:
	global_load_dwordx2 v[2:3], v[0:1], off
	s_mov_b64 s[2:3], 0
	s_waitcnt vmcnt(0)
	v_cvt_f32_f64_e32 v2, v[2:3]
	s_branch .LBB150_619
.LBB150_617:
	s_mov_b64 s[2:3], -1
                                        ; implicit-def: $vgpr2
	s_branch .LBB150_622
.LBB150_618:
	s_mov_b64 s[2:3], -1
                                        ; implicit-def: $vgpr2
.LBB150_619:
	s_andn2_b64 vcc, exec, s[2:3]
	s_cbranch_vccnz .LBB150_621
; %bb.620:
	global_load_dword v2, v[0:1], off
.LBB150_621:
	s_mov_b64 s[2:3], 0
.LBB150_622:
	s_andn2_b64 vcc, exec, s[2:3]
	s_cbranch_vccnz .LBB150_624
; %bb.623:
	global_load_ushort v2, v[0:1], off
	s_waitcnt vmcnt(0)
	v_cvt_f32_f16_e32 v2, v2
.LBB150_624:
	s_mov_b64 s[2:3], 0
.LBB150_625:
	s_andn2_b64 vcc, exec, s[2:3]
	s_cbranch_vccnz .LBB150_645
; %bb.626:
	s_cmp_lt_i32 s40, 2
	s_cbranch_scc1 .LBB150_630
; %bb.627:
	s_cmp_lt_i32 s40, 3
	s_cbranch_scc1 .LBB150_631
; %bb.628:
	s_cmp_gt_i32 s40, 3
	s_cbranch_scc0 .LBB150_632
; %bb.629:
	global_load_dwordx2 v[2:3], v[0:1], off
	s_mov_b64 s[2:3], 0
	s_waitcnt vmcnt(0)
	v_xor_b32_e32 v6, v2, v3
	v_ffbh_i32_e32 v5, v3
	v_ashrrev_i32_e32 v6, 31, v6
	v_add_u32_e32 v5, -1, v5
	v_add_u32_e32 v6, 32, v6
	v_min_u32_e32 v5, v5, v6
	v_lshlrev_b64 v[2:3], v5, v[2:3]
	v_min_u32_e32 v2, 1, v2
	v_or_b32_e32 v2, v3, v2
	v_cvt_f32_i32_e32 v2, v2
	v_sub_u32_e32 v3, 32, v5
	v_ldexp_f32 v2, v2, v3
	s_branch .LBB150_633
.LBB150_630:
	s_mov_b64 s[2:3], -1
                                        ; implicit-def: $vgpr2
	s_branch .LBB150_639
.LBB150_631:
	s_mov_b64 s[2:3], -1
                                        ; implicit-def: $vgpr2
	s_branch .LBB150_636
.LBB150_632:
	s_mov_b64 s[2:3], -1
                                        ; implicit-def: $vgpr2
.LBB150_633:
	s_andn2_b64 vcc, exec, s[2:3]
	s_cbranch_vccnz .LBB150_635
; %bb.634:
	global_load_dword v2, v[0:1], off
	s_waitcnt vmcnt(0)
	v_cvt_f32_i32_e32 v2, v2
.LBB150_635:
	s_mov_b64 s[2:3], 0
.LBB150_636:
	s_andn2_b64 vcc, exec, s[2:3]
	s_cbranch_vccnz .LBB150_638
; %bb.637:
	global_load_sshort v2, v[0:1], off
	s_waitcnt vmcnt(0)
	v_cvt_f32_i32_e32 v2, v2
.LBB150_638:
	s_mov_b64 s[2:3], 0
.LBB150_639:
	s_andn2_b64 vcc, exec, s[2:3]
	s_cbranch_vccnz .LBB150_645
; %bb.640:
	s_cmp_gt_i32 s40, 0
	s_cbranch_scc0 .LBB150_642
; %bb.641:
	global_load_sbyte v2, v[0:1], off
	s_mov_b64 s[2:3], 0
	s_waitcnt vmcnt(0)
	v_cvt_f32_i32_e32 v2, v2
	s_branch .LBB150_643
.LBB150_642:
	s_mov_b64 s[2:3], -1
                                        ; implicit-def: $vgpr2
.LBB150_643:
	s_andn2_b64 vcc, exec, s[2:3]
	s_cbranch_vccnz .LBB150_645
; %bb.644:
	global_load_ubyte v0, v[0:1], off
	s_waitcnt vmcnt(0)
	v_cvt_f32_ubyte0_e32 v2, v0
.LBB150_645:
	s_mov_b64 s[2:3], -1
.LBB150_646:
	s_andn2_b64 vcc, exec, s[2:3]
	s_cbranch_vccnz .LBB150_654
; %bb.647:
	v_mul_lo_u32 v0, v4, s12
	v_mov_b32_e32 v1, s15
	v_mov_b32_e32 v3, s9
	s_waitcnt vmcnt(0)
	v_cndmask_b32_e64 v2, v1, v2, s[0:1]
	v_ashrrev_i32_e32 v1, 31, v0
	s_and_b32 s42, s17, 0xff
	v_add_co_u32_e32 v0, vcc, s8, v0
	s_cmp_lt_i32 s42, 11
	v_addc_co_u32_e32 v1, vcc, v3, v1, vcc
	s_cbranch_scc1 .LBB150_655
; %bb.648:
	s_and_b32 s43, 0xffff, s42
	s_cmp_gt_i32 s43, 25
	s_cbranch_scc0 .LBB150_656
; %bb.649:
	s_cmp_gt_i32 s43, 28
	s_cbranch_scc0 .LBB150_657
; %bb.650:
	;; [unrolled: 3-line block ×4, first 2 shown]
	s_mov_b64 s[38:39], 0
	s_mov_b64 s[2:3], -1
	s_cmp_eq_u32 s43, 46
	s_mov_b64 s[36:37], 0
	s_cbranch_scc0 .LBB150_660
; %bb.653:
	v_bfe_u32 v3, v2, 16, 1
	s_movk_i32 s2, 0x7fff
	v_add3_u32 v3, v2, v3, s2
	v_cmp_o_f32_e32 vcc, v2, v2
	v_mov_b32_e32 v5, 0x7fc0
	v_cndmask_b32_sdwa v3, v5, v3, vcc dst_sel:DWORD dst_unused:UNUSED_PAD src0_sel:DWORD src1_sel:WORD_1
	global_store_dword v[0:1], v3, off
	s_mov_b64 s[36:37], -1
	s_mov_b64 s[2:3], 0
	s_branch .LBB150_660
.LBB150_654:
	s_mov_b64 s[38:39], 0
                                        ; implicit-def: $vgpr4
	s_mov_b64 s[2:3], s[26:27]
	s_branch .LBB150_771
.LBB150_655:
	s_mov_b64 s[38:39], -1
	s_mov_b64 s[36:37], 0
	s_mov_b64 s[2:3], s[26:27]
	s_branch .LBB150_729
.LBB150_656:
	s_mov_b64 s[38:39], -1
	s_mov_b64 s[36:37], 0
	s_mov_b64 s[2:3], s[26:27]
	s_branch .LBB150_687
.LBB150_657:
	s_mov_b64 s[38:39], -1
	s_mov_b64 s[36:37], 0
	s_mov_b64 s[2:3], s[26:27]
	s_branch .LBB150_670
.LBB150_658:
	s_mov_b64 s[38:39], -1
	s_mov_b64 s[36:37], 0
	s_mov_b64 s[2:3], s[26:27]
	s_branch .LBB150_666
.LBB150_659:
	s_mov_b64 s[38:39], -1
	s_mov_b64 s[36:37], 0
	s_mov_b64 s[2:3], s[26:27]
.LBB150_660:
	s_and_b64 vcc, exec, s[38:39]
	s_cbranch_vccz .LBB150_665
; %bb.661:
	s_cmp_eq_u32 s43, 44
	s_mov_b64 s[2:3], -1
	s_cbranch_scc0 .LBB150_665
; %bb.662:
	v_bfe_u32 v3, v2, 23, 8
	s_movk_i32 s2, 0xff
	v_cmp_ne_u32_e32 vcc, s2, v3
	v_mov_b32_e32 v5, 0xff
	s_and_saveexec_b64 s[36:37], vcc
; %bb.663:
	s_mov_b32 s2, 0x3fffff
	v_and_b32_e32 v6, 0x400000, v2
	v_and_or_b32 v3, v2, s2, v3
	v_cmp_ne_u32_e32 vcc, 0, v6
	v_cmp_ne_u32_e64 s[2:3], 0, v3
	s_and_b64 s[2:3], vcc, s[2:3]
	v_lshrrev_b32_e32 v5, 23, v2
	v_cndmask_b32_e64 v3, 0, 1, s[2:3]
	v_add_u32_e32 v5, v5, v3
; %bb.664:
	s_or_b64 exec, exec, s[36:37]
	s_mov_b64 s[36:37], -1
	s_mov_b64 s[2:3], 0
	global_store_byte v[0:1], v5, off
.LBB150_665:
	s_mov_b64 s[38:39], 0
.LBB150_666:
	s_and_b64 vcc, exec, s[38:39]
	s_cbranch_vccz .LBB150_669
; %bb.667:
	s_cmp_eq_u32 s43, 29
	s_mov_b64 s[2:3], -1
	s_cbranch_scc0 .LBB150_669
; %bb.668:
	v_trunc_f32_e32 v3, v2
	v_mul_f32_e32 v5, 0x2f800000, v3
	v_floor_f32_e32 v5, v5
	v_fmac_f32_e32 v3, 0xcf800000, v5
	v_cvt_u32_f32_e32 v6, v5
	v_cvt_u32_f32_e32 v5, v3
	s_mov_b64 s[36:37], -1
	s_mov_b64 s[2:3], 0
	s_mov_b64 s[38:39], 0
	global_store_dwordx2 v[0:1], v[5:6], off
	s_branch .LBB150_670
.LBB150_669:
	s_mov_b64 s[38:39], 0
.LBB150_670:
	s_and_b64 vcc, exec, s[38:39]
	s_cbranch_vccz .LBB150_686
; %bb.671:
	s_cmp_lt_i32 s43, 27
	s_mov_b64 s[36:37], -1
	s_cbranch_scc1 .LBB150_677
; %bb.672:
	v_cvt_u32_f32_e32 v3, v2
	s_cmp_gt_i32 s43, 27
	s_cbranch_scc0 .LBB150_674
; %bb.673:
	s_mov_b64 s[36:37], 0
	global_store_dword v[0:1], v3, off
.LBB150_674:
	s_andn2_b64 vcc, exec, s[36:37]
	s_cbranch_vccnz .LBB150_676
; %bb.675:
	global_store_short v[0:1], v3, off
.LBB150_676:
	s_mov_b64 s[36:37], 0
.LBB150_677:
	s_andn2_b64 vcc, exec, s[36:37]
	s_cbranch_vccnz .LBB150_685
; %bb.678:
	v_and_b32_e32 v3, 0x7fffffff, v2
	s_mov_b32 s36, 0x43800000
	v_cmp_gt_u32_e32 vcc, s36, v3
	v_mov_b32_e32 v5, 0x80
	s_and_saveexec_b64 s[36:37], vcc
	s_cbranch_execz .LBB150_684
; %bb.679:
	s_mov_b32 s38, 0x3bffffff
	v_cmp_lt_u32_e32 vcc, s38, v3
	s_mov_b64 s[38:39], 0
                                        ; implicit-def: $vgpr3
	s_and_saveexec_b64 s[40:41], vcc
	s_xor_b64 s[40:41], exec, s[40:41]
	s_cbranch_execz .LBB150_785
; %bb.680:
	v_bfe_u32 v3, v2, 20, 1
	s_mov_b32 s45, 0x487ffff
	v_add3_u32 v3, v2, v3, s45
	s_mov_b64 s[38:39], exec
	v_lshrrev_b32_e32 v3, 20, v3
	s_andn2_saveexec_b64 s[40:41], s[40:41]
	s_cbranch_execnz .LBB150_786
.LBB150_681:
	s_or_b64 exec, exec, s[40:41]
	v_mov_b32_e32 v5, 0
	s_and_saveexec_b64 s[40:41], s[38:39]
.LBB150_682:
	v_lshrrev_b32_e32 v5, 24, v2
	s_movk_i32 s38, 0x80
	v_and_or_b32 v5, v5, s38, v3
.LBB150_683:
	s_or_b64 exec, exec, s[40:41]
.LBB150_684:
	s_or_b64 exec, exec, s[36:37]
	global_store_byte v[0:1], v5, off
.LBB150_685:
	s_mov_b64 s[36:37], -1
.LBB150_686:
	s_mov_b64 s[38:39], 0
.LBB150_687:
	s_and_b64 vcc, exec, s[38:39]
	s_cbranch_vccz .LBB150_728
; %bb.688:
	s_cmp_gt_i32 s43, 22
	s_mov_b64 s[38:39], -1
	s_cbranch_scc0 .LBB150_720
; %bb.689:
	s_cmp_lt_i32 s43, 24
	s_mov_b64 s[36:37], -1
	s_cbranch_scc1 .LBB150_709
; %bb.690:
	s_cmp_gt_i32 s43, 24
	s_cbranch_scc0 .LBB150_698
; %bb.691:
	v_and_b32_e32 v3, 0x7fffffff, v2
	s_mov_b32 s36, 0x47800000
	v_cmp_gt_u32_e32 vcc, s36, v3
	v_mov_b32_e32 v5, 0x80
	s_and_saveexec_b64 s[36:37], vcc
	s_cbranch_execz .LBB150_697
; %bb.692:
	s_mov_b32 s38, 0x37ffffff
	v_cmp_lt_u32_e32 vcc, s38, v3
	s_mov_b64 s[38:39], 0
                                        ; implicit-def: $vgpr3
	s_and_saveexec_b64 s[40:41], vcc
	s_xor_b64 s[40:41], exec, s[40:41]
	s_cbranch_execz .LBB150_788
; %bb.693:
	v_bfe_u32 v3, v2, 21, 1
	s_mov_b32 s45, 0x88fffff
	v_add3_u32 v3, v2, v3, s45
	s_mov_b64 s[38:39], exec
	v_lshrrev_b32_e32 v3, 21, v3
	s_andn2_saveexec_b64 s[40:41], s[40:41]
	s_cbranch_execnz .LBB150_789
.LBB150_694:
	s_or_b64 exec, exec, s[40:41]
	v_mov_b32_e32 v5, 0
	s_and_saveexec_b64 s[40:41], s[38:39]
.LBB150_695:
	v_lshrrev_b32_e32 v5, 24, v2
	s_movk_i32 s38, 0x80
	v_and_or_b32 v5, v5, s38, v3
.LBB150_696:
	s_or_b64 exec, exec, s[40:41]
.LBB150_697:
	s_or_b64 exec, exec, s[36:37]
	s_mov_b64 s[36:37], 0
	global_store_byte v[0:1], v5, off
.LBB150_698:
	s_and_b64 vcc, exec, s[36:37]
	s_cbranch_vccz .LBB150_708
; %bb.699:
	v_and_b32_e32 v5, 0x7fffffff, v2
	s_mov_b32 s36, 0x43f00000
	v_cmp_gt_u32_e32 vcc, s36, v5
                                        ; implicit-def: $vgpr3
	s_and_saveexec_b64 s[36:37], vcc
	s_xor_b64 s[36:37], exec, s[36:37]
	s_cbranch_execz .LBB150_705
; %bb.700:
	s_mov_b32 s38, 0x3c7fffff
	v_cmp_lt_u32_e32 vcc, s38, v5
                                        ; implicit-def: $vgpr3
	s_and_saveexec_b64 s[38:39], vcc
	s_xor_b64 s[38:39], exec, s[38:39]
; %bb.701:
	v_bfe_u32 v3, v2, 20, 1
	s_mov_b32 s40, 0x407ffff
	v_add3_u32 v3, v2, v3, s40
	v_lshrrev_b32_e32 v5, 20, v3
	v_and_b32_e32 v3, 0xff00000, v3
	s_mov_b32 s40, 0x7f00000
	v_mov_b32_e32 v6, 0x7e
	v_cmp_ne_u32_e32 vcc, s40, v3
	v_cndmask_b32_e32 v3, v6, v5, vcc
; %bb.702:
	s_andn2_saveexec_b64 s[38:39], s[38:39]
; %bb.703:
	s_mov_b32 s40, 0x46800000
	v_add_f32_e64 v3, |v2|, s40
; %bb.704:
	s_or_b64 exec, exec, s[38:39]
                                        ; implicit-def: $vgpr5
.LBB150_705:
	s_andn2_saveexec_b64 s[36:37], s[36:37]
; %bb.706:
	s_mov_b32 s38, 0x7f800000
	v_mov_b32_e32 v3, 0x7e
	v_mov_b32_e32 v6, 0x7f
	v_cmp_lt_u32_e32 vcc, s38, v5
	v_cndmask_b32_e32 v3, v3, v6, vcc
; %bb.707:
	s_or_b64 exec, exec, s[36:37]
	v_lshrrev_b32_e32 v5, 24, v2
	s_movk_i32 s36, 0x80
	v_and_or_b32 v3, v5, s36, v3
	global_store_byte v[0:1], v3, off
.LBB150_708:
	s_mov_b64 s[36:37], 0
.LBB150_709:
	s_andn2_b64 vcc, exec, s[36:37]
	s_cbranch_vccnz .LBB150_719
; %bb.710:
	v_and_b32_e32 v5, 0x7fffffff, v2
	s_mov_b32 s36, 0x47800000
	v_cmp_gt_u32_e32 vcc, s36, v5
                                        ; implicit-def: $vgpr3
	s_and_saveexec_b64 s[36:37], vcc
	s_xor_b64 s[36:37], exec, s[36:37]
	s_cbranch_execz .LBB150_716
; %bb.711:
	s_mov_b32 s38, 0x387fffff
	v_cmp_lt_u32_e32 vcc, s38, v5
                                        ; implicit-def: $vgpr3
	s_and_saveexec_b64 s[38:39], vcc
	s_xor_b64 s[38:39], exec, s[38:39]
; %bb.712:
	v_bfe_u32 v3, v2, 21, 1
	s_mov_b32 s40, 0x80fffff
	v_add3_u32 v3, v2, v3, s40
	v_lshrrev_b32_e32 v3, 21, v3
; %bb.713:
	s_andn2_saveexec_b64 s[38:39], s[38:39]
; %bb.714:
	s_mov_b32 s40, 0x43000000
	v_add_f32_e64 v3, |v2|, s40
; %bb.715:
	s_or_b64 exec, exec, s[38:39]
                                        ; implicit-def: $vgpr5
.LBB150_716:
	s_andn2_saveexec_b64 s[36:37], s[36:37]
; %bb.717:
	s_mov_b32 s38, 0x7f800000
	v_mov_b32_e32 v3, 0x7c
	v_mov_b32_e32 v6, 0x7f
	v_cmp_lt_u32_e32 vcc, s38, v5
	v_cndmask_b32_e32 v3, v3, v6, vcc
; %bb.718:
	s_or_b64 exec, exec, s[36:37]
	v_lshrrev_b32_e32 v5, 24, v2
	s_movk_i32 s36, 0x80
	v_and_or_b32 v3, v5, s36, v3
	global_store_byte v[0:1], v3, off
.LBB150_719:
	s_mov_b64 s[38:39], 0
	s_mov_b64 s[36:37], -1
.LBB150_720:
	s_andn2_b64 vcc, exec, s[38:39]
	s_cbranch_vccnz .LBB150_728
; %bb.721:
	s_cmp_gt_i32 s43, 14
	s_mov_b64 s[38:39], -1
	s_cbranch_scc0 .LBB150_725
; %bb.722:
	s_cmp_eq_u32 s43, 15
	s_mov_b64 s[2:3], -1
	s_cbranch_scc0 .LBB150_724
; %bb.723:
	v_bfe_u32 v3, v2, 16, 1
	s_movk_i32 s2, 0x7fff
	v_add3_u32 v3, v2, v3, s2
	v_cmp_o_f32_e32 vcc, v2, v2
	v_mov_b32_e32 v5, 0x7fc0
	v_cndmask_b32_sdwa v3, v5, v3, vcc dst_sel:DWORD dst_unused:UNUSED_PAD src0_sel:DWORD src1_sel:WORD_1
	global_store_short v[0:1], v3, off
	s_mov_b64 s[36:37], -1
	s_mov_b64 s[2:3], 0
.LBB150_724:
	s_mov_b64 s[38:39], 0
.LBB150_725:
	s_and_b64 vcc, exec, s[38:39]
	s_cbranch_vccz .LBB150_728
; %bb.726:
	s_cmp_eq_u32 s43, 11
	s_mov_b64 s[2:3], -1
	s_cbranch_scc0 .LBB150_728
; %bb.727:
	v_cmp_neq_f32_e32 vcc, 0, v2
	v_cndmask_b32_e64 v3, 0, 1, vcc
	s_mov_b64 s[36:37], -1
	s_mov_b64 s[2:3], 0
	global_store_byte v[0:1], v3, off
.LBB150_728:
	s_mov_b64 s[38:39], 0
.LBB150_729:
	s_and_b64 vcc, exec, s[38:39]
	s_cbranch_vccz .LBB150_768
; %bb.730:
	s_and_b32 s38, 0xffff, s42
	s_cmp_lt_i32 s38, 5
	s_mov_b64 s[36:37], -1
	s_cbranch_scc1 .LBB150_751
; %bb.731:
	s_cmp_lt_i32 s38, 8
	s_cbranch_scc1 .LBB150_741
; %bb.732:
	s_cmp_lt_i32 s38, 9
	s_cbranch_scc1 .LBB150_738
; %bb.733:
	s_cmp_gt_i32 s38, 9
	s_cbranch_scc0 .LBB150_735
; %bb.734:
	v_cvt_f64_f32_e32 v[5:6], v2
	v_mov_b32_e32 v7, 0
	v_mov_b32_e32 v8, v7
	s_mov_b64 s[36:37], 0
	global_store_dwordx4 v[0:1], v[5:8], off
.LBB150_735:
	s_andn2_b64 vcc, exec, s[36:37]
	s_cbranch_vccnz .LBB150_737
; %bb.736:
	v_mov_b32_e32 v3, 0
	global_store_dwordx2 v[0:1], v[2:3], off
.LBB150_737:
	s_mov_b64 s[36:37], 0
.LBB150_738:
	s_andn2_b64 vcc, exec, s[36:37]
	s_cbranch_vccnz .LBB150_740
; %bb.739:
	v_cvt_f16_f32_e32 v3, v2
	global_store_dword v[0:1], v3, off
.LBB150_740:
	s_mov_b64 s[36:37], 0
.LBB150_741:
	s_andn2_b64 vcc, exec, s[36:37]
	s_cbranch_vccnz .LBB150_750
; %bb.742:
	s_cmp_lt_i32 s38, 6
	s_mov_b64 s[36:37], -1
	s_cbranch_scc1 .LBB150_748
; %bb.743:
	s_cmp_gt_i32 s38, 6
	s_cbranch_scc0 .LBB150_745
; %bb.744:
	v_cvt_f64_f32_e32 v[5:6], v2
	s_mov_b64 s[36:37], 0
	global_store_dwordx2 v[0:1], v[5:6], off
.LBB150_745:
	s_andn2_b64 vcc, exec, s[36:37]
	s_cbranch_vccnz .LBB150_747
; %bb.746:
	global_store_dword v[0:1], v2, off
.LBB150_747:
	s_mov_b64 s[36:37], 0
.LBB150_748:
	s_andn2_b64 vcc, exec, s[36:37]
	s_cbranch_vccnz .LBB150_750
; %bb.749:
	v_cvt_f16_f32_e32 v3, v2
	global_store_short v[0:1], v3, off
.LBB150_750:
	s_mov_b64 s[36:37], 0
.LBB150_751:
	s_andn2_b64 vcc, exec, s[36:37]
	s_cbranch_vccnz .LBB150_767
; %bb.752:
	s_cmp_lt_i32 s38, 2
	s_mov_b64 s[36:37], -1
	s_cbranch_scc1 .LBB150_762
; %bb.753:
	s_cmp_lt_i32 s38, 3
	s_cbranch_scc1 .LBB150_759
; %bb.754:
	s_cmp_gt_i32 s38, 3
	s_cbranch_scc0 .LBB150_756
; %bb.755:
	v_trunc_f32_e32 v3, v2
	s_mov_b32 s36, 0x2f800000
	v_mul_f32_e64 v5, |v3|, s36
	v_floor_f32_e32 v5, v5
	s_mov_b32 s36, 0xcf800000
	v_cvt_u32_f32_e32 v6, v5
	v_fma_f32 v5, v5, s36, |v3|
	v_cvt_u32_f32_e32 v5, v5
	v_ashrrev_i32_e32 v3, 31, v3
	v_xor_b32_e32 v6, v6, v3
	s_mov_b64 s[36:37], 0
	v_xor_b32_e32 v5, v5, v3
	v_sub_co_u32_e32 v5, vcc, v5, v3
	v_subb_co_u32_e32 v6, vcc, v6, v3, vcc
	global_store_dwordx2 v[0:1], v[5:6], off
.LBB150_756:
	s_andn2_b64 vcc, exec, s[36:37]
	s_cbranch_vccnz .LBB150_758
; %bb.757:
	v_cvt_i32_f32_e32 v3, v2
	global_store_dword v[0:1], v3, off
.LBB150_758:
	s_mov_b64 s[36:37], 0
.LBB150_759:
	s_andn2_b64 vcc, exec, s[36:37]
	s_cbranch_vccnz .LBB150_761
; %bb.760:
	v_cvt_i32_f32_e32 v3, v2
	global_store_short v[0:1], v3, off
.LBB150_761:
	s_mov_b64 s[36:37], 0
.LBB150_762:
	s_andn2_b64 vcc, exec, s[36:37]
	s_cbranch_vccnz .LBB150_767
; %bb.763:
	s_cmp_gt_i32 s38, 0
	s_mov_b64 s[36:37], -1
	s_cbranch_scc0 .LBB150_765
; %bb.764:
	v_cvt_i32_f32_e32 v3, v2
	s_mov_b64 s[36:37], 0
	global_store_byte v[0:1], v3, off
.LBB150_765:
	s_andn2_b64 vcc, exec, s[36:37]
	s_cbranch_vccnz .LBB150_767
; %bb.766:
	v_trunc_f32_e32 v2, v2
	s_mov_b32 s36, 0x2f800000
	v_mul_f32_e64 v3, |v2|, s36
	v_floor_f32_e32 v3, v3
	s_mov_b32 s36, 0xcf800000
	v_fma_f32 v3, v3, s36, |v2|
	v_cvt_u32_f32_e32 v3, v3
	v_ashrrev_i32_e32 v2, 31, v2
	v_xor_b32_e32 v3, v3, v2
	v_sub_u32_e32 v2, v3, v2
	global_store_byte v[0:1], v2, off
.LBB150_767:
	s_mov_b64 s[36:37], -1
.LBB150_768:
	s_andn2_b64 vcc, exec, s[36:37]
	s_cbranch_vccnz .LBB150_770
; %bb.769:
	v_add_u32_e32 v4, 0x80, v4
	s_mov_b64 s[38:39], -1
	s_branch .LBB150_771
.LBB150_770:
	s_mov_b64 s[38:39], 0
                                        ; implicit-def: $vgpr4
.LBB150_771:
	s_andn2_b64 s[36:37], s[26:27], exec
	s_and_b64 s[2:3], s[2:3], exec
	s_or_b64 s[36:37], s[36:37], s[2:3]
	s_andn2_b64 s[2:3], s[24:25], exec
	s_and_b64 s[34:35], s[34:35], exec
	s_or_b64 s[2:3], s[2:3], s[34:35]
	s_orn2_b64 s[40:41], s[38:39], exec
.LBB150_772:
	s_or_b64 exec, exec, s[30:31]
	s_mov_b64 s[34:35], 0
	s_mov_b64 s[38:39], 0
	;; [unrolled: 1-line block ×3, first 2 shown]
                                        ; implicit-def: $vgpr0_vgpr1
                                        ; implicit-def: $vgpr3
	s_and_saveexec_b64 s[30:31], s[40:41]
	s_cbranch_execz .LBB150_857
; %bb.773:
	v_cmp_gt_i32_e32 vcc, s44, v4
	s_mov_b64 s[40:41], 0
	s_mov_b64 s[44:45], s[2:3]
	;; [unrolled: 1-line block ×3, first 2 shown]
                                        ; implicit-def: $vgpr0_vgpr1
                                        ; implicit-def: $vgpr3
	s_and_saveexec_b64 s[34:35], vcc
	s_cbranch_execz .LBB150_856
; %bb.774:
	v_mul_lo_u32 v0, v4, s13
	v_mov_b32_e32 v1, s11
	s_and_b32 s48, 0xffff, s33
	s_cmp_lt_i32 s48, 11
	s_waitcnt vmcnt(0)
	v_ashrrev_i32_e32 v2, 31, v0
	v_add_co_u32_e32 v0, vcc, s10, v0
	v_addc_co_u32_e32 v1, vcc, v1, v2, vcc
	s_cbranch_scc1 .LBB150_781
; %bb.775:
	s_cmp_gt_i32 s48, 25
	s_cbranch_scc0 .LBB150_782
; %bb.776:
	s_cmp_gt_i32 s48, 28
	s_cbranch_scc0 .LBB150_783
	;; [unrolled: 3-line block ×4, first 2 shown]
; %bb.779:
	s_cmp_eq_u32 s48, 46
	s_mov_b64 s[44:45], 0
	s_cbranch_scc0 .LBB150_790
; %bb.780:
	global_load_dword v2, v[0:1], off
	s_mov_b64 s[42:43], -1
	s_waitcnt vmcnt(0)
	v_lshlrev_b32_e32 v3, 16, v2
	s_branch .LBB150_792
.LBB150_781:
	s_mov_b64 s[44:45], -1
                                        ; implicit-def: $vgpr3
	s_mov_b64 s[38:39], s[2:3]
	s_branch .LBB150_855
.LBB150_782:
	s_mov_b64 s[44:45], -1
	s_mov_b64 s[38:39], s[2:3]
                                        ; implicit-def: $vgpr3
	s_branch .LBB150_821
.LBB150_783:
	s_mov_b64 s[44:45], -1
	s_mov_b64 s[38:39], s[2:3]
                                        ; implicit-def: $vgpr3
	s_branch .LBB150_802
.LBB150_784:
	s_mov_b64 s[44:45], -1
	s_mov_b64 s[38:39], s[2:3]
                                        ; implicit-def: $vgpr3
	s_branch .LBB150_797
.LBB150_785:
	s_andn2_saveexec_b64 s[40:41], s[40:41]
	s_cbranch_execz .LBB150_681
.LBB150_786:
	s_mov_b32 s45, 0x46000000
	v_add_f32_e64 v3, |v2|, s45
	v_and_b32_e32 v3, 0xff, v3
	v_cmp_ne_u32_e32 vcc, 0, v3
	s_andn2_b64 s[38:39], s[38:39], exec
	s_and_b64 s[46:47], vcc, exec
	s_or_b64 s[38:39], s[38:39], s[46:47]
	s_or_b64 exec, exec, s[40:41]
	v_mov_b32_e32 v5, 0
	s_and_saveexec_b64 s[40:41], s[38:39]
	s_cbranch_execnz .LBB150_682
	s_branch .LBB150_683
.LBB150_787:
	s_mov_b64 s[44:45], -1
	s_mov_b64 s[38:39], s[2:3]
	s_branch .LBB150_791
.LBB150_788:
	s_andn2_saveexec_b64 s[40:41], s[40:41]
	s_cbranch_execz .LBB150_694
.LBB150_789:
	s_mov_b32 s45, 0x42800000
	v_add_f32_e64 v3, |v2|, s45
	v_and_b32_e32 v3, 0xff, v3
	v_cmp_ne_u32_e32 vcc, 0, v3
	s_andn2_b64 s[38:39], s[38:39], exec
	s_and_b64 s[46:47], vcc, exec
	s_or_b64 s[38:39], s[38:39], s[46:47]
	s_or_b64 exec, exec, s[40:41]
	v_mov_b32_e32 v5, 0
	s_and_saveexec_b64 s[40:41], s[38:39]
	s_cbranch_execnz .LBB150_695
	s_branch .LBB150_696
.LBB150_790:
	s_mov_b64 s[38:39], -1
.LBB150_791:
                                        ; implicit-def: $vgpr3
.LBB150_792:
	s_and_b64 vcc, exec, s[44:45]
	s_cbranch_vccz .LBB150_796
; %bb.793:
	s_cmp_eq_u32 s48, 44
	s_cbranch_scc0 .LBB150_795
; %bb.794:
	global_load_ubyte v2, v[0:1], off
	s_movk_i32 s42, 0xff
	v_mov_b32_e32 v3, 0x7f800001
	v_mov_b32_e32 v5, 0x400000
	s_mov_b64 s[38:39], 0
	s_waitcnt vmcnt(0)
	v_lshlrev_b32_e32 v6, 23, v2
	v_cmp_ne_u32_e32 vcc, s42, v2
	v_cndmask_b32_e32 v3, v3, v6, vcc
	v_cmp_ne_u32_e32 vcc, 0, v2
	v_cndmask_b32_e32 v3, v5, v3, vcc
	s_mov_b64 s[42:43], -1
	s_branch .LBB150_796
.LBB150_795:
	s_mov_b64 s[38:39], -1
                                        ; implicit-def: $vgpr3
.LBB150_796:
	s_mov_b64 s[44:45], 0
.LBB150_797:
	s_and_b64 vcc, exec, s[44:45]
	s_cbranch_vccz .LBB150_801
; %bb.798:
	s_cmp_eq_u32 s48, 29
	s_cbranch_scc0 .LBB150_800
; %bb.799:
	global_load_dwordx2 v[2:3], v[0:1], off
	s_mov_b64 s[38:39], 0
	s_mov_b64 s[42:43], -1
	s_mov_b64 s[44:45], 0
	s_waitcnt vmcnt(0)
	v_ffbh_u32_e32 v5, v3
	v_min_u32_e32 v5, 32, v5
	v_lshlrev_b64 v[2:3], v5, v[2:3]
	v_min_u32_e32 v2, 1, v2
	v_or_b32_e32 v2, v3, v2
	v_cvt_f32_u32_e32 v2, v2
	v_sub_u32_e32 v3, 32, v5
	v_ldexp_f32 v3, v2, v3
	s_branch .LBB150_802
.LBB150_800:
	s_mov_b64 s[38:39], -1
                                        ; implicit-def: $vgpr3
.LBB150_801:
	s_mov_b64 s[44:45], 0
.LBB150_802:
	s_and_b64 vcc, exec, s[44:45]
	s_cbranch_vccz .LBB150_820
; %bb.803:
	s_cmp_lt_i32 s48, 27
	s_cbranch_scc1 .LBB150_806
; %bb.804:
	s_cmp_gt_i32 s48, 27
	s_cbranch_scc0 .LBB150_807
; %bb.805:
	global_load_dword v2, v[0:1], off
	s_mov_b64 s[42:43], 0
	s_waitcnt vmcnt(0)
	v_cvt_f32_u32_e32 v3, v2
	s_branch .LBB150_808
.LBB150_806:
	s_mov_b64 s[42:43], -1
                                        ; implicit-def: $vgpr3
	s_branch .LBB150_811
.LBB150_807:
	s_mov_b64 s[42:43], -1
                                        ; implicit-def: $vgpr3
.LBB150_808:
	s_andn2_b64 vcc, exec, s[42:43]
	s_cbranch_vccnz .LBB150_810
; %bb.809:
	global_load_ushort v2, v[0:1], off
	s_waitcnt vmcnt(0)
	v_cvt_f32_u32_e32 v3, v2
.LBB150_810:
	s_mov_b64 s[42:43], 0
.LBB150_811:
	s_andn2_b64 vcc, exec, s[42:43]
	s_cbranch_vccnz .LBB150_819
; %bb.812:
	global_load_ubyte v2, v[0:1], off
	s_movk_i32 s42, 0x7f
	s_waitcnt vmcnt(0)
	v_cmp_lt_i16_e32 vcc, s42, v2
	s_mov_b64 s[42:43], 0
	s_and_saveexec_b64 s[44:45], vcc
	s_xor_b64 s[44:45], exec, s[44:45]
	s_cbranch_execz .LBB150_833
; %bb.813:
	s_movk_i32 s42, 0x80
	v_cmp_eq_u16_e32 vcc, s42, v2
	s_mov_b64 s[42:43], -1
	s_and_saveexec_b64 s[46:47], vcc
; %bb.814:
	s_xor_b64 s[42:43], exec, -1
; %bb.815:
	s_or_b64 exec, exec, s[46:47]
	s_and_b64 s[42:43], s[42:43], exec
	s_or_saveexec_b64 s[44:45], s[44:45]
	v_mov_b32_e32 v3, 0x7f800001
	s_xor_b64 exec, exec, s[44:45]
	s_cbranch_execnz .LBB150_834
.LBB150_816:
	s_or_b64 exec, exec, s[44:45]
	s_and_saveexec_b64 s[44:45], s[42:43]
	s_cbranch_execz .LBB150_818
.LBB150_817:
	v_lshlrev_b32_e32 v3, 24, v2
	v_and_b32_e32 v2, 0xffff, v2
	v_and_b32_e32 v5, 7, v2
	v_ffbh_u32_e32 v7, v5
	v_min_u32_e32 v7, 32, v7
	v_subrev_u32_e32 v8, 28, v7
	v_bfe_u32 v6, v2, 3, 4
	v_lshlrev_b32_e32 v2, v8, v2
	v_sub_u32_e32 v7, 29, v7
	v_and_b32_e32 v2, 7, v2
	v_cmp_eq_u32_e32 vcc, 0, v6
	v_cndmask_b32_e32 v6, v6, v7, vcc
	v_cndmask_b32_e32 v2, v5, v2, vcc
	v_mov_b32_e32 v5, 0x3b800000
	v_lshlrev_b32_e32 v2, 20, v2
	v_and_b32_e32 v3, 0x80000000, v3
	v_lshl_add_u32 v5, v6, 23, v5
	v_or3_b32 v3, v3, v5, v2
.LBB150_818:
	s_or_b64 exec, exec, s[44:45]
.LBB150_819:
	s_mov_b64 s[42:43], -1
.LBB150_820:
	s_mov_b64 s[44:45], 0
.LBB150_821:
	s_and_b64 vcc, exec, s[44:45]
	s_cbranch_vccz .LBB150_854
; %bb.822:
	s_cmp_gt_i32 s48, 22
	s_cbranch_scc0 .LBB150_832
; %bb.823:
	s_cmp_lt_i32 s48, 24
	s_cbranch_scc1 .LBB150_835
; %bb.824:
	s_cmp_gt_i32 s48, 24
	s_cbranch_scc0 .LBB150_836
; %bb.825:
	global_load_ubyte v2, v[0:1], off
	s_movk_i32 s40, 0x7f
	s_waitcnt vmcnt(0)
	v_cmp_lt_i16_e32 vcc, s40, v2
	s_mov_b64 s[40:41], 0
	s_and_saveexec_b64 s[42:43], vcc
	s_xor_b64 s[42:43], exec, s[42:43]
	s_cbranch_execz .LBB150_848
; %bb.826:
	s_movk_i32 s40, 0x80
	v_cmp_eq_u16_e32 vcc, s40, v2
	s_mov_b64 s[40:41], -1
	s_and_saveexec_b64 s[44:45], vcc
; %bb.827:
	s_xor_b64 s[40:41], exec, -1
; %bb.828:
	s_or_b64 exec, exec, s[44:45]
	s_and_b64 s[40:41], s[40:41], exec
	s_or_saveexec_b64 s[42:43], s[42:43]
	v_mov_b32_e32 v3, 0x7f800001
	s_xor_b64 exec, exec, s[42:43]
	s_cbranch_execnz .LBB150_849
.LBB150_829:
	s_or_b64 exec, exec, s[42:43]
	s_and_saveexec_b64 s[42:43], s[40:41]
	s_cbranch_execz .LBB150_831
.LBB150_830:
	v_lshlrev_b32_e32 v3, 24, v2
	v_and_b32_e32 v2, 0xffff, v2
	v_and_b32_e32 v5, 3, v2
	v_ffbh_u32_e32 v7, v5
	v_min_u32_e32 v7, 32, v7
	v_subrev_u32_e32 v8, 29, v7
	v_bfe_u32 v6, v2, 2, 5
	v_lshlrev_b32_e32 v2, v8, v2
	v_sub_u32_e32 v7, 30, v7
	v_and_b32_e32 v2, 3, v2
	v_cmp_eq_u32_e32 vcc, 0, v6
	v_cndmask_b32_e32 v6, v6, v7, vcc
	v_cndmask_b32_e32 v2, v5, v2, vcc
	v_mov_b32_e32 v5, 0x37800000
	v_lshlrev_b32_e32 v2, 21, v2
	v_and_b32_e32 v3, 0x80000000, v3
	v_lshl_add_u32 v5, v6, 23, v5
	v_or3_b32 v3, v3, v5, v2
.LBB150_831:
	s_or_b64 exec, exec, s[42:43]
	s_mov_b64 s[40:41], 0
	s_branch .LBB150_837
.LBB150_832:
	s_mov_b64 s[40:41], -1
                                        ; implicit-def: $vgpr3
	s_branch .LBB150_843
.LBB150_833:
	s_or_saveexec_b64 s[44:45], s[44:45]
	v_mov_b32_e32 v3, 0x7f800001
	s_xor_b64 exec, exec, s[44:45]
	s_cbranch_execz .LBB150_816
.LBB150_834:
	v_cmp_ne_u16_e32 vcc, 0, v2
	s_andn2_b64 s[42:43], s[42:43], exec
	s_and_b64 s[46:47], vcc, exec
	v_mov_b32_e32 v3, 0
	s_or_b64 s[42:43], s[42:43], s[46:47]
	s_or_b64 exec, exec, s[44:45]
	s_and_saveexec_b64 s[44:45], s[42:43]
	s_cbranch_execnz .LBB150_817
	s_branch .LBB150_818
.LBB150_835:
	s_mov_b64 s[40:41], -1
                                        ; implicit-def: $vgpr3
	s_branch .LBB150_840
.LBB150_836:
	s_mov_b64 s[40:41], -1
                                        ; implicit-def: $vgpr3
.LBB150_837:
	s_and_b64 vcc, exec, s[40:41]
	s_cbranch_vccz .LBB150_839
; %bb.838:
	global_load_ubyte v2, v[0:1], off
	s_mov_b32 s40, 0x7f800000
	s_waitcnt vmcnt(0)
	v_lshlrev_b32_e32 v2, 24, v2
	v_and_b32_e32 v3, 0x7f000000, v2
	v_ffbh_u32_e32 v5, v3
	v_min_u32_e32 v5, 32, v5
	v_sub_u32_e64 v5, v5, 4 clamp
	v_lshlrev_b32_e32 v7, v5, v3
	v_lshlrev_b32_e32 v5, 23, v5
	v_lshrrev_b32_e32 v7, 4, v7
	v_add_u32_e32 v6, 0x1000000, v3
	v_sub_u32_e32 v5, v7, v5
	v_ashrrev_i32_e32 v6, 8, v6
	v_add_u32_e32 v5, 0x3c000000, v5
	v_and_or_b32 v5, v6, s40, v5
	v_cmp_ne_u32_e32 vcc, 0, v3
	v_cndmask_b32_e32 v3, 0, v5, vcc
	s_brev_b32 s40, 1
	v_and_or_b32 v3, v2, s40, v3
.LBB150_839:
	s_mov_b64 s[40:41], 0
.LBB150_840:
	s_andn2_b64 vcc, exec, s[40:41]
	s_cbranch_vccnz .LBB150_842
; %bb.841:
	global_load_ubyte v2, v[0:1], off
	s_movk_i32 s40, 0x7f00
	s_brev_b32 s41, 16
	s_waitcnt vmcnt(0)
	v_lshlrev_b16_e32 v3, 8, v2
	v_lshlrev_b32_e32 v2, 25, v2
	v_lshrrev_b32_e32 v5, 4, v2
	v_and_or_b32 v6, v3, s40, 0.5
	v_or_b32_e32 v5, 0x70000000, v5
	v_add_f32_e32 v6, -0.5, v6
	v_mul_f32_e32 v5, 0x7800000, v5
	v_cmp_gt_u32_e32 vcc, s41, v2
	v_bfe_i32 v3, v3, 0, 16
	v_cndmask_b32_e32 v2, v5, v6, vcc
	s_brev_b32 s40, 1
	v_and_or_b32 v3, v3, s40, v2
.LBB150_842:
	s_mov_b64 s[40:41], 0
	s_mov_b64 s[42:43], -1
.LBB150_843:
	s_andn2_b64 vcc, exec, s[40:41]
	s_mov_b64 s[40:41], 0
	s_cbranch_vccnz .LBB150_854
; %bb.844:
	s_cmp_gt_i32 s48, 14
	s_cbranch_scc0 .LBB150_847
; %bb.845:
	s_cmp_eq_u32 s48, 15
	s_cbranch_scc0 .LBB150_850
; %bb.846:
	global_load_ushort v2, v[0:1], off
	s_mov_b64 s[38:39], 0
	s_mov_b64 s[42:43], -1
	s_waitcnt vmcnt(0)
	v_lshlrev_b32_e32 v3, 16, v2
	s_branch .LBB150_851
.LBB150_847:
	s_mov_b64 s[44:45], -1
                                        ; implicit-def: $vgpr3
	s_branch .LBB150_852
.LBB150_848:
	s_or_saveexec_b64 s[42:43], s[42:43]
	v_mov_b32_e32 v3, 0x7f800001
	s_xor_b64 exec, exec, s[42:43]
	s_cbranch_execz .LBB150_829
.LBB150_849:
	v_cmp_ne_u16_e32 vcc, 0, v2
	s_andn2_b64 s[40:41], s[40:41], exec
	s_and_b64 s[44:45], vcc, exec
	v_mov_b32_e32 v3, 0
	s_or_b64 s[40:41], s[40:41], s[44:45]
	s_or_b64 exec, exec, s[42:43]
	s_and_saveexec_b64 s[42:43], s[40:41]
	s_cbranch_execnz .LBB150_830
	s_branch .LBB150_831
.LBB150_850:
	s_mov_b64 s[38:39], -1
                                        ; implicit-def: $vgpr3
.LBB150_851:
	s_mov_b64 s[44:45], 0
.LBB150_852:
	s_and_b64 vcc, exec, s[44:45]
	s_cbranch_vccz .LBB150_854
; %bb.853:
	s_cmp_lg_u32 s48, 11
	s_cselect_b64 s[44:45], -1, 0
	s_andn2_b64 s[38:39], s[38:39], exec
	s_and_b64 s[44:45], s[44:45], exec
	s_mov_b64 s[40:41], -1
	s_or_b64 s[38:39], s[38:39], s[44:45]
.LBB150_854:
	s_mov_b64 s[44:45], 0
.LBB150_855:
	s_and_b64 s[46:47], s[44:45], exec
	s_andn2_b64 s[44:45], s[2:3], exec
	s_and_b64 s[38:39], s[38:39], exec
	s_and_b64 s[42:43], s[42:43], exec
	;; [unrolled: 1-line block ×3, first 2 shown]
	s_or_b64 s[44:45], s[44:45], s[38:39]
.LBB150_856:
	s_or_b64 exec, exec, s[34:35]
	s_and_b64 s[34:35], s[40:41], exec
	s_andn2_b64 s[2:3], s[2:3], exec
	s_and_b64 s[40:41], s[44:45], exec
	s_and_b64 s[42:43], s[42:43], exec
	;; [unrolled: 1-line block ×3, first 2 shown]
	s_or_b64 s[2:3], s[2:3], s[40:41]
.LBB150_857:
	s_or_b64 exec, exec, s[30:31]
	s_andn2_b64 s[26:27], s[26:27], exec
	s_and_b64 s[30:31], s[36:37], exec
	s_andn2_b64 s[24:25], s[24:25], exec
	s_and_b64 s[2:3], s[2:3], exec
	s_or_b64 s[26:27], s[26:27], s[30:31]
	s_and_b64 s[36:37], s[42:43], exec
	s_and_b64 s[30:31], s[38:39], exec
	;; [unrolled: 1-line block ×3, first 2 shown]
	s_or_b64 s[24:25], s[24:25], s[2:3]
.LBB150_858:
	s_or_b64 exec, exec, s[28:29]
	s_andn2_b64 s[2:3], s[18:19], exec
	s_and_b64 s[18:19], s[26:27], exec
	s_or_b64 s[18:19], s[2:3], s[18:19]
	s_andn2_b64 s[2:3], s[20:21], exec
	s_and_b64 s[20:21], s[24:25], exec
	s_and_b64 s[28:29], s[36:37], exec
	;; [unrolled: 1-line block ×4, first 2 shown]
	s_or_b64 s[20:21], s[2:3], s[20:21]
	s_or_b64 exec, exec, s[22:23]
	s_mov_b64 s[2:3], 0
	s_and_saveexec_b64 s[22:23], s[20:21]
	s_cbranch_execz .LBB150_262
.LBB150_859:
	s_mov_b64 s[2:3], exec
	s_andn2_b64 s[26:27], s[26:27], exec
	s_trap 2
	s_or_b64 exec, exec, s[22:23]
	s_and_saveexec_b64 s[20:21], s[26:27]
	s_xor_b64 s[20:21], exec, s[20:21]
	s_cbranch_execnz .LBB150_263
.LBB150_860:
	s_or_b64 exec, exec, s[20:21]
	s_and_saveexec_b64 s[20:21], s[30:31]
	s_cbranch_execz .LBB150_906
.LBB150_861:
	s_sext_i32_i16 s22, s33
	s_cmp_lt_i32 s22, 5
	s_cbranch_scc1 .LBB150_866
; %bb.862:
	s_cmp_lt_i32 s22, 8
	s_cbranch_scc1 .LBB150_867
; %bb.863:
	;; [unrolled: 3-line block ×3, first 2 shown]
	s_cmp_gt_i32 s22, 9
	s_cbranch_scc0 .LBB150_869
; %bb.865:
	global_load_dwordx2 v[2:3], v[0:1], off
	s_mov_b64 s[22:23], 0
	s_waitcnt vmcnt(0)
	v_cvt_f32_f64_e32 v3, v[2:3]
	s_branch .LBB150_870
.LBB150_866:
                                        ; implicit-def: $vgpr3
	s_branch .LBB150_887
.LBB150_867:
                                        ; implicit-def: $vgpr3
	s_branch .LBB150_876
.LBB150_868:
	s_mov_b64 s[22:23], -1
                                        ; implicit-def: $vgpr3
	s_branch .LBB150_873
.LBB150_869:
	s_mov_b64 s[22:23], -1
                                        ; implicit-def: $vgpr3
.LBB150_870:
	s_andn2_b64 vcc, exec, s[22:23]
	s_cbranch_vccnz .LBB150_872
; %bb.871:
	global_load_dword v3, v[0:1], off
.LBB150_872:
	s_mov_b64 s[22:23], 0
.LBB150_873:
	s_andn2_b64 vcc, exec, s[22:23]
	s_cbranch_vccnz .LBB150_875
; %bb.874:
	global_load_dword v2, v[0:1], off
	s_waitcnt vmcnt(0)
	v_cvt_f32_f16_e32 v3, v2
.LBB150_875:
	s_cbranch_execnz .LBB150_886
.LBB150_876:
	s_sext_i32_i16 s22, s33
	s_cmp_lt_i32 s22, 6
	s_cbranch_scc1 .LBB150_879
; %bb.877:
	s_cmp_gt_i32 s22, 6
	s_cbranch_scc0 .LBB150_880
; %bb.878:
	global_load_dwordx2 v[2:3], v[0:1], off
	s_mov_b64 s[22:23], 0
	s_waitcnt vmcnt(0)
	v_cvt_f32_f64_e32 v3, v[2:3]
	s_branch .LBB150_881
.LBB150_879:
	s_mov_b64 s[22:23], -1
                                        ; implicit-def: $vgpr3
	s_branch .LBB150_884
.LBB150_880:
	s_mov_b64 s[22:23], -1
                                        ; implicit-def: $vgpr3
.LBB150_881:
	s_andn2_b64 vcc, exec, s[22:23]
	s_cbranch_vccnz .LBB150_883
; %bb.882:
	global_load_dword v3, v[0:1], off
.LBB150_883:
	s_mov_b64 s[22:23], 0
.LBB150_884:
	s_andn2_b64 vcc, exec, s[22:23]
	s_cbranch_vccnz .LBB150_886
; %bb.885:
	global_load_ushort v2, v[0:1], off
	s_waitcnt vmcnt(0)
	v_cvt_f32_f16_e32 v3, v2
.LBB150_886:
	s_cbranch_execnz .LBB150_905
.LBB150_887:
	s_sext_i32_i16 s22, s33
	s_cmp_lt_i32 s22, 2
	s_cbranch_scc1 .LBB150_891
; %bb.888:
	s_cmp_lt_i32 s22, 3
	s_cbranch_scc1 .LBB150_892
; %bb.889:
	s_cmp_gt_i32 s22, 3
	s_cbranch_scc0 .LBB150_893
; %bb.890:
	global_load_dwordx2 v[2:3], v[0:1], off
	s_mov_b64 s[22:23], 0
	s_waitcnt vmcnt(0)
	v_xor_b32_e32 v6, v2, v3
	v_ffbh_i32_e32 v5, v3
	v_ashrrev_i32_e32 v6, 31, v6
	v_add_u32_e32 v5, -1, v5
	v_add_u32_e32 v6, 32, v6
	v_min_u32_e32 v5, v5, v6
	v_lshlrev_b64 v[2:3], v5, v[2:3]
	v_min_u32_e32 v2, 1, v2
	v_or_b32_e32 v2, v3, v2
	v_cvt_f32_i32_e32 v2, v2
	v_sub_u32_e32 v3, 32, v5
	v_ldexp_f32 v3, v2, v3
	s_branch .LBB150_894
.LBB150_891:
                                        ; implicit-def: $vgpr3
	s_branch .LBB150_900
.LBB150_892:
	s_mov_b64 s[22:23], -1
                                        ; implicit-def: $vgpr3
	s_branch .LBB150_897
.LBB150_893:
	s_mov_b64 s[22:23], -1
                                        ; implicit-def: $vgpr3
.LBB150_894:
	s_andn2_b64 vcc, exec, s[22:23]
	s_cbranch_vccnz .LBB150_896
; %bb.895:
	global_load_dword v2, v[0:1], off
	s_waitcnt vmcnt(0)
	v_cvt_f32_i32_e32 v3, v2
.LBB150_896:
	s_mov_b64 s[22:23], 0
.LBB150_897:
	s_andn2_b64 vcc, exec, s[22:23]
	s_cbranch_vccnz .LBB150_899
; %bb.898:
	global_load_sshort v2, v[0:1], off
	s_waitcnt vmcnt(0)
	v_cvt_f32_i32_e32 v3, v2
.LBB150_899:
	s_cbranch_execnz .LBB150_905
.LBB150_900:
	s_sext_i32_i16 s22, s33
	s_cmp_gt_i32 s22, 0
	s_cbranch_scc0 .LBB150_902
; %bb.901:
	global_load_sbyte v2, v[0:1], off
	s_mov_b64 s[22:23], 0
	s_waitcnt vmcnt(0)
	v_cvt_f32_i32_e32 v3, v2
	s_branch .LBB150_903
.LBB150_902:
	s_mov_b64 s[22:23], -1
                                        ; implicit-def: $vgpr3
.LBB150_903:
	s_andn2_b64 vcc, exec, s[22:23]
	s_cbranch_vccnz .LBB150_905
; %bb.904:
	global_load_ubyte v0, v[0:1], off
	s_waitcnt vmcnt(0)
	v_cvt_f32_ubyte0_e32 v3, v0
.LBB150_905:
	s_or_b64 s[28:29], s[28:29], exec
.LBB150_906:
	s_or_b64 exec, exec, s[20:21]
	s_mov_b64 s[24:25], 0
	s_mov_b64 s[22:23], 0
                                        ; implicit-def: $sgpr30
                                        ; implicit-def: $vgpr0_vgpr1
                                        ; implicit-def: $vgpr2
	s_and_saveexec_b64 s[20:21], s[28:29]
	s_cbranch_execz .LBB150_924
; %bb.907:
	v_mul_lo_u32 v0, v4, s12
	v_mov_b32_e32 v1, s15
	v_mov_b32_e32 v4, s9
	s_waitcnt vmcnt(0)
	v_cndmask_b32_e64 v2, v1, v3, s[0:1]
	v_ashrrev_i32_e32 v1, 31, v0
	s_and_b32 s30, s17, 0xff
	v_add_co_u32_e32 v0, vcc, s8, v0
	s_cmp_lt_i32 s30, 11
	v_addc_co_u32_e32 v1, vcc, v4, v1, vcc
	s_cbranch_scc1 .LBB150_927
; %bb.908:
	s_and_b32 s31, 0xffff, s30
	s_mov_b64 s[24:25], -1
	s_cmp_gt_i32 s31, 25
	s_mov_b64 s[0:1], s[18:19]
	s_cbranch_scc0 .LBB150_945
; %bb.909:
	s_mov_b64 s[22:23], -1
	s_cmp_gt_i32 s31, 28
	s_mov_b64 s[0:1], s[18:19]
	s_cbranch_scc0 .LBB150_929
; %bb.910:
	s_cmp_gt_i32 s31, 43
	s_mov_b64 s[0:1], s[18:19]
	s_cbranch_scc0 .LBB150_921
; %bb.911:
	;; [unrolled: 4-line block ×3, first 2 shown]
	s_cmp_eq_u32 s31, 46
	s_mov_b64 s[0:1], -1
	s_cbranch_scc0 .LBB150_914
; %bb.913:
	v_bfe_u32 v3, v2, 16, 1
	s_movk_i32 s0, 0x7fff
	v_add3_u32 v3, v2, v3, s0
	v_cmp_o_f32_e32 vcc, v2, v2
	v_mov_b32_e32 v4, 0x7fc0
	v_cndmask_b32_sdwa v3, v4, v3, vcc dst_sel:DWORD dst_unused:UNUSED_PAD src0_sel:DWORD src1_sel:WORD_1
	global_store_dword v[0:1], v3, off
	s_mov_b64 s[0:1], 0
.LBB150_914:
	s_mov_b64 s[22:23], 0
.LBB150_915:
	s_and_b64 vcc, exec, s[22:23]
	s_cbranch_vccz .LBB150_920
; %bb.916:
	s_cmp_eq_u32 s31, 44
	s_mov_b64 s[0:1], -1
	s_cbranch_scc0 .LBB150_920
; %bb.917:
	v_bfe_u32 v3, v2, 23, 8
	s_movk_i32 s0, 0xff
	v_cmp_ne_u32_e32 vcc, s0, v3
	v_mov_b32_e32 v4, 0xff
	s_and_saveexec_b64 s[22:23], vcc
; %bb.918:
	s_mov_b32 s0, 0x3fffff
	v_and_b32_e32 v5, 0x400000, v2
	v_and_or_b32 v3, v2, s0, v3
	v_cmp_ne_u32_e32 vcc, 0, v5
	v_cmp_ne_u32_e64 s[0:1], 0, v3
	s_and_b64 s[0:1], vcc, s[0:1]
	v_lshrrev_b32_e32 v4, 23, v2
	v_cndmask_b32_e64 v3, 0, 1, s[0:1]
	v_add_u32_e32 v4, v4, v3
; %bb.919:
	s_or_b64 exec, exec, s[22:23]
	s_mov_b64 s[0:1], 0
	global_store_byte v[0:1], v4, off
.LBB150_920:
	s_mov_b64 s[22:23], 0
.LBB150_921:
	s_and_b64 vcc, exec, s[22:23]
	s_cbranch_vccz .LBB150_928
; %bb.922:
	s_cmp_eq_u32 s31, 29
	s_mov_b64 s[0:1], -1
	s_cbranch_scc0 .LBB150_928
; %bb.923:
	v_trunc_f32_e32 v3, v2
	v_mul_f32_e32 v4, 0x2f800000, v3
	v_floor_f32_e32 v5, v4
	v_fmac_f32_e32 v3, 0xcf800000, v5
	v_cvt_u32_f32_e32 v4, v5
	v_cvt_u32_f32_e32 v3, v3
	s_mov_b64 s[0:1], 0
	s_mov_b64 s[22:23], 0
	global_store_dwordx2 v[0:1], v[3:4], off
	s_branch .LBB150_929
.LBB150_924:
	s_or_b64 exec, exec, s[20:21]
	s_and_saveexec_b64 s[0:1], s[18:19]
	s_cbranch_execnz .LBB150_987
.LBB150_925:
	s_or_b64 exec, exec, s[0:1]
	s_and_saveexec_b64 s[0:1], s[24:25]
	s_xor_b64 s[0:1], exec, s[0:1]
	s_cbranch_execz .LBB150_988
.LBB150_926:
	s_waitcnt vmcnt(0)
	v_cmp_neq_f32_e32 vcc, 0, v2
	v_cndmask_b32_e64 v3, 0, 1, vcc
	global_store_byte v[0:1], v3, off
	s_or_b64 exec, exec, s[0:1]
	s_and_saveexec_b64 s[0:1], s[22:23]
	s_xor_b64 s[0:1], exec, s[0:1]
	s_cbranch_execz .LBB150_1026
	s_branch .LBB150_989
.LBB150_927:
	s_mov_b64 s[22:23], -1
	s_mov_b64 s[0:1], s[18:19]
	s_branch .LBB150_986
.LBB150_928:
	s_mov_b64 s[22:23], 0
.LBB150_929:
	s_and_b64 vcc, exec, s[22:23]
	s_cbranch_vccz .LBB150_944
; %bb.930:
	s_cmp_lt_i32 s31, 27
	s_mov_b64 s[22:23], -1
	s_cbranch_scc1 .LBB150_936
; %bb.931:
	v_cvt_u32_f32_e32 v3, v2
	s_cmp_gt_i32 s31, 27
	s_cbranch_scc0 .LBB150_933
; %bb.932:
	s_mov_b64 s[22:23], 0
	global_store_dword v[0:1], v3, off
.LBB150_933:
	s_andn2_b64 vcc, exec, s[22:23]
	s_cbranch_vccnz .LBB150_935
; %bb.934:
	global_store_short v[0:1], v3, off
.LBB150_935:
	s_mov_b64 s[22:23], 0
.LBB150_936:
	s_andn2_b64 vcc, exec, s[22:23]
	s_cbranch_vccnz .LBB150_944
; %bb.937:
	v_and_b32_e32 v3, 0x7fffffff, v2
	s_mov_b32 s22, 0x43800000
	v_cmp_gt_u32_e32 vcc, s22, v3
	v_mov_b32_e32 v4, 0x80
	s_and_saveexec_b64 s[22:23], vcc
	s_cbranch_execz .LBB150_943
; %bb.938:
	s_mov_b32 s24, 0x3bffffff
	v_cmp_lt_u32_e32 vcc, s24, v3
	s_mov_b64 s[24:25], 0
                                        ; implicit-def: $vgpr3
	s_and_saveexec_b64 s[26:27], vcc
	s_xor_b64 s[26:27], exec, s[26:27]
	s_cbranch_execz .LBB150_1041
; %bb.939:
	v_bfe_u32 v3, v2, 20, 1
	s_mov_b32 s28, 0x487ffff
	v_add3_u32 v3, v2, v3, s28
	s_mov_b64 s[24:25], exec
	v_lshrrev_b32_e32 v3, 20, v3
	s_andn2_saveexec_b64 s[26:27], s[26:27]
	s_cbranch_execnz .LBB150_1042
.LBB150_940:
	s_or_b64 exec, exec, s[26:27]
	v_mov_b32_e32 v4, 0
	s_and_saveexec_b64 s[26:27], s[24:25]
.LBB150_941:
	v_lshrrev_b32_e32 v4, 24, v2
	s_movk_i32 s24, 0x80
	v_and_or_b32 v4, v4, s24, v3
.LBB150_942:
	s_or_b64 exec, exec, s[26:27]
.LBB150_943:
	s_or_b64 exec, exec, s[22:23]
	global_store_byte v[0:1], v4, off
.LBB150_944:
	s_mov_b64 s[24:25], 0
.LBB150_945:
	s_mov_b64 s[22:23], 0
	s_and_b64 vcc, exec, s[24:25]
	s_cbranch_vccz .LBB150_985
; %bb.946:
	s_cmp_gt_i32 s31, 22
	s_mov_b64 s[24:25], -1
	s_cbranch_scc0 .LBB150_978
; %bb.947:
	s_cmp_lt_i32 s31, 24
	s_cbranch_scc1 .LBB150_967
; %bb.948:
	s_cmp_gt_i32 s31, 24
	s_cbranch_scc0 .LBB150_956
; %bb.949:
	v_and_b32_e32 v3, 0x7fffffff, v2
	s_mov_b32 s24, 0x47800000
	v_cmp_gt_u32_e32 vcc, s24, v3
	v_mov_b32_e32 v4, 0x80
	s_and_saveexec_b64 s[24:25], vcc
	s_cbranch_execz .LBB150_955
; %bb.950:
	s_mov_b32 s26, 0x37ffffff
	v_cmp_lt_u32_e32 vcc, s26, v3
	s_mov_b64 s[26:27], 0
                                        ; implicit-def: $vgpr3
	s_and_saveexec_b64 s[28:29], vcc
	s_xor_b64 s[28:29], exec, s[28:29]
	s_cbranch_execz .LBB150_1167
; %bb.951:
	v_bfe_u32 v3, v2, 21, 1
	s_mov_b32 s34, 0x88fffff
	v_add3_u32 v3, v2, v3, s34
	s_mov_b64 s[26:27], exec
	v_lshrrev_b32_e32 v3, 21, v3
	s_andn2_saveexec_b64 s[28:29], s[28:29]
	s_cbranch_execnz .LBB150_1168
.LBB150_952:
	s_or_b64 exec, exec, s[28:29]
	v_mov_b32_e32 v4, 0
	s_and_saveexec_b64 s[28:29], s[26:27]
.LBB150_953:
	v_lshrrev_b32_e32 v4, 24, v2
	s_movk_i32 s26, 0x80
	v_and_or_b32 v4, v4, s26, v3
.LBB150_954:
	s_or_b64 exec, exec, s[28:29]
.LBB150_955:
	s_or_b64 exec, exec, s[24:25]
	s_mov_b64 s[24:25], 0
	global_store_byte v[0:1], v4, off
.LBB150_956:
	s_and_b64 vcc, exec, s[24:25]
	s_cbranch_vccz .LBB150_966
; %bb.957:
	v_and_b32_e32 v4, 0x7fffffff, v2
	s_mov_b32 s24, 0x43f00000
	v_cmp_gt_u32_e32 vcc, s24, v4
                                        ; implicit-def: $vgpr3
	s_and_saveexec_b64 s[24:25], vcc
	s_xor_b64 s[24:25], exec, s[24:25]
	s_cbranch_execz .LBB150_963
; %bb.958:
	s_mov_b32 s26, 0x3c7fffff
	v_cmp_lt_u32_e32 vcc, s26, v4
                                        ; implicit-def: $vgpr3
	s_and_saveexec_b64 s[26:27], vcc
	s_xor_b64 s[26:27], exec, s[26:27]
; %bb.959:
	v_bfe_u32 v3, v2, 20, 1
	s_mov_b32 s28, 0x407ffff
	v_add3_u32 v3, v2, v3, s28
	v_lshrrev_b32_e32 v4, 20, v3
	v_and_b32_e32 v3, 0xff00000, v3
	s_mov_b32 s28, 0x7f00000
	v_mov_b32_e32 v5, 0x7e
	v_cmp_ne_u32_e32 vcc, s28, v3
	v_cndmask_b32_e32 v3, v5, v4, vcc
; %bb.960:
	s_andn2_saveexec_b64 s[26:27], s[26:27]
; %bb.961:
	s_mov_b32 s28, 0x46800000
	v_add_f32_e64 v3, |v2|, s28
; %bb.962:
	s_or_b64 exec, exec, s[26:27]
                                        ; implicit-def: $vgpr4
.LBB150_963:
	s_andn2_saveexec_b64 s[24:25], s[24:25]
; %bb.964:
	s_mov_b32 s26, 0x7f800000
	v_mov_b32_e32 v3, 0x7e
	v_mov_b32_e32 v5, 0x7f
	v_cmp_lt_u32_e32 vcc, s26, v4
	v_cndmask_b32_e32 v3, v3, v5, vcc
; %bb.965:
	s_or_b64 exec, exec, s[24:25]
	v_lshrrev_b32_e32 v4, 24, v2
	s_movk_i32 s24, 0x80
	v_and_or_b32 v3, v4, s24, v3
	global_store_byte v[0:1], v3, off
.LBB150_966:
	s_mov_b64 s[24:25], 0
.LBB150_967:
	s_andn2_b64 vcc, exec, s[24:25]
	s_cbranch_vccnz .LBB150_977
; %bb.968:
	v_and_b32_e32 v4, 0x7fffffff, v2
	s_mov_b32 s24, 0x47800000
	v_cmp_gt_u32_e32 vcc, s24, v4
                                        ; implicit-def: $vgpr3
	s_and_saveexec_b64 s[24:25], vcc
	s_xor_b64 s[24:25], exec, s[24:25]
	s_cbranch_execz .LBB150_974
; %bb.969:
	s_mov_b32 s26, 0x387fffff
	v_cmp_lt_u32_e32 vcc, s26, v4
                                        ; implicit-def: $vgpr3
	s_and_saveexec_b64 s[26:27], vcc
	s_xor_b64 s[26:27], exec, s[26:27]
; %bb.970:
	v_bfe_u32 v3, v2, 21, 1
	s_mov_b32 s28, 0x80fffff
	v_add3_u32 v3, v2, v3, s28
	v_lshrrev_b32_e32 v3, 21, v3
; %bb.971:
	s_andn2_saveexec_b64 s[26:27], s[26:27]
; %bb.972:
	s_mov_b32 s28, 0x43000000
	v_add_f32_e64 v3, |v2|, s28
; %bb.973:
	s_or_b64 exec, exec, s[26:27]
                                        ; implicit-def: $vgpr4
.LBB150_974:
	s_andn2_saveexec_b64 s[24:25], s[24:25]
; %bb.975:
	s_mov_b32 s26, 0x7f800000
	v_mov_b32_e32 v3, 0x7c
	v_mov_b32_e32 v5, 0x7f
	v_cmp_lt_u32_e32 vcc, s26, v4
	v_cndmask_b32_e32 v3, v3, v5, vcc
; %bb.976:
	s_or_b64 exec, exec, s[24:25]
	v_lshrrev_b32_e32 v4, 24, v2
	s_movk_i32 s24, 0x80
	v_and_or_b32 v3, v4, s24, v3
	global_store_byte v[0:1], v3, off
.LBB150_977:
	s_mov_b64 s[24:25], 0
.LBB150_978:
	s_andn2_b64 vcc, exec, s[24:25]
	s_mov_b64 s[24:25], 0
	s_cbranch_vccnz .LBB150_986
; %bb.979:
	s_cmp_gt_i32 s31, 14
	s_mov_b64 s[26:27], -1
	s_cbranch_scc0 .LBB150_983
; %bb.980:
	s_cmp_eq_u32 s31, 15
	s_mov_b64 s[0:1], -1
	s_cbranch_scc0 .LBB150_982
; %bb.981:
	v_bfe_u32 v3, v2, 16, 1
	s_movk_i32 s0, 0x7fff
	v_add3_u32 v3, v2, v3, s0
	v_cmp_o_f32_e32 vcc, v2, v2
	v_mov_b32_e32 v4, 0x7fc0
	v_cndmask_b32_sdwa v3, v4, v3, vcc dst_sel:DWORD dst_unused:UNUSED_PAD src0_sel:DWORD src1_sel:WORD_1
	global_store_short v[0:1], v3, off
	s_mov_b64 s[0:1], 0
.LBB150_982:
	s_mov_b64 s[26:27], 0
.LBB150_983:
	s_and_b64 vcc, exec, s[26:27]
	s_cbranch_vccz .LBB150_986
; %bb.984:
	s_cmp_lg_u32 s31, 11
	s_cselect_b64 s[26:27], -1, 0
	s_andn2_b64 s[0:1], s[0:1], exec
	s_and_b64 s[26:27], s[26:27], exec
	s_mov_b64 s[24:25], -1
	s_or_b64 s[0:1], s[0:1], s[26:27]
	s_branch .LBB150_986
.LBB150_985:
	s_mov_b64 s[24:25], 0
.LBB150_986:
	s_andn2_b64 s[18:19], s[18:19], exec
	s_and_b64 s[0:1], s[0:1], exec
	s_and_b64 s[22:23], s[22:23], exec
	;; [unrolled: 1-line block ×3, first 2 shown]
	s_or_b64 s[18:19], s[18:19], s[0:1]
	s_or_b64 exec, exec, s[20:21]
	s_and_saveexec_b64 s[0:1], s[18:19]
	s_cbranch_execz .LBB150_925
.LBB150_987:
	s_or_b64 s[2:3], s[2:3], exec
	s_andn2_b64 s[24:25], s[24:25], exec
	s_trap 2
	s_or_b64 exec, exec, s[0:1]
	s_and_saveexec_b64 s[0:1], s[24:25]
	s_xor_b64 s[0:1], exec, s[0:1]
	s_cbranch_execnz .LBB150_926
.LBB150_988:
	s_or_b64 exec, exec, s[0:1]
	s_and_saveexec_b64 s[0:1], s[22:23]
	s_xor_b64 s[0:1], exec, s[0:1]
	s_cbranch_execz .LBB150_1026
.LBB150_989:
	s_sext_i32_i16 s20, s30
	s_cmp_lt_i32 s20, 5
	s_mov_b64 s[18:19], -1
	s_cbranch_scc1 .LBB150_1010
; %bb.990:
	s_cmp_lt_i32 s20, 8
	s_cbranch_scc1 .LBB150_1000
; %bb.991:
	s_cmp_lt_i32 s20, 9
	s_cbranch_scc1 .LBB150_997
; %bb.992:
	s_cmp_gt_i32 s20, 9
	s_cbranch_scc0 .LBB150_994
; %bb.993:
	s_waitcnt vmcnt(0)
	v_cvt_f64_f32_e32 v[3:4], v2
	v_mov_b32_e32 v5, 0
	v_mov_b32_e32 v6, v5
	s_mov_b64 s[18:19], 0
	global_store_dwordx4 v[0:1], v[3:6], off
.LBB150_994:
	s_andn2_b64 vcc, exec, s[18:19]
	s_cbranch_vccnz .LBB150_996
; %bb.995:
	s_waitcnt vmcnt(0)
	v_mov_b32_e32 v3, 0
	global_store_dwordx2 v[0:1], v[2:3], off
.LBB150_996:
	s_mov_b64 s[18:19], 0
.LBB150_997:
	s_andn2_b64 vcc, exec, s[18:19]
	s_cbranch_vccnz .LBB150_999
; %bb.998:
	s_waitcnt vmcnt(0)
	v_cvt_f16_f32_e32 v3, v2
	global_store_dword v[0:1], v3, off
.LBB150_999:
	s_mov_b64 s[18:19], 0
.LBB150_1000:
	s_andn2_b64 vcc, exec, s[18:19]
	s_cbranch_vccnz .LBB150_1009
; %bb.1001:
	s_sext_i32_i16 s20, s30
	s_cmp_lt_i32 s20, 6
	s_mov_b64 s[18:19], -1
	s_cbranch_scc1 .LBB150_1007
; %bb.1002:
	s_cmp_gt_i32 s20, 6
	s_cbranch_scc0 .LBB150_1004
; %bb.1003:
	s_waitcnt vmcnt(0)
	v_cvt_f64_f32_e32 v[3:4], v2
	s_mov_b64 s[18:19], 0
	global_store_dwordx2 v[0:1], v[3:4], off
.LBB150_1004:
	s_andn2_b64 vcc, exec, s[18:19]
	s_cbranch_vccnz .LBB150_1006
; %bb.1005:
	s_waitcnt vmcnt(0)
	global_store_dword v[0:1], v2, off
.LBB150_1006:
	s_mov_b64 s[18:19], 0
.LBB150_1007:
	s_andn2_b64 vcc, exec, s[18:19]
	s_cbranch_vccnz .LBB150_1009
; %bb.1008:
	s_waitcnt vmcnt(0)
	v_cvt_f16_f32_e32 v3, v2
	global_store_short v[0:1], v3, off
.LBB150_1009:
	s_mov_b64 s[18:19], 0
.LBB150_1010:
	s_andn2_b64 vcc, exec, s[18:19]
	s_cbranch_vccnz .LBB150_1026
; %bb.1011:
	s_sext_i32_i16 s20, s30
	s_cmp_lt_i32 s20, 2
	s_mov_b64 s[18:19], -1
	s_cbranch_scc1 .LBB150_1021
; %bb.1012:
	s_cmp_lt_i32 s20, 3
	s_cbranch_scc1 .LBB150_1018
; %bb.1013:
	s_cmp_gt_i32 s20, 3
	s_cbranch_scc0 .LBB150_1015
; %bb.1014:
	s_waitcnt vmcnt(0)
	v_trunc_f32_e32 v3, v2
	s_mov_b32 s18, 0x2f800000
	v_mul_f32_e64 v4, |v3|, s18
	v_floor_f32_e32 v4, v4
	s_mov_b32 s18, 0xcf800000
	v_cvt_u32_f32_e32 v5, v4
	v_fma_f32 v4, v4, s18, |v3|
	v_cvt_u32_f32_e32 v4, v4
	v_ashrrev_i32_e32 v6, 31, v3
	v_xor_b32_e32 v5, v5, v6
	s_mov_b64 s[18:19], 0
	v_xor_b32_e32 v3, v4, v6
	v_sub_co_u32_e32 v3, vcc, v3, v6
	v_subb_co_u32_e32 v4, vcc, v5, v6, vcc
	global_store_dwordx2 v[0:1], v[3:4], off
.LBB150_1015:
	s_andn2_b64 vcc, exec, s[18:19]
	s_cbranch_vccnz .LBB150_1017
; %bb.1016:
	s_waitcnt vmcnt(0)
	v_cvt_i32_f32_e32 v3, v2
	global_store_dword v[0:1], v3, off
.LBB150_1017:
	s_mov_b64 s[18:19], 0
.LBB150_1018:
	s_andn2_b64 vcc, exec, s[18:19]
	s_cbranch_vccnz .LBB150_1020
; %bb.1019:
	s_waitcnt vmcnt(0)
	v_cvt_i32_f32_e32 v3, v2
	global_store_short v[0:1], v3, off
.LBB150_1020:
	s_mov_b64 s[18:19], 0
.LBB150_1021:
	s_andn2_b64 vcc, exec, s[18:19]
	s_cbranch_vccnz .LBB150_1026
; %bb.1022:
	s_sext_i32_i16 s18, s30
	s_cmp_gt_i32 s18, 0
	s_mov_b64 s[18:19], -1
	s_cbranch_scc0 .LBB150_1024
; %bb.1023:
	s_waitcnt vmcnt(0)
	v_cvt_i32_f32_e32 v3, v2
	s_mov_b64 s[18:19], 0
	global_store_byte v[0:1], v3, off
.LBB150_1024:
	s_andn2_b64 vcc, exec, s[18:19]
	s_cbranch_vccnz .LBB150_1026
; %bb.1025:
	s_waitcnt vmcnt(0)
	v_trunc_f32_e32 v2, v2
	s_mov_b32 s18, 0x2f800000
	v_mul_f32_e64 v3, |v2|, s18
	v_floor_f32_e32 v3, v3
	s_mov_b32 s18, 0xcf800000
	v_fma_f32 v3, v3, s18, |v2|
	v_cvt_u32_f32_e32 v3, v3
	v_ashrrev_i32_e32 v2, 31, v2
	v_xor_b32_e32 v3, v3, v2
	v_sub_u32_e32 v2, v3, v2
	global_store_byte v[0:1], v2, off
.LBB150_1026:
	s_or_b64 exec, exec, s[0:1]
	s_and_b64 s[18:19], s[2:3], exec
                                        ; implicit-def: $vgpr4
.LBB150_1027:
	s_or_saveexec_b64 s[6:7], s[6:7]
	s_mov_b64 s[0:1], 0
                                        ; implicit-def: $sgpr24
                                        ; implicit-def: $vgpr0_vgpr1
                                        ; implicit-def: $vgpr2
	s_xor_b64 exec, exec, s[6:7]
	s_cbranch_execz .LBB150_1976
; %bb.1028:
	s_waitcnt vmcnt(0)
	v_mul_lo_u32 v3, s13, v4
	v_mov_b32_e32 v1, s11
	s_and_b32 s26, 0xffff, s33
	s_cmp_lt_i32 s26, 11
	v_ashrrev_i32_e32 v2, 31, v3
	v_add_co_u32_e32 v0, vcc, s10, v3
	v_addc_co_u32_e32 v1, vcc, v1, v2, vcc
	s_cbranch_scc1 .LBB150_1035
; %bb.1029:
	s_cmp_gt_i32 s26, 25
	s_mov_b64 s[2:3], 0
	s_cbranch_scc0 .LBB150_1037
; %bb.1030:
	s_cmp_gt_i32 s26, 28
	s_cbranch_scc0 .LBB150_1038
; %bb.1031:
	s_cmp_gt_i32 s26, 43
	s_cbranch_scc0 .LBB150_1039
; %bb.1032:
	s_cmp_gt_i32 s26, 45
	s_cbranch_scc0 .LBB150_1040
; %bb.1033:
	s_cmp_eq_u32 s26, 46
	s_mov_b64 s[20:21], 0
	s_cbranch_scc0 .LBB150_1043
; %bb.1034:
	global_load_dword v2, v[0:1], off
	s_mov_b64 s[4:5], -1
	s_waitcnt vmcnt(0)
	v_lshlrev_b32_e32 v2, 16, v2
	s_branch .LBB150_1045
.LBB150_1035:
                                        ; implicit-def: $vgpr2
	s_mov_b64 s[20:21], s[18:19]
	s_cbranch_execnz .LBB150_1108
.LBB150_1036:
	s_andn2_b64 vcc, exec, s[4:5]
	s_cbranch_vccz .LBB150_1153
	s_branch .LBB150_1974
.LBB150_1037:
                                        ; implicit-def: $vgpr2
	s_cbranch_execnz .LBB150_1073
	s_branch .LBB150_1104
.LBB150_1038:
	s_mov_b64 s[20:21], -1
                                        ; implicit-def: $vgpr2
	s_branch .LBB150_1054
.LBB150_1039:
                                        ; implicit-def: $vgpr2
	s_cbranch_execnz .LBB150_1050
	s_branch .LBB150_1053
.LBB150_1040:
	s_mov_b64 s[20:21], -1
	s_branch .LBB150_1044
.LBB150_1041:
	s_andn2_saveexec_b64 s[26:27], s[26:27]
	s_cbranch_execz .LBB150_940
.LBB150_1042:
	s_mov_b32 s28, 0x46000000
	v_add_f32_e64 v3, |v2|, s28
	v_and_b32_e32 v3, 0xff, v3
	v_cmp_ne_u32_e32 vcc, 0, v3
	s_andn2_b64 s[24:25], s[24:25], exec
	s_and_b64 s[28:29], vcc, exec
	s_or_b64 s[24:25], s[24:25], s[28:29]
	s_or_b64 exec, exec, s[26:27]
	v_mov_b32_e32 v4, 0
	s_and_saveexec_b64 s[26:27], s[24:25]
	s_cbranch_execnz .LBB150_941
	s_branch .LBB150_942
.LBB150_1043:
	s_mov_b64 s[0:1], -1
.LBB150_1044:
                                        ; implicit-def: $vgpr2
.LBB150_1045:
	s_and_b64 vcc, exec, s[20:21]
	s_cbranch_vccz .LBB150_1048
; %bb.1046:
	s_cmp_eq_u32 s26, 44
	s_cbranch_scc0 .LBB150_1049
; %bb.1047:
	global_load_ubyte v2, v[0:1], off
	s_movk_i32 s4, 0xff
	v_mov_b32_e32 v5, 0x7f800001
	v_mov_b32_e32 v6, 0x400000
	s_mov_b64 s[0:1], 0
	s_waitcnt vmcnt(0)
	v_lshlrev_b32_e32 v7, 23, v2
	v_cmp_ne_u32_e32 vcc, s4, v2
	v_cndmask_b32_e32 v5, v5, v7, vcc
	v_cmp_ne_u32_e32 vcc, 0, v2
	v_cndmask_b32_e32 v2, v6, v5, vcc
	s_mov_b64 s[4:5], -1
.LBB150_1048:
	s_branch .LBB150_1053
.LBB150_1049:
	s_mov_b64 s[0:1], -1
                                        ; implicit-def: $vgpr2
	s_branch .LBB150_1053
.LBB150_1050:
	s_cmp_eq_u32 s26, 29
	s_cbranch_scc0 .LBB150_1052
; %bb.1051:
	global_load_dwordx2 v[5:6], v[0:1], off
	s_mov_b64 s[0:1], 0
	s_mov_b64 s[4:5], -1
	s_mov_b64 s[20:21], 0
	s_waitcnt vmcnt(0)
	v_ffbh_u32_e32 v2, v6
	v_min_u32_e32 v2, 32, v2
	v_lshlrev_b64 v[5:6], v2, v[5:6]
	v_sub_u32_e32 v2, 32, v2
	v_min_u32_e32 v5, 1, v5
	v_or_b32_e32 v5, v6, v5
	v_cvt_f32_u32_e32 v5, v5
	v_ldexp_f32 v2, v5, v2
	s_branch .LBB150_1054
.LBB150_1052:
	s_mov_b64 s[0:1], -1
                                        ; implicit-def: $vgpr2
.LBB150_1053:
	s_mov_b64 s[20:21], 0
.LBB150_1054:
	s_and_b64 vcc, exec, s[20:21]
	s_cbranch_vccz .LBB150_1072
; %bb.1055:
	s_cmp_lt_i32 s26, 27
	s_cbranch_scc1 .LBB150_1058
; %bb.1056:
	s_cmp_gt_i32 s26, 27
	s_cbranch_scc0 .LBB150_1059
; %bb.1057:
	global_load_dword v2, v[0:1], off
	s_mov_b64 s[4:5], 0
	s_waitcnt vmcnt(0)
	v_cvt_f32_u32_e32 v2, v2
	s_branch .LBB150_1060
.LBB150_1058:
	s_mov_b64 s[4:5], -1
                                        ; implicit-def: $vgpr2
	s_branch .LBB150_1063
.LBB150_1059:
	s_mov_b64 s[4:5], -1
                                        ; implicit-def: $vgpr2
.LBB150_1060:
	s_andn2_b64 vcc, exec, s[4:5]
	s_cbranch_vccnz .LBB150_1062
; %bb.1061:
	global_load_ushort v2, v[0:1], off
	s_waitcnt vmcnt(0)
	v_cvt_f32_u32_e32 v2, v2
.LBB150_1062:
	s_mov_b64 s[4:5], 0
.LBB150_1063:
	s_andn2_b64 vcc, exec, s[4:5]
	s_cbranch_vccnz .LBB150_1071
; %bb.1064:
	global_load_ubyte v5, v[0:1], off
	s_movk_i32 s4, 0x7f
	s_waitcnt vmcnt(0)
	v_cmp_lt_i16_e32 vcc, s4, v5
	s_mov_b64 s[4:5], 0
	s_and_saveexec_b64 s[20:21], vcc
	s_xor_b64 s[20:21], exec, s[20:21]
	s_cbranch_execz .LBB150_1084
; %bb.1065:
	s_movk_i32 s4, 0x80
	v_cmp_eq_u16_e32 vcc, s4, v5
	s_mov_b64 s[4:5], -1
	s_and_saveexec_b64 s[22:23], vcc
; %bb.1066:
	s_xor_b64 s[4:5], exec, -1
; %bb.1067:
	s_or_b64 exec, exec, s[22:23]
	s_and_b64 s[4:5], s[4:5], exec
	s_or_saveexec_b64 s[20:21], s[20:21]
	v_mov_b32_e32 v2, 0x7f800001
	s_xor_b64 exec, exec, s[20:21]
	s_cbranch_execnz .LBB150_1085
.LBB150_1068:
	s_or_b64 exec, exec, s[20:21]
	s_and_saveexec_b64 s[20:21], s[4:5]
	s_cbranch_execz .LBB150_1070
.LBB150_1069:
	v_lshlrev_b32_e32 v2, 24, v5
	v_and_b32_e32 v5, 0xffff, v5
	v_and_b32_e32 v6, 7, v5
	v_ffbh_u32_e32 v8, v6
	v_min_u32_e32 v8, 32, v8
	v_subrev_u32_e32 v9, 28, v8
	v_bfe_u32 v7, v5, 3, 4
	v_lshlrev_b32_e32 v5, v9, v5
	v_sub_u32_e32 v8, 29, v8
	v_and_b32_e32 v5, 7, v5
	v_cmp_eq_u32_e32 vcc, 0, v7
	v_cndmask_b32_e32 v7, v7, v8, vcc
	v_cndmask_b32_e32 v5, v6, v5, vcc
	v_mov_b32_e32 v6, 0x3b800000
	v_lshlrev_b32_e32 v5, 20, v5
	v_and_b32_e32 v2, 0x80000000, v2
	v_lshl_add_u32 v6, v7, 23, v6
	v_or3_b32 v2, v2, v6, v5
.LBB150_1070:
	s_or_b64 exec, exec, s[20:21]
.LBB150_1071:
	s_mov_b64 s[4:5], -1
.LBB150_1072:
	s_branch .LBB150_1104
.LBB150_1073:
	s_cmp_gt_i32 s26, 22
	s_cbranch_scc0 .LBB150_1083
; %bb.1074:
	s_cmp_lt_i32 s26, 24
	s_cbranch_scc1 .LBB150_1086
; %bb.1075:
	s_cmp_gt_i32 s26, 24
	s_cbranch_scc0 .LBB150_1087
; %bb.1076:
	global_load_ubyte v5, v[0:1], off
	s_movk_i32 s2, 0x7f
	s_waitcnt vmcnt(0)
	v_cmp_lt_i16_e32 vcc, s2, v5
	s_mov_b64 s[2:3], 0
	s_and_saveexec_b64 s[4:5], vcc
	s_xor_b64 s[4:5], exec, s[4:5]
	s_cbranch_execz .LBB150_1098
; %bb.1077:
	s_movk_i32 s2, 0x80
	v_cmp_eq_u16_e32 vcc, s2, v5
	s_mov_b64 s[2:3], -1
	s_and_saveexec_b64 s[20:21], vcc
; %bb.1078:
	s_xor_b64 s[2:3], exec, -1
; %bb.1079:
	s_or_b64 exec, exec, s[20:21]
	s_and_b64 s[2:3], s[2:3], exec
	s_or_saveexec_b64 s[4:5], s[4:5]
	v_mov_b32_e32 v2, 0x7f800001
	s_xor_b64 exec, exec, s[4:5]
	s_cbranch_execnz .LBB150_1099
.LBB150_1080:
	s_or_b64 exec, exec, s[4:5]
	s_and_saveexec_b64 s[4:5], s[2:3]
	s_cbranch_execz .LBB150_1082
.LBB150_1081:
	v_lshlrev_b32_e32 v2, 24, v5
	v_and_b32_e32 v5, 0xffff, v5
	v_and_b32_e32 v6, 3, v5
	v_ffbh_u32_e32 v8, v6
	v_min_u32_e32 v8, 32, v8
	v_subrev_u32_e32 v9, 29, v8
	v_bfe_u32 v7, v5, 2, 5
	v_lshlrev_b32_e32 v5, v9, v5
	v_sub_u32_e32 v8, 30, v8
	v_and_b32_e32 v5, 3, v5
	v_cmp_eq_u32_e32 vcc, 0, v7
	v_cndmask_b32_e32 v7, v7, v8, vcc
	v_cndmask_b32_e32 v5, v6, v5, vcc
	v_mov_b32_e32 v6, 0x37800000
	v_lshlrev_b32_e32 v5, 21, v5
	v_and_b32_e32 v2, 0x80000000, v2
	v_lshl_add_u32 v6, v7, 23, v6
	v_or3_b32 v2, v2, v6, v5
.LBB150_1082:
	s_or_b64 exec, exec, s[4:5]
	s_mov_b64 s[2:3], 0
	s_branch .LBB150_1088
.LBB150_1083:
                                        ; implicit-def: $vgpr2
	s_mov_b64 s[2:3], 0
	s_branch .LBB150_1094
.LBB150_1084:
	s_or_saveexec_b64 s[20:21], s[20:21]
	v_mov_b32_e32 v2, 0x7f800001
	s_xor_b64 exec, exec, s[20:21]
	s_cbranch_execz .LBB150_1068
.LBB150_1085:
	v_cmp_ne_u16_e32 vcc, 0, v5
	s_andn2_b64 s[4:5], s[4:5], exec
	s_and_b64 s[22:23], vcc, exec
	v_mov_b32_e32 v2, 0
	s_or_b64 s[4:5], s[4:5], s[22:23]
	s_or_b64 exec, exec, s[20:21]
	s_and_saveexec_b64 s[20:21], s[4:5]
	s_cbranch_execnz .LBB150_1069
	s_branch .LBB150_1070
.LBB150_1086:
	s_mov_b64 s[2:3], -1
                                        ; implicit-def: $vgpr2
	s_branch .LBB150_1091
.LBB150_1087:
	s_mov_b64 s[2:3], -1
                                        ; implicit-def: $vgpr2
.LBB150_1088:
	s_and_b64 vcc, exec, s[2:3]
	s_cbranch_vccz .LBB150_1090
; %bb.1089:
	global_load_ubyte v2, v[0:1], off
	s_mov_b32 s2, 0x7f800000
	s_waitcnt vmcnt(0)
	v_lshlrev_b32_e32 v2, 24, v2
	v_and_b32_e32 v5, 0x7f000000, v2
	v_ffbh_u32_e32 v6, v5
	v_min_u32_e32 v6, 32, v6
	v_sub_u32_e64 v6, v6, 4 clamp
	v_lshlrev_b32_e32 v8, v6, v5
	v_lshlrev_b32_e32 v6, 23, v6
	v_lshrrev_b32_e32 v8, 4, v8
	v_add_u32_e32 v7, 0x1000000, v5
	v_sub_u32_e32 v6, v8, v6
	v_ashrrev_i32_e32 v7, 8, v7
	v_add_u32_e32 v6, 0x3c000000, v6
	v_and_or_b32 v6, v7, s2, v6
	v_cmp_ne_u32_e32 vcc, 0, v5
	v_cndmask_b32_e32 v5, 0, v6, vcc
	s_brev_b32 s2, 1
	v_and_or_b32 v2, v2, s2, v5
.LBB150_1090:
	s_mov_b64 s[2:3], 0
.LBB150_1091:
	s_andn2_b64 vcc, exec, s[2:3]
	s_cbranch_vccnz .LBB150_1093
; %bb.1092:
	global_load_ubyte v2, v[0:1], off
	s_movk_i32 s2, 0x7f00
	s_brev_b32 s3, 16
	s_waitcnt vmcnt(0)
	v_lshlrev_b16_e32 v5, 8, v2
	v_lshlrev_b32_e32 v2, 25, v2
	v_lshrrev_b32_e32 v6, 4, v2
	v_and_or_b32 v7, v5, s2, 0.5
	v_or_b32_e32 v6, 0x70000000, v6
	v_add_f32_e32 v7, -0.5, v7
	v_mul_f32_e32 v6, 0x7800000, v6
	v_cmp_gt_u32_e32 vcc, s3, v2
	v_bfe_i32 v5, v5, 0, 16
	v_cndmask_b32_e32 v2, v6, v7, vcc
	s_brev_b32 s2, 1
	v_and_or_b32 v2, v5, s2, v2
.LBB150_1093:
	s_mov_b64 s[4:5], -1
	s_mov_b64 s[2:3], 0
	s_cbranch_execnz .LBB150_1104
.LBB150_1094:
	s_cmp_gt_i32 s26, 14
	s_cbranch_scc0 .LBB150_1097
; %bb.1095:
	s_cmp_eq_u32 s26, 15
	s_cbranch_scc0 .LBB150_1100
; %bb.1096:
	global_load_ushort v2, v[0:1], off
	s_mov_b64 s[0:1], 0
	s_mov_b64 s[4:5], -1
	s_waitcnt vmcnt(0)
	v_lshlrev_b32_e32 v2, 16, v2
	s_branch .LBB150_1101
.LBB150_1097:
	s_mov_b64 s[20:21], -1
                                        ; implicit-def: $vgpr2
	s_branch .LBB150_1102
.LBB150_1098:
	s_or_saveexec_b64 s[4:5], s[4:5]
	v_mov_b32_e32 v2, 0x7f800001
	s_xor_b64 exec, exec, s[4:5]
	s_cbranch_execz .LBB150_1080
.LBB150_1099:
	v_cmp_ne_u16_e32 vcc, 0, v5
	s_andn2_b64 s[2:3], s[2:3], exec
	s_and_b64 s[20:21], vcc, exec
	v_mov_b32_e32 v2, 0
	s_or_b64 s[2:3], s[2:3], s[20:21]
	s_or_b64 exec, exec, s[4:5]
	s_and_saveexec_b64 s[4:5], s[2:3]
	s_cbranch_execnz .LBB150_1081
	s_branch .LBB150_1082
.LBB150_1100:
	s_mov_b64 s[0:1], -1
                                        ; implicit-def: $vgpr2
.LBB150_1101:
	s_mov_b64 s[20:21], 0
.LBB150_1102:
	s_and_b64 vcc, exec, s[20:21]
	s_cbranch_vccz .LBB150_1104
; %bb.1103:
	s_cmp_lg_u32 s26, 11
	s_mov_b64 s[2:3], -1
	s_cselect_b64 s[0:1], -1, 0
.LBB150_1104:
	s_and_b64 vcc, exec, s[0:1]
	s_mov_b64 s[20:21], s[18:19]
	s_cbranch_vccnz .LBB150_1165
; %bb.1105:
	s_andn2_b64 vcc, exec, s[2:3]
	s_cbranch_vccnz .LBB150_1107
.LBB150_1106:
	global_load_ubyte v2, v[0:1], off
	s_mov_b64 s[4:5], -1
	s_waitcnt vmcnt(0)
	v_cmp_ne_u16_e32 vcc, 0, v2
	v_cndmask_b32_e64 v2, 0, 1.0, vcc
.LBB150_1107:
	s_branch .LBB150_1036
.LBB150_1108:
	s_cmp_lt_i32 s26, 5
	s_cbranch_scc1 .LBB150_1113
; %bb.1109:
	s_cmp_lt_i32 s26, 8
	s_cbranch_scc1 .LBB150_1114
; %bb.1110:
	;; [unrolled: 3-line block ×3, first 2 shown]
	s_cmp_gt_i32 s26, 9
	s_cbranch_scc0 .LBB150_1116
; %bb.1112:
	global_load_dwordx2 v[5:6], v[0:1], off
	s_mov_b64 s[0:1], 0
	s_waitcnt vmcnt(0)
	v_cvt_f32_f64_e32 v2, v[5:6]
	s_branch .LBB150_1117
.LBB150_1113:
                                        ; implicit-def: $vgpr2
	s_branch .LBB150_1134
.LBB150_1114:
                                        ; implicit-def: $vgpr2
	s_branch .LBB150_1123
.LBB150_1115:
	s_mov_b64 s[0:1], -1
                                        ; implicit-def: $vgpr2
	s_branch .LBB150_1120
.LBB150_1116:
	s_mov_b64 s[0:1], -1
                                        ; implicit-def: $vgpr2
.LBB150_1117:
	s_andn2_b64 vcc, exec, s[0:1]
	s_cbranch_vccnz .LBB150_1119
; %bb.1118:
	global_load_dword v2, v[0:1], off
.LBB150_1119:
	s_mov_b64 s[0:1], 0
.LBB150_1120:
	s_andn2_b64 vcc, exec, s[0:1]
	s_cbranch_vccnz .LBB150_1122
; %bb.1121:
	global_load_dword v2, v[0:1], off
	s_waitcnt vmcnt(0)
	v_cvt_f32_f16_e32 v2, v2
.LBB150_1122:
	s_cbranch_execnz .LBB150_1133
.LBB150_1123:
	s_cmp_lt_i32 s26, 6
	s_cbranch_scc1 .LBB150_1126
; %bb.1124:
	s_cmp_gt_i32 s26, 6
	s_cbranch_scc0 .LBB150_1127
; %bb.1125:
	global_load_dwordx2 v[5:6], v[0:1], off
	s_mov_b64 s[0:1], 0
	s_waitcnt vmcnt(0)
	v_cvt_f32_f64_e32 v2, v[5:6]
	s_branch .LBB150_1128
.LBB150_1126:
	s_mov_b64 s[0:1], -1
                                        ; implicit-def: $vgpr2
	s_branch .LBB150_1131
.LBB150_1127:
	s_mov_b64 s[0:1], -1
                                        ; implicit-def: $vgpr2
.LBB150_1128:
	s_andn2_b64 vcc, exec, s[0:1]
	s_cbranch_vccnz .LBB150_1130
; %bb.1129:
	global_load_dword v2, v[0:1], off
.LBB150_1130:
	s_mov_b64 s[0:1], 0
.LBB150_1131:
	s_andn2_b64 vcc, exec, s[0:1]
	s_cbranch_vccnz .LBB150_1133
; %bb.1132:
	global_load_ushort v2, v[0:1], off
	s_waitcnt vmcnt(0)
	v_cvt_f32_f16_e32 v2, v2
.LBB150_1133:
	s_cbranch_execnz .LBB150_1152
.LBB150_1134:
	s_cmp_lt_i32 s26, 2
	s_cbranch_scc1 .LBB150_1138
; %bb.1135:
	s_cmp_lt_i32 s26, 3
	s_cbranch_scc1 .LBB150_1139
; %bb.1136:
	s_cmp_gt_i32 s26, 3
	s_cbranch_scc0 .LBB150_1140
; %bb.1137:
	global_load_dwordx2 v[5:6], v[0:1], off
	s_mov_b64 s[0:1], 0
	s_waitcnt vmcnt(0)
	v_xor_b32_e32 v7, v5, v6
	v_ffbh_i32_e32 v2, v6
	v_ashrrev_i32_e32 v7, 31, v7
	v_add_u32_e32 v2, -1, v2
	v_add_u32_e32 v7, 32, v7
	v_min_u32_e32 v2, v2, v7
	v_lshlrev_b64 v[5:6], v2, v[5:6]
	v_sub_u32_e32 v2, 32, v2
	v_min_u32_e32 v5, 1, v5
	v_or_b32_e32 v5, v6, v5
	v_cvt_f32_i32_e32 v5, v5
	v_ldexp_f32 v2, v5, v2
	s_branch .LBB150_1141
.LBB150_1138:
                                        ; implicit-def: $vgpr2
	s_branch .LBB150_1147
.LBB150_1139:
	s_mov_b64 s[0:1], -1
                                        ; implicit-def: $vgpr2
	s_branch .LBB150_1144
.LBB150_1140:
	s_mov_b64 s[0:1], -1
                                        ; implicit-def: $vgpr2
.LBB150_1141:
	s_andn2_b64 vcc, exec, s[0:1]
	s_cbranch_vccnz .LBB150_1143
; %bb.1142:
	global_load_dword v2, v[0:1], off
	s_waitcnt vmcnt(0)
	v_cvt_f32_i32_e32 v2, v2
.LBB150_1143:
	s_mov_b64 s[0:1], 0
.LBB150_1144:
	s_andn2_b64 vcc, exec, s[0:1]
	s_cbranch_vccnz .LBB150_1146
; %bb.1145:
	global_load_sshort v2, v[0:1], off
	s_waitcnt vmcnt(0)
	v_cvt_f32_i32_e32 v2, v2
.LBB150_1146:
	s_cbranch_execnz .LBB150_1152
.LBB150_1147:
	s_cmp_gt_i32 s26, 0
	s_cbranch_scc0 .LBB150_1149
; %bb.1148:
	global_load_sbyte v2, v[0:1], off
	s_mov_b64 s[0:1], 0
	s_waitcnt vmcnt(0)
	v_cvt_f32_i32_e32 v2, v2
	s_branch .LBB150_1150
.LBB150_1149:
	s_mov_b64 s[0:1], -1
                                        ; implicit-def: $vgpr2
.LBB150_1150:
	s_andn2_b64 vcc, exec, s[0:1]
	s_cbranch_vccnz .LBB150_1152
; %bb.1151:
	global_load_ubyte v0, v[0:1], off
	s_waitcnt vmcnt(0)
	v_cvt_f32_ubyte0_e32 v2, v0
.LBB150_1152:
.LBB150_1153:
	s_lshl_b32 s13, s13, 7
	v_add_u32_e32 v3, s13, v3
	v_ashrrev_i32_e32 v1, 31, v3
	v_mov_b32_e32 v5, s11
	v_add_co_u32_e32 v0, vcc, s10, v3
	s_cmp_lt_i32 s26, 11
	v_addc_co_u32_e32 v1, vcc, v5, v1, vcc
	s_cbranch_scc1 .LBB150_1160
; %bb.1154:
	s_cmp_gt_i32 s26, 25
	s_mov_b64 s[2:3], 0
	s_cbranch_scc0 .LBB150_1162
; %bb.1155:
	s_cmp_gt_i32 s26, 28
	s_cbranch_scc0 .LBB150_1163
; %bb.1156:
	s_cmp_gt_i32 s26, 43
	;; [unrolled: 3-line block ×3, first 2 shown]
	s_cbranch_scc0 .LBB150_1166
; %bb.1158:
	s_cmp_eq_u32 s26, 46
	s_mov_b64 s[22:23], 0
	s_cbranch_scc0 .LBB150_1169
; %bb.1159:
	global_load_dword v5, v[0:1], off
	s_mov_b64 s[0:1], 0
	s_mov_b64 s[4:5], -1
	s_waitcnt vmcnt(0)
	v_lshlrev_b32_e32 v5, 16, v5
	s_branch .LBB150_1170
.LBB150_1160:
	s_mov_b64 s[4:5], 0
                                        ; implicit-def: $vgpr5
	s_cbranch_execnz .LBB150_1235
.LBB150_1161:
	s_andn2_b64 vcc, exec, s[4:5]
	s_cbranch_vccnz .LBB150_1974
	s_branch .LBB150_1282
.LBB150_1162:
	s_mov_b64 s[4:5], 0
	s_mov_b64 s[0:1], 0
                                        ; implicit-def: $vgpr5
	s_cbranch_execnz .LBB150_1199
	s_branch .LBB150_1231
.LBB150_1163:
	s_mov_b64 s[22:23], -1
	s_mov_b64 s[4:5], 0
	s_mov_b64 s[0:1], 0
                                        ; implicit-def: $vgpr5
	s_branch .LBB150_1180
.LBB150_1164:
	s_mov_b64 s[22:23], -1
	s_mov_b64 s[4:5], 0
	s_mov_b64 s[0:1], 0
                                        ; implicit-def: $vgpr5
	s_branch .LBB150_1175
.LBB150_1165:
	s_or_b64 s[20:21], s[18:19], exec
	s_trap 2
	s_cbranch_execz .LBB150_1106
	s_branch .LBB150_1107
.LBB150_1166:
	s_mov_b64 s[22:23], -1
	s_mov_b64 s[4:5], 0
	s_mov_b64 s[0:1], 0
                                        ; implicit-def: $vgpr5
	s_branch .LBB150_1170
.LBB150_1167:
	s_andn2_saveexec_b64 s[28:29], s[28:29]
	s_cbranch_execz .LBB150_952
.LBB150_1168:
	s_mov_b32 s34, 0x42800000
	v_add_f32_e64 v3, |v2|, s34
	v_and_b32_e32 v3, 0xff, v3
	v_cmp_ne_u32_e32 vcc, 0, v3
	s_andn2_b64 s[26:27], s[26:27], exec
	s_and_b64 s[34:35], vcc, exec
	s_or_b64 s[26:27], s[26:27], s[34:35]
	s_or_b64 exec, exec, s[28:29]
	v_mov_b32_e32 v4, 0
	s_and_saveexec_b64 s[28:29], s[26:27]
	s_cbranch_execnz .LBB150_953
	s_branch .LBB150_954
.LBB150_1169:
	s_mov_b64 s[0:1], -1
                                        ; implicit-def: $vgpr5
	s_mov_b64 s[4:5], 0
.LBB150_1170:
	s_and_b64 vcc, exec, s[22:23]
	s_cbranch_vccz .LBB150_1174
; %bb.1171:
	s_cmp_eq_u32 s26, 44
	s_cbranch_scc0 .LBB150_1173
; %bb.1172:
	global_load_ubyte v5, v[0:1], off
	s_movk_i32 s4, 0xff
	v_mov_b32_e32 v6, 0x7f800001
	v_mov_b32_e32 v7, 0x400000
	s_mov_b64 s[0:1], 0
	s_waitcnt vmcnt(0)
	v_lshlrev_b32_e32 v8, 23, v5
	v_cmp_ne_u32_e32 vcc, s4, v5
	v_cndmask_b32_e32 v6, v6, v8, vcc
	v_cmp_ne_u32_e32 vcc, 0, v5
	v_cndmask_b32_e32 v5, v7, v6, vcc
	s_mov_b64 s[4:5], -1
	s_branch .LBB150_1174
.LBB150_1173:
	s_mov_b64 s[0:1], -1
                                        ; implicit-def: $vgpr5
.LBB150_1174:
	s_mov_b64 s[22:23], 0
.LBB150_1175:
	s_and_b64 vcc, exec, s[22:23]
	s_cbranch_vccz .LBB150_1179
; %bb.1176:
	s_cmp_eq_u32 s26, 29
	s_cbranch_scc0 .LBB150_1178
; %bb.1177:
	global_load_dwordx2 v[5:6], v[0:1], off
	s_mov_b64 s[0:1], 0
	s_mov_b64 s[4:5], -1
	s_mov_b64 s[22:23], 0
	s_waitcnt vmcnt(0)
	v_ffbh_u32_e32 v7, v6
	v_min_u32_e32 v7, 32, v7
	v_lshlrev_b64 v[5:6], v7, v[5:6]
	v_min_u32_e32 v5, 1, v5
	v_or_b32_e32 v5, v6, v5
	v_cvt_f32_u32_e32 v5, v5
	v_sub_u32_e32 v6, 32, v7
	v_ldexp_f32 v5, v5, v6
	s_branch .LBB150_1180
.LBB150_1178:
	s_mov_b64 s[0:1], -1
                                        ; implicit-def: $vgpr5
.LBB150_1179:
	s_mov_b64 s[22:23], 0
.LBB150_1180:
	s_and_b64 vcc, exec, s[22:23]
	s_cbranch_vccz .LBB150_1198
; %bb.1181:
	s_cmp_lt_i32 s26, 27
	s_cbranch_scc1 .LBB150_1184
; %bb.1182:
	s_cmp_gt_i32 s26, 27
	s_cbranch_scc0 .LBB150_1185
; %bb.1183:
	global_load_dword v5, v[0:1], off
	s_mov_b64 s[4:5], 0
	s_waitcnt vmcnt(0)
	v_cvt_f32_u32_e32 v5, v5
	s_branch .LBB150_1186
.LBB150_1184:
	s_mov_b64 s[4:5], -1
                                        ; implicit-def: $vgpr5
	s_branch .LBB150_1189
.LBB150_1185:
	s_mov_b64 s[4:5], -1
                                        ; implicit-def: $vgpr5
.LBB150_1186:
	s_andn2_b64 vcc, exec, s[4:5]
	s_cbranch_vccnz .LBB150_1188
; %bb.1187:
	global_load_ushort v5, v[0:1], off
	s_waitcnt vmcnt(0)
	v_cvt_f32_u32_e32 v5, v5
.LBB150_1188:
	s_mov_b64 s[4:5], 0
.LBB150_1189:
	s_andn2_b64 vcc, exec, s[4:5]
	s_cbranch_vccnz .LBB150_1197
; %bb.1190:
	global_load_ubyte v6, v[0:1], off
	s_movk_i32 s4, 0x7f
	s_waitcnt vmcnt(0)
	v_cmp_lt_i16_e32 vcc, s4, v6
	s_mov_b64 s[4:5], 0
	s_and_saveexec_b64 s[22:23], vcc
	s_xor_b64 s[22:23], exec, s[22:23]
	s_cbranch_execz .LBB150_1210
; %bb.1191:
	s_movk_i32 s4, 0x80
	v_cmp_eq_u16_e32 vcc, s4, v6
	s_mov_b64 s[4:5], -1
	s_and_saveexec_b64 s[24:25], vcc
; %bb.1192:
	s_xor_b64 s[4:5], exec, -1
; %bb.1193:
	s_or_b64 exec, exec, s[24:25]
	s_and_b64 s[4:5], s[4:5], exec
	s_or_saveexec_b64 s[22:23], s[22:23]
	v_mov_b32_e32 v5, 0x7f800001
	s_xor_b64 exec, exec, s[22:23]
	s_cbranch_execnz .LBB150_1211
.LBB150_1194:
	s_or_b64 exec, exec, s[22:23]
	s_and_saveexec_b64 s[22:23], s[4:5]
	s_cbranch_execz .LBB150_1196
.LBB150_1195:
	v_lshlrev_b32_e32 v5, 24, v6
	v_and_b32_e32 v6, 0xffff, v6
	v_and_b32_e32 v7, 7, v6
	v_ffbh_u32_e32 v9, v7
	v_min_u32_e32 v9, 32, v9
	v_subrev_u32_e32 v10, 28, v9
	v_bfe_u32 v8, v6, 3, 4
	v_lshlrev_b32_e32 v6, v10, v6
	v_sub_u32_e32 v9, 29, v9
	v_and_b32_e32 v6, 7, v6
	v_cmp_eq_u32_e32 vcc, 0, v8
	v_cndmask_b32_e32 v8, v8, v9, vcc
	v_cndmask_b32_e32 v6, v7, v6, vcc
	v_mov_b32_e32 v7, 0x3b800000
	v_lshlrev_b32_e32 v6, 20, v6
	v_and_b32_e32 v5, 0x80000000, v5
	v_lshl_add_u32 v7, v8, 23, v7
	v_or3_b32 v5, v5, v7, v6
.LBB150_1196:
	s_or_b64 exec, exec, s[22:23]
.LBB150_1197:
	s_mov_b64 s[4:5], -1
.LBB150_1198:
	s_branch .LBB150_1231
.LBB150_1199:
	s_cmp_gt_i32 s26, 22
	s_cbranch_scc0 .LBB150_1209
; %bb.1200:
	s_cmp_lt_i32 s26, 24
	s_cbranch_scc1 .LBB150_1212
; %bb.1201:
	s_cmp_gt_i32 s26, 24
	s_cbranch_scc0 .LBB150_1213
; %bb.1202:
	global_load_ubyte v6, v[0:1], off
	s_movk_i32 s2, 0x7f
	s_waitcnt vmcnt(0)
	v_cmp_lt_i16_e32 vcc, s2, v6
	s_mov_b64 s[2:3], 0
	s_and_saveexec_b64 s[4:5], vcc
	s_xor_b64 s[4:5], exec, s[4:5]
	s_cbranch_execz .LBB150_1225
; %bb.1203:
	s_movk_i32 s2, 0x80
	v_cmp_eq_u16_e32 vcc, s2, v6
	s_mov_b64 s[2:3], -1
	s_and_saveexec_b64 s[22:23], vcc
; %bb.1204:
	s_xor_b64 s[2:3], exec, -1
; %bb.1205:
	s_or_b64 exec, exec, s[22:23]
	s_and_b64 s[2:3], s[2:3], exec
	s_or_saveexec_b64 s[4:5], s[4:5]
	v_mov_b32_e32 v5, 0x7f800001
	s_xor_b64 exec, exec, s[4:5]
	s_cbranch_execnz .LBB150_1226
.LBB150_1206:
	s_or_b64 exec, exec, s[4:5]
	s_and_saveexec_b64 s[4:5], s[2:3]
	s_cbranch_execz .LBB150_1208
.LBB150_1207:
	v_lshlrev_b32_e32 v5, 24, v6
	v_and_b32_e32 v6, 0xffff, v6
	v_and_b32_e32 v7, 3, v6
	v_ffbh_u32_e32 v9, v7
	v_min_u32_e32 v9, 32, v9
	v_subrev_u32_e32 v10, 29, v9
	v_bfe_u32 v8, v6, 2, 5
	v_lshlrev_b32_e32 v6, v10, v6
	v_sub_u32_e32 v9, 30, v9
	v_and_b32_e32 v6, 3, v6
	v_cmp_eq_u32_e32 vcc, 0, v8
	v_cndmask_b32_e32 v8, v8, v9, vcc
	v_cndmask_b32_e32 v6, v7, v6, vcc
	v_mov_b32_e32 v7, 0x37800000
	v_lshlrev_b32_e32 v6, 21, v6
	v_and_b32_e32 v5, 0x80000000, v5
	v_lshl_add_u32 v7, v8, 23, v7
	v_or3_b32 v5, v5, v7, v6
.LBB150_1208:
	s_or_b64 exec, exec, s[4:5]
	s_mov_b64 s[2:3], 0
	s_branch .LBB150_1214
.LBB150_1209:
	s_mov_b64 s[2:3], -1
                                        ; implicit-def: $vgpr5
	s_branch .LBB150_1220
.LBB150_1210:
	s_or_saveexec_b64 s[22:23], s[22:23]
	v_mov_b32_e32 v5, 0x7f800001
	s_xor_b64 exec, exec, s[22:23]
	s_cbranch_execz .LBB150_1194
.LBB150_1211:
	v_cmp_ne_u16_e32 vcc, 0, v6
	s_andn2_b64 s[4:5], s[4:5], exec
	s_and_b64 s[24:25], vcc, exec
	v_mov_b32_e32 v5, 0
	s_or_b64 s[4:5], s[4:5], s[24:25]
	s_or_b64 exec, exec, s[22:23]
	s_and_saveexec_b64 s[22:23], s[4:5]
	s_cbranch_execnz .LBB150_1195
	s_branch .LBB150_1196
.LBB150_1212:
	s_mov_b64 s[2:3], -1
                                        ; implicit-def: $vgpr5
	s_branch .LBB150_1217
.LBB150_1213:
	s_mov_b64 s[2:3], -1
                                        ; implicit-def: $vgpr5
.LBB150_1214:
	s_and_b64 vcc, exec, s[2:3]
	s_cbranch_vccz .LBB150_1216
; %bb.1215:
	global_load_ubyte v5, v[0:1], off
	s_mov_b32 s2, 0x7f800000
	s_waitcnt vmcnt(0)
	v_lshlrev_b32_e32 v5, 24, v5
	v_and_b32_e32 v6, 0x7f000000, v5
	v_ffbh_u32_e32 v7, v6
	v_min_u32_e32 v7, 32, v7
	v_sub_u32_e64 v7, v7, 4 clamp
	v_lshlrev_b32_e32 v9, v7, v6
	v_lshlrev_b32_e32 v7, 23, v7
	v_lshrrev_b32_e32 v9, 4, v9
	v_add_u32_e32 v8, 0x1000000, v6
	v_sub_u32_e32 v7, v9, v7
	v_ashrrev_i32_e32 v8, 8, v8
	v_add_u32_e32 v7, 0x3c000000, v7
	v_and_or_b32 v7, v8, s2, v7
	v_cmp_ne_u32_e32 vcc, 0, v6
	v_cndmask_b32_e32 v6, 0, v7, vcc
	s_brev_b32 s2, 1
	v_and_or_b32 v5, v5, s2, v6
.LBB150_1216:
	s_mov_b64 s[2:3], 0
.LBB150_1217:
	s_andn2_b64 vcc, exec, s[2:3]
	s_cbranch_vccnz .LBB150_1219
; %bb.1218:
	global_load_ubyte v5, v[0:1], off
	s_movk_i32 s2, 0x7f00
	s_brev_b32 s3, 16
	s_waitcnt vmcnt(0)
	v_lshlrev_b16_e32 v6, 8, v5
	v_lshlrev_b32_e32 v5, 25, v5
	v_lshrrev_b32_e32 v7, 4, v5
	v_and_or_b32 v8, v6, s2, 0.5
	v_or_b32_e32 v7, 0x70000000, v7
	v_add_f32_e32 v8, -0.5, v8
	v_mul_f32_e32 v7, 0x7800000, v7
	v_cmp_gt_u32_e32 vcc, s3, v5
	v_bfe_i32 v6, v6, 0, 16
	v_cndmask_b32_e32 v5, v7, v8, vcc
	s_brev_b32 s2, 1
	v_and_or_b32 v5, v6, s2, v5
.LBB150_1219:
	s_mov_b64 s[2:3], 0
	s_mov_b64 s[4:5], -1
.LBB150_1220:
	s_andn2_b64 vcc, exec, s[2:3]
	s_mov_b64 s[2:3], 0
	s_cbranch_vccnz .LBB150_1231
; %bb.1221:
	s_cmp_gt_i32 s26, 14
	s_cbranch_scc0 .LBB150_1224
; %bb.1222:
	s_cmp_eq_u32 s26, 15
	s_cbranch_scc0 .LBB150_1227
; %bb.1223:
	global_load_ushort v5, v[0:1], off
	s_mov_b64 s[0:1], 0
	s_mov_b64 s[4:5], -1
	s_waitcnt vmcnt(0)
	v_lshlrev_b32_e32 v5, 16, v5
	s_branch .LBB150_1228
.LBB150_1224:
	s_mov_b64 s[22:23], -1
                                        ; implicit-def: $vgpr5
	s_branch .LBB150_1229
.LBB150_1225:
	s_or_saveexec_b64 s[4:5], s[4:5]
	v_mov_b32_e32 v5, 0x7f800001
	s_xor_b64 exec, exec, s[4:5]
	s_cbranch_execz .LBB150_1206
.LBB150_1226:
	v_cmp_ne_u16_e32 vcc, 0, v6
	s_andn2_b64 s[2:3], s[2:3], exec
	s_and_b64 s[22:23], vcc, exec
	v_mov_b32_e32 v5, 0
	s_or_b64 s[2:3], s[2:3], s[22:23]
	s_or_b64 exec, exec, s[4:5]
	s_and_saveexec_b64 s[4:5], s[2:3]
	s_cbranch_execnz .LBB150_1207
	s_branch .LBB150_1208
.LBB150_1227:
	s_mov_b64 s[0:1], -1
                                        ; implicit-def: $vgpr5
.LBB150_1228:
	s_mov_b64 s[22:23], 0
.LBB150_1229:
	s_and_b64 vcc, exec, s[22:23]
	s_cbranch_vccz .LBB150_1231
; %bb.1230:
	s_cmp_lg_u32 s26, 11
	s_mov_b64 s[2:3], -1
	s_cselect_b64 s[0:1], -1, 0
.LBB150_1231:
	s_and_b64 vcc, exec, s[0:1]
	s_cbranch_vccnz .LBB150_1294
; %bb.1232:
	s_andn2_b64 vcc, exec, s[2:3]
	s_cbranch_vccnz .LBB150_1234
.LBB150_1233:
	global_load_ubyte v5, v[0:1], off
	s_mov_b64 s[4:5], -1
	s_waitcnt vmcnt(0)
	v_cmp_ne_u16_e32 vcc, 0, v5
	v_cndmask_b32_e64 v5, 0, 1.0, vcc
.LBB150_1234:
	s_branch .LBB150_1161
.LBB150_1235:
	s_cmp_lt_i32 s26, 5
	s_cbranch_scc1 .LBB150_1240
; %bb.1236:
	s_cmp_lt_i32 s26, 8
	s_cbranch_scc1 .LBB150_1241
; %bb.1237:
	;; [unrolled: 3-line block ×3, first 2 shown]
	s_cmp_gt_i32 s26, 9
	s_cbranch_scc0 .LBB150_1243
; %bb.1239:
	global_load_dwordx2 v[5:6], v[0:1], off
	s_mov_b64 s[0:1], 0
	s_waitcnt vmcnt(0)
	v_cvt_f32_f64_e32 v5, v[5:6]
	s_branch .LBB150_1244
.LBB150_1240:
                                        ; implicit-def: $vgpr5
	s_branch .LBB150_1262
.LBB150_1241:
	s_mov_b64 s[0:1], -1
                                        ; implicit-def: $vgpr5
	s_branch .LBB150_1250
.LBB150_1242:
	s_mov_b64 s[0:1], -1
                                        ; implicit-def: $vgpr5
	s_branch .LBB150_1247
.LBB150_1243:
	s_mov_b64 s[0:1], -1
                                        ; implicit-def: $vgpr5
.LBB150_1244:
	s_andn2_b64 vcc, exec, s[0:1]
	s_cbranch_vccnz .LBB150_1246
; %bb.1245:
	global_load_dword v5, v[0:1], off
.LBB150_1246:
	s_mov_b64 s[0:1], 0
.LBB150_1247:
	s_andn2_b64 vcc, exec, s[0:1]
	s_cbranch_vccnz .LBB150_1249
; %bb.1248:
	global_load_dword v5, v[0:1], off
	s_waitcnt vmcnt(0)
	v_cvt_f32_f16_e32 v5, v5
.LBB150_1249:
	s_mov_b64 s[0:1], 0
.LBB150_1250:
	s_andn2_b64 vcc, exec, s[0:1]
	s_cbranch_vccnz .LBB150_1261
; %bb.1251:
	s_cmp_lt_i32 s26, 6
	s_cbranch_scc1 .LBB150_1254
; %bb.1252:
	s_cmp_gt_i32 s26, 6
	s_cbranch_scc0 .LBB150_1255
; %bb.1253:
	global_load_dwordx2 v[5:6], v[0:1], off
	s_mov_b64 s[0:1], 0
	s_waitcnt vmcnt(0)
	v_cvt_f32_f64_e32 v5, v[5:6]
	s_branch .LBB150_1256
.LBB150_1254:
	s_mov_b64 s[0:1], -1
                                        ; implicit-def: $vgpr5
	s_branch .LBB150_1259
.LBB150_1255:
	s_mov_b64 s[0:1], -1
                                        ; implicit-def: $vgpr5
.LBB150_1256:
	s_andn2_b64 vcc, exec, s[0:1]
	s_cbranch_vccnz .LBB150_1258
; %bb.1257:
	global_load_dword v5, v[0:1], off
.LBB150_1258:
	s_mov_b64 s[0:1], 0
.LBB150_1259:
	s_andn2_b64 vcc, exec, s[0:1]
	s_cbranch_vccnz .LBB150_1261
; %bb.1260:
	global_load_ushort v5, v[0:1], off
	s_waitcnt vmcnt(0)
	v_cvt_f32_f16_e32 v5, v5
.LBB150_1261:
	s_cbranch_execnz .LBB150_1281
.LBB150_1262:
	s_cmp_lt_i32 s26, 2
	s_cbranch_scc1 .LBB150_1266
; %bb.1263:
	s_cmp_lt_i32 s26, 3
	s_cbranch_scc1 .LBB150_1267
; %bb.1264:
	s_cmp_gt_i32 s26, 3
	s_cbranch_scc0 .LBB150_1268
; %bb.1265:
	global_load_dwordx2 v[5:6], v[0:1], off
	s_mov_b64 s[0:1], 0
	s_waitcnt vmcnt(0)
	v_xor_b32_e32 v8, v5, v6
	v_ffbh_i32_e32 v7, v6
	v_ashrrev_i32_e32 v8, 31, v8
	v_add_u32_e32 v7, -1, v7
	v_add_u32_e32 v8, 32, v8
	v_min_u32_e32 v7, v7, v8
	v_lshlrev_b64 v[5:6], v7, v[5:6]
	v_min_u32_e32 v5, 1, v5
	v_or_b32_e32 v5, v6, v5
	v_cvt_f32_i32_e32 v5, v5
	v_sub_u32_e32 v6, 32, v7
	v_ldexp_f32 v5, v5, v6
	s_branch .LBB150_1269
.LBB150_1266:
	s_mov_b64 s[0:1], -1
                                        ; implicit-def: $vgpr5
	s_branch .LBB150_1275
.LBB150_1267:
	s_mov_b64 s[0:1], -1
                                        ; implicit-def: $vgpr5
	s_branch .LBB150_1272
.LBB150_1268:
	s_mov_b64 s[0:1], -1
                                        ; implicit-def: $vgpr5
.LBB150_1269:
	s_andn2_b64 vcc, exec, s[0:1]
	s_cbranch_vccnz .LBB150_1271
; %bb.1270:
	global_load_dword v5, v[0:1], off
	s_waitcnt vmcnt(0)
	v_cvt_f32_i32_e32 v5, v5
.LBB150_1271:
	s_mov_b64 s[0:1], 0
.LBB150_1272:
	s_andn2_b64 vcc, exec, s[0:1]
	s_cbranch_vccnz .LBB150_1274
; %bb.1273:
	global_load_sshort v5, v[0:1], off
	s_waitcnt vmcnt(0)
	v_cvt_f32_i32_e32 v5, v5
.LBB150_1274:
	s_mov_b64 s[0:1], 0
.LBB150_1275:
	s_andn2_b64 vcc, exec, s[0:1]
	s_cbranch_vccnz .LBB150_1281
; %bb.1276:
	s_cmp_gt_i32 s26, 0
	s_cbranch_scc0 .LBB150_1278
; %bb.1277:
	global_load_sbyte v5, v[0:1], off
	s_mov_b64 s[0:1], 0
	s_waitcnt vmcnt(0)
	v_cvt_f32_i32_e32 v5, v5
	s_branch .LBB150_1279
.LBB150_1278:
	s_mov_b64 s[0:1], -1
                                        ; implicit-def: $vgpr5
.LBB150_1279:
	s_andn2_b64 vcc, exec, s[0:1]
	s_cbranch_vccnz .LBB150_1281
; %bb.1280:
	global_load_ubyte v0, v[0:1], off
	s_waitcnt vmcnt(0)
	v_cvt_f32_ubyte0_e32 v5, v0
.LBB150_1281:
.LBB150_1282:
	v_add_u32_e32 v3, s13, v3
	v_ashrrev_i32_e32 v1, 31, v3
	v_mov_b32_e32 v6, s11
	v_add_co_u32_e32 v0, vcc, s10, v3
	s_cmp_lt_i32 s26, 11
	v_addc_co_u32_e32 v1, vcc, v6, v1, vcc
	s_cbranch_scc1 .LBB150_1289
; %bb.1283:
	s_cmp_gt_i32 s26, 25
	s_mov_b64 s[2:3], 0
	s_cbranch_scc0 .LBB150_1291
; %bb.1284:
	s_cmp_gt_i32 s26, 28
	s_cbranch_scc0 .LBB150_1292
; %bb.1285:
	s_cmp_gt_i32 s26, 43
	;; [unrolled: 3-line block ×3, first 2 shown]
	s_cbranch_scc0 .LBB150_1295
; %bb.1287:
	s_cmp_eq_u32 s26, 46
	s_mov_b64 s[22:23], 0
	s_cbranch_scc0 .LBB150_1296
; %bb.1288:
	global_load_dword v6, v[0:1], off
	s_mov_b64 s[0:1], 0
	s_mov_b64 s[4:5], -1
	s_waitcnt vmcnt(0)
	v_lshlrev_b32_e32 v6, 16, v6
	s_branch .LBB150_1297
.LBB150_1289:
	s_mov_b64 s[4:5], 0
                                        ; implicit-def: $vgpr6
	s_cbranch_execnz .LBB150_1363
.LBB150_1290:
	s_andn2_b64 vcc, exec, s[4:5]
	s_cbranch_vccnz .LBB150_1974
	s_branch .LBB150_1411
.LBB150_1291:
	s_mov_b64 s[22:23], -1
	s_mov_b64 s[4:5], 0
	s_mov_b64 s[0:1], 0
                                        ; implicit-def: $vgpr6
	s_branch .LBB150_1326
.LBB150_1292:
	s_mov_b64 s[22:23], -1
	s_mov_b64 s[4:5], 0
	s_mov_b64 s[0:1], 0
                                        ; implicit-def: $vgpr6
	s_branch .LBB150_1307
.LBB150_1293:
	s_mov_b64 s[22:23], -1
	s_mov_b64 s[4:5], 0
	s_mov_b64 s[0:1], 0
                                        ; implicit-def: $vgpr6
	s_branch .LBB150_1302
.LBB150_1294:
	s_trap 2
	s_or_b64 s[20:21], s[20:21], exec
	s_cbranch_execz .LBB150_1233
	s_branch .LBB150_1234
.LBB150_1295:
	s_mov_b64 s[22:23], -1
	s_mov_b64 s[4:5], 0
	s_mov_b64 s[0:1], 0
                                        ; implicit-def: $vgpr6
	s_branch .LBB150_1297
.LBB150_1296:
	s_mov_b64 s[0:1], -1
                                        ; implicit-def: $vgpr6
	s_mov_b64 s[4:5], 0
.LBB150_1297:
	s_and_b64 vcc, exec, s[22:23]
	s_cbranch_vccz .LBB150_1301
; %bb.1298:
	s_cmp_eq_u32 s26, 44
	s_cbranch_scc0 .LBB150_1300
; %bb.1299:
	global_load_ubyte v6, v[0:1], off
	s_movk_i32 s4, 0xff
	v_mov_b32_e32 v7, 0x7f800001
	v_mov_b32_e32 v8, 0x400000
	s_mov_b64 s[0:1], 0
	s_waitcnt vmcnt(0)
	v_lshlrev_b32_e32 v9, 23, v6
	v_cmp_ne_u32_e32 vcc, s4, v6
	v_cndmask_b32_e32 v7, v7, v9, vcc
	v_cmp_ne_u32_e32 vcc, 0, v6
	v_cndmask_b32_e32 v6, v8, v7, vcc
	s_mov_b64 s[4:5], -1
	s_branch .LBB150_1301
.LBB150_1300:
	s_mov_b64 s[0:1], -1
                                        ; implicit-def: $vgpr6
.LBB150_1301:
	s_mov_b64 s[22:23], 0
.LBB150_1302:
	s_and_b64 vcc, exec, s[22:23]
	s_cbranch_vccz .LBB150_1306
; %bb.1303:
	s_cmp_eq_u32 s26, 29
	s_cbranch_scc0 .LBB150_1305
; %bb.1304:
	global_load_dwordx2 v[6:7], v[0:1], off
	s_mov_b64 s[0:1], 0
	s_mov_b64 s[4:5], -1
	s_mov_b64 s[22:23], 0
	s_waitcnt vmcnt(0)
	v_ffbh_u32_e32 v8, v7
	v_min_u32_e32 v8, 32, v8
	v_lshlrev_b64 v[6:7], v8, v[6:7]
	v_min_u32_e32 v6, 1, v6
	v_or_b32_e32 v6, v7, v6
	v_cvt_f32_u32_e32 v6, v6
	v_sub_u32_e32 v7, 32, v8
	v_ldexp_f32 v6, v6, v7
	s_branch .LBB150_1307
.LBB150_1305:
	s_mov_b64 s[0:1], -1
                                        ; implicit-def: $vgpr6
.LBB150_1306:
	s_mov_b64 s[22:23], 0
.LBB150_1307:
	s_and_b64 vcc, exec, s[22:23]
	s_cbranch_vccz .LBB150_1325
; %bb.1308:
	s_cmp_lt_i32 s26, 27
	s_cbranch_scc1 .LBB150_1311
; %bb.1309:
	s_cmp_gt_i32 s26, 27
	s_cbranch_scc0 .LBB150_1312
; %bb.1310:
	global_load_dword v6, v[0:1], off
	s_mov_b64 s[4:5], 0
	s_waitcnt vmcnt(0)
	v_cvt_f32_u32_e32 v6, v6
	s_branch .LBB150_1313
.LBB150_1311:
	s_mov_b64 s[4:5], -1
                                        ; implicit-def: $vgpr6
	s_branch .LBB150_1316
.LBB150_1312:
	s_mov_b64 s[4:5], -1
                                        ; implicit-def: $vgpr6
.LBB150_1313:
	s_andn2_b64 vcc, exec, s[4:5]
	s_cbranch_vccnz .LBB150_1315
; %bb.1314:
	global_load_ushort v6, v[0:1], off
	s_waitcnt vmcnt(0)
	v_cvt_f32_u32_e32 v6, v6
.LBB150_1315:
	s_mov_b64 s[4:5], 0
.LBB150_1316:
	s_andn2_b64 vcc, exec, s[4:5]
	s_cbranch_vccnz .LBB150_1324
; %bb.1317:
	global_load_ubyte v7, v[0:1], off
	s_movk_i32 s4, 0x7f
	s_waitcnt vmcnt(0)
	v_cmp_lt_i16_e32 vcc, s4, v7
	s_mov_b64 s[4:5], 0
	s_and_saveexec_b64 s[22:23], vcc
	s_xor_b64 s[22:23], exec, s[22:23]
	s_cbranch_execz .LBB150_1338
; %bb.1318:
	s_movk_i32 s4, 0x80
	v_cmp_eq_u16_e32 vcc, s4, v7
	s_mov_b64 s[4:5], -1
	s_and_saveexec_b64 s[24:25], vcc
; %bb.1319:
	s_xor_b64 s[4:5], exec, -1
; %bb.1320:
	s_or_b64 exec, exec, s[24:25]
	s_and_b64 s[4:5], s[4:5], exec
	s_or_saveexec_b64 s[22:23], s[22:23]
	v_mov_b32_e32 v6, 0x7f800001
	s_xor_b64 exec, exec, s[22:23]
	s_cbranch_execnz .LBB150_1339
.LBB150_1321:
	s_or_b64 exec, exec, s[22:23]
	s_and_saveexec_b64 s[22:23], s[4:5]
	s_cbranch_execz .LBB150_1323
.LBB150_1322:
	v_lshlrev_b32_e32 v6, 24, v7
	v_and_b32_e32 v7, 0xffff, v7
	v_and_b32_e32 v8, 7, v7
	v_ffbh_u32_e32 v10, v8
	v_min_u32_e32 v10, 32, v10
	v_subrev_u32_e32 v11, 28, v10
	v_bfe_u32 v9, v7, 3, 4
	v_lshlrev_b32_e32 v7, v11, v7
	v_sub_u32_e32 v10, 29, v10
	v_and_b32_e32 v7, 7, v7
	v_cmp_eq_u32_e32 vcc, 0, v9
	v_cndmask_b32_e32 v9, v9, v10, vcc
	v_cndmask_b32_e32 v7, v8, v7, vcc
	v_mov_b32_e32 v8, 0x3b800000
	v_lshlrev_b32_e32 v7, 20, v7
	v_and_b32_e32 v6, 0x80000000, v6
	v_lshl_add_u32 v8, v9, 23, v8
	v_or3_b32 v6, v6, v8, v7
.LBB150_1323:
	s_or_b64 exec, exec, s[22:23]
.LBB150_1324:
	s_mov_b64 s[4:5], -1
.LBB150_1325:
	s_mov_b64 s[22:23], 0
.LBB150_1326:
	s_and_b64 vcc, exec, s[22:23]
	s_cbranch_vccz .LBB150_1359
; %bb.1327:
	s_cmp_gt_i32 s26, 22
	s_cbranch_scc0 .LBB150_1337
; %bb.1328:
	s_cmp_lt_i32 s26, 24
	s_cbranch_scc1 .LBB150_1340
; %bb.1329:
	s_cmp_gt_i32 s26, 24
	s_cbranch_scc0 .LBB150_1341
; %bb.1330:
	global_load_ubyte v7, v[0:1], off
	s_movk_i32 s2, 0x7f
	s_waitcnt vmcnt(0)
	v_cmp_lt_i16_e32 vcc, s2, v7
	s_mov_b64 s[2:3], 0
	s_and_saveexec_b64 s[4:5], vcc
	s_xor_b64 s[4:5], exec, s[4:5]
	s_cbranch_execz .LBB150_1353
; %bb.1331:
	s_movk_i32 s2, 0x80
	v_cmp_eq_u16_e32 vcc, s2, v7
	s_mov_b64 s[2:3], -1
	s_and_saveexec_b64 s[22:23], vcc
; %bb.1332:
	s_xor_b64 s[2:3], exec, -1
; %bb.1333:
	s_or_b64 exec, exec, s[22:23]
	s_and_b64 s[2:3], s[2:3], exec
	s_or_saveexec_b64 s[4:5], s[4:5]
	v_mov_b32_e32 v6, 0x7f800001
	s_xor_b64 exec, exec, s[4:5]
	s_cbranch_execnz .LBB150_1354
.LBB150_1334:
	s_or_b64 exec, exec, s[4:5]
	s_and_saveexec_b64 s[4:5], s[2:3]
	s_cbranch_execz .LBB150_1336
.LBB150_1335:
	v_lshlrev_b32_e32 v6, 24, v7
	v_and_b32_e32 v7, 0xffff, v7
	v_and_b32_e32 v8, 3, v7
	v_ffbh_u32_e32 v10, v8
	v_min_u32_e32 v10, 32, v10
	v_subrev_u32_e32 v11, 29, v10
	v_bfe_u32 v9, v7, 2, 5
	v_lshlrev_b32_e32 v7, v11, v7
	v_sub_u32_e32 v10, 30, v10
	v_and_b32_e32 v7, 3, v7
	v_cmp_eq_u32_e32 vcc, 0, v9
	v_cndmask_b32_e32 v9, v9, v10, vcc
	v_cndmask_b32_e32 v7, v8, v7, vcc
	v_mov_b32_e32 v8, 0x37800000
	v_lshlrev_b32_e32 v7, 21, v7
	v_and_b32_e32 v6, 0x80000000, v6
	v_lshl_add_u32 v8, v9, 23, v8
	v_or3_b32 v6, v6, v8, v7
.LBB150_1336:
	s_or_b64 exec, exec, s[4:5]
	s_mov_b64 s[2:3], 0
	s_branch .LBB150_1342
.LBB150_1337:
	s_mov_b64 s[2:3], -1
                                        ; implicit-def: $vgpr6
	s_branch .LBB150_1348
.LBB150_1338:
	s_or_saveexec_b64 s[22:23], s[22:23]
	v_mov_b32_e32 v6, 0x7f800001
	s_xor_b64 exec, exec, s[22:23]
	s_cbranch_execz .LBB150_1321
.LBB150_1339:
	v_cmp_ne_u16_e32 vcc, 0, v7
	s_andn2_b64 s[4:5], s[4:5], exec
	s_and_b64 s[24:25], vcc, exec
	v_mov_b32_e32 v6, 0
	s_or_b64 s[4:5], s[4:5], s[24:25]
	s_or_b64 exec, exec, s[22:23]
	s_and_saveexec_b64 s[22:23], s[4:5]
	s_cbranch_execnz .LBB150_1322
	s_branch .LBB150_1323
.LBB150_1340:
	s_mov_b64 s[2:3], -1
                                        ; implicit-def: $vgpr6
	s_branch .LBB150_1345
.LBB150_1341:
	s_mov_b64 s[2:3], -1
                                        ; implicit-def: $vgpr6
.LBB150_1342:
	s_and_b64 vcc, exec, s[2:3]
	s_cbranch_vccz .LBB150_1344
; %bb.1343:
	global_load_ubyte v6, v[0:1], off
	s_mov_b32 s2, 0x7f800000
	s_waitcnt vmcnt(0)
	v_lshlrev_b32_e32 v6, 24, v6
	v_and_b32_e32 v7, 0x7f000000, v6
	v_ffbh_u32_e32 v8, v7
	v_min_u32_e32 v8, 32, v8
	v_sub_u32_e64 v8, v8, 4 clamp
	v_lshlrev_b32_e32 v10, v8, v7
	v_lshlrev_b32_e32 v8, 23, v8
	v_lshrrev_b32_e32 v10, 4, v10
	v_add_u32_e32 v9, 0x1000000, v7
	v_sub_u32_e32 v8, v10, v8
	v_ashrrev_i32_e32 v9, 8, v9
	v_add_u32_e32 v8, 0x3c000000, v8
	v_and_or_b32 v8, v9, s2, v8
	v_cmp_ne_u32_e32 vcc, 0, v7
	v_cndmask_b32_e32 v7, 0, v8, vcc
	s_brev_b32 s2, 1
	v_and_or_b32 v6, v6, s2, v7
.LBB150_1344:
	s_mov_b64 s[2:3], 0
.LBB150_1345:
	s_andn2_b64 vcc, exec, s[2:3]
	s_cbranch_vccnz .LBB150_1347
; %bb.1346:
	global_load_ubyte v6, v[0:1], off
	s_movk_i32 s2, 0x7f00
	s_brev_b32 s3, 16
	s_waitcnt vmcnt(0)
	v_lshlrev_b16_e32 v7, 8, v6
	v_lshlrev_b32_e32 v6, 25, v6
	v_lshrrev_b32_e32 v8, 4, v6
	v_and_or_b32 v9, v7, s2, 0.5
	v_or_b32_e32 v8, 0x70000000, v8
	v_add_f32_e32 v9, -0.5, v9
	v_mul_f32_e32 v8, 0x7800000, v8
	v_cmp_gt_u32_e32 vcc, s3, v6
	v_bfe_i32 v7, v7, 0, 16
	v_cndmask_b32_e32 v6, v8, v9, vcc
	s_brev_b32 s2, 1
	v_and_or_b32 v6, v7, s2, v6
.LBB150_1347:
	s_mov_b64 s[2:3], 0
	s_mov_b64 s[4:5], -1
.LBB150_1348:
	s_andn2_b64 vcc, exec, s[2:3]
	s_mov_b64 s[2:3], 0
	s_cbranch_vccnz .LBB150_1359
; %bb.1349:
	s_cmp_gt_i32 s26, 14
	s_cbranch_scc0 .LBB150_1352
; %bb.1350:
	s_cmp_eq_u32 s26, 15
	s_cbranch_scc0 .LBB150_1355
; %bb.1351:
	global_load_ushort v6, v[0:1], off
	s_mov_b64 s[0:1], 0
	s_mov_b64 s[4:5], -1
	s_waitcnt vmcnt(0)
	v_lshlrev_b32_e32 v6, 16, v6
	s_branch .LBB150_1356
.LBB150_1352:
	s_mov_b64 s[22:23], -1
                                        ; implicit-def: $vgpr6
	s_branch .LBB150_1357
.LBB150_1353:
	s_or_saveexec_b64 s[4:5], s[4:5]
	v_mov_b32_e32 v6, 0x7f800001
	s_xor_b64 exec, exec, s[4:5]
	s_cbranch_execz .LBB150_1334
.LBB150_1354:
	v_cmp_ne_u16_e32 vcc, 0, v7
	s_andn2_b64 s[2:3], s[2:3], exec
	s_and_b64 s[22:23], vcc, exec
	v_mov_b32_e32 v6, 0
	s_or_b64 s[2:3], s[2:3], s[22:23]
	s_or_b64 exec, exec, s[4:5]
	s_and_saveexec_b64 s[4:5], s[2:3]
	s_cbranch_execnz .LBB150_1335
	s_branch .LBB150_1336
.LBB150_1355:
	s_mov_b64 s[0:1], -1
                                        ; implicit-def: $vgpr6
.LBB150_1356:
	s_mov_b64 s[22:23], 0
.LBB150_1357:
	s_and_b64 vcc, exec, s[22:23]
	s_cbranch_vccz .LBB150_1359
; %bb.1358:
	s_cmp_lg_u32 s26, 11
	s_mov_b64 s[2:3], -1
	s_cselect_b64 s[0:1], -1, 0
.LBB150_1359:
	s_and_b64 vcc, exec, s[0:1]
	s_cbranch_vccnz .LBB150_1422
; %bb.1360:
	s_andn2_b64 vcc, exec, s[2:3]
	s_cbranch_vccnz .LBB150_1362
.LBB150_1361:
	global_load_ubyte v6, v[0:1], off
	s_mov_b64 s[4:5], -1
	s_waitcnt vmcnt(0)
	v_cmp_ne_u16_e32 vcc, 0, v6
	v_cndmask_b32_e64 v6, 0, 1.0, vcc
.LBB150_1362:
	s_branch .LBB150_1290
.LBB150_1363:
	s_cmp_lt_i32 s26, 5
	s_cbranch_scc1 .LBB150_1368
; %bb.1364:
	s_cmp_lt_i32 s26, 8
	s_cbranch_scc1 .LBB150_1369
; %bb.1365:
	;; [unrolled: 3-line block ×3, first 2 shown]
	s_cmp_gt_i32 s26, 9
	s_cbranch_scc0 .LBB150_1371
; %bb.1367:
	global_load_dwordx2 v[6:7], v[0:1], off
	s_mov_b64 s[0:1], 0
	s_waitcnt vmcnt(0)
	v_cvt_f32_f64_e32 v6, v[6:7]
	s_branch .LBB150_1372
.LBB150_1368:
	s_mov_b64 s[0:1], -1
                                        ; implicit-def: $vgpr6
	s_branch .LBB150_1390
.LBB150_1369:
	s_mov_b64 s[0:1], -1
                                        ; implicit-def: $vgpr6
	s_branch .LBB150_1378
.LBB150_1370:
	s_mov_b64 s[0:1], -1
                                        ; implicit-def: $vgpr6
	s_branch .LBB150_1375
.LBB150_1371:
	s_mov_b64 s[0:1], -1
                                        ; implicit-def: $vgpr6
.LBB150_1372:
	s_andn2_b64 vcc, exec, s[0:1]
	s_cbranch_vccnz .LBB150_1374
; %bb.1373:
	global_load_dword v6, v[0:1], off
.LBB150_1374:
	s_mov_b64 s[0:1], 0
.LBB150_1375:
	s_andn2_b64 vcc, exec, s[0:1]
	s_cbranch_vccnz .LBB150_1377
; %bb.1376:
	global_load_dword v6, v[0:1], off
	s_waitcnt vmcnt(0)
	v_cvt_f32_f16_e32 v6, v6
.LBB150_1377:
	s_mov_b64 s[0:1], 0
.LBB150_1378:
	s_andn2_b64 vcc, exec, s[0:1]
	s_cbranch_vccnz .LBB150_1389
; %bb.1379:
	s_cmp_lt_i32 s26, 6
	s_cbranch_scc1 .LBB150_1382
; %bb.1380:
	s_cmp_gt_i32 s26, 6
	s_cbranch_scc0 .LBB150_1383
; %bb.1381:
	global_load_dwordx2 v[6:7], v[0:1], off
	s_mov_b64 s[0:1], 0
	s_waitcnt vmcnt(0)
	v_cvt_f32_f64_e32 v6, v[6:7]
	s_branch .LBB150_1384
.LBB150_1382:
	s_mov_b64 s[0:1], -1
                                        ; implicit-def: $vgpr6
	s_branch .LBB150_1387
.LBB150_1383:
	s_mov_b64 s[0:1], -1
                                        ; implicit-def: $vgpr6
.LBB150_1384:
	s_andn2_b64 vcc, exec, s[0:1]
	s_cbranch_vccnz .LBB150_1386
; %bb.1385:
	global_load_dword v6, v[0:1], off
.LBB150_1386:
	s_mov_b64 s[0:1], 0
.LBB150_1387:
	s_andn2_b64 vcc, exec, s[0:1]
	s_cbranch_vccnz .LBB150_1389
; %bb.1388:
	global_load_ushort v6, v[0:1], off
	s_waitcnt vmcnt(0)
	v_cvt_f32_f16_e32 v6, v6
.LBB150_1389:
	s_mov_b64 s[0:1], 0
.LBB150_1390:
	s_andn2_b64 vcc, exec, s[0:1]
	s_cbranch_vccnz .LBB150_1410
; %bb.1391:
	s_cmp_lt_i32 s26, 2
	s_cbranch_scc1 .LBB150_1395
; %bb.1392:
	s_cmp_lt_i32 s26, 3
	s_cbranch_scc1 .LBB150_1396
; %bb.1393:
	s_cmp_gt_i32 s26, 3
	s_cbranch_scc0 .LBB150_1397
; %bb.1394:
	global_load_dwordx2 v[6:7], v[0:1], off
	s_mov_b64 s[0:1], 0
	s_waitcnt vmcnt(0)
	v_xor_b32_e32 v9, v6, v7
	v_ffbh_i32_e32 v8, v7
	v_ashrrev_i32_e32 v9, 31, v9
	v_add_u32_e32 v8, -1, v8
	v_add_u32_e32 v9, 32, v9
	v_min_u32_e32 v8, v8, v9
	v_lshlrev_b64 v[6:7], v8, v[6:7]
	v_min_u32_e32 v6, 1, v6
	v_or_b32_e32 v6, v7, v6
	v_cvt_f32_i32_e32 v6, v6
	v_sub_u32_e32 v7, 32, v8
	v_ldexp_f32 v6, v6, v7
	s_branch .LBB150_1398
.LBB150_1395:
	s_mov_b64 s[0:1], -1
                                        ; implicit-def: $vgpr6
	s_branch .LBB150_1404
.LBB150_1396:
	s_mov_b64 s[0:1], -1
                                        ; implicit-def: $vgpr6
	s_branch .LBB150_1401
.LBB150_1397:
	s_mov_b64 s[0:1], -1
                                        ; implicit-def: $vgpr6
.LBB150_1398:
	s_andn2_b64 vcc, exec, s[0:1]
	s_cbranch_vccnz .LBB150_1400
; %bb.1399:
	global_load_dword v6, v[0:1], off
	s_waitcnt vmcnt(0)
	v_cvt_f32_i32_e32 v6, v6
.LBB150_1400:
	s_mov_b64 s[0:1], 0
.LBB150_1401:
	s_andn2_b64 vcc, exec, s[0:1]
	s_cbranch_vccnz .LBB150_1403
; %bb.1402:
	global_load_sshort v6, v[0:1], off
	s_waitcnt vmcnt(0)
	v_cvt_f32_i32_e32 v6, v6
.LBB150_1403:
	s_mov_b64 s[0:1], 0
.LBB150_1404:
	s_andn2_b64 vcc, exec, s[0:1]
	s_cbranch_vccnz .LBB150_1410
; %bb.1405:
	s_cmp_gt_i32 s26, 0
	s_cbranch_scc0 .LBB150_1407
; %bb.1406:
	global_load_sbyte v6, v[0:1], off
	s_mov_b64 s[0:1], 0
	s_waitcnt vmcnt(0)
	v_cvt_f32_i32_e32 v6, v6
	s_branch .LBB150_1408
.LBB150_1407:
	s_mov_b64 s[0:1], -1
                                        ; implicit-def: $vgpr6
.LBB150_1408:
	s_andn2_b64 vcc, exec, s[0:1]
	s_cbranch_vccnz .LBB150_1410
; %bb.1409:
	global_load_ubyte v0, v[0:1], off
	s_waitcnt vmcnt(0)
	v_cvt_f32_ubyte0_e32 v6, v0
.LBB150_1410:
.LBB150_1411:
	v_add_u32_e32 v0, s13, v3
	v_ashrrev_i32_e32 v1, 31, v0
	v_mov_b32_e32 v3, s11
	v_add_co_u32_e32 v0, vcc, s10, v0
	s_cmp_lt_i32 s26, 11
	v_addc_co_u32_e32 v1, vcc, v3, v1, vcc
	s_cbranch_scc1 .LBB150_1418
; %bb.1412:
	s_cmp_gt_i32 s26, 25
	s_mov_b64 s[2:3], 0
	s_cbranch_scc0 .LBB150_1419
; %bb.1413:
	s_cmp_gt_i32 s26, 28
	s_cbranch_scc0 .LBB150_1420
; %bb.1414:
	s_cmp_gt_i32 s26, 43
	;; [unrolled: 3-line block ×3, first 2 shown]
	s_cbranch_scc0 .LBB150_1423
; %bb.1416:
	s_cmp_eq_u32 s26, 46
	s_mov_b64 s[10:11], 0
	s_cbranch_scc0 .LBB150_1424
; %bb.1417:
	global_load_dword v3, v[0:1], off
	s_mov_b64 s[0:1], 0
	s_mov_b64 s[4:5], -1
	s_waitcnt vmcnt(0)
	v_lshlrev_b32_e32 v7, 16, v3
	s_branch .LBB150_1425
.LBB150_1418:
	s_mov_b64 s[0:1], -1
	s_mov_b64 s[4:5], 0
                                        ; implicit-def: $vgpr7
	s_branch .LBB150_1491
.LBB150_1419:
	s_mov_b64 s[10:11], -1
	s_mov_b64 s[4:5], 0
	s_mov_b64 s[0:1], 0
                                        ; implicit-def: $vgpr7
	s_branch .LBB150_1454
.LBB150_1420:
	s_mov_b64 s[10:11], -1
	s_mov_b64 s[4:5], 0
	s_mov_b64 s[0:1], 0
                                        ; implicit-def: $vgpr7
	s_branch .LBB150_1435
.LBB150_1421:
	s_mov_b64 s[10:11], -1
	s_mov_b64 s[4:5], 0
	s_mov_b64 s[0:1], 0
                                        ; implicit-def: $vgpr7
	s_branch .LBB150_1430
.LBB150_1422:
	s_trap 2
	s_or_b64 s[20:21], s[20:21], exec
	s_cbranch_execz .LBB150_1361
	s_branch .LBB150_1362
.LBB150_1423:
	s_mov_b64 s[10:11], -1
	s_mov_b64 s[4:5], 0
	s_mov_b64 s[0:1], 0
                                        ; implicit-def: $vgpr7
	s_branch .LBB150_1425
.LBB150_1424:
	s_mov_b64 s[0:1], -1
                                        ; implicit-def: $vgpr7
	s_mov_b64 s[4:5], 0
.LBB150_1425:
	s_and_b64 vcc, exec, s[10:11]
	s_cbranch_vccz .LBB150_1429
; %bb.1426:
	s_cmp_eq_u32 s26, 44
	s_cbranch_scc0 .LBB150_1428
; %bb.1427:
	global_load_ubyte v3, v[0:1], off
	s_movk_i32 s4, 0xff
	v_mov_b32_e32 v7, 0x7f800001
	v_mov_b32_e32 v8, 0x400000
	s_mov_b64 s[0:1], 0
	s_waitcnt vmcnt(0)
	v_lshlrev_b32_e32 v9, 23, v3
	v_cmp_ne_u32_e32 vcc, s4, v3
	v_cndmask_b32_e32 v7, v7, v9, vcc
	v_cmp_ne_u32_e32 vcc, 0, v3
	v_cndmask_b32_e32 v7, v8, v7, vcc
	s_mov_b64 s[4:5], -1
	s_branch .LBB150_1429
.LBB150_1428:
	s_mov_b64 s[0:1], -1
                                        ; implicit-def: $vgpr7
.LBB150_1429:
	s_mov_b64 s[10:11], 0
.LBB150_1430:
	s_and_b64 vcc, exec, s[10:11]
	s_cbranch_vccz .LBB150_1434
; %bb.1431:
	s_cmp_eq_u32 s26, 29
	s_cbranch_scc0 .LBB150_1433
; %bb.1432:
	global_load_dwordx2 v[7:8], v[0:1], off
	s_mov_b64 s[0:1], 0
	s_mov_b64 s[4:5], -1
	s_mov_b64 s[10:11], 0
	s_waitcnt vmcnt(0)
	v_ffbh_u32_e32 v3, v8
	v_min_u32_e32 v3, 32, v3
	v_lshlrev_b64 v[7:8], v3, v[7:8]
	v_sub_u32_e32 v3, 32, v3
	v_min_u32_e32 v7, 1, v7
	v_or_b32_e32 v7, v8, v7
	v_cvt_f32_u32_e32 v7, v7
	v_ldexp_f32 v7, v7, v3
	s_branch .LBB150_1435
.LBB150_1433:
	s_mov_b64 s[0:1], -1
                                        ; implicit-def: $vgpr7
.LBB150_1434:
	s_mov_b64 s[10:11], 0
.LBB150_1435:
	s_and_b64 vcc, exec, s[10:11]
	s_cbranch_vccz .LBB150_1453
; %bb.1436:
	s_cmp_lt_i32 s26, 27
	s_cbranch_scc1 .LBB150_1439
; %bb.1437:
	s_cmp_gt_i32 s26, 27
	s_cbranch_scc0 .LBB150_1440
; %bb.1438:
	global_load_dword v3, v[0:1], off
	s_mov_b64 s[4:5], 0
	s_waitcnt vmcnt(0)
	v_cvt_f32_u32_e32 v7, v3
	s_branch .LBB150_1441
.LBB150_1439:
	s_mov_b64 s[4:5], -1
                                        ; implicit-def: $vgpr7
	s_branch .LBB150_1444
.LBB150_1440:
	s_mov_b64 s[4:5], -1
                                        ; implicit-def: $vgpr7
.LBB150_1441:
	s_andn2_b64 vcc, exec, s[4:5]
	s_cbranch_vccnz .LBB150_1443
; %bb.1442:
	global_load_ushort v3, v[0:1], off
	s_waitcnt vmcnt(0)
	v_cvt_f32_u32_e32 v7, v3
.LBB150_1443:
	s_mov_b64 s[4:5], 0
.LBB150_1444:
	s_andn2_b64 vcc, exec, s[4:5]
	s_cbranch_vccnz .LBB150_1452
; %bb.1445:
	global_load_ubyte v3, v[0:1], off
	s_movk_i32 s4, 0x7f
	s_waitcnt vmcnt(0)
	v_cmp_lt_i16_e32 vcc, s4, v3
	s_mov_b64 s[4:5], 0
	s_and_saveexec_b64 s[10:11], vcc
	s_xor_b64 s[10:11], exec, s[10:11]
	s_cbranch_execz .LBB150_1466
; %bb.1446:
	s_movk_i32 s4, 0x80
	v_cmp_eq_u16_e32 vcc, s4, v3
	s_mov_b64 s[4:5], -1
	s_and_saveexec_b64 s[22:23], vcc
; %bb.1447:
	s_xor_b64 s[4:5], exec, -1
; %bb.1448:
	s_or_b64 exec, exec, s[22:23]
	s_and_b64 s[4:5], s[4:5], exec
	s_or_saveexec_b64 s[10:11], s[10:11]
	v_mov_b32_e32 v7, 0x7f800001
	s_xor_b64 exec, exec, s[10:11]
	s_cbranch_execnz .LBB150_1467
.LBB150_1449:
	s_or_b64 exec, exec, s[10:11]
	s_and_saveexec_b64 s[10:11], s[4:5]
	s_cbranch_execz .LBB150_1451
.LBB150_1450:
	v_lshlrev_b32_e32 v7, 24, v3
	v_and_b32_e32 v3, 0xffff, v3
	v_and_b32_e32 v8, 7, v3
	v_ffbh_u32_e32 v10, v8
	v_min_u32_e32 v10, 32, v10
	v_subrev_u32_e32 v11, 28, v10
	v_bfe_u32 v9, v3, 3, 4
	v_lshlrev_b32_e32 v3, v11, v3
	v_sub_u32_e32 v10, 29, v10
	v_and_b32_e32 v3, 7, v3
	v_cmp_eq_u32_e32 vcc, 0, v9
	v_cndmask_b32_e32 v9, v9, v10, vcc
	v_cndmask_b32_e32 v3, v8, v3, vcc
	v_mov_b32_e32 v8, 0x3b800000
	v_lshlrev_b32_e32 v3, 20, v3
	v_and_b32_e32 v7, 0x80000000, v7
	v_lshl_add_u32 v8, v9, 23, v8
	v_or3_b32 v7, v7, v8, v3
.LBB150_1451:
	s_or_b64 exec, exec, s[10:11]
.LBB150_1452:
	s_mov_b64 s[4:5], -1
.LBB150_1453:
	s_mov_b64 s[10:11], 0
.LBB150_1454:
	s_and_b64 vcc, exec, s[10:11]
	s_cbranch_vccz .LBB150_1487
; %bb.1455:
	s_cmp_gt_i32 s26, 22
	s_cbranch_scc0 .LBB150_1465
; %bb.1456:
	s_cmp_lt_i32 s26, 24
	s_cbranch_scc1 .LBB150_1468
; %bb.1457:
	s_cmp_gt_i32 s26, 24
	s_cbranch_scc0 .LBB150_1469
; %bb.1458:
	global_load_ubyte v3, v[0:1], off
	s_movk_i32 s2, 0x7f
	s_waitcnt vmcnt(0)
	v_cmp_lt_i16_e32 vcc, s2, v3
	s_mov_b64 s[2:3], 0
	s_and_saveexec_b64 s[4:5], vcc
	s_xor_b64 s[4:5], exec, s[4:5]
	s_cbranch_execz .LBB150_1481
; %bb.1459:
	s_movk_i32 s2, 0x80
	v_cmp_eq_u16_e32 vcc, s2, v3
	s_mov_b64 s[2:3], -1
	s_and_saveexec_b64 s[10:11], vcc
; %bb.1460:
	s_xor_b64 s[2:3], exec, -1
; %bb.1461:
	s_or_b64 exec, exec, s[10:11]
	s_and_b64 s[2:3], s[2:3], exec
	s_or_saveexec_b64 s[4:5], s[4:5]
	v_mov_b32_e32 v7, 0x7f800001
	s_xor_b64 exec, exec, s[4:5]
	s_cbranch_execnz .LBB150_1482
.LBB150_1462:
	s_or_b64 exec, exec, s[4:5]
	s_and_saveexec_b64 s[4:5], s[2:3]
	s_cbranch_execz .LBB150_1464
.LBB150_1463:
	v_lshlrev_b32_e32 v7, 24, v3
	v_and_b32_e32 v3, 0xffff, v3
	v_and_b32_e32 v8, 3, v3
	v_ffbh_u32_e32 v10, v8
	v_min_u32_e32 v10, 32, v10
	v_subrev_u32_e32 v11, 29, v10
	v_bfe_u32 v9, v3, 2, 5
	v_lshlrev_b32_e32 v3, v11, v3
	v_sub_u32_e32 v10, 30, v10
	v_and_b32_e32 v3, 3, v3
	v_cmp_eq_u32_e32 vcc, 0, v9
	v_cndmask_b32_e32 v9, v9, v10, vcc
	v_cndmask_b32_e32 v3, v8, v3, vcc
	v_mov_b32_e32 v8, 0x37800000
	v_lshlrev_b32_e32 v3, 21, v3
	v_and_b32_e32 v7, 0x80000000, v7
	v_lshl_add_u32 v8, v9, 23, v8
	v_or3_b32 v7, v7, v8, v3
.LBB150_1464:
	s_or_b64 exec, exec, s[4:5]
	s_mov_b64 s[2:3], 0
	s_branch .LBB150_1470
.LBB150_1465:
	s_mov_b64 s[2:3], -1
                                        ; implicit-def: $vgpr7
	s_branch .LBB150_1476
.LBB150_1466:
	s_or_saveexec_b64 s[10:11], s[10:11]
	v_mov_b32_e32 v7, 0x7f800001
	s_xor_b64 exec, exec, s[10:11]
	s_cbranch_execz .LBB150_1449
.LBB150_1467:
	v_cmp_ne_u16_e32 vcc, 0, v3
	s_andn2_b64 s[4:5], s[4:5], exec
	s_and_b64 s[22:23], vcc, exec
	v_mov_b32_e32 v7, 0
	s_or_b64 s[4:5], s[4:5], s[22:23]
	s_or_b64 exec, exec, s[10:11]
	s_and_saveexec_b64 s[10:11], s[4:5]
	s_cbranch_execnz .LBB150_1450
	s_branch .LBB150_1451
.LBB150_1468:
	s_mov_b64 s[2:3], -1
                                        ; implicit-def: $vgpr7
	s_branch .LBB150_1473
.LBB150_1469:
	s_mov_b64 s[2:3], -1
                                        ; implicit-def: $vgpr7
.LBB150_1470:
	s_and_b64 vcc, exec, s[2:3]
	s_cbranch_vccz .LBB150_1472
; %bb.1471:
	global_load_ubyte v3, v[0:1], off
	s_mov_b32 s2, 0x7f800000
	s_waitcnt vmcnt(0)
	v_lshlrev_b32_e32 v3, 24, v3
	v_and_b32_e32 v7, 0x7f000000, v3
	v_ffbh_u32_e32 v8, v7
	v_min_u32_e32 v8, 32, v8
	v_sub_u32_e64 v8, v8, 4 clamp
	v_lshlrev_b32_e32 v10, v8, v7
	v_lshlrev_b32_e32 v8, 23, v8
	v_lshrrev_b32_e32 v10, 4, v10
	v_add_u32_e32 v9, 0x1000000, v7
	v_sub_u32_e32 v8, v10, v8
	v_ashrrev_i32_e32 v9, 8, v9
	v_add_u32_e32 v8, 0x3c000000, v8
	v_and_or_b32 v8, v9, s2, v8
	v_cmp_ne_u32_e32 vcc, 0, v7
	v_cndmask_b32_e32 v7, 0, v8, vcc
	s_brev_b32 s2, 1
	v_and_or_b32 v7, v3, s2, v7
.LBB150_1472:
	s_mov_b64 s[2:3], 0
.LBB150_1473:
	s_andn2_b64 vcc, exec, s[2:3]
	s_cbranch_vccnz .LBB150_1475
; %bb.1474:
	global_load_ubyte v3, v[0:1], off
	s_movk_i32 s2, 0x7f00
	s_brev_b32 s3, 16
	s_waitcnt vmcnt(0)
	v_lshlrev_b16_e32 v7, 8, v3
	v_lshlrev_b32_e32 v3, 25, v3
	v_lshrrev_b32_e32 v8, 4, v3
	v_and_or_b32 v9, v7, s2, 0.5
	v_or_b32_e32 v8, 0x70000000, v8
	v_add_f32_e32 v9, -0.5, v9
	v_mul_f32_e32 v8, 0x7800000, v8
	v_cmp_gt_u32_e32 vcc, s3, v3
	v_bfe_i32 v7, v7, 0, 16
	v_cndmask_b32_e32 v3, v8, v9, vcc
	s_brev_b32 s2, 1
	v_and_or_b32 v7, v7, s2, v3
.LBB150_1475:
	s_mov_b64 s[2:3], 0
	s_mov_b64 s[4:5], -1
.LBB150_1476:
	s_andn2_b64 vcc, exec, s[2:3]
	s_mov_b64 s[2:3], 0
	s_cbranch_vccnz .LBB150_1487
; %bb.1477:
	s_cmp_gt_i32 s26, 14
	s_cbranch_scc0 .LBB150_1480
; %bb.1478:
	s_cmp_eq_u32 s26, 15
	s_cbranch_scc0 .LBB150_1483
; %bb.1479:
	global_load_ushort v3, v[0:1], off
	s_mov_b64 s[0:1], 0
	s_mov_b64 s[4:5], -1
	s_waitcnt vmcnt(0)
	v_lshlrev_b32_e32 v7, 16, v3
	s_branch .LBB150_1484
.LBB150_1480:
	s_mov_b64 s[10:11], -1
                                        ; implicit-def: $vgpr7
	s_branch .LBB150_1485
.LBB150_1481:
	s_or_saveexec_b64 s[4:5], s[4:5]
	v_mov_b32_e32 v7, 0x7f800001
	s_xor_b64 exec, exec, s[4:5]
	s_cbranch_execz .LBB150_1462
.LBB150_1482:
	v_cmp_ne_u16_e32 vcc, 0, v3
	s_andn2_b64 s[2:3], s[2:3], exec
	s_and_b64 s[10:11], vcc, exec
	v_mov_b32_e32 v7, 0
	s_or_b64 s[2:3], s[2:3], s[10:11]
	s_or_b64 exec, exec, s[4:5]
	s_and_saveexec_b64 s[4:5], s[2:3]
	s_cbranch_execnz .LBB150_1463
	s_branch .LBB150_1464
.LBB150_1483:
	s_mov_b64 s[0:1], -1
                                        ; implicit-def: $vgpr7
.LBB150_1484:
	s_mov_b64 s[10:11], 0
.LBB150_1485:
	s_and_b64 vcc, exec, s[10:11]
	s_cbranch_vccz .LBB150_1487
; %bb.1486:
	s_cmp_lg_u32 s26, 11
	s_mov_b64 s[2:3], -1
	s_cselect_b64 s[0:1], -1, 0
.LBB150_1487:
	s_and_b64 vcc, exec, s[0:1]
	s_cbranch_vccnz .LBB150_2020
; %bb.1488:
	s_andn2_b64 vcc, exec, s[2:3]
	s_cbranch_vccnz .LBB150_1490
.LBB150_1489:
	global_load_ubyte v3, v[0:1], off
	s_mov_b64 s[4:5], -1
	s_waitcnt vmcnt(0)
	v_cmp_ne_u16_e32 vcc, 0, v3
	v_cndmask_b32_e64 v7, 0, 1.0, vcc
.LBB150_1490:
	s_mov_b64 s[0:1], 0
.LBB150_1491:
	s_and_b64 vcc, exec, s[0:1]
	s_cbranch_vccz .LBB150_1540
; %bb.1492:
	s_cmp_lt_i32 s26, 5
	s_cbranch_scc1 .LBB150_1497
; %bb.1493:
	s_cmp_lt_i32 s26, 8
	s_cbranch_scc1 .LBB150_1498
	;; [unrolled: 3-line block ×3, first 2 shown]
; %bb.1495:
	s_cmp_gt_i32 s26, 9
	s_cbranch_scc0 .LBB150_1500
; %bb.1496:
	global_load_dwordx2 v[7:8], v[0:1], off
	s_mov_b64 s[0:1], 0
	s_waitcnt vmcnt(0)
	v_cvt_f32_f64_e32 v7, v[7:8]
	s_branch .LBB150_1501
.LBB150_1497:
	s_mov_b64 s[0:1], -1
                                        ; implicit-def: $vgpr7
	s_branch .LBB150_1519
.LBB150_1498:
	s_mov_b64 s[0:1], -1
                                        ; implicit-def: $vgpr7
	s_branch .LBB150_1507
.LBB150_1499:
	s_mov_b64 s[0:1], -1
                                        ; implicit-def: $vgpr7
	s_branch .LBB150_1504
.LBB150_1500:
	s_mov_b64 s[0:1], -1
                                        ; implicit-def: $vgpr7
.LBB150_1501:
	s_andn2_b64 vcc, exec, s[0:1]
	s_cbranch_vccnz .LBB150_1503
; %bb.1502:
	global_load_dword v7, v[0:1], off
.LBB150_1503:
	s_mov_b64 s[0:1], 0
.LBB150_1504:
	s_andn2_b64 vcc, exec, s[0:1]
	s_cbranch_vccnz .LBB150_1506
; %bb.1505:
	global_load_dword v3, v[0:1], off
	s_waitcnt vmcnt(0)
	v_cvt_f32_f16_e32 v7, v3
.LBB150_1506:
	s_mov_b64 s[0:1], 0
.LBB150_1507:
	s_andn2_b64 vcc, exec, s[0:1]
	s_cbranch_vccnz .LBB150_1518
; %bb.1508:
	s_cmp_lt_i32 s26, 6
	s_cbranch_scc1 .LBB150_1511
; %bb.1509:
	s_cmp_gt_i32 s26, 6
	s_cbranch_scc0 .LBB150_1512
; %bb.1510:
	global_load_dwordx2 v[7:8], v[0:1], off
	s_mov_b64 s[0:1], 0
	s_waitcnt vmcnt(0)
	v_cvt_f32_f64_e32 v7, v[7:8]
	s_branch .LBB150_1513
.LBB150_1511:
	s_mov_b64 s[0:1], -1
                                        ; implicit-def: $vgpr7
	s_branch .LBB150_1516
.LBB150_1512:
	s_mov_b64 s[0:1], -1
                                        ; implicit-def: $vgpr7
.LBB150_1513:
	s_andn2_b64 vcc, exec, s[0:1]
	s_cbranch_vccnz .LBB150_1515
; %bb.1514:
	global_load_dword v7, v[0:1], off
.LBB150_1515:
	s_mov_b64 s[0:1], 0
.LBB150_1516:
	s_andn2_b64 vcc, exec, s[0:1]
	s_cbranch_vccnz .LBB150_1518
; %bb.1517:
	global_load_ushort v3, v[0:1], off
	s_waitcnt vmcnt(0)
	v_cvt_f32_f16_e32 v7, v3
.LBB150_1518:
	s_mov_b64 s[0:1], 0
.LBB150_1519:
	s_andn2_b64 vcc, exec, s[0:1]
	s_cbranch_vccnz .LBB150_1539
; %bb.1520:
	s_cmp_lt_i32 s26, 2
	s_cbranch_scc1 .LBB150_1524
; %bb.1521:
	s_cmp_lt_i32 s26, 3
	s_cbranch_scc1 .LBB150_1525
; %bb.1522:
	s_cmp_gt_i32 s26, 3
	s_cbranch_scc0 .LBB150_1526
; %bb.1523:
	global_load_dwordx2 v[7:8], v[0:1], off
	s_mov_b64 s[0:1], 0
	s_waitcnt vmcnt(0)
	v_xor_b32_e32 v9, v7, v8
	v_ffbh_i32_e32 v3, v8
	v_ashrrev_i32_e32 v9, 31, v9
	v_add_u32_e32 v3, -1, v3
	v_add_u32_e32 v9, 32, v9
	v_min_u32_e32 v3, v3, v9
	v_lshlrev_b64 v[7:8], v3, v[7:8]
	v_sub_u32_e32 v3, 32, v3
	v_min_u32_e32 v7, 1, v7
	v_or_b32_e32 v7, v8, v7
	v_cvt_f32_i32_e32 v7, v7
	v_ldexp_f32 v7, v7, v3
	s_branch .LBB150_1527
.LBB150_1524:
	s_mov_b64 s[0:1], -1
                                        ; implicit-def: $vgpr7
	s_branch .LBB150_1533
.LBB150_1525:
	s_mov_b64 s[0:1], -1
                                        ; implicit-def: $vgpr7
	s_branch .LBB150_1530
.LBB150_1526:
	s_mov_b64 s[0:1], -1
                                        ; implicit-def: $vgpr7
.LBB150_1527:
	s_andn2_b64 vcc, exec, s[0:1]
	s_cbranch_vccnz .LBB150_1529
; %bb.1528:
	global_load_dword v3, v[0:1], off
	s_waitcnt vmcnt(0)
	v_cvt_f32_i32_e32 v7, v3
.LBB150_1529:
	s_mov_b64 s[0:1], 0
.LBB150_1530:
	s_andn2_b64 vcc, exec, s[0:1]
	s_cbranch_vccnz .LBB150_1532
; %bb.1531:
	global_load_sshort v3, v[0:1], off
	s_waitcnt vmcnt(0)
	v_cvt_f32_i32_e32 v7, v3
.LBB150_1532:
	s_mov_b64 s[0:1], 0
.LBB150_1533:
	s_andn2_b64 vcc, exec, s[0:1]
	s_cbranch_vccnz .LBB150_1539
; %bb.1534:
	s_cmp_gt_i32 s26, 0
	s_cbranch_scc0 .LBB150_1536
; %bb.1535:
	global_load_sbyte v3, v[0:1], off
	s_mov_b64 s[0:1], 0
	s_waitcnt vmcnt(0)
	v_cvt_f32_i32_e32 v7, v3
	s_branch .LBB150_1537
.LBB150_1536:
	s_mov_b64 s[0:1], -1
                                        ; implicit-def: $vgpr7
.LBB150_1537:
	s_andn2_b64 vcc, exec, s[0:1]
	s_cbranch_vccnz .LBB150_1539
; %bb.1538:
	global_load_ubyte v0, v[0:1], off
	s_waitcnt vmcnt(0)
	v_cvt_f32_ubyte0_e32 v7, v0
.LBB150_1539:
	s_mov_b64 s[4:5], -1
.LBB150_1540:
	s_andn2_b64 vcc, exec, s[4:5]
	s_cbranch_vccnz .LBB150_1974
; %bb.1541:
	v_mul_lo_u32 v4, s12, v4
	v_mov_b32_e32 v0, s14
	v_mov_b32_e32 v1, s15
	v_cmp_nle_f32_e64 s[0:1], s16, v0
	s_waitcnt vmcnt(0)
	v_cndmask_b32_e64 v2, v1, v2, s[0:1]
	v_ashrrev_i32_e32 v1, 31, v4
	v_mov_b32_e32 v3, s9
	s_and_b32 s24, s17, 0xff
	v_add_co_u32_e32 v0, vcc, s8, v4
	s_cmp_lt_i32 s24, 11
	v_addc_co_u32_e32 v1, vcc, v3, v1, vcc
	s_cbranch_scc1 .LBB150_1619
; %bb.1542:
	s_and_b32 s13, 0xffff, s24
	s_mov_b64 s[16:17], -1
	s_mov_b64 s[4:5], 0
	s_cmp_gt_i32 s13, 25
	s_mov_b64 s[10:11], 0
	s_mov_b64 s[2:3], 0
	s_cbranch_scc0 .LBB150_1575
; %bb.1543:
	s_cmp_gt_i32 s13, 28
	s_cbranch_scc0 .LBB150_1558
; %bb.1544:
	s_cmp_gt_i32 s13, 43
	;; [unrolled: 3-line block ×3, first 2 shown]
	s_cbranch_scc0 .LBB150_1548
; %bb.1546:
	s_mov_b64 s[2:3], -1
	s_mov_b64 s[16:17], 0
	s_cmp_eq_u32 s13, 46
	s_cbranch_scc0 .LBB150_1548
; %bb.1547:
	v_bfe_u32 v3, v2, 16, 1
	s_movk_i32 s2, 0x7fff
	v_add3_u32 v3, v2, v3, s2
	v_cmp_o_f32_e32 vcc, v2, v2
	v_mov_b32_e32 v8, 0x7fc0
	v_cndmask_b32_sdwa v3, v8, v3, vcc dst_sel:DWORD dst_unused:UNUSED_PAD src0_sel:DWORD src1_sel:WORD_1
	global_store_dword v[0:1], v3, off
	s_mov_b64 s[2:3], 0
	s_mov_b64 s[10:11], -1
.LBB150_1548:
	s_and_b64 vcc, exec, s[16:17]
	s_cbranch_vccz .LBB150_1553
; %bb.1549:
	s_cmp_eq_u32 s13, 44
	s_mov_b64 s[2:3], -1
	s_cbranch_scc0 .LBB150_1553
; %bb.1550:
	v_bfe_u32 v3, v2, 23, 8
	s_movk_i32 s2, 0xff
	v_cmp_ne_u32_e32 vcc, s2, v3
	v_mov_b32_e32 v8, 0xff
	s_and_saveexec_b64 s[10:11], vcc
; %bb.1551:
	s_mov_b32 s2, 0x3fffff
	v_and_b32_e32 v9, 0x400000, v2
	v_and_or_b32 v3, v2, s2, v3
	v_cmp_ne_u32_e32 vcc, 0, v9
	v_cmp_ne_u32_e64 s[2:3], 0, v3
	s_and_b64 s[2:3], vcc, s[2:3]
	v_lshrrev_b32_e32 v8, 23, v2
	v_cndmask_b32_e64 v3, 0, 1, s[2:3]
	v_add_u32_e32 v8, v8, v3
; %bb.1552:
	s_or_b64 exec, exec, s[10:11]
	s_mov_b64 s[2:3], 0
	s_mov_b64 s[10:11], -1
	global_store_byte v[0:1], v8, off
.LBB150_1553:
	s_mov_b64 s[16:17], 0
.LBB150_1554:
	s_and_b64 vcc, exec, s[16:17]
	s_cbranch_vccz .LBB150_1557
; %bb.1555:
	s_cmp_eq_u32 s13, 29
	s_mov_b64 s[2:3], -1
	s_cbranch_scc0 .LBB150_1557
; %bb.1556:
	v_trunc_f32_e32 v3, v2
	v_mul_f32_e32 v8, 0x2f800000, v3
	v_floor_f32_e32 v8, v8
	v_fmac_f32_e32 v3, 0xcf800000, v8
	v_cvt_u32_f32_e32 v9, v8
	v_cvt_u32_f32_e32 v8, v3
	s_mov_b64 s[2:3], 0
	s_mov_b64 s[10:11], -1
	global_store_dwordx2 v[0:1], v[8:9], off
.LBB150_1557:
	s_mov_b64 s[16:17], 0
.LBB150_1558:
	s_and_b64 vcc, exec, s[16:17]
	s_cbranch_vccz .LBB150_1574
; %bb.1559:
	s_cmp_lt_i32 s13, 27
	s_mov_b64 s[10:11], -1
	s_cbranch_scc1 .LBB150_1565
; %bb.1560:
	v_cvt_u32_f32_e32 v3, v2
	s_cmp_gt_i32 s13, 27
	s_cbranch_scc0 .LBB150_1562
; %bb.1561:
	s_mov_b64 s[10:11], 0
	global_store_dword v[0:1], v3, off
.LBB150_1562:
	s_andn2_b64 vcc, exec, s[10:11]
	s_cbranch_vccnz .LBB150_1564
; %bb.1563:
	global_store_short v[0:1], v3, off
.LBB150_1564:
	s_mov_b64 s[10:11], 0
.LBB150_1565:
	s_andn2_b64 vcc, exec, s[10:11]
	s_cbranch_vccnz .LBB150_1573
; %bb.1566:
	v_and_b32_e32 v3, 0x7fffffff, v2
	s_mov_b32 s10, 0x43800000
	v_cmp_gt_u32_e32 vcc, s10, v3
	v_mov_b32_e32 v8, 0x80
	s_and_saveexec_b64 s[10:11], vcc
	s_cbranch_execz .LBB150_1572
; %bb.1567:
	s_mov_b32 s14, 0x3bffffff
	v_cmp_lt_u32_e32 vcc, s14, v3
	s_mov_b64 s[16:17], 0
                                        ; implicit-def: $vgpr3
	s_and_saveexec_b64 s[22:23], vcc
	s_xor_b64 s[22:23], exec, s[22:23]
	s_cbranch_execz .LBB150_2021
; %bb.1568:
	v_bfe_u32 v3, v2, 20, 1
	s_mov_b32 s14, 0x487ffff
	v_add3_u32 v3, v2, v3, s14
	s_mov_b64 s[16:17], exec
	v_lshrrev_b32_e32 v3, 20, v3
	s_andn2_saveexec_b64 s[22:23], s[22:23]
	s_cbranch_execnz .LBB150_2022
.LBB150_1569:
	s_or_b64 exec, exec, s[22:23]
	v_mov_b32_e32 v8, 0
	s_and_saveexec_b64 s[22:23], s[16:17]
.LBB150_1570:
	v_lshrrev_b32_e32 v8, 24, v2
	s_movk_i32 s14, 0x80
	v_and_or_b32 v8, v8, s14, v3
.LBB150_1571:
	s_or_b64 exec, exec, s[22:23]
.LBB150_1572:
	s_or_b64 exec, exec, s[10:11]
	global_store_byte v[0:1], v8, off
.LBB150_1573:
	s_mov_b64 s[10:11], -1
.LBB150_1574:
	s_mov_b64 s[16:17], 0
.LBB150_1575:
	s_and_b64 vcc, exec, s[16:17]
	s_cbranch_vccz .LBB150_1615
; %bb.1576:
	s_cmp_gt_i32 s13, 22
	s_mov_b64 s[4:5], -1
	s_cbranch_scc0 .LBB150_1608
; %bb.1577:
	s_cmp_lt_i32 s13, 24
	s_cbranch_scc1 .LBB150_1597
; %bb.1578:
	s_cmp_gt_i32 s13, 24
	s_cbranch_scc0 .LBB150_1586
; %bb.1579:
	v_and_b32_e32 v3, 0x7fffffff, v2
	s_mov_b32 s4, 0x47800000
	v_cmp_gt_u32_e32 vcc, s4, v3
	v_mov_b32_e32 v8, 0x80
	s_and_saveexec_b64 s[4:5], vcc
	s_cbranch_execz .LBB150_1585
; %bb.1580:
	s_mov_b32 s10, 0x37ffffff
	v_cmp_lt_u32_e32 vcc, s10, v3
	s_mov_b64 s[10:11], 0
                                        ; implicit-def: $vgpr3
	s_and_saveexec_b64 s[16:17], vcc
	s_xor_b64 s[16:17], exec, s[16:17]
	s_cbranch_execz .LBB150_2024
; %bb.1581:
	v_bfe_u32 v3, v2, 21, 1
	s_mov_b32 s14, 0x88fffff
	v_add3_u32 v3, v2, v3, s14
	s_mov_b64 s[10:11], exec
	v_lshrrev_b32_e32 v3, 21, v3
	s_andn2_saveexec_b64 s[16:17], s[16:17]
	s_cbranch_execnz .LBB150_2025
.LBB150_1582:
	s_or_b64 exec, exec, s[16:17]
	v_mov_b32_e32 v8, 0
	s_and_saveexec_b64 s[16:17], s[10:11]
.LBB150_1583:
	v_lshrrev_b32_e32 v8, 24, v2
	s_movk_i32 s10, 0x80
	v_and_or_b32 v8, v8, s10, v3
.LBB150_1584:
	s_or_b64 exec, exec, s[16:17]
.LBB150_1585:
	s_or_b64 exec, exec, s[4:5]
	s_mov_b64 s[4:5], 0
	global_store_byte v[0:1], v8, off
.LBB150_1586:
	s_and_b64 vcc, exec, s[4:5]
	s_cbranch_vccz .LBB150_1596
; %bb.1587:
	v_and_b32_e32 v8, 0x7fffffff, v2
	s_mov_b32 s4, 0x43f00000
	v_cmp_gt_u32_e32 vcc, s4, v8
                                        ; implicit-def: $vgpr3
	s_and_saveexec_b64 s[4:5], vcc
	s_xor_b64 s[4:5], exec, s[4:5]
	s_cbranch_execz .LBB150_1593
; %bb.1588:
	s_mov_b32 s10, 0x3c7fffff
	v_cmp_lt_u32_e32 vcc, s10, v8
                                        ; implicit-def: $vgpr3
	s_and_saveexec_b64 s[10:11], vcc
	s_xor_b64 s[10:11], exec, s[10:11]
; %bb.1589:
	v_bfe_u32 v3, v2, 20, 1
	s_mov_b32 s14, 0x407ffff
	v_add3_u32 v3, v2, v3, s14
	v_lshrrev_b32_e32 v8, 20, v3
	v_and_b32_e32 v3, 0xff00000, v3
	s_mov_b32 s14, 0x7f00000
	v_mov_b32_e32 v9, 0x7e
	v_cmp_ne_u32_e32 vcc, s14, v3
	v_cndmask_b32_e32 v3, v9, v8, vcc
; %bb.1590:
	s_andn2_saveexec_b64 s[10:11], s[10:11]
; %bb.1591:
	s_mov_b32 s14, 0x46800000
	v_add_f32_e64 v3, |v2|, s14
; %bb.1592:
	s_or_b64 exec, exec, s[10:11]
                                        ; implicit-def: $vgpr8
.LBB150_1593:
	s_andn2_saveexec_b64 s[4:5], s[4:5]
; %bb.1594:
	s_mov_b32 s10, 0x7f800000
	v_mov_b32_e32 v3, 0x7e
	v_mov_b32_e32 v9, 0x7f
	v_cmp_lt_u32_e32 vcc, s10, v8
	v_cndmask_b32_e32 v3, v3, v9, vcc
; %bb.1595:
	s_or_b64 exec, exec, s[4:5]
	v_lshrrev_b32_e32 v8, 24, v2
	s_movk_i32 s4, 0x80
	v_and_or_b32 v3, v8, s4, v3
	global_store_byte v[0:1], v3, off
.LBB150_1596:
	s_mov_b64 s[4:5], 0
.LBB150_1597:
	s_andn2_b64 vcc, exec, s[4:5]
	s_cbranch_vccnz .LBB150_1607
; %bb.1598:
	v_and_b32_e32 v8, 0x7fffffff, v2
	s_mov_b32 s4, 0x47800000
	v_cmp_gt_u32_e32 vcc, s4, v8
                                        ; implicit-def: $vgpr3
	s_and_saveexec_b64 s[4:5], vcc
	s_xor_b64 s[4:5], exec, s[4:5]
	s_cbranch_execz .LBB150_1604
; %bb.1599:
	s_mov_b32 s10, 0x387fffff
	v_cmp_lt_u32_e32 vcc, s10, v8
                                        ; implicit-def: $vgpr3
	s_and_saveexec_b64 s[10:11], vcc
	s_xor_b64 s[10:11], exec, s[10:11]
; %bb.1600:
	v_bfe_u32 v3, v2, 21, 1
	s_mov_b32 s14, 0x80fffff
	v_add3_u32 v3, v2, v3, s14
	v_lshrrev_b32_e32 v3, 21, v3
; %bb.1601:
	s_andn2_saveexec_b64 s[10:11], s[10:11]
; %bb.1602:
	s_mov_b32 s14, 0x43000000
	v_add_f32_e64 v3, |v2|, s14
; %bb.1603:
	s_or_b64 exec, exec, s[10:11]
                                        ; implicit-def: $vgpr8
.LBB150_1604:
	s_andn2_saveexec_b64 s[4:5], s[4:5]
; %bb.1605:
	s_mov_b32 s10, 0x7f800000
	v_mov_b32_e32 v3, 0x7c
	v_mov_b32_e32 v9, 0x7f
	v_cmp_lt_u32_e32 vcc, s10, v8
	v_cndmask_b32_e32 v3, v3, v9, vcc
; %bb.1606:
	s_or_b64 exec, exec, s[4:5]
	v_lshrrev_b32_e32 v8, 24, v2
	s_movk_i32 s4, 0x80
	v_and_or_b32 v3, v8, s4, v3
	global_store_byte v[0:1], v3, off
.LBB150_1607:
	s_mov_b64 s[4:5], 0
	s_mov_b64 s[10:11], -1
.LBB150_1608:
	s_andn2_b64 vcc, exec, s[4:5]
	s_mov_b64 s[4:5], 0
	s_cbranch_vccnz .LBB150_1615
; %bb.1609:
	s_cmp_gt_i32 s13, 14
	s_mov_b64 s[16:17], -1
	s_cbranch_scc0 .LBB150_1613
; %bb.1610:
	s_cmp_eq_u32 s13, 15
	s_mov_b64 s[2:3], -1
	s_cbranch_scc0 .LBB150_1612
; %bb.1611:
	v_bfe_u32 v3, v2, 16, 1
	s_movk_i32 s2, 0x7fff
	v_add3_u32 v3, v2, v3, s2
	v_cmp_o_f32_e32 vcc, v2, v2
	v_mov_b32_e32 v8, 0x7fc0
	v_cndmask_b32_sdwa v3, v8, v3, vcc dst_sel:DWORD dst_unused:UNUSED_PAD src0_sel:DWORD src1_sel:WORD_1
	global_store_short v[0:1], v3, off
	s_mov_b64 s[2:3], 0
	s_mov_b64 s[10:11], -1
.LBB150_1612:
	s_mov_b64 s[16:17], 0
.LBB150_1613:
	s_and_b64 vcc, exec, s[16:17]
	s_cbranch_vccz .LBB150_1615
; %bb.1614:
	s_cmp_lg_u32 s13, 11
	s_mov_b64 s[4:5], -1
	s_cselect_b64 s[2:3], -1, 0
.LBB150_1615:
	s_and_b64 vcc, exec, s[2:3]
	s_cbranch_vccnz .LBB150_2023
; %bb.1616:
	s_andn2_b64 vcc, exec, s[4:5]
	s_cbranch_vccnz .LBB150_1618
.LBB150_1617:
	v_cmp_neq_f32_e32 vcc, 0, v2
	v_cndmask_b32_e64 v3, 0, 1, vcc
	s_mov_b64 s[10:11], -1
	global_store_byte v[0:1], v3, off
.LBB150_1618:
	s_mov_b64 s[2:3], 0
	s_branch .LBB150_1620
.LBB150_1619:
	s_mov_b64 s[2:3], -1
	s_mov_b64 s[10:11], 0
.LBB150_1620:
	s_and_b64 vcc, exec, s[2:3]
	s_cbranch_vccz .LBB150_1659
; %bb.1621:
	s_and_b32 s4, 0xffff, s24
	s_cmp_lt_i32 s4, 5
	s_mov_b64 s[2:3], -1
	s_cbranch_scc1 .LBB150_1642
; %bb.1622:
	s_cmp_lt_i32 s4, 8
	s_cbranch_scc1 .LBB150_1632
; %bb.1623:
	s_cmp_lt_i32 s4, 9
	s_cbranch_scc1 .LBB150_1629
; %bb.1624:
	s_cmp_gt_i32 s4, 9
	s_cbranch_scc0 .LBB150_1626
; %bb.1625:
	v_cvt_f64_f32_e32 v[8:9], v2
	v_mov_b32_e32 v10, 0
	v_mov_b32_e32 v11, v10
	s_mov_b64 s[2:3], 0
	global_store_dwordx4 v[0:1], v[8:11], off
.LBB150_1626:
	s_andn2_b64 vcc, exec, s[2:3]
	s_cbranch_vccnz .LBB150_1628
; %bb.1627:
	v_mov_b32_e32 v3, 0
	global_store_dwordx2 v[0:1], v[2:3], off
.LBB150_1628:
	s_mov_b64 s[2:3], 0
.LBB150_1629:
	s_andn2_b64 vcc, exec, s[2:3]
	s_cbranch_vccnz .LBB150_1631
; %bb.1630:
	v_cvt_f16_f32_e32 v3, v2
	global_store_dword v[0:1], v3, off
.LBB150_1631:
	s_mov_b64 s[2:3], 0
.LBB150_1632:
	s_andn2_b64 vcc, exec, s[2:3]
	s_cbranch_vccnz .LBB150_1641
; %bb.1633:
	s_cmp_lt_i32 s4, 6
	s_mov_b64 s[2:3], -1
	s_cbranch_scc1 .LBB150_1639
; %bb.1634:
	s_cmp_gt_i32 s4, 6
	s_cbranch_scc0 .LBB150_1636
; %bb.1635:
	v_cvt_f64_f32_e32 v[8:9], v2
	s_mov_b64 s[2:3], 0
	global_store_dwordx2 v[0:1], v[8:9], off
.LBB150_1636:
	s_andn2_b64 vcc, exec, s[2:3]
	s_cbranch_vccnz .LBB150_1638
; %bb.1637:
	global_store_dword v[0:1], v2, off
.LBB150_1638:
	s_mov_b64 s[2:3], 0
.LBB150_1639:
	s_andn2_b64 vcc, exec, s[2:3]
	s_cbranch_vccnz .LBB150_1641
; %bb.1640:
	v_cvt_f16_f32_e32 v3, v2
	global_store_short v[0:1], v3, off
.LBB150_1641:
	s_mov_b64 s[2:3], 0
.LBB150_1642:
	s_andn2_b64 vcc, exec, s[2:3]
	s_cbranch_vccnz .LBB150_1658
; %bb.1643:
	s_cmp_lt_i32 s4, 2
	s_mov_b64 s[2:3], -1
	s_cbranch_scc1 .LBB150_1653
; %bb.1644:
	s_cmp_lt_i32 s4, 3
	s_cbranch_scc1 .LBB150_1650
; %bb.1645:
	s_cmp_gt_i32 s4, 3
	s_cbranch_scc0 .LBB150_1647
; %bb.1646:
	v_trunc_f32_e32 v3, v2
	s_mov_b32 s2, 0x2f800000
	v_mul_f32_e64 v8, |v3|, s2
	v_floor_f32_e32 v8, v8
	s_mov_b32 s2, 0xcf800000
	v_cvt_u32_f32_e32 v9, v8
	v_fma_f32 v8, v8, s2, |v3|
	v_cvt_u32_f32_e32 v8, v8
	v_ashrrev_i32_e32 v3, 31, v3
	v_xor_b32_e32 v9, v9, v3
	s_mov_b64 s[2:3], 0
	v_xor_b32_e32 v8, v8, v3
	v_sub_co_u32_e32 v8, vcc, v8, v3
	v_subb_co_u32_e32 v9, vcc, v9, v3, vcc
	global_store_dwordx2 v[0:1], v[8:9], off
.LBB150_1647:
	s_andn2_b64 vcc, exec, s[2:3]
	s_cbranch_vccnz .LBB150_1649
; %bb.1648:
	v_cvt_i32_f32_e32 v3, v2
	global_store_dword v[0:1], v3, off
.LBB150_1649:
	s_mov_b64 s[2:3], 0
.LBB150_1650:
	s_andn2_b64 vcc, exec, s[2:3]
	s_cbranch_vccnz .LBB150_1652
; %bb.1651:
	v_cvt_i32_f32_e32 v3, v2
	global_store_short v[0:1], v3, off
.LBB150_1652:
	s_mov_b64 s[2:3], 0
.LBB150_1653:
	s_andn2_b64 vcc, exec, s[2:3]
	s_cbranch_vccnz .LBB150_1658
; %bb.1654:
	s_cmp_gt_i32 s4, 0
	s_mov_b64 s[2:3], -1
	s_cbranch_scc0 .LBB150_1656
; %bb.1655:
	v_cvt_i32_f32_e32 v3, v2
	s_mov_b64 s[2:3], 0
	global_store_byte v[0:1], v3, off
.LBB150_1656:
	s_andn2_b64 vcc, exec, s[2:3]
	s_cbranch_vccnz .LBB150_1658
; %bb.1657:
	v_trunc_f32_e32 v2, v2
	s_mov_b32 s2, 0x2f800000
	v_mul_f32_e64 v3, |v2|, s2
	v_floor_f32_e32 v3, v3
	s_mov_b32 s2, 0xcf800000
	v_fma_f32 v3, v3, s2, |v2|
	v_cvt_u32_f32_e32 v3, v3
	v_ashrrev_i32_e32 v2, 31, v2
	v_xor_b32_e32 v3, v3, v2
	v_sub_u32_e32 v2, v3, v2
	global_store_byte v[0:1], v2, off
.LBB150_1658:
	s_mov_b64 s[10:11], -1
.LBB150_1659:
	s_andn2_b64 vcc, exec, s[10:11]
	s_cbranch_vccnz .LBB150_1974
; %bb.1660:
	s_lshl_b32 s14, s12, 7
	v_mov_b32_e32 v0, s15
	v_add_u32_e32 v4, s14, v4
	v_cndmask_b32_e64 v2, v0, v5, s[0:1]
	v_ashrrev_i32_e32 v1, 31, v4
	v_mov_b32_e32 v3, s9
	v_add_co_u32_e32 v0, vcc, s8, v4
	s_cmp_lt_i32 s24, 11
	v_addc_co_u32_e32 v1, vcc, v3, v1, vcc
	s_cbranch_scc1 .LBB150_1738
; %bb.1661:
	s_and_b32 s22, 0xffff, s24
	s_mov_b64 s[12:13], -1
	s_mov_b64 s[4:5], 0
	s_cmp_gt_i32 s22, 25
	s_mov_b64 s[10:11], 0
	s_mov_b64 s[2:3], 0
	s_cbranch_scc0 .LBB150_1694
; %bb.1662:
	s_cmp_gt_i32 s22, 28
	s_cbranch_scc0 .LBB150_1677
; %bb.1663:
	s_cmp_gt_i32 s22, 43
	;; [unrolled: 3-line block ×3, first 2 shown]
	s_cbranch_scc0 .LBB150_1667
; %bb.1665:
	s_mov_b64 s[2:3], -1
	s_mov_b64 s[12:13], 0
	s_cmp_eq_u32 s22, 46
	s_cbranch_scc0 .LBB150_1667
; %bb.1666:
	v_bfe_u32 v3, v2, 16, 1
	s_movk_i32 s2, 0x7fff
	v_add3_u32 v3, v2, v3, s2
	v_cmp_o_f32_e32 vcc, v2, v2
	v_mov_b32_e32 v5, 0x7fc0
	v_cndmask_b32_sdwa v3, v5, v3, vcc dst_sel:DWORD dst_unused:UNUSED_PAD src0_sel:DWORD src1_sel:WORD_1
	global_store_dword v[0:1], v3, off
	s_mov_b64 s[2:3], 0
	s_mov_b64 s[10:11], -1
.LBB150_1667:
	s_and_b64 vcc, exec, s[12:13]
	s_cbranch_vccz .LBB150_1672
; %bb.1668:
	s_cmp_eq_u32 s22, 44
	s_mov_b64 s[2:3], -1
	s_cbranch_scc0 .LBB150_1672
; %bb.1669:
	v_bfe_u32 v3, v2, 23, 8
	s_movk_i32 s2, 0xff
	v_cmp_ne_u32_e32 vcc, s2, v3
	v_mov_b32_e32 v5, 0xff
	s_and_saveexec_b64 s[10:11], vcc
; %bb.1670:
	s_mov_b32 s2, 0x3fffff
	v_and_b32_e32 v8, 0x400000, v2
	v_and_or_b32 v3, v2, s2, v3
	v_cmp_ne_u32_e32 vcc, 0, v8
	v_cmp_ne_u32_e64 s[2:3], 0, v3
	s_and_b64 s[2:3], vcc, s[2:3]
	v_lshrrev_b32_e32 v5, 23, v2
	v_cndmask_b32_e64 v3, 0, 1, s[2:3]
	v_add_u32_e32 v5, v5, v3
; %bb.1671:
	s_or_b64 exec, exec, s[10:11]
	s_mov_b64 s[2:3], 0
	s_mov_b64 s[10:11], -1
	global_store_byte v[0:1], v5, off
.LBB150_1672:
	s_mov_b64 s[12:13], 0
.LBB150_1673:
	s_and_b64 vcc, exec, s[12:13]
	s_cbranch_vccz .LBB150_1676
; %bb.1674:
	s_cmp_eq_u32 s22, 29
	s_mov_b64 s[2:3], -1
	s_cbranch_scc0 .LBB150_1676
; %bb.1675:
	v_trunc_f32_e32 v3, v2
	v_mul_f32_e32 v5, 0x2f800000, v3
	v_floor_f32_e32 v5, v5
	v_fmac_f32_e32 v3, 0xcf800000, v5
	v_cvt_u32_f32_e32 v9, v5
	v_cvt_u32_f32_e32 v8, v3
	s_mov_b64 s[2:3], 0
	s_mov_b64 s[10:11], -1
	global_store_dwordx2 v[0:1], v[8:9], off
.LBB150_1676:
	s_mov_b64 s[12:13], 0
.LBB150_1677:
	s_and_b64 vcc, exec, s[12:13]
	s_cbranch_vccz .LBB150_1693
; %bb.1678:
	s_cmp_lt_i32 s22, 27
	s_mov_b64 s[10:11], -1
	s_cbranch_scc1 .LBB150_1684
; %bb.1679:
	v_cvt_u32_f32_e32 v3, v2
	s_cmp_gt_i32 s22, 27
	s_cbranch_scc0 .LBB150_1681
; %bb.1680:
	s_mov_b64 s[10:11], 0
	global_store_dword v[0:1], v3, off
.LBB150_1681:
	s_andn2_b64 vcc, exec, s[10:11]
	s_cbranch_vccnz .LBB150_1683
; %bb.1682:
	global_store_short v[0:1], v3, off
.LBB150_1683:
	s_mov_b64 s[10:11], 0
.LBB150_1684:
	s_andn2_b64 vcc, exec, s[10:11]
	s_cbranch_vccnz .LBB150_1692
; %bb.1685:
	v_and_b32_e32 v3, 0x7fffffff, v2
	s_mov_b32 s10, 0x43800000
	v_cmp_gt_u32_e32 vcc, s10, v3
	v_mov_b32_e32 v5, 0x80
	s_and_saveexec_b64 s[10:11], vcc
	s_cbranch_execz .LBB150_1691
; %bb.1686:
	s_mov_b32 s12, 0x3bffffff
	v_cmp_lt_u32_e32 vcc, s12, v3
	s_mov_b64 s[12:13], 0
                                        ; implicit-def: $vgpr3
	s_and_saveexec_b64 s[16:17], vcc
	s_xor_b64 s[16:17], exec, s[16:17]
	s_cbranch_execz .LBB150_2026
; %bb.1687:
	v_bfe_u32 v3, v2, 20, 1
	s_mov_b32 s23, 0x487ffff
	v_add3_u32 v3, v2, v3, s23
	s_mov_b64 s[12:13], exec
	v_lshrrev_b32_e32 v3, 20, v3
	s_andn2_saveexec_b64 s[16:17], s[16:17]
	s_cbranch_execnz .LBB150_2027
.LBB150_1688:
	s_or_b64 exec, exec, s[16:17]
	v_mov_b32_e32 v5, 0
	s_and_saveexec_b64 s[16:17], s[12:13]
.LBB150_1689:
	v_lshrrev_b32_e32 v5, 24, v2
	s_movk_i32 s12, 0x80
	v_and_or_b32 v5, v5, s12, v3
.LBB150_1690:
	s_or_b64 exec, exec, s[16:17]
.LBB150_1691:
	s_or_b64 exec, exec, s[10:11]
	global_store_byte v[0:1], v5, off
.LBB150_1692:
	s_mov_b64 s[10:11], -1
.LBB150_1693:
	s_mov_b64 s[12:13], 0
.LBB150_1694:
	s_and_b64 vcc, exec, s[12:13]
	s_cbranch_vccz .LBB150_1734
; %bb.1695:
	s_cmp_gt_i32 s22, 22
	s_mov_b64 s[4:5], -1
	s_cbranch_scc0 .LBB150_1727
; %bb.1696:
	s_cmp_lt_i32 s22, 24
	s_cbranch_scc1 .LBB150_1716
; %bb.1697:
	s_cmp_gt_i32 s22, 24
	s_cbranch_scc0 .LBB150_1705
; %bb.1698:
	v_and_b32_e32 v3, 0x7fffffff, v2
	s_mov_b32 s4, 0x47800000
	v_cmp_gt_u32_e32 vcc, s4, v3
	v_mov_b32_e32 v5, 0x80
	s_and_saveexec_b64 s[4:5], vcc
	s_cbranch_execz .LBB150_1704
; %bb.1699:
	s_mov_b32 s10, 0x37ffffff
	v_cmp_lt_u32_e32 vcc, s10, v3
	s_mov_b64 s[10:11], 0
                                        ; implicit-def: $vgpr3
	s_and_saveexec_b64 s[12:13], vcc
	s_xor_b64 s[12:13], exec, s[12:13]
	s_cbranch_execz .LBB150_2029
; %bb.1700:
	v_bfe_u32 v3, v2, 21, 1
	s_mov_b32 s16, 0x88fffff
	v_add3_u32 v3, v2, v3, s16
	s_mov_b64 s[10:11], exec
	v_lshrrev_b32_e32 v3, 21, v3
	s_andn2_saveexec_b64 s[12:13], s[12:13]
	s_cbranch_execnz .LBB150_2030
.LBB150_1701:
	s_or_b64 exec, exec, s[12:13]
	v_mov_b32_e32 v5, 0
	s_and_saveexec_b64 s[12:13], s[10:11]
.LBB150_1702:
	v_lshrrev_b32_e32 v5, 24, v2
	s_movk_i32 s10, 0x80
	v_and_or_b32 v5, v5, s10, v3
.LBB150_1703:
	s_or_b64 exec, exec, s[12:13]
.LBB150_1704:
	s_or_b64 exec, exec, s[4:5]
	s_mov_b64 s[4:5], 0
	global_store_byte v[0:1], v5, off
.LBB150_1705:
	s_and_b64 vcc, exec, s[4:5]
	s_cbranch_vccz .LBB150_1715
; %bb.1706:
	v_and_b32_e32 v5, 0x7fffffff, v2
	s_mov_b32 s4, 0x43f00000
	v_cmp_gt_u32_e32 vcc, s4, v5
                                        ; implicit-def: $vgpr3
	s_and_saveexec_b64 s[4:5], vcc
	s_xor_b64 s[4:5], exec, s[4:5]
	s_cbranch_execz .LBB150_1712
; %bb.1707:
	s_mov_b32 s10, 0x3c7fffff
	v_cmp_lt_u32_e32 vcc, s10, v5
                                        ; implicit-def: $vgpr3
	s_and_saveexec_b64 s[10:11], vcc
	s_xor_b64 s[10:11], exec, s[10:11]
; %bb.1708:
	v_bfe_u32 v3, v2, 20, 1
	s_mov_b32 s12, 0x407ffff
	v_add3_u32 v3, v2, v3, s12
	v_lshrrev_b32_e32 v5, 20, v3
	v_and_b32_e32 v3, 0xff00000, v3
	s_mov_b32 s12, 0x7f00000
	v_mov_b32_e32 v8, 0x7e
	v_cmp_ne_u32_e32 vcc, s12, v3
	v_cndmask_b32_e32 v3, v8, v5, vcc
; %bb.1709:
	s_andn2_saveexec_b64 s[10:11], s[10:11]
; %bb.1710:
	s_mov_b32 s12, 0x46800000
	v_add_f32_e64 v3, |v2|, s12
; %bb.1711:
	s_or_b64 exec, exec, s[10:11]
                                        ; implicit-def: $vgpr5
.LBB150_1712:
	s_andn2_saveexec_b64 s[4:5], s[4:5]
; %bb.1713:
	s_mov_b32 s10, 0x7f800000
	v_mov_b32_e32 v3, 0x7e
	v_mov_b32_e32 v8, 0x7f
	v_cmp_lt_u32_e32 vcc, s10, v5
	v_cndmask_b32_e32 v3, v3, v8, vcc
; %bb.1714:
	s_or_b64 exec, exec, s[4:5]
	v_lshrrev_b32_e32 v5, 24, v2
	s_movk_i32 s4, 0x80
	v_and_or_b32 v3, v5, s4, v3
	global_store_byte v[0:1], v3, off
.LBB150_1715:
	s_mov_b64 s[4:5], 0
.LBB150_1716:
	s_andn2_b64 vcc, exec, s[4:5]
	s_cbranch_vccnz .LBB150_1726
; %bb.1717:
	v_and_b32_e32 v5, 0x7fffffff, v2
	s_mov_b32 s4, 0x47800000
	v_cmp_gt_u32_e32 vcc, s4, v5
                                        ; implicit-def: $vgpr3
	s_and_saveexec_b64 s[4:5], vcc
	s_xor_b64 s[4:5], exec, s[4:5]
	s_cbranch_execz .LBB150_1723
; %bb.1718:
	s_mov_b32 s10, 0x387fffff
	v_cmp_lt_u32_e32 vcc, s10, v5
                                        ; implicit-def: $vgpr3
	s_and_saveexec_b64 s[10:11], vcc
	s_xor_b64 s[10:11], exec, s[10:11]
; %bb.1719:
	v_bfe_u32 v3, v2, 21, 1
	s_mov_b32 s12, 0x80fffff
	v_add3_u32 v3, v2, v3, s12
	v_lshrrev_b32_e32 v3, 21, v3
; %bb.1720:
	s_andn2_saveexec_b64 s[10:11], s[10:11]
; %bb.1721:
	s_mov_b32 s12, 0x43000000
	v_add_f32_e64 v3, |v2|, s12
; %bb.1722:
	s_or_b64 exec, exec, s[10:11]
                                        ; implicit-def: $vgpr5
.LBB150_1723:
	s_andn2_saveexec_b64 s[4:5], s[4:5]
; %bb.1724:
	s_mov_b32 s10, 0x7f800000
	v_mov_b32_e32 v3, 0x7c
	v_mov_b32_e32 v8, 0x7f
	v_cmp_lt_u32_e32 vcc, s10, v5
	v_cndmask_b32_e32 v3, v3, v8, vcc
; %bb.1725:
	s_or_b64 exec, exec, s[4:5]
	v_lshrrev_b32_e32 v5, 24, v2
	s_movk_i32 s4, 0x80
	v_and_or_b32 v3, v5, s4, v3
	global_store_byte v[0:1], v3, off
.LBB150_1726:
	s_mov_b64 s[4:5], 0
	s_mov_b64 s[10:11], -1
.LBB150_1727:
	s_andn2_b64 vcc, exec, s[4:5]
	s_mov_b64 s[4:5], 0
	s_cbranch_vccnz .LBB150_1734
; %bb.1728:
	s_cmp_gt_i32 s22, 14
	s_mov_b64 s[12:13], -1
	s_cbranch_scc0 .LBB150_1732
; %bb.1729:
	s_cmp_eq_u32 s22, 15
	s_mov_b64 s[2:3], -1
	s_cbranch_scc0 .LBB150_1731
; %bb.1730:
	v_bfe_u32 v3, v2, 16, 1
	s_movk_i32 s2, 0x7fff
	v_add3_u32 v3, v2, v3, s2
	v_cmp_o_f32_e32 vcc, v2, v2
	v_mov_b32_e32 v5, 0x7fc0
	v_cndmask_b32_sdwa v3, v5, v3, vcc dst_sel:DWORD dst_unused:UNUSED_PAD src0_sel:DWORD src1_sel:WORD_1
	global_store_short v[0:1], v3, off
	s_mov_b64 s[2:3], 0
	s_mov_b64 s[10:11], -1
.LBB150_1731:
	s_mov_b64 s[12:13], 0
.LBB150_1732:
	s_and_b64 vcc, exec, s[12:13]
	s_cbranch_vccz .LBB150_1734
; %bb.1733:
	s_cmp_lg_u32 s22, 11
	s_mov_b64 s[4:5], -1
	s_cselect_b64 s[2:3], -1, 0
.LBB150_1734:
	s_and_b64 vcc, exec, s[2:3]
	s_cbranch_vccnz .LBB150_2028
; %bb.1735:
	s_andn2_b64 vcc, exec, s[4:5]
	s_cbranch_vccnz .LBB150_1737
.LBB150_1736:
	v_cmp_neq_f32_e32 vcc, 0, v2
	v_cndmask_b32_e64 v3, 0, 1, vcc
	s_mov_b64 s[10:11], -1
	global_store_byte v[0:1], v3, off
.LBB150_1737:
	s_mov_b64 s[2:3], 0
	s_branch .LBB150_1739
.LBB150_1738:
	s_mov_b64 s[2:3], -1
	s_mov_b64 s[10:11], 0
.LBB150_1739:
	s_and_b64 vcc, exec, s[2:3]
	s_cbranch_vccz .LBB150_1778
; %bb.1740:
	s_and_b32 s4, 0xffff, s24
	s_cmp_lt_i32 s4, 5
	s_mov_b64 s[2:3], -1
	s_cbranch_scc1 .LBB150_1761
; %bb.1741:
	s_cmp_lt_i32 s4, 8
	s_cbranch_scc1 .LBB150_1751
; %bb.1742:
	s_cmp_lt_i32 s4, 9
	s_cbranch_scc1 .LBB150_1748
; %bb.1743:
	s_cmp_gt_i32 s4, 9
	s_cbranch_scc0 .LBB150_1745
; %bb.1744:
	v_cvt_f64_f32_e32 v[8:9], v2
	v_mov_b32_e32 v10, 0
	v_mov_b32_e32 v11, v10
	s_mov_b64 s[2:3], 0
	global_store_dwordx4 v[0:1], v[8:11], off
.LBB150_1745:
	s_andn2_b64 vcc, exec, s[2:3]
	s_cbranch_vccnz .LBB150_1747
; %bb.1746:
	v_mov_b32_e32 v3, 0
	global_store_dwordx2 v[0:1], v[2:3], off
.LBB150_1747:
	s_mov_b64 s[2:3], 0
.LBB150_1748:
	s_andn2_b64 vcc, exec, s[2:3]
	s_cbranch_vccnz .LBB150_1750
; %bb.1749:
	v_cvt_f16_f32_e32 v3, v2
	global_store_dword v[0:1], v3, off
.LBB150_1750:
	s_mov_b64 s[2:3], 0
.LBB150_1751:
	s_andn2_b64 vcc, exec, s[2:3]
	s_cbranch_vccnz .LBB150_1760
; %bb.1752:
	s_cmp_lt_i32 s4, 6
	s_mov_b64 s[2:3], -1
	s_cbranch_scc1 .LBB150_1758
; %bb.1753:
	s_cmp_gt_i32 s4, 6
	s_cbranch_scc0 .LBB150_1755
; %bb.1754:
	v_cvt_f64_f32_e32 v[8:9], v2
	s_mov_b64 s[2:3], 0
	global_store_dwordx2 v[0:1], v[8:9], off
.LBB150_1755:
	s_andn2_b64 vcc, exec, s[2:3]
	s_cbranch_vccnz .LBB150_1757
; %bb.1756:
	global_store_dword v[0:1], v2, off
.LBB150_1757:
	s_mov_b64 s[2:3], 0
.LBB150_1758:
	s_andn2_b64 vcc, exec, s[2:3]
	s_cbranch_vccnz .LBB150_1760
; %bb.1759:
	v_cvt_f16_f32_e32 v3, v2
	global_store_short v[0:1], v3, off
.LBB150_1760:
	s_mov_b64 s[2:3], 0
.LBB150_1761:
	s_andn2_b64 vcc, exec, s[2:3]
	s_cbranch_vccnz .LBB150_1777
; %bb.1762:
	s_cmp_lt_i32 s4, 2
	s_mov_b64 s[2:3], -1
	s_cbranch_scc1 .LBB150_1772
; %bb.1763:
	s_cmp_lt_i32 s4, 3
	s_cbranch_scc1 .LBB150_1769
; %bb.1764:
	s_cmp_gt_i32 s4, 3
	s_cbranch_scc0 .LBB150_1766
; %bb.1765:
	v_trunc_f32_e32 v3, v2
	s_mov_b32 s2, 0x2f800000
	v_mul_f32_e64 v5, |v3|, s2
	v_floor_f32_e32 v5, v5
	s_mov_b32 s2, 0xcf800000
	v_cvt_u32_f32_e32 v8, v5
	v_fma_f32 v5, v5, s2, |v3|
	v_cvt_u32_f32_e32 v5, v5
	v_ashrrev_i32_e32 v3, 31, v3
	v_xor_b32_e32 v9, v8, v3
	s_mov_b64 s[2:3], 0
	v_xor_b32_e32 v5, v5, v3
	v_sub_co_u32_e32 v8, vcc, v5, v3
	v_subb_co_u32_e32 v9, vcc, v9, v3, vcc
	global_store_dwordx2 v[0:1], v[8:9], off
.LBB150_1766:
	s_andn2_b64 vcc, exec, s[2:3]
	s_cbranch_vccnz .LBB150_1768
; %bb.1767:
	v_cvt_i32_f32_e32 v3, v2
	global_store_dword v[0:1], v3, off
.LBB150_1768:
	s_mov_b64 s[2:3], 0
.LBB150_1769:
	s_andn2_b64 vcc, exec, s[2:3]
	s_cbranch_vccnz .LBB150_1771
; %bb.1770:
	v_cvt_i32_f32_e32 v3, v2
	global_store_short v[0:1], v3, off
.LBB150_1771:
	s_mov_b64 s[2:3], 0
.LBB150_1772:
	s_andn2_b64 vcc, exec, s[2:3]
	s_cbranch_vccnz .LBB150_1777
; %bb.1773:
	s_cmp_gt_i32 s4, 0
	s_mov_b64 s[2:3], -1
	s_cbranch_scc0 .LBB150_1775
; %bb.1774:
	v_cvt_i32_f32_e32 v3, v2
	s_mov_b64 s[2:3], 0
	global_store_byte v[0:1], v3, off
.LBB150_1775:
	s_andn2_b64 vcc, exec, s[2:3]
	s_cbranch_vccnz .LBB150_1777
; %bb.1776:
	v_trunc_f32_e32 v2, v2
	s_mov_b32 s2, 0x2f800000
	v_mul_f32_e64 v3, |v2|, s2
	v_floor_f32_e32 v3, v3
	s_mov_b32 s2, 0xcf800000
	v_fma_f32 v3, v3, s2, |v2|
	v_cvt_u32_f32_e32 v3, v3
	v_ashrrev_i32_e32 v2, 31, v2
	v_xor_b32_e32 v3, v3, v2
	v_sub_u32_e32 v2, v3, v2
	global_store_byte v[0:1], v2, off
.LBB150_1777:
	s_mov_b64 s[10:11], -1
.LBB150_1778:
	s_andn2_b64 vcc, exec, s[10:11]
	s_cbranch_vccnz .LBB150_1974
; %bb.1779:
	v_mov_b32_e32 v0, s15
	v_add_u32_e32 v4, s14, v4
	v_cndmask_b32_e64 v2, v0, v6, s[0:1]
	v_ashrrev_i32_e32 v1, 31, v4
	v_mov_b32_e32 v3, s9
	v_add_co_u32_e32 v0, vcc, s8, v4
	s_cmp_lt_i32 s24, 11
	v_addc_co_u32_e32 v1, vcc, v3, v1, vcc
	s_cbranch_scc1 .LBB150_1857
; %bb.1780:
	s_and_b32 s22, 0xffff, s24
	s_mov_b64 s[12:13], -1
	s_mov_b64 s[4:5], 0
	s_cmp_gt_i32 s22, 25
	s_mov_b64 s[10:11], 0
	s_mov_b64 s[2:3], 0
	s_cbranch_scc0 .LBB150_1813
; %bb.1781:
	s_cmp_gt_i32 s22, 28
	s_cbranch_scc0 .LBB150_1796
; %bb.1782:
	s_cmp_gt_i32 s22, 43
	;; [unrolled: 3-line block ×3, first 2 shown]
	s_cbranch_scc0 .LBB150_1786
; %bb.1784:
	s_mov_b64 s[2:3], -1
	s_mov_b64 s[12:13], 0
	s_cmp_eq_u32 s22, 46
	s_cbranch_scc0 .LBB150_1786
; %bb.1785:
	v_bfe_u32 v3, v2, 16, 1
	s_movk_i32 s2, 0x7fff
	v_add3_u32 v3, v2, v3, s2
	v_cmp_o_f32_e32 vcc, v2, v2
	v_mov_b32_e32 v5, 0x7fc0
	v_cndmask_b32_sdwa v3, v5, v3, vcc dst_sel:DWORD dst_unused:UNUSED_PAD src0_sel:DWORD src1_sel:WORD_1
	global_store_dword v[0:1], v3, off
	s_mov_b64 s[2:3], 0
	s_mov_b64 s[10:11], -1
.LBB150_1786:
	s_and_b64 vcc, exec, s[12:13]
	s_cbranch_vccz .LBB150_1791
; %bb.1787:
	s_cmp_eq_u32 s22, 44
	s_mov_b64 s[2:3], -1
	s_cbranch_scc0 .LBB150_1791
; %bb.1788:
	v_bfe_u32 v3, v2, 23, 8
	s_movk_i32 s2, 0xff
	v_cmp_ne_u32_e32 vcc, s2, v3
	v_mov_b32_e32 v5, 0xff
	s_and_saveexec_b64 s[10:11], vcc
; %bb.1789:
	s_mov_b32 s2, 0x3fffff
	v_and_b32_e32 v6, 0x400000, v2
	v_and_or_b32 v3, v2, s2, v3
	v_cmp_ne_u32_e32 vcc, 0, v6
	v_cmp_ne_u32_e64 s[2:3], 0, v3
	s_and_b64 s[2:3], vcc, s[2:3]
	v_lshrrev_b32_e32 v5, 23, v2
	v_cndmask_b32_e64 v3, 0, 1, s[2:3]
	v_add_u32_e32 v5, v5, v3
; %bb.1790:
	s_or_b64 exec, exec, s[10:11]
	s_mov_b64 s[2:3], 0
	s_mov_b64 s[10:11], -1
	global_store_byte v[0:1], v5, off
.LBB150_1791:
	s_mov_b64 s[12:13], 0
.LBB150_1792:
	s_and_b64 vcc, exec, s[12:13]
	s_cbranch_vccz .LBB150_1795
; %bb.1793:
	s_cmp_eq_u32 s22, 29
	s_mov_b64 s[2:3], -1
	s_cbranch_scc0 .LBB150_1795
; %bb.1794:
	v_trunc_f32_e32 v3, v2
	v_mul_f32_e32 v5, 0x2f800000, v3
	v_floor_f32_e32 v5, v5
	v_fmac_f32_e32 v3, 0xcf800000, v5
	v_cvt_u32_f32_e32 v6, v5
	v_cvt_u32_f32_e32 v5, v3
	s_mov_b64 s[2:3], 0
	s_mov_b64 s[10:11], -1
	global_store_dwordx2 v[0:1], v[5:6], off
.LBB150_1795:
	s_mov_b64 s[12:13], 0
.LBB150_1796:
	s_and_b64 vcc, exec, s[12:13]
	s_cbranch_vccz .LBB150_1812
; %bb.1797:
	s_cmp_lt_i32 s22, 27
	s_mov_b64 s[10:11], -1
	s_cbranch_scc1 .LBB150_1803
; %bb.1798:
	v_cvt_u32_f32_e32 v3, v2
	s_cmp_gt_i32 s22, 27
	s_cbranch_scc0 .LBB150_1800
; %bb.1799:
	s_mov_b64 s[10:11], 0
	global_store_dword v[0:1], v3, off
.LBB150_1800:
	s_andn2_b64 vcc, exec, s[10:11]
	s_cbranch_vccnz .LBB150_1802
; %bb.1801:
	global_store_short v[0:1], v3, off
.LBB150_1802:
	s_mov_b64 s[10:11], 0
.LBB150_1803:
	s_andn2_b64 vcc, exec, s[10:11]
	s_cbranch_vccnz .LBB150_1811
; %bb.1804:
	v_and_b32_e32 v3, 0x7fffffff, v2
	s_mov_b32 s10, 0x43800000
	v_cmp_gt_u32_e32 vcc, s10, v3
	v_mov_b32_e32 v5, 0x80
	s_and_saveexec_b64 s[10:11], vcc
	s_cbranch_execz .LBB150_1810
; %bb.1805:
	s_mov_b32 s12, 0x3bffffff
	v_cmp_lt_u32_e32 vcc, s12, v3
	s_mov_b64 s[12:13], 0
                                        ; implicit-def: $vgpr3
	s_and_saveexec_b64 s[16:17], vcc
	s_xor_b64 s[16:17], exec, s[16:17]
	s_cbranch_execz .LBB150_2031
; %bb.1806:
	v_bfe_u32 v3, v2, 20, 1
	s_mov_b32 s23, 0x487ffff
	v_add3_u32 v3, v2, v3, s23
	s_mov_b64 s[12:13], exec
	v_lshrrev_b32_e32 v3, 20, v3
	s_andn2_saveexec_b64 s[16:17], s[16:17]
	s_cbranch_execnz .LBB150_2032
.LBB150_1807:
	s_or_b64 exec, exec, s[16:17]
	v_mov_b32_e32 v5, 0
	s_and_saveexec_b64 s[16:17], s[12:13]
.LBB150_1808:
	v_lshrrev_b32_e32 v5, 24, v2
	s_movk_i32 s12, 0x80
	v_and_or_b32 v5, v5, s12, v3
.LBB150_1809:
	s_or_b64 exec, exec, s[16:17]
.LBB150_1810:
	s_or_b64 exec, exec, s[10:11]
	global_store_byte v[0:1], v5, off
.LBB150_1811:
	s_mov_b64 s[10:11], -1
.LBB150_1812:
	s_mov_b64 s[12:13], 0
.LBB150_1813:
	s_and_b64 vcc, exec, s[12:13]
	s_cbranch_vccz .LBB150_1853
; %bb.1814:
	s_cmp_gt_i32 s22, 22
	s_mov_b64 s[4:5], -1
	s_cbranch_scc0 .LBB150_1846
; %bb.1815:
	s_cmp_lt_i32 s22, 24
	s_cbranch_scc1 .LBB150_1835
; %bb.1816:
	s_cmp_gt_i32 s22, 24
	s_cbranch_scc0 .LBB150_1824
; %bb.1817:
	v_and_b32_e32 v3, 0x7fffffff, v2
	s_mov_b32 s4, 0x47800000
	v_cmp_gt_u32_e32 vcc, s4, v3
	v_mov_b32_e32 v5, 0x80
	s_and_saveexec_b64 s[4:5], vcc
	s_cbranch_execz .LBB150_1823
; %bb.1818:
	s_mov_b32 s10, 0x37ffffff
	v_cmp_lt_u32_e32 vcc, s10, v3
	s_mov_b64 s[10:11], 0
                                        ; implicit-def: $vgpr3
	s_and_saveexec_b64 s[12:13], vcc
	s_xor_b64 s[12:13], exec, s[12:13]
	s_cbranch_execz .LBB150_2034
; %bb.1819:
	v_bfe_u32 v3, v2, 21, 1
	s_mov_b32 s16, 0x88fffff
	v_add3_u32 v3, v2, v3, s16
	s_mov_b64 s[10:11], exec
	v_lshrrev_b32_e32 v3, 21, v3
	s_andn2_saveexec_b64 s[12:13], s[12:13]
	s_cbranch_execnz .LBB150_2035
.LBB150_1820:
	s_or_b64 exec, exec, s[12:13]
	v_mov_b32_e32 v5, 0
	s_and_saveexec_b64 s[12:13], s[10:11]
.LBB150_1821:
	v_lshrrev_b32_e32 v5, 24, v2
	s_movk_i32 s10, 0x80
	v_and_or_b32 v5, v5, s10, v3
.LBB150_1822:
	s_or_b64 exec, exec, s[12:13]
.LBB150_1823:
	s_or_b64 exec, exec, s[4:5]
	s_mov_b64 s[4:5], 0
	global_store_byte v[0:1], v5, off
.LBB150_1824:
	s_and_b64 vcc, exec, s[4:5]
	s_cbranch_vccz .LBB150_1834
; %bb.1825:
	v_and_b32_e32 v5, 0x7fffffff, v2
	s_mov_b32 s4, 0x43f00000
	v_cmp_gt_u32_e32 vcc, s4, v5
                                        ; implicit-def: $vgpr3
	s_and_saveexec_b64 s[4:5], vcc
	s_xor_b64 s[4:5], exec, s[4:5]
	s_cbranch_execz .LBB150_1831
; %bb.1826:
	s_mov_b32 s10, 0x3c7fffff
	v_cmp_lt_u32_e32 vcc, s10, v5
                                        ; implicit-def: $vgpr3
	s_and_saveexec_b64 s[10:11], vcc
	s_xor_b64 s[10:11], exec, s[10:11]
; %bb.1827:
	v_bfe_u32 v3, v2, 20, 1
	s_mov_b32 s12, 0x407ffff
	v_add3_u32 v3, v2, v3, s12
	v_lshrrev_b32_e32 v5, 20, v3
	v_and_b32_e32 v3, 0xff00000, v3
	s_mov_b32 s12, 0x7f00000
	v_mov_b32_e32 v6, 0x7e
	v_cmp_ne_u32_e32 vcc, s12, v3
	v_cndmask_b32_e32 v3, v6, v5, vcc
; %bb.1828:
	s_andn2_saveexec_b64 s[10:11], s[10:11]
; %bb.1829:
	s_mov_b32 s12, 0x46800000
	v_add_f32_e64 v3, |v2|, s12
; %bb.1830:
	s_or_b64 exec, exec, s[10:11]
                                        ; implicit-def: $vgpr5
.LBB150_1831:
	s_andn2_saveexec_b64 s[4:5], s[4:5]
; %bb.1832:
	s_mov_b32 s10, 0x7f800000
	v_mov_b32_e32 v3, 0x7e
	v_mov_b32_e32 v6, 0x7f
	v_cmp_lt_u32_e32 vcc, s10, v5
	v_cndmask_b32_e32 v3, v3, v6, vcc
; %bb.1833:
	s_or_b64 exec, exec, s[4:5]
	v_lshrrev_b32_e32 v5, 24, v2
	s_movk_i32 s4, 0x80
	v_and_or_b32 v3, v5, s4, v3
	global_store_byte v[0:1], v3, off
.LBB150_1834:
	s_mov_b64 s[4:5], 0
.LBB150_1835:
	s_andn2_b64 vcc, exec, s[4:5]
	s_cbranch_vccnz .LBB150_1845
; %bb.1836:
	v_and_b32_e32 v5, 0x7fffffff, v2
	s_mov_b32 s4, 0x47800000
	v_cmp_gt_u32_e32 vcc, s4, v5
                                        ; implicit-def: $vgpr3
	s_and_saveexec_b64 s[4:5], vcc
	s_xor_b64 s[4:5], exec, s[4:5]
	s_cbranch_execz .LBB150_1842
; %bb.1837:
	s_mov_b32 s10, 0x387fffff
	v_cmp_lt_u32_e32 vcc, s10, v5
                                        ; implicit-def: $vgpr3
	s_and_saveexec_b64 s[10:11], vcc
	s_xor_b64 s[10:11], exec, s[10:11]
; %bb.1838:
	v_bfe_u32 v3, v2, 21, 1
	s_mov_b32 s12, 0x80fffff
	v_add3_u32 v3, v2, v3, s12
	v_lshrrev_b32_e32 v3, 21, v3
; %bb.1839:
	s_andn2_saveexec_b64 s[10:11], s[10:11]
; %bb.1840:
	s_mov_b32 s12, 0x43000000
	v_add_f32_e64 v3, |v2|, s12
; %bb.1841:
	s_or_b64 exec, exec, s[10:11]
                                        ; implicit-def: $vgpr5
.LBB150_1842:
	s_andn2_saveexec_b64 s[4:5], s[4:5]
; %bb.1843:
	s_mov_b32 s10, 0x7f800000
	v_mov_b32_e32 v3, 0x7c
	v_mov_b32_e32 v6, 0x7f
	v_cmp_lt_u32_e32 vcc, s10, v5
	v_cndmask_b32_e32 v3, v3, v6, vcc
; %bb.1844:
	s_or_b64 exec, exec, s[4:5]
	v_lshrrev_b32_e32 v5, 24, v2
	s_movk_i32 s4, 0x80
	v_and_or_b32 v3, v5, s4, v3
	global_store_byte v[0:1], v3, off
.LBB150_1845:
	s_mov_b64 s[4:5], 0
	s_mov_b64 s[10:11], -1
.LBB150_1846:
	s_andn2_b64 vcc, exec, s[4:5]
	s_mov_b64 s[4:5], 0
	s_cbranch_vccnz .LBB150_1853
; %bb.1847:
	s_cmp_gt_i32 s22, 14
	s_mov_b64 s[12:13], -1
	s_cbranch_scc0 .LBB150_1851
; %bb.1848:
	s_cmp_eq_u32 s22, 15
	s_mov_b64 s[2:3], -1
	s_cbranch_scc0 .LBB150_1850
; %bb.1849:
	v_bfe_u32 v3, v2, 16, 1
	s_movk_i32 s2, 0x7fff
	v_add3_u32 v3, v2, v3, s2
	v_cmp_o_f32_e32 vcc, v2, v2
	v_mov_b32_e32 v5, 0x7fc0
	v_cndmask_b32_sdwa v3, v5, v3, vcc dst_sel:DWORD dst_unused:UNUSED_PAD src0_sel:DWORD src1_sel:WORD_1
	global_store_short v[0:1], v3, off
	s_mov_b64 s[2:3], 0
	s_mov_b64 s[10:11], -1
.LBB150_1850:
	s_mov_b64 s[12:13], 0
.LBB150_1851:
	s_and_b64 vcc, exec, s[12:13]
	s_cbranch_vccz .LBB150_1853
; %bb.1852:
	s_cmp_lg_u32 s22, 11
	s_mov_b64 s[4:5], -1
	s_cselect_b64 s[2:3], -1, 0
.LBB150_1853:
	s_and_b64 vcc, exec, s[2:3]
	s_cbranch_vccnz .LBB150_2033
; %bb.1854:
	s_andn2_b64 vcc, exec, s[4:5]
	s_cbranch_vccnz .LBB150_1856
.LBB150_1855:
	v_cmp_neq_f32_e32 vcc, 0, v2
	v_cndmask_b32_e64 v3, 0, 1, vcc
	s_mov_b64 s[10:11], -1
	global_store_byte v[0:1], v3, off
.LBB150_1856:
	s_mov_b64 s[2:3], 0
	s_branch .LBB150_1858
.LBB150_1857:
	s_mov_b64 s[2:3], -1
	s_mov_b64 s[10:11], 0
.LBB150_1858:
	s_and_b64 vcc, exec, s[2:3]
	s_cbranch_vccz .LBB150_1897
; %bb.1859:
	s_and_b32 s4, 0xffff, s24
	s_cmp_lt_i32 s4, 5
	s_mov_b64 s[2:3], -1
	s_cbranch_scc1 .LBB150_1880
; %bb.1860:
	s_cmp_lt_i32 s4, 8
	s_cbranch_scc1 .LBB150_1870
; %bb.1861:
	s_cmp_lt_i32 s4, 9
	s_cbranch_scc1 .LBB150_1867
; %bb.1862:
	s_cmp_gt_i32 s4, 9
	s_cbranch_scc0 .LBB150_1864
; %bb.1863:
	v_cvt_f64_f32_e32 v[8:9], v2
	v_mov_b32_e32 v10, 0
	v_mov_b32_e32 v11, v10
	s_mov_b64 s[2:3], 0
	global_store_dwordx4 v[0:1], v[8:11], off
.LBB150_1864:
	s_andn2_b64 vcc, exec, s[2:3]
	s_cbranch_vccnz .LBB150_1866
; %bb.1865:
	v_mov_b32_e32 v3, 0
	global_store_dwordx2 v[0:1], v[2:3], off
.LBB150_1866:
	s_mov_b64 s[2:3], 0
.LBB150_1867:
	s_andn2_b64 vcc, exec, s[2:3]
	s_cbranch_vccnz .LBB150_1869
; %bb.1868:
	v_cvt_f16_f32_e32 v3, v2
	global_store_dword v[0:1], v3, off
.LBB150_1869:
	s_mov_b64 s[2:3], 0
.LBB150_1870:
	s_andn2_b64 vcc, exec, s[2:3]
	s_cbranch_vccnz .LBB150_1879
; %bb.1871:
	s_cmp_lt_i32 s4, 6
	s_mov_b64 s[2:3], -1
	s_cbranch_scc1 .LBB150_1877
; %bb.1872:
	s_cmp_gt_i32 s4, 6
	s_cbranch_scc0 .LBB150_1874
; %bb.1873:
	v_cvt_f64_f32_e32 v[5:6], v2
	s_mov_b64 s[2:3], 0
	global_store_dwordx2 v[0:1], v[5:6], off
.LBB150_1874:
	s_andn2_b64 vcc, exec, s[2:3]
	s_cbranch_vccnz .LBB150_1876
; %bb.1875:
	global_store_dword v[0:1], v2, off
.LBB150_1876:
	s_mov_b64 s[2:3], 0
.LBB150_1877:
	s_andn2_b64 vcc, exec, s[2:3]
	s_cbranch_vccnz .LBB150_1879
; %bb.1878:
	v_cvt_f16_f32_e32 v3, v2
	global_store_short v[0:1], v3, off
.LBB150_1879:
	s_mov_b64 s[2:3], 0
.LBB150_1880:
	s_andn2_b64 vcc, exec, s[2:3]
	s_cbranch_vccnz .LBB150_1896
; %bb.1881:
	s_cmp_lt_i32 s4, 2
	s_mov_b64 s[2:3], -1
	s_cbranch_scc1 .LBB150_1891
; %bb.1882:
	s_cmp_lt_i32 s4, 3
	s_cbranch_scc1 .LBB150_1888
; %bb.1883:
	s_cmp_gt_i32 s4, 3
	s_cbranch_scc0 .LBB150_1885
; %bb.1884:
	v_trunc_f32_e32 v3, v2
	s_mov_b32 s2, 0x2f800000
	v_mul_f32_e64 v5, |v3|, s2
	v_floor_f32_e32 v5, v5
	s_mov_b32 s2, 0xcf800000
	v_cvt_u32_f32_e32 v6, v5
	v_fma_f32 v5, v5, s2, |v3|
	v_cvt_u32_f32_e32 v5, v5
	v_ashrrev_i32_e32 v3, 31, v3
	v_xor_b32_e32 v6, v6, v3
	s_mov_b64 s[2:3], 0
	v_xor_b32_e32 v5, v5, v3
	v_sub_co_u32_e32 v5, vcc, v5, v3
	v_subb_co_u32_e32 v6, vcc, v6, v3, vcc
	global_store_dwordx2 v[0:1], v[5:6], off
.LBB150_1885:
	s_andn2_b64 vcc, exec, s[2:3]
	s_cbranch_vccnz .LBB150_1887
; %bb.1886:
	v_cvt_i32_f32_e32 v3, v2
	global_store_dword v[0:1], v3, off
.LBB150_1887:
	s_mov_b64 s[2:3], 0
.LBB150_1888:
	s_andn2_b64 vcc, exec, s[2:3]
	s_cbranch_vccnz .LBB150_1890
; %bb.1889:
	v_cvt_i32_f32_e32 v3, v2
	global_store_short v[0:1], v3, off
.LBB150_1890:
	s_mov_b64 s[2:3], 0
.LBB150_1891:
	s_andn2_b64 vcc, exec, s[2:3]
	s_cbranch_vccnz .LBB150_1896
; %bb.1892:
	s_cmp_gt_i32 s4, 0
	s_mov_b64 s[2:3], -1
	s_cbranch_scc0 .LBB150_1894
; %bb.1893:
	v_cvt_i32_f32_e32 v3, v2
	s_mov_b64 s[2:3], 0
	global_store_byte v[0:1], v3, off
.LBB150_1894:
	s_andn2_b64 vcc, exec, s[2:3]
	s_cbranch_vccnz .LBB150_1896
; %bb.1895:
	v_trunc_f32_e32 v2, v2
	s_mov_b32 s2, 0x2f800000
	v_mul_f32_e64 v3, |v2|, s2
	v_floor_f32_e32 v3, v3
	s_mov_b32 s2, 0xcf800000
	v_fma_f32 v3, v3, s2, |v2|
	v_cvt_u32_f32_e32 v3, v3
	v_ashrrev_i32_e32 v2, 31, v2
	v_xor_b32_e32 v3, v3, v2
	v_sub_u32_e32 v2, v3, v2
	global_store_byte v[0:1], v2, off
.LBB150_1896:
	s_mov_b64 s[10:11], -1
.LBB150_1897:
	s_andn2_b64 vcc, exec, s[10:11]
	s_cbranch_vccnz .LBB150_1974
; %bb.1898:
	v_mov_b32_e32 v0, s15
	v_cndmask_b32_e64 v2, v0, v7, s[0:1]
	v_add_u32_e32 v0, s14, v4
	v_ashrrev_i32_e32 v1, 31, v0
	v_mov_b32_e32 v3, s9
	v_add_co_u32_e32 v0, vcc, s8, v0
	s_cmp_lt_i32 s24, 11
	v_addc_co_u32_e32 v1, vcc, v3, v1, vcc
	s_cbranch_scc1 .LBB150_2019
; %bb.1899:
	s_and_b32 s12, 0xffff, s24
	s_mov_b64 s[4:5], -1
	s_mov_b64 s[2:3], 0
	s_cmp_gt_i32 s12, 25
	s_mov_b64 s[0:1], 0
	s_cbranch_scc0 .LBB150_1932
; %bb.1900:
	s_cmp_gt_i32 s12, 28
	s_cbranch_scc0 .LBB150_1916
; %bb.1901:
	s_cmp_gt_i32 s12, 43
	;; [unrolled: 3-line block ×3, first 2 shown]
	s_cbranch_scc0 .LBB150_1906
; %bb.1903:
	s_cmp_eq_u32 s12, 46
	s_mov_b64 s[0:1], -1
	s_cbranch_scc0 .LBB150_1905
; %bb.1904:
	v_bfe_u32 v3, v2, 16, 1
	s_movk_i32 s0, 0x7fff
	v_add3_u32 v3, v2, v3, s0
	v_cmp_o_f32_e32 vcc, v2, v2
	v_mov_b32_e32 v4, 0x7fc0
	v_cndmask_b32_sdwa v3, v4, v3, vcc dst_sel:DWORD dst_unused:UNUSED_PAD src0_sel:DWORD src1_sel:WORD_1
	global_store_dword v[0:1], v3, off
	s_mov_b64 s[0:1], 0
.LBB150_1905:
	s_mov_b64 s[4:5], 0
.LBB150_1906:
	s_and_b64 vcc, exec, s[4:5]
	s_cbranch_vccz .LBB150_1911
; %bb.1907:
	s_cmp_eq_u32 s12, 44
	s_mov_b64 s[0:1], -1
	s_cbranch_scc0 .LBB150_1911
; %bb.1908:
	v_bfe_u32 v3, v2, 23, 8
	s_movk_i32 s0, 0xff
	v_cmp_ne_u32_e32 vcc, s0, v3
	v_mov_b32_e32 v4, 0xff
	s_and_saveexec_b64 s[4:5], vcc
; %bb.1909:
	s_mov_b32 s0, 0x3fffff
	v_and_b32_e32 v5, 0x400000, v2
	v_and_or_b32 v3, v2, s0, v3
	v_cmp_ne_u32_e32 vcc, 0, v5
	v_cmp_ne_u32_e64 s[0:1], 0, v3
	s_and_b64 s[0:1], vcc, s[0:1]
	v_lshrrev_b32_e32 v4, 23, v2
	v_cndmask_b32_e64 v3, 0, 1, s[0:1]
	v_add_u32_e32 v4, v4, v3
; %bb.1910:
	s_or_b64 exec, exec, s[4:5]
	s_mov_b64 s[0:1], 0
	global_store_byte v[0:1], v4, off
.LBB150_1911:
	s_mov_b64 s[4:5], 0
.LBB150_1912:
	s_and_b64 vcc, exec, s[4:5]
	s_cbranch_vccz .LBB150_1915
; %bb.1913:
	s_cmp_eq_u32 s12, 29
	s_mov_b64 s[0:1], -1
	s_cbranch_scc0 .LBB150_1915
; %bb.1914:
	v_trunc_f32_e32 v3, v2
	v_mul_f32_e32 v4, 0x2f800000, v3
	v_floor_f32_e32 v5, v4
	v_fmac_f32_e32 v3, 0xcf800000, v5
	v_cvt_u32_f32_e32 v4, v5
	v_cvt_u32_f32_e32 v3, v3
	s_mov_b64 s[0:1], 0
	global_store_dwordx2 v[0:1], v[3:4], off
.LBB150_1915:
	s_mov_b64 s[4:5], 0
.LBB150_1916:
	s_and_b64 vcc, exec, s[4:5]
	s_cbranch_vccz .LBB150_1931
; %bb.1917:
	s_cmp_lt_i32 s12, 27
	s_mov_b64 s[4:5], -1
	s_cbranch_scc1 .LBB150_1923
; %bb.1918:
	v_cvt_u32_f32_e32 v3, v2
	s_cmp_gt_i32 s12, 27
	s_cbranch_scc0 .LBB150_1920
; %bb.1919:
	global_store_dword v[0:1], v3, off
	s_mov_b64 s[4:5], 0
.LBB150_1920:
	s_andn2_b64 vcc, exec, s[4:5]
	s_cbranch_vccnz .LBB150_1922
; %bb.1921:
	global_store_short v[0:1], v3, off
.LBB150_1922:
	s_mov_b64 s[4:5], 0
.LBB150_1923:
	s_andn2_b64 vcc, exec, s[4:5]
	s_cbranch_vccnz .LBB150_1931
; %bb.1924:
	v_and_b32_e32 v3, 0x7fffffff, v2
	s_mov_b32 s4, 0x43800000
	v_cmp_gt_u32_e32 vcc, s4, v3
	v_mov_b32_e32 v4, 0x80
	s_and_saveexec_b64 s[4:5], vcc
	s_cbranch_execz .LBB150_1930
; %bb.1925:
	s_mov_b32 s8, 0x3bffffff
	v_cmp_lt_u32_e32 vcc, s8, v3
	s_mov_b64 s[8:9], 0
                                        ; implicit-def: $vgpr3
	s_and_saveexec_b64 s[10:11], vcc
	s_xor_b64 s[10:11], exec, s[10:11]
	s_cbranch_execz .LBB150_2036
; %bb.1926:
	v_bfe_u32 v3, v2, 20, 1
	s_mov_b32 s13, 0x487ffff
	v_add3_u32 v3, v2, v3, s13
	s_mov_b64 s[8:9], exec
	v_lshrrev_b32_e32 v3, 20, v3
	s_andn2_saveexec_b64 s[10:11], s[10:11]
	s_cbranch_execnz .LBB150_2037
.LBB150_1927:
	s_or_b64 exec, exec, s[10:11]
	v_mov_b32_e32 v4, 0
	s_and_saveexec_b64 s[10:11], s[8:9]
.LBB150_1928:
	v_lshrrev_b32_e32 v4, 24, v2
	s_movk_i32 s8, 0x80
	v_and_or_b32 v4, v4, s8, v3
.LBB150_1929:
	s_or_b64 exec, exec, s[10:11]
.LBB150_1930:
	s_or_b64 exec, exec, s[4:5]
	global_store_byte v[0:1], v4, off
.LBB150_1931:
	s_mov_b64 s[4:5], 0
.LBB150_1932:
	s_and_b64 vcc, exec, s[4:5]
	s_cbranch_vccz .LBB150_1972
; %bb.1933:
	s_cmp_gt_i32 s12, 22
	s_mov_b64 s[2:3], -1
	s_cbranch_scc0 .LBB150_1965
; %bb.1934:
	s_cmp_lt_i32 s12, 24
	s_cbranch_scc1 .LBB150_1954
; %bb.1935:
	s_cmp_gt_i32 s12, 24
	s_cbranch_scc0 .LBB150_1943
; %bb.1936:
	v_and_b32_e32 v3, 0x7fffffff, v2
	s_mov_b32 s2, 0x47800000
	v_cmp_gt_u32_e32 vcc, s2, v3
	v_mov_b32_e32 v4, 0x80
	s_and_saveexec_b64 s[2:3], vcc
	s_cbranch_execz .LBB150_1942
; %bb.1937:
	s_mov_b32 s4, 0x37ffffff
	v_cmp_lt_u32_e32 vcc, s4, v3
	s_mov_b64 s[4:5], 0
                                        ; implicit-def: $vgpr3
	s_and_saveexec_b64 s[8:9], vcc
	s_xor_b64 s[8:9], exec, s[8:9]
	s_cbranch_execz .LBB150_2039
; %bb.1938:
	v_bfe_u32 v3, v2, 21, 1
	s_mov_b32 s10, 0x88fffff
	v_add3_u32 v3, v2, v3, s10
	s_mov_b64 s[4:5], exec
	v_lshrrev_b32_e32 v3, 21, v3
	s_andn2_saveexec_b64 s[8:9], s[8:9]
	s_cbranch_execnz .LBB150_2040
.LBB150_1939:
	s_or_b64 exec, exec, s[8:9]
	v_mov_b32_e32 v4, 0
	s_and_saveexec_b64 s[8:9], s[4:5]
.LBB150_1940:
	v_lshrrev_b32_e32 v4, 24, v2
	s_movk_i32 s4, 0x80
	v_and_or_b32 v4, v4, s4, v3
.LBB150_1941:
	s_or_b64 exec, exec, s[8:9]
.LBB150_1942:
	s_or_b64 exec, exec, s[2:3]
	s_mov_b64 s[2:3], 0
	global_store_byte v[0:1], v4, off
.LBB150_1943:
	s_and_b64 vcc, exec, s[2:3]
	s_cbranch_vccz .LBB150_1953
; %bb.1944:
	v_and_b32_e32 v4, 0x7fffffff, v2
	s_mov_b32 s2, 0x43f00000
	v_cmp_gt_u32_e32 vcc, s2, v4
                                        ; implicit-def: $vgpr3
	s_and_saveexec_b64 s[2:3], vcc
	s_xor_b64 s[2:3], exec, s[2:3]
	s_cbranch_execz .LBB150_1950
; %bb.1945:
	s_mov_b32 s4, 0x3c7fffff
	v_cmp_lt_u32_e32 vcc, s4, v4
                                        ; implicit-def: $vgpr3
	s_and_saveexec_b64 s[4:5], vcc
	s_xor_b64 s[4:5], exec, s[4:5]
; %bb.1946:
	v_bfe_u32 v3, v2, 20, 1
	s_mov_b32 s8, 0x407ffff
	v_add3_u32 v3, v2, v3, s8
	v_lshrrev_b32_e32 v4, 20, v3
	v_and_b32_e32 v3, 0xff00000, v3
	s_mov_b32 s8, 0x7f00000
	v_mov_b32_e32 v5, 0x7e
	v_cmp_ne_u32_e32 vcc, s8, v3
	v_cndmask_b32_e32 v3, v5, v4, vcc
; %bb.1947:
	s_andn2_saveexec_b64 s[4:5], s[4:5]
; %bb.1948:
	s_mov_b32 s8, 0x46800000
	v_add_f32_e64 v3, |v2|, s8
; %bb.1949:
	s_or_b64 exec, exec, s[4:5]
                                        ; implicit-def: $vgpr4
.LBB150_1950:
	s_andn2_saveexec_b64 s[2:3], s[2:3]
; %bb.1951:
	s_mov_b32 s4, 0x7f800000
	v_mov_b32_e32 v3, 0x7e
	v_mov_b32_e32 v5, 0x7f
	v_cmp_lt_u32_e32 vcc, s4, v4
	v_cndmask_b32_e32 v3, v3, v5, vcc
; %bb.1952:
	s_or_b64 exec, exec, s[2:3]
	v_lshrrev_b32_e32 v4, 24, v2
	s_movk_i32 s2, 0x80
	v_and_or_b32 v3, v4, s2, v3
	global_store_byte v[0:1], v3, off
.LBB150_1953:
	s_mov_b64 s[2:3], 0
.LBB150_1954:
	s_andn2_b64 vcc, exec, s[2:3]
	s_cbranch_vccnz .LBB150_1964
; %bb.1955:
	v_and_b32_e32 v4, 0x7fffffff, v2
	s_mov_b32 s2, 0x47800000
	v_cmp_gt_u32_e32 vcc, s2, v4
                                        ; implicit-def: $vgpr3
	s_and_saveexec_b64 s[2:3], vcc
	s_xor_b64 s[2:3], exec, s[2:3]
	s_cbranch_execz .LBB150_1961
; %bb.1956:
	s_mov_b32 s4, 0x387fffff
	v_cmp_lt_u32_e32 vcc, s4, v4
                                        ; implicit-def: $vgpr3
	s_and_saveexec_b64 s[4:5], vcc
	s_xor_b64 s[4:5], exec, s[4:5]
; %bb.1957:
	v_bfe_u32 v3, v2, 21, 1
	s_mov_b32 s8, 0x80fffff
	v_add3_u32 v3, v2, v3, s8
	v_lshrrev_b32_e32 v3, 21, v3
; %bb.1958:
	s_andn2_saveexec_b64 s[4:5], s[4:5]
; %bb.1959:
	s_mov_b32 s8, 0x43000000
	v_add_f32_e64 v3, |v2|, s8
; %bb.1960:
	s_or_b64 exec, exec, s[4:5]
                                        ; implicit-def: $vgpr4
.LBB150_1961:
	s_andn2_saveexec_b64 s[2:3], s[2:3]
; %bb.1962:
	s_mov_b32 s4, 0x7f800000
	v_mov_b32_e32 v3, 0x7c
	v_mov_b32_e32 v5, 0x7f
	v_cmp_lt_u32_e32 vcc, s4, v4
	v_cndmask_b32_e32 v3, v3, v5, vcc
; %bb.1963:
	s_or_b64 exec, exec, s[2:3]
	v_lshrrev_b32_e32 v4, 24, v2
	s_movk_i32 s2, 0x80
	v_and_or_b32 v3, v4, s2, v3
	global_store_byte v[0:1], v3, off
.LBB150_1964:
	s_mov_b64 s[2:3], 0
.LBB150_1965:
	s_andn2_b64 vcc, exec, s[2:3]
	s_mov_b64 s[2:3], 0
	s_cbranch_vccnz .LBB150_1972
; %bb.1966:
	s_cmp_gt_i32 s12, 14
	s_mov_b64 s[4:5], -1
	s_cbranch_scc0 .LBB150_1970
; %bb.1967:
	s_cmp_eq_u32 s12, 15
	s_mov_b64 s[0:1], -1
	s_cbranch_scc0 .LBB150_1969
; %bb.1968:
	v_bfe_u32 v3, v2, 16, 1
	s_movk_i32 s0, 0x7fff
	v_add3_u32 v3, v2, v3, s0
	v_cmp_o_f32_e32 vcc, v2, v2
	v_mov_b32_e32 v4, 0x7fc0
	v_cndmask_b32_sdwa v3, v4, v3, vcc dst_sel:DWORD dst_unused:UNUSED_PAD src0_sel:DWORD src1_sel:WORD_1
	global_store_short v[0:1], v3, off
	s_mov_b64 s[0:1], 0
.LBB150_1969:
	s_mov_b64 s[4:5], 0
.LBB150_1970:
	s_and_b64 vcc, exec, s[4:5]
	s_cbranch_vccz .LBB150_1972
; %bb.1971:
	s_cmp_lg_u32 s12, 11
	s_mov_b64 s[2:3], -1
	s_cselect_b64 s[0:1], -1, 0
.LBB150_1972:
	s_and_b64 vcc, exec, s[0:1]
	s_cbranch_vccnz .LBB150_2038
.LBB150_1973:
	s_mov_b64 s[0:1], 0
	s_branch .LBB150_1975
.LBB150_1974:
	s_mov_b64 s[0:1], 0
	s_mov_b64 s[2:3], 0
                                        ; implicit-def: $sgpr24
                                        ; implicit-def: $vgpr0_vgpr1
                                        ; implicit-def: $vgpr2
.LBB150_1975:
	s_and_b64 s[4:5], s[2:3], exec
	s_andn2_b64 s[2:3], s[18:19], exec
	s_and_b64 s[8:9], s[20:21], exec
	s_and_b64 s[0:1], s[0:1], exec
	s_or_b64 s[18:19], s[2:3], s[8:9]
.LBB150_1976:
	s_or_b64 exec, exec, s[6:7]
	s_and_saveexec_b64 s[2:3], s[18:19]
	s_cbranch_execz .LBB150_1979
; %bb.1977:
	; divergent unreachable
	s_or_b64 exec, exec, s[2:3]
	s_and_saveexec_b64 s[2:3], s[4:5]
	s_xor_b64 s[2:3], exec, s[2:3]
	s_cbranch_execnz .LBB150_1980
.LBB150_1978:
	s_or_b64 exec, exec, s[2:3]
	s_and_saveexec_b64 s[2:3], s[0:1]
	s_cbranch_execnz .LBB150_1981
	s_branch .LBB150_2018
.LBB150_1979:
	s_or_b64 exec, exec, s[2:3]
	s_and_saveexec_b64 s[2:3], s[4:5]
	s_xor_b64 s[2:3], exec, s[2:3]
	s_cbranch_execz .LBB150_1978
.LBB150_1980:
	s_waitcnt vmcnt(0)
	v_cmp_neq_f32_e32 vcc, 0, v2
	v_cndmask_b32_e64 v3, 0, 1, vcc
	global_store_byte v[0:1], v3, off
	s_or_b64 exec, exec, s[2:3]
	s_and_saveexec_b64 s[2:3], s[0:1]
	s_cbranch_execz .LBB150_2018
.LBB150_1981:
	s_sext_i32_i16 s2, s24
	s_cmp_lt_i32 s2, 5
	s_mov_b64 s[0:1], -1
	s_cbranch_scc1 .LBB150_2002
; %bb.1982:
	s_cmp_lt_i32 s2, 8
	s_cbranch_scc1 .LBB150_1992
; %bb.1983:
	s_cmp_lt_i32 s2, 9
	s_cbranch_scc1 .LBB150_1989
; %bb.1984:
	s_cmp_gt_i32 s2, 9
	s_cbranch_scc0 .LBB150_1986
; %bb.1985:
	s_waitcnt vmcnt(0)
	v_cvt_f64_f32_e32 v[3:4], v2
	v_mov_b32_e32 v5, 0
	v_mov_b32_e32 v6, v5
	s_mov_b64 s[0:1], 0
	global_store_dwordx4 v[0:1], v[3:6], off
.LBB150_1986:
	s_andn2_b64 vcc, exec, s[0:1]
	s_cbranch_vccnz .LBB150_1988
; %bb.1987:
	s_waitcnt vmcnt(0)
	v_mov_b32_e32 v3, 0
	global_store_dwordx2 v[0:1], v[2:3], off
.LBB150_1988:
	s_mov_b64 s[0:1], 0
.LBB150_1989:
	s_andn2_b64 vcc, exec, s[0:1]
	s_cbranch_vccnz .LBB150_1991
; %bb.1990:
	s_waitcnt vmcnt(0)
	v_cvt_f16_f32_e32 v3, v2
	global_store_dword v[0:1], v3, off
.LBB150_1991:
	s_mov_b64 s[0:1], 0
.LBB150_1992:
	s_andn2_b64 vcc, exec, s[0:1]
	s_cbranch_vccnz .LBB150_2001
; %bb.1993:
	s_sext_i32_i16 s2, s24
	s_cmp_lt_i32 s2, 6
	s_mov_b64 s[0:1], -1
	s_cbranch_scc1 .LBB150_1999
; %bb.1994:
	s_cmp_gt_i32 s2, 6
	s_cbranch_scc0 .LBB150_1996
; %bb.1995:
	s_waitcnt vmcnt(0)
	v_cvt_f64_f32_e32 v[3:4], v2
	s_mov_b64 s[0:1], 0
	global_store_dwordx2 v[0:1], v[3:4], off
.LBB150_1996:
	s_andn2_b64 vcc, exec, s[0:1]
	s_cbranch_vccnz .LBB150_1998
; %bb.1997:
	s_waitcnt vmcnt(0)
	global_store_dword v[0:1], v2, off
.LBB150_1998:
	s_mov_b64 s[0:1], 0
.LBB150_1999:
	s_andn2_b64 vcc, exec, s[0:1]
	s_cbranch_vccnz .LBB150_2001
; %bb.2000:
	s_waitcnt vmcnt(0)
	v_cvt_f16_f32_e32 v3, v2
	global_store_short v[0:1], v3, off
.LBB150_2001:
	s_mov_b64 s[0:1], 0
.LBB150_2002:
	s_andn2_b64 vcc, exec, s[0:1]
	s_cbranch_vccnz .LBB150_2018
; %bb.2003:
	s_sext_i32_i16 s2, s24
	s_cmp_lt_i32 s2, 2
	s_mov_b64 s[0:1], -1
	s_cbranch_scc1 .LBB150_2013
; %bb.2004:
	s_cmp_lt_i32 s2, 3
	s_cbranch_scc1 .LBB150_2010
; %bb.2005:
	s_cmp_gt_i32 s2, 3
	s_cbranch_scc0 .LBB150_2007
; %bb.2006:
	s_waitcnt vmcnt(0)
	v_trunc_f32_e32 v3, v2
	s_mov_b32 s0, 0x2f800000
	v_mul_f32_e64 v4, |v3|, s0
	v_floor_f32_e32 v4, v4
	s_mov_b32 s0, 0xcf800000
	v_cvt_u32_f32_e32 v5, v4
	v_fma_f32 v4, v4, s0, |v3|
	v_cvt_u32_f32_e32 v4, v4
	v_ashrrev_i32_e32 v6, 31, v3
	v_xor_b32_e32 v5, v5, v6
	s_mov_b64 s[0:1], 0
	v_xor_b32_e32 v3, v4, v6
	v_sub_co_u32_e32 v3, vcc, v3, v6
	v_subb_co_u32_e32 v4, vcc, v5, v6, vcc
	global_store_dwordx2 v[0:1], v[3:4], off
.LBB150_2007:
	s_andn2_b64 vcc, exec, s[0:1]
	s_cbranch_vccnz .LBB150_2009
; %bb.2008:
	s_waitcnt vmcnt(0)
	v_cvt_i32_f32_e32 v3, v2
	global_store_dword v[0:1], v3, off
.LBB150_2009:
	s_mov_b64 s[0:1], 0
.LBB150_2010:
	s_andn2_b64 vcc, exec, s[0:1]
	s_cbranch_vccnz .LBB150_2012
; %bb.2011:
	s_waitcnt vmcnt(0)
	v_cvt_i32_f32_e32 v3, v2
	global_store_short v[0:1], v3, off
.LBB150_2012:
	s_mov_b64 s[0:1], 0
.LBB150_2013:
	s_andn2_b64 vcc, exec, s[0:1]
	s_cbranch_vccnz .LBB150_2018
; %bb.2014:
	s_sext_i32_i16 s0, s24
	s_cmp_gt_i32 s0, 0
	s_mov_b64 s[0:1], -1
	s_cbranch_scc0 .LBB150_2016
; %bb.2015:
	s_waitcnt vmcnt(0)
	v_cvt_i32_f32_e32 v3, v2
	s_mov_b64 s[0:1], 0
	global_store_byte v[0:1], v3, off
.LBB150_2016:
	s_andn2_b64 vcc, exec, s[0:1]
	s_cbranch_vccnz .LBB150_2018
; %bb.2017:
	s_waitcnt vmcnt(0)
	v_trunc_f32_e32 v2, v2
	s_mov_b32 s0, 0x2f800000
	v_mul_f32_e64 v3, |v2|, s0
	v_floor_f32_e32 v3, v3
	s_mov_b32 s0, 0xcf800000
	v_fma_f32 v3, v3, s0, |v2|
	v_cvt_u32_f32_e32 v3, v3
	v_ashrrev_i32_e32 v2, 31, v2
	v_xor_b32_e32 v3, v3, v2
	v_sub_u32_e32 v2, v3, v2
	global_store_byte v[0:1], v2, off
	s_endpgm
.LBB150_2018:
	s_endpgm
.LBB150_2019:
	s_mov_b64 s[2:3], 0
	s_mov_b64 s[0:1], -1
	s_branch .LBB150_1975
.LBB150_2020:
	s_trap 2
	s_or_b64 s[20:21], s[20:21], exec
	s_cbranch_execz .LBB150_1489
	s_branch .LBB150_1490
.LBB150_2021:
	s_andn2_saveexec_b64 s[22:23], s[22:23]
	s_cbranch_execz .LBB150_1569
.LBB150_2022:
	s_mov_b32 s14, 0x46000000
	v_add_f32_e64 v3, |v2|, s14
	v_and_b32_e32 v3, 0xff, v3
	v_cmp_ne_u32_e32 vcc, 0, v3
	s_andn2_b64 s[16:17], s[16:17], exec
	s_and_b64 s[26:27], vcc, exec
	s_or_b64 s[16:17], s[16:17], s[26:27]
	s_or_b64 exec, exec, s[22:23]
	v_mov_b32_e32 v8, 0
	s_and_saveexec_b64 s[22:23], s[16:17]
	s_cbranch_execnz .LBB150_1570
	s_branch .LBB150_1571
.LBB150_2023:
	s_trap 2
	s_or_b64 s[20:21], s[20:21], exec
	s_cbranch_execz .LBB150_1617
	s_branch .LBB150_1618
.LBB150_2024:
	s_andn2_saveexec_b64 s[16:17], s[16:17]
	s_cbranch_execz .LBB150_1582
.LBB150_2025:
	s_mov_b32 s14, 0x42800000
	v_add_f32_e64 v3, |v2|, s14
	v_and_b32_e32 v3, 0xff, v3
	v_cmp_ne_u32_e32 vcc, 0, v3
	s_andn2_b64 s[10:11], s[10:11], exec
	s_and_b64 s[22:23], vcc, exec
	s_or_b64 s[10:11], s[10:11], s[22:23]
	s_or_b64 exec, exec, s[16:17]
	v_mov_b32_e32 v8, 0
	s_and_saveexec_b64 s[16:17], s[10:11]
	s_cbranch_execnz .LBB150_1583
	s_branch .LBB150_1584
.LBB150_2026:
	s_andn2_saveexec_b64 s[16:17], s[16:17]
	s_cbranch_execz .LBB150_1688
.LBB150_2027:
	s_mov_b32 s23, 0x46000000
	v_add_f32_e64 v3, |v2|, s23
	v_and_b32_e32 v3, 0xff, v3
	v_cmp_ne_u32_e32 vcc, 0, v3
	s_andn2_b64 s[12:13], s[12:13], exec
	s_and_b64 s[26:27], vcc, exec
	s_or_b64 s[12:13], s[12:13], s[26:27]
	s_or_b64 exec, exec, s[16:17]
	v_mov_b32_e32 v5, 0
	s_and_saveexec_b64 s[16:17], s[12:13]
	s_cbranch_execnz .LBB150_1689
	s_branch .LBB150_1690
.LBB150_2028:
	s_trap 2
	s_or_b64 s[20:21], s[20:21], exec
	s_cbranch_execz .LBB150_1736
	s_branch .LBB150_1737
.LBB150_2029:
	s_andn2_saveexec_b64 s[12:13], s[12:13]
	s_cbranch_execz .LBB150_1701
.LBB150_2030:
	s_mov_b32 s16, 0x42800000
	v_add_f32_e64 v3, |v2|, s16
	v_and_b32_e32 v3, 0xff, v3
	v_cmp_ne_u32_e32 vcc, 0, v3
	s_andn2_b64 s[10:11], s[10:11], exec
	s_and_b64 s[16:17], vcc, exec
	s_or_b64 s[10:11], s[10:11], s[16:17]
	s_or_b64 exec, exec, s[12:13]
	v_mov_b32_e32 v5, 0
	s_and_saveexec_b64 s[12:13], s[10:11]
	s_cbranch_execnz .LBB150_1702
	s_branch .LBB150_1703
.LBB150_2031:
	s_andn2_saveexec_b64 s[16:17], s[16:17]
	s_cbranch_execz .LBB150_1807
.LBB150_2032:
	s_mov_b32 s23, 0x46000000
	v_add_f32_e64 v3, |v2|, s23
	v_and_b32_e32 v3, 0xff, v3
	v_cmp_ne_u32_e32 vcc, 0, v3
	s_andn2_b64 s[12:13], s[12:13], exec
	s_and_b64 s[26:27], vcc, exec
	s_or_b64 s[12:13], s[12:13], s[26:27]
	s_or_b64 exec, exec, s[16:17]
	v_mov_b32_e32 v5, 0
	s_and_saveexec_b64 s[16:17], s[12:13]
	s_cbranch_execnz .LBB150_1808
	s_branch .LBB150_1809
.LBB150_2033:
	s_trap 2
	s_or_b64 s[20:21], s[20:21], exec
	s_cbranch_execz .LBB150_1855
	s_branch .LBB150_1856
.LBB150_2034:
	s_andn2_saveexec_b64 s[12:13], s[12:13]
	s_cbranch_execz .LBB150_1820
.LBB150_2035:
	s_mov_b32 s16, 0x42800000
	v_add_f32_e64 v3, |v2|, s16
	v_and_b32_e32 v3, 0xff, v3
	v_cmp_ne_u32_e32 vcc, 0, v3
	s_andn2_b64 s[10:11], s[10:11], exec
	s_and_b64 s[16:17], vcc, exec
	s_or_b64 s[10:11], s[10:11], s[16:17]
	s_or_b64 exec, exec, s[12:13]
	v_mov_b32_e32 v5, 0
	s_and_saveexec_b64 s[12:13], s[10:11]
	s_cbranch_execnz .LBB150_1821
	s_branch .LBB150_1822
.LBB150_2036:
	s_andn2_saveexec_b64 s[10:11], s[10:11]
	s_cbranch_execz .LBB150_1927
.LBB150_2037:
	s_mov_b32 s13, 0x46000000
	v_add_f32_e64 v3, |v2|, s13
	v_and_b32_e32 v3, 0xff, v3
	v_cmp_ne_u32_e32 vcc, 0, v3
	s_andn2_b64 s[8:9], s[8:9], exec
	s_and_b64 s[14:15], vcc, exec
	s_or_b64 s[8:9], s[8:9], s[14:15]
	s_or_b64 exec, exec, s[10:11]
	v_mov_b32_e32 v4, 0
	s_and_saveexec_b64 s[10:11], s[8:9]
	s_cbranch_execnz .LBB150_1928
	s_branch .LBB150_1929
.LBB150_2038:
	s_mov_b64 s[2:3], 0
	s_or_b64 s[20:21], s[20:21], exec
	s_trap 2
	s_branch .LBB150_1973
.LBB150_2039:
	s_andn2_saveexec_b64 s[8:9], s[8:9]
	s_cbranch_execz .LBB150_1939
.LBB150_2040:
	s_mov_b32 s10, 0x42800000
	v_add_f32_e64 v3, |v2|, s10
	v_and_b32_e32 v3, 0xff, v3
	v_cmp_ne_u32_e32 vcc, 0, v3
	s_andn2_b64 s[4:5], s[4:5], exec
	s_and_b64 s[10:11], vcc, exec
	s_or_b64 s[4:5], s[4:5], s[10:11]
	s_or_b64 exec, exec, s[8:9]
	v_mov_b32_e32 v4, 0
	s_and_saveexec_b64 s[8:9], s[4:5]
	s_cbranch_execnz .LBB150_1940
	s_branch .LBB150_1941
	.section	.rodata,"a",@progbits
	.p2align	6, 0x0
	.amdhsa_kernel _ZN2at6native32elementwise_kernel_manual_unrollILi128ELi4EZNS0_15gpu_kernel_implINS0_13AUnaryFunctorIfffZNS0_12_GLOBAL__N_121threshold_kernel_implIfEEvRNS_18TensorIteratorBaseET_S8_EUlffE_EEEEvS7_RKS8_EUlibE_EEviT1_
		.amdhsa_group_segment_fixed_size 0
		.amdhsa_private_segment_fixed_size 0
		.amdhsa_kernarg_size 48
		.amdhsa_user_sgpr_count 6
		.amdhsa_user_sgpr_private_segment_buffer 1
		.amdhsa_user_sgpr_dispatch_ptr 0
		.amdhsa_user_sgpr_queue_ptr 0
		.amdhsa_user_sgpr_kernarg_segment_ptr 1
		.amdhsa_user_sgpr_dispatch_id 0
		.amdhsa_user_sgpr_flat_scratch_init 0
		.amdhsa_user_sgpr_private_segment_size 0
		.amdhsa_uses_dynamic_stack 0
		.amdhsa_system_sgpr_private_segment_wavefront_offset 0
		.amdhsa_system_sgpr_workgroup_id_x 1
		.amdhsa_system_sgpr_workgroup_id_y 0
		.amdhsa_system_sgpr_workgroup_id_z 0
		.amdhsa_system_sgpr_workgroup_info 0
		.amdhsa_system_vgpr_workitem_id 0
		.amdhsa_next_free_vgpr 12
		.amdhsa_next_free_sgpr 49
		.amdhsa_reserve_vcc 1
		.amdhsa_reserve_flat_scratch 0
		.amdhsa_float_round_mode_32 0
		.amdhsa_float_round_mode_16_64 0
		.amdhsa_float_denorm_mode_32 3
		.amdhsa_float_denorm_mode_16_64 3
		.amdhsa_dx10_clamp 1
		.amdhsa_ieee_mode 1
		.amdhsa_fp16_overflow 0
		.amdhsa_exception_fp_ieee_invalid_op 0
		.amdhsa_exception_fp_denorm_src 0
		.amdhsa_exception_fp_ieee_div_zero 0
		.amdhsa_exception_fp_ieee_overflow 0
		.amdhsa_exception_fp_ieee_underflow 0
		.amdhsa_exception_fp_ieee_inexact 0
		.amdhsa_exception_int_div_zero 0
	.end_amdhsa_kernel
	.section	.text._ZN2at6native32elementwise_kernel_manual_unrollILi128ELi4EZNS0_15gpu_kernel_implINS0_13AUnaryFunctorIfffZNS0_12_GLOBAL__N_121threshold_kernel_implIfEEvRNS_18TensorIteratorBaseET_S8_EUlffE_EEEEvS7_RKS8_EUlibE_EEviT1_,"axG",@progbits,_ZN2at6native32elementwise_kernel_manual_unrollILi128ELi4EZNS0_15gpu_kernel_implINS0_13AUnaryFunctorIfffZNS0_12_GLOBAL__N_121threshold_kernel_implIfEEvRNS_18TensorIteratorBaseET_S8_EUlffE_EEEEvS7_RKS8_EUlibE_EEviT1_,comdat
.Lfunc_end150:
	.size	_ZN2at6native32elementwise_kernel_manual_unrollILi128ELi4EZNS0_15gpu_kernel_implINS0_13AUnaryFunctorIfffZNS0_12_GLOBAL__N_121threshold_kernel_implIfEEvRNS_18TensorIteratorBaseET_S8_EUlffE_EEEEvS7_RKS8_EUlibE_EEviT1_, .Lfunc_end150-_ZN2at6native32elementwise_kernel_manual_unrollILi128ELi4EZNS0_15gpu_kernel_implINS0_13AUnaryFunctorIfffZNS0_12_GLOBAL__N_121threshold_kernel_implIfEEvRNS_18TensorIteratorBaseET_S8_EUlffE_EEEEvS7_RKS8_EUlibE_EEviT1_
                                        ; -- End function
	.set _ZN2at6native32elementwise_kernel_manual_unrollILi128ELi4EZNS0_15gpu_kernel_implINS0_13AUnaryFunctorIfffZNS0_12_GLOBAL__N_121threshold_kernel_implIfEEvRNS_18TensorIteratorBaseET_S8_EUlffE_EEEEvS7_RKS8_EUlibE_EEviT1_.num_vgpr, 12
	.set _ZN2at6native32elementwise_kernel_manual_unrollILi128ELi4EZNS0_15gpu_kernel_implINS0_13AUnaryFunctorIfffZNS0_12_GLOBAL__N_121threshold_kernel_implIfEEvRNS_18TensorIteratorBaseET_S8_EUlffE_EEEEvS7_RKS8_EUlibE_EEviT1_.num_agpr, 0
	.set _ZN2at6native32elementwise_kernel_manual_unrollILi128ELi4EZNS0_15gpu_kernel_implINS0_13AUnaryFunctorIfffZNS0_12_GLOBAL__N_121threshold_kernel_implIfEEvRNS_18TensorIteratorBaseET_S8_EUlffE_EEEEvS7_RKS8_EUlibE_EEviT1_.numbered_sgpr, 49
	.set _ZN2at6native32elementwise_kernel_manual_unrollILi128ELi4EZNS0_15gpu_kernel_implINS0_13AUnaryFunctorIfffZNS0_12_GLOBAL__N_121threshold_kernel_implIfEEvRNS_18TensorIteratorBaseET_S8_EUlffE_EEEEvS7_RKS8_EUlibE_EEviT1_.num_named_barrier, 0
	.set _ZN2at6native32elementwise_kernel_manual_unrollILi128ELi4EZNS0_15gpu_kernel_implINS0_13AUnaryFunctorIfffZNS0_12_GLOBAL__N_121threshold_kernel_implIfEEvRNS_18TensorIteratorBaseET_S8_EUlffE_EEEEvS7_RKS8_EUlibE_EEviT1_.private_seg_size, 0
	.set _ZN2at6native32elementwise_kernel_manual_unrollILi128ELi4EZNS0_15gpu_kernel_implINS0_13AUnaryFunctorIfffZNS0_12_GLOBAL__N_121threshold_kernel_implIfEEvRNS_18TensorIteratorBaseET_S8_EUlffE_EEEEvS7_RKS8_EUlibE_EEviT1_.uses_vcc, 1
	.set _ZN2at6native32elementwise_kernel_manual_unrollILi128ELi4EZNS0_15gpu_kernel_implINS0_13AUnaryFunctorIfffZNS0_12_GLOBAL__N_121threshold_kernel_implIfEEvRNS_18TensorIteratorBaseET_S8_EUlffE_EEEEvS7_RKS8_EUlibE_EEviT1_.uses_flat_scratch, 0
	.set _ZN2at6native32elementwise_kernel_manual_unrollILi128ELi4EZNS0_15gpu_kernel_implINS0_13AUnaryFunctorIfffZNS0_12_GLOBAL__N_121threshold_kernel_implIfEEvRNS_18TensorIteratorBaseET_S8_EUlffE_EEEEvS7_RKS8_EUlibE_EEviT1_.has_dyn_sized_stack, 0
	.set _ZN2at6native32elementwise_kernel_manual_unrollILi128ELi4EZNS0_15gpu_kernel_implINS0_13AUnaryFunctorIfffZNS0_12_GLOBAL__N_121threshold_kernel_implIfEEvRNS_18TensorIteratorBaseET_S8_EUlffE_EEEEvS7_RKS8_EUlibE_EEviT1_.has_recursion, 0
	.set _ZN2at6native32elementwise_kernel_manual_unrollILi128ELi4EZNS0_15gpu_kernel_implINS0_13AUnaryFunctorIfffZNS0_12_GLOBAL__N_121threshold_kernel_implIfEEvRNS_18TensorIteratorBaseET_S8_EUlffE_EEEEvS7_RKS8_EUlibE_EEviT1_.has_indirect_call, 0
	.section	.AMDGPU.csdata,"",@progbits
; Kernel info:
; codeLenInByte = 32260
; TotalNumSgprs: 53
; NumVgprs: 12
; ScratchSize: 0
; MemoryBound: 1
; FloatMode: 240
; IeeeMode: 1
; LDSByteSize: 0 bytes/workgroup (compile time only)
; SGPRBlocks: 6
; VGPRBlocks: 2
; NumSGPRsForWavesPerEU: 53
; NumVGPRsForWavesPerEU: 12
; Occupancy: 10
; WaveLimiterHint : 0
; COMPUTE_PGM_RSRC2:SCRATCH_EN: 0
; COMPUTE_PGM_RSRC2:USER_SGPR: 6
; COMPUTE_PGM_RSRC2:TRAP_HANDLER: 0
; COMPUTE_PGM_RSRC2:TGID_X_EN: 1
; COMPUTE_PGM_RSRC2:TGID_Y_EN: 0
; COMPUTE_PGM_RSRC2:TGID_Z_EN: 0
; COMPUTE_PGM_RSRC2:TIDIG_COMP_CNT: 0
	.section	.text._ZN2at6native32elementwise_kernel_manual_unrollILi128ELi4EZNS0_15gpu_kernel_implINS0_13AUnaryFunctorIfffZNS0_12_GLOBAL__N_121threshold_kernel_implIfEEvRNS_18TensorIteratorBaseET_S8_EUlffE_EEEEvS7_RKS8_EUlibE0_EEviT1_,"axG",@progbits,_ZN2at6native32elementwise_kernel_manual_unrollILi128ELi4EZNS0_15gpu_kernel_implINS0_13AUnaryFunctorIfffZNS0_12_GLOBAL__N_121threshold_kernel_implIfEEvRNS_18TensorIteratorBaseET_S8_EUlffE_EEEEvS7_RKS8_EUlibE0_EEviT1_,comdat
	.globl	_ZN2at6native32elementwise_kernel_manual_unrollILi128ELi4EZNS0_15gpu_kernel_implINS0_13AUnaryFunctorIfffZNS0_12_GLOBAL__N_121threshold_kernel_implIfEEvRNS_18TensorIteratorBaseET_S8_EUlffE_EEEEvS7_RKS8_EUlibE0_EEviT1_ ; -- Begin function _ZN2at6native32elementwise_kernel_manual_unrollILi128ELi4EZNS0_15gpu_kernel_implINS0_13AUnaryFunctorIfffZNS0_12_GLOBAL__N_121threshold_kernel_implIfEEvRNS_18TensorIteratorBaseET_S8_EUlffE_EEEEvS7_RKS8_EUlibE0_EEviT1_
	.p2align	8
	.type	_ZN2at6native32elementwise_kernel_manual_unrollILi128ELi4EZNS0_15gpu_kernel_implINS0_13AUnaryFunctorIfffZNS0_12_GLOBAL__N_121threshold_kernel_implIfEEvRNS_18TensorIteratorBaseET_S8_EUlffE_EEEEvS7_RKS8_EUlibE0_EEviT1_,@function
_ZN2at6native32elementwise_kernel_manual_unrollILi128ELi4EZNS0_15gpu_kernel_implINS0_13AUnaryFunctorIfffZNS0_12_GLOBAL__N_121threshold_kernel_implIfEEvRNS_18TensorIteratorBaseET_S8_EUlffE_EEEEvS7_RKS8_EUlibE0_EEviT1_: ; @_ZN2at6native32elementwise_kernel_manual_unrollILi128ELi4EZNS0_15gpu_kernel_implINS0_13AUnaryFunctorIfffZNS0_12_GLOBAL__N_121threshold_kernel_implIfEEvRNS_18TensorIteratorBaseET_S8_EUlffE_EEEEvS7_RKS8_EUlibE0_EEviT1_
; %bb.0:
	s_load_dword s74, s[4:5], 0x0
	s_load_dword s33, s[4:5], 0x8
	s_add_u32 s34, s4, 8
	s_addc_u32 s35, s5, 0
	v_lshl_or_b32 v8, s6, 9, v0
	v_or_b32_e32 v15, 0x180, v8
	s_waitcnt lgkmcnt(0)
	s_add_i32 s76, s33, -1
	s_cmp_gt_u32 s76, 1
	v_cmp_le_i32_e32 vcc, s74, v15
	s_cselect_b64 s[48:49], -1, 0
	s_mov_b64 s[6:7], 0
	s_mov_b64 s[28:29], 0
	s_and_saveexec_b64 s[0:1], vcc
	s_xor_b64 s[50:51], exec, s[0:1]
	s_cbranch_execz .LBB151_1086
; %bb.1:
	s_load_dwordx4 s[36:39], s[34:35], 0x4
	s_load_dwordx2 s[52:53], s[34:35], 0x14
	s_load_dword s77, s[34:35], 0x164
	s_load_dwordx8 s[8:15], s[34:35], 0x148
	s_load_dwordx4 s[40:43], s[34:35], 0xc4
	s_cmp_lg_u32 s33, 0
	s_cselect_b64 s[58:59], -1, 0
	s_add_u32 s56, s34, 0xc4
	s_addc_u32 s57, s35, 0
	s_min_u32 s79, s76, 15
	s_cmp_gt_u32 s33, 1
	s_waitcnt lgkmcnt(0)
	v_mov_b32_e32 v0, s12
	s_cselect_b64 s[54:55], -1, 0
	s_bfe_u32 s78, s77, 0x80008
	v_cmp_nle_f32_e64 s[0:1], s14, v0
	v_cmp_gt_i32_e32 vcc, s74, v8
	s_mov_b64 s[2:3], -1
	s_mov_b64 s[66:67], 0
	s_mov_b64 s[60:61], 0
	;; [unrolled: 1-line block ×3, first 2 shown]
	s_and_saveexec_b64 s[62:63], vcc
	s_cbranch_execz .LBB151_266
; %bb.2:
	s_andn2_b64 vcc, exec, s[48:49]
	s_cbranch_vccnz .LBB151_7
; %bb.3:
	s_andn2_b64 vcc, exec, s[58:59]
	s_cbranch_vccnz .LBB151_8
; %bb.4:
	s_add_i32 s60, s79, 1
	s_cmp_eq_u32 s76, 2
	s_cbranch_scc1 .LBB151_9
; %bb.5:
	s_and_b32 s12, s60, 28
	v_mov_b32_e32 v2, 0
	s_mov_b32 s61, 0
	s_mov_b64 s[2:3], s[34:35]
	s_mov_b64 s[14:15], s[56:57]
	v_mov_b32_e32 v0, 0
	v_mov_b32_e32 v1, v8
.LBB151_6:                              ; =>This Inner Loop Header: Depth=1
	s_load_dwordx8 s[24:31], s[2:3], 0x4
	s_load_dwordx4 s[44:47], s[2:3], 0x24
	s_load_dwordx8 s[16:23], s[14:15], 0x0
	s_add_u32 s2, s2, 48
	s_addc_u32 s3, s3, 0
	s_waitcnt lgkmcnt(0)
	v_mul_hi_u32 v3, s25, v1
	s_add_i32 s61, s61, 4
	s_add_u32 s14, s14, 32
	s_addc_u32 s15, s15, 0
	v_add_u32_e32 v3, v1, v3
	v_lshrrev_b32_e32 v3, s26, v3
	v_mul_lo_u32 v4, v3, s24
	v_mul_hi_u32 v5, s28, v3
	s_cmp_lg_u32 s12, s61
	v_sub_u32_e32 v1, v1, v4
	v_add_u32_e32 v4, v3, v5
	v_mul_lo_u32 v5, v1, s16
	v_mul_lo_u32 v6, v1, s17
	v_lshrrev_b32_e32 v1, s29, v4
	v_mul_lo_u32 v4, v1, s27
	v_mul_hi_u32 v7, s31, v1
	v_sub_u32_e32 v3, v3, v4
	v_add_u32_e32 v4, v1, v7
	v_lshrrev_b32_e32 v4, s44, v4
	v_mul_hi_u32 v9, s46, v4
	v_mul_lo_u32 v10, v4, s30
	v_mul_lo_u32 v7, v3, s18
	;; [unrolled: 1-line block ×3, first 2 shown]
	v_sub_u32_e32 v10, v1, v10
	v_add_u32_e32 v1, v4, v9
	v_lshrrev_b32_e32 v1, s47, v1
	v_mul_lo_u32 v9, v1, s45
	v_mul_lo_u32 v11, v10, s20
	v_mul_lo_u32 v10, v10, s21
	v_add3_u32 v0, v5, v0, v7
	v_sub_u32_e32 v4, v4, v9
	v_mul_lo_u32 v9, v4, s22
	v_mul_lo_u32 v4, v4, s23
	v_add3_u32 v2, v6, v2, v3
	v_add3_u32 v0, v11, v0, v9
	v_add3_u32 v2, v10, v2, v4
	s_cbranch_scc1 .LBB151_6
	s_branch .LBB151_10
.LBB151_7:
                                        ; implicit-def: $vgpr0
                                        ; implicit-def: $vgpr2
	s_andn2_b64 vcc, exec, s[2:3]
	s_cbranch_vccz .LBB151_14
	s_branch .LBB151_16
.LBB151_8:
	v_mov_b32_e32 v0, 0
	v_mov_b32_e32 v2, 0
	s_branch .LBB151_13
.LBB151_9:
	s_mov_b32 s12, 0
	v_mov_b32_e32 v0, 0
	v_mov_b32_e32 v2, 0
	;; [unrolled: 1-line block ×3, first 2 shown]
.LBB151_10:
	s_and_b32 s16, s60, 3
	s_cmp_eq_u32 s16, 0
	s_cbranch_scc1 .LBB151_13
; %bb.11:
	s_lshl_b32 s2, s12, 3
	s_add_u32 s2, s34, s2
	s_addc_u32 s3, s35, 0
	s_add_u32 s2, s2, 0xc4
	s_addc_u32 s3, s3, 0
	s_mul_i32 s12, s12, 12
	s_add_u32 s14, s34, s12
	s_addc_u32 s15, s35, 0
.LBB151_12:                             ; =>This Inner Loop Header: Depth=1
	s_load_dwordx2 s[18:19], s[14:15], 0x4
	s_load_dword s12, s[14:15], 0xc
	s_load_dwordx2 s[20:21], s[2:3], 0x0
	s_add_u32 s14, s14, 12
	s_addc_u32 s15, s15, 0
	s_waitcnt lgkmcnt(0)
	v_mul_hi_u32 v3, s19, v1
	s_add_u32 s2, s2, 8
	s_addc_u32 s3, s3, 0
	s_add_i32 s16, s16, -1
	v_add_u32_e32 v3, v1, v3
	v_lshrrev_b32_e32 v4, s12, v3
	v_mul_lo_u32 v3, v4, s18
	s_cmp_lg_u32 s16, 0
	v_sub_u32_e32 v3, v1, v3
	v_mad_u64_u32 v[0:1], s[18:19], v3, s20, v[0:1]
	v_mad_u64_u32 v[2:3], s[18:19], v3, s21, v[2:3]
	v_mov_b32_e32 v1, v4
	s_cbranch_scc1 .LBB151_12
.LBB151_13:
	s_cbranch_execnz .LBB151_16
.LBB151_14:
	v_mul_hi_u32 v0, s37, v8
	s_andn2_b64 vcc, exec, s[54:55]
	v_add_u32_e32 v0, v8, v0
	v_lshrrev_b32_e32 v1, s38, v0
	v_mul_lo_u32 v0, v1, s36
	v_sub_u32_e32 v2, v8, v0
	v_mul_lo_u32 v0, v2, s40
	v_mul_lo_u32 v2, v2, s41
	s_cbranch_vccnz .LBB151_16
; %bb.15:
	v_mul_hi_u32 v3, s52, v1
	v_add_u32_e32 v3, v1, v3
	v_lshrrev_b32_e32 v3, s53, v3
	v_mul_lo_u32 v3, v3, s39
	v_sub_u32_e32 v3, v1, v3
	v_mad_u64_u32 v[0:1], s[2:3], v3, s42, v[0:1]
	v_mad_u64_u32 v[2:3], s[2:3], v3, s43, v[2:3]
.LBB151_16:
	v_mov_b32_e32 v3, s11
	s_and_b32 s12, 0xffff, s78
	v_add_co_u32_e32 v1, vcc, s10, v2
	s_cmp_lt_i32 s12, 11
	v_addc_co_u32_e32 v2, vcc, 0, v3, vcc
	s_cbranch_scc1 .LBB151_23
; %bb.17:
	s_cmp_gt_i32 s12, 25
	s_cbranch_scc0 .LBB151_32
; %bb.18:
	s_cmp_gt_i32 s12, 28
	s_cbranch_scc0 .LBB151_35
	;; [unrolled: 3-line block ×4, first 2 shown]
; %bb.21:
	s_cmp_eq_u32 s12, 46
	s_mov_b64 s[14:15], 0
	s_cbranch_scc0 .LBB151_41
; %bb.22:
	global_load_dword v3, v[1:2], off
	s_mov_b64 s[2:3], -1
	s_mov_b64 s[16:17], 0
	s_waitcnt vmcnt(0)
	v_lshlrev_b32_e32 v3, 16, v3
	s_branch .LBB151_43
.LBB151_23:
	s_mov_b64 s[16:17], 0
                                        ; implicit-def: $vgpr3
	s_mov_b64 s[2:3], 0
	s_cbranch_execnz .LBB151_216
.LBB151_24:
	s_andn2_b64 vcc, exec, s[2:3]
	s_cbranch_vccnz .LBB151_263
.LBB151_25:
	v_mov_b32_e32 v1, s13
	s_waitcnt vmcnt(0)
	v_cndmask_b32_e64 v2, v1, v3, s[0:1]
	v_mov_b32_e32 v1, s9
	s_and_b32 s12, s77, 0xff
	v_add_co_u32_e32 v0, vcc, s8, v0
	s_cmp_lt_i32 s12, 11
	v_addc_co_u32_e32 v1, vcc, 0, v1, vcc
	s_cbranch_scc1 .LBB151_33
; %bb.26:
	s_and_b32 s22, 0xffff, s12
	s_cmp_gt_i32 s22, 25
	s_cbranch_scc0 .LBB151_36
; %bb.27:
	s_cmp_gt_i32 s22, 28
	s_cbranch_scc0 .LBB151_38
; %bb.28:
	;; [unrolled: 3-line block ×4, first 2 shown]
	s_mov_b64 s[18:19], 0
	s_mov_b64 s[2:3], -1
	s_cmp_eq_u32 s22, 46
	s_mov_b64 s[14:15], 0
	s_cbranch_scc0 .LBB151_47
; %bb.31:
	v_bfe_u32 v3, v2, 16, 1
	s_movk_i32 s2, 0x7fff
	v_add3_u32 v3, v2, v3, s2
	v_cmp_o_f32_e32 vcc, v2, v2
	v_mov_b32_e32 v4, 0x7fc0
	v_cndmask_b32_sdwa v3, v4, v3, vcc dst_sel:DWORD dst_unused:UNUSED_PAD src0_sel:DWORD src1_sel:WORD_1
	global_store_dword v[0:1], v3, off
	s_mov_b64 s[14:15], -1
	s_mov_b64 s[2:3], 0
	s_branch .LBB151_47
.LBB151_32:
	s_mov_b64 s[16:17], 0
	s_mov_b64 s[2:3], 0
                                        ; implicit-def: $vgpr3
	s_cbranch_execnz .LBB151_181
	s_branch .LBB151_215
.LBB151_33:
	s_mov_b64 s[2:3], 0
	s_mov_b64 s[14:15], 0
	s_cbranch_execnz .LBB151_116
.LBB151_34:
	s_andn2_b64 vcc, exec, s[14:15]
	s_cbranch_vccnz .LBB151_264
	s_branch .LBB151_154
.LBB151_35:
	s_mov_b64 s[14:15], -1
	s_mov_b64 s[16:17], 0
	s_mov_b64 s[2:3], 0
                                        ; implicit-def: $vgpr3
	s_branch .LBB151_162
.LBB151_36:
	s_mov_b64 s[18:19], -1
	s_mov_b64 s[2:3], 0
	s_mov_b64 s[14:15], 0
	s_branch .LBB151_74
.LBB151_37:
	s_mov_b64 s[14:15], -1
	s_mov_b64 s[16:17], 0
	s_mov_b64 s[2:3], 0
                                        ; implicit-def: $vgpr3
	s_branch .LBB151_157
.LBB151_38:
	s_mov_b64 s[18:19], -1
	s_mov_b64 s[2:3], 0
	s_mov_b64 s[14:15], 0
	s_branch .LBB151_57
.LBB151_39:
	s_mov_b64 s[14:15], -1
	s_mov_b64 s[16:17], 0
	s_branch .LBB151_42
.LBB151_40:
	s_mov_b64 s[18:19], -1
	s_mov_b64 s[2:3], 0
	s_mov_b64 s[14:15], 0
	s_branch .LBB151_53
.LBB151_41:
	s_mov_b64 s[16:17], -1
.LBB151_42:
	s_mov_b64 s[2:3], 0
                                        ; implicit-def: $vgpr3
.LBB151_43:
	s_and_b64 vcc, exec, s[14:15]
	s_cbranch_vccz .LBB151_156
; %bb.44:
	s_cmp_eq_u32 s12, 44
	s_cbranch_scc0 .LBB151_155
; %bb.45:
	global_load_ubyte v3, v[1:2], off
	s_movk_i32 s14, 0xff
	v_mov_b32_e32 v4, 0x7f800001
	v_mov_b32_e32 v5, 0x400000
	s_mov_b64 s[2:3], -1
	s_mov_b64 s[16:17], 0
	s_waitcnt vmcnt(0)
	v_lshlrev_b32_e32 v6, 23, v3
	v_cmp_ne_u32_e32 vcc, s14, v3
	v_cndmask_b32_e32 v4, v4, v6, vcc
	v_cmp_ne_u32_e32 vcc, 0, v3
	v_cndmask_b32_e32 v3, v5, v4, vcc
	s_branch .LBB151_156
.LBB151_46:
	s_mov_b64 s[18:19], -1
	s_mov_b64 s[2:3], 0
	s_mov_b64 s[14:15], 0
.LBB151_47:
	s_and_b64 vcc, exec, s[18:19]
	s_cbranch_vccz .LBB151_52
; %bb.48:
	s_cmp_eq_u32 s22, 44
	s_mov_b64 s[2:3], -1
	s_cbranch_scc0 .LBB151_52
; %bb.49:
	v_bfe_u32 v3, v2, 23, 8
	s_movk_i32 s2, 0xff
	v_cmp_ne_u32_e32 vcc, s2, v3
	v_mov_b32_e32 v4, 0xff
	s_and_saveexec_b64 s[14:15], vcc
; %bb.50:
	s_mov_b32 s2, 0x3fffff
	v_and_b32_e32 v5, 0x400000, v2
	v_and_or_b32 v3, v2, s2, v3
	v_cmp_ne_u32_e32 vcc, 0, v5
	v_cmp_ne_u32_e64 s[2:3], 0, v3
	s_and_b64 s[2:3], vcc, s[2:3]
	v_lshrrev_b32_e32 v4, 23, v2
	v_cndmask_b32_e64 v3, 0, 1, s[2:3]
	v_add_u32_e32 v4, v4, v3
; %bb.51:
	s_or_b64 exec, exec, s[14:15]
	s_mov_b64 s[14:15], -1
	s_mov_b64 s[2:3], 0
	global_store_byte v[0:1], v4, off
.LBB151_52:
	s_mov_b64 s[18:19], 0
.LBB151_53:
	s_and_b64 vcc, exec, s[18:19]
	s_cbranch_vccz .LBB151_56
; %bb.54:
	s_cmp_eq_u32 s22, 29
	s_mov_b64 s[2:3], -1
	s_cbranch_scc0 .LBB151_56
; %bb.55:
	v_trunc_f32_e32 v3, v2
	v_mul_f32_e32 v4, 0x2f800000, v3
	v_floor_f32_e32 v5, v4
	v_fmac_f32_e32 v3, 0xcf800000, v5
	v_cvt_u32_f32_e32 v4, v5
	v_cvt_u32_f32_e32 v3, v3
	s_mov_b64 s[14:15], -1
	s_mov_b64 s[2:3], 0
	s_mov_b64 s[18:19], 0
	global_store_dwordx2 v[0:1], v[3:4], off
	s_branch .LBB151_57
.LBB151_56:
	s_mov_b64 s[18:19], 0
.LBB151_57:
	s_and_b64 vcc, exec, s[18:19]
	s_cbranch_vccz .LBB151_73
; %bb.58:
	s_cmp_lt_i32 s22, 27
	s_mov_b64 s[14:15], -1
	s_cbranch_scc1 .LBB151_64
; %bb.59:
	v_cvt_u32_f32_e32 v3, v2
	s_cmp_gt_i32 s22, 27
	s_cbranch_scc0 .LBB151_61
; %bb.60:
	s_mov_b64 s[14:15], 0
	global_store_dword v[0:1], v3, off
.LBB151_61:
	s_andn2_b64 vcc, exec, s[14:15]
	s_cbranch_vccnz .LBB151_63
; %bb.62:
	global_store_short v[0:1], v3, off
.LBB151_63:
	s_mov_b64 s[14:15], 0
.LBB151_64:
	s_andn2_b64 vcc, exec, s[14:15]
	s_cbranch_vccnz .LBB151_72
; %bb.65:
	v_and_b32_e32 v3, 0x7fffffff, v2
	s_mov_b32 s14, 0x43800000
	v_cmp_gt_u32_e32 vcc, s14, v3
	v_mov_b32_e32 v4, 0x80
	s_and_saveexec_b64 s[14:15], vcc
	s_cbranch_execz .LBB151_71
; %bb.66:
	s_mov_b32 s18, 0x3bffffff
	v_cmp_lt_u32_e32 vcc, s18, v3
	s_mov_b64 s[18:19], 0
                                        ; implicit-def: $vgpr3
	s_and_saveexec_b64 s[20:21], vcc
	s_xor_b64 s[20:21], exec, s[20:21]
	s_cbranch_execz .LBB151_307
; %bb.67:
	v_bfe_u32 v3, v2, 20, 1
	s_mov_b32 s23, 0x487ffff
	v_add3_u32 v3, v2, v3, s23
	s_mov_b64 s[18:19], exec
	v_lshrrev_b32_e32 v3, 20, v3
	s_andn2_saveexec_b64 s[20:21], s[20:21]
	s_cbranch_execnz .LBB151_308
.LBB151_68:
	s_or_b64 exec, exec, s[20:21]
	v_mov_b32_e32 v4, 0
	s_and_saveexec_b64 s[20:21], s[18:19]
.LBB151_69:
	v_lshrrev_b32_e32 v4, 24, v2
	s_movk_i32 s18, 0x80
	v_and_or_b32 v4, v4, s18, v3
.LBB151_70:
	s_or_b64 exec, exec, s[20:21]
.LBB151_71:
	s_or_b64 exec, exec, s[14:15]
	global_store_byte v[0:1], v4, off
.LBB151_72:
	s_mov_b64 s[14:15], -1
.LBB151_73:
	s_mov_b64 s[18:19], 0
.LBB151_74:
	s_and_b64 vcc, exec, s[18:19]
	s_cbranch_vccz .LBB151_115
; %bb.75:
	s_cmp_gt_i32 s22, 22
	s_mov_b64 s[18:19], -1
	s_cbranch_scc0 .LBB151_107
; %bb.76:
	s_cmp_lt_i32 s22, 24
	s_mov_b64 s[14:15], -1
	s_cbranch_scc1 .LBB151_96
; %bb.77:
	s_cmp_gt_i32 s22, 24
	s_cbranch_scc0 .LBB151_85
; %bb.78:
	v_and_b32_e32 v3, 0x7fffffff, v2
	s_mov_b32 s14, 0x47800000
	v_cmp_gt_u32_e32 vcc, s14, v3
	v_mov_b32_e32 v4, 0x80
	s_and_saveexec_b64 s[14:15], vcc
	s_cbranch_execz .LBB151_84
; %bb.79:
	s_mov_b32 s18, 0x37ffffff
	v_cmp_lt_u32_e32 vcc, s18, v3
	s_mov_b64 s[18:19], 0
                                        ; implicit-def: $vgpr3
	s_and_saveexec_b64 s[20:21], vcc
	s_xor_b64 s[20:21], exec, s[20:21]
	s_cbranch_execz .LBB151_311
; %bb.80:
	v_bfe_u32 v3, v2, 21, 1
	s_mov_b32 s23, 0x88fffff
	v_add3_u32 v3, v2, v3, s23
	s_mov_b64 s[18:19], exec
	v_lshrrev_b32_e32 v3, 21, v3
	s_andn2_saveexec_b64 s[20:21], s[20:21]
	s_cbranch_execnz .LBB151_312
.LBB151_81:
	s_or_b64 exec, exec, s[20:21]
	v_mov_b32_e32 v4, 0
	s_and_saveexec_b64 s[20:21], s[18:19]
.LBB151_82:
	v_lshrrev_b32_e32 v4, 24, v2
	s_movk_i32 s18, 0x80
	v_and_or_b32 v4, v4, s18, v3
.LBB151_83:
	s_or_b64 exec, exec, s[20:21]
.LBB151_84:
	s_or_b64 exec, exec, s[14:15]
	s_mov_b64 s[14:15], 0
	global_store_byte v[0:1], v4, off
.LBB151_85:
	s_and_b64 vcc, exec, s[14:15]
	s_cbranch_vccz .LBB151_95
; %bb.86:
	v_and_b32_e32 v4, 0x7fffffff, v2
	s_mov_b32 s14, 0x43f00000
	v_cmp_gt_u32_e32 vcc, s14, v4
                                        ; implicit-def: $vgpr3
	s_and_saveexec_b64 s[14:15], vcc
	s_xor_b64 s[14:15], exec, s[14:15]
	s_cbranch_execz .LBB151_92
; %bb.87:
	s_mov_b32 s18, 0x3c7fffff
	v_cmp_lt_u32_e32 vcc, s18, v4
                                        ; implicit-def: $vgpr3
	s_and_saveexec_b64 s[18:19], vcc
	s_xor_b64 s[18:19], exec, s[18:19]
; %bb.88:
	v_bfe_u32 v3, v2, 20, 1
	s_mov_b32 s20, 0x407ffff
	v_add3_u32 v3, v2, v3, s20
	v_lshrrev_b32_e32 v4, 20, v3
	v_and_b32_e32 v3, 0xff00000, v3
	s_mov_b32 s20, 0x7f00000
	v_mov_b32_e32 v5, 0x7e
	v_cmp_ne_u32_e32 vcc, s20, v3
	v_cndmask_b32_e32 v3, v5, v4, vcc
; %bb.89:
	s_andn2_saveexec_b64 s[18:19], s[18:19]
; %bb.90:
	s_mov_b32 s20, 0x46800000
	v_add_f32_e64 v3, |v2|, s20
; %bb.91:
	s_or_b64 exec, exec, s[18:19]
                                        ; implicit-def: $vgpr4
.LBB151_92:
	s_andn2_saveexec_b64 s[14:15], s[14:15]
; %bb.93:
	s_mov_b32 s18, 0x7f800000
	v_mov_b32_e32 v3, 0x7e
	v_mov_b32_e32 v5, 0x7f
	v_cmp_lt_u32_e32 vcc, s18, v4
	v_cndmask_b32_e32 v3, v3, v5, vcc
; %bb.94:
	s_or_b64 exec, exec, s[14:15]
	v_lshrrev_b32_e32 v4, 24, v2
	s_movk_i32 s14, 0x80
	v_and_or_b32 v3, v4, s14, v3
	global_store_byte v[0:1], v3, off
.LBB151_95:
	s_mov_b64 s[14:15], 0
.LBB151_96:
	s_andn2_b64 vcc, exec, s[14:15]
	s_cbranch_vccnz .LBB151_106
; %bb.97:
	v_and_b32_e32 v4, 0x7fffffff, v2
	s_mov_b32 s14, 0x47800000
	v_cmp_gt_u32_e32 vcc, s14, v4
                                        ; implicit-def: $vgpr3
	s_and_saveexec_b64 s[14:15], vcc
	s_xor_b64 s[14:15], exec, s[14:15]
	s_cbranch_execz .LBB151_103
; %bb.98:
	s_mov_b32 s18, 0x387fffff
	v_cmp_lt_u32_e32 vcc, s18, v4
                                        ; implicit-def: $vgpr3
	s_and_saveexec_b64 s[18:19], vcc
	s_xor_b64 s[18:19], exec, s[18:19]
; %bb.99:
	v_bfe_u32 v3, v2, 21, 1
	s_mov_b32 s20, 0x80fffff
	v_add3_u32 v3, v2, v3, s20
	v_lshrrev_b32_e32 v3, 21, v3
; %bb.100:
	s_andn2_saveexec_b64 s[18:19], s[18:19]
; %bb.101:
	s_mov_b32 s20, 0x43000000
	v_add_f32_e64 v3, |v2|, s20
; %bb.102:
	s_or_b64 exec, exec, s[18:19]
                                        ; implicit-def: $vgpr4
.LBB151_103:
	s_andn2_saveexec_b64 s[14:15], s[14:15]
; %bb.104:
	s_mov_b32 s18, 0x7f800000
	v_mov_b32_e32 v3, 0x7c
	v_mov_b32_e32 v5, 0x7f
	v_cmp_lt_u32_e32 vcc, s18, v4
	v_cndmask_b32_e32 v3, v3, v5, vcc
; %bb.105:
	s_or_b64 exec, exec, s[14:15]
	v_lshrrev_b32_e32 v4, 24, v2
	s_movk_i32 s14, 0x80
	v_and_or_b32 v3, v4, s14, v3
	global_store_byte v[0:1], v3, off
.LBB151_106:
	s_mov_b64 s[18:19], 0
	s_mov_b64 s[14:15], -1
.LBB151_107:
	s_andn2_b64 vcc, exec, s[18:19]
	s_cbranch_vccnz .LBB151_115
; %bb.108:
	s_cmp_gt_i32 s22, 14
	s_mov_b64 s[18:19], -1
	s_cbranch_scc0 .LBB151_112
; %bb.109:
	s_cmp_eq_u32 s22, 15
	s_mov_b64 s[2:3], -1
	s_cbranch_scc0 .LBB151_111
; %bb.110:
	v_bfe_u32 v3, v2, 16, 1
	s_movk_i32 s2, 0x7fff
	v_add3_u32 v3, v2, v3, s2
	v_cmp_o_f32_e32 vcc, v2, v2
	v_mov_b32_e32 v4, 0x7fc0
	v_cndmask_b32_sdwa v3, v4, v3, vcc dst_sel:DWORD dst_unused:UNUSED_PAD src0_sel:DWORD src1_sel:WORD_1
	global_store_short v[0:1], v3, off
	s_mov_b64 s[14:15], -1
	s_mov_b64 s[2:3], 0
.LBB151_111:
	s_mov_b64 s[18:19], 0
.LBB151_112:
	s_and_b64 vcc, exec, s[18:19]
	s_cbranch_vccz .LBB151_115
; %bb.113:
	s_cmp_eq_u32 s22, 11
	s_mov_b64 s[2:3], -1
	s_cbranch_scc0 .LBB151_115
; %bb.114:
	v_cmp_neq_f32_e32 vcc, 0, v2
	v_cndmask_b32_e64 v3, 0, 1, vcc
	s_mov_b64 s[14:15], -1
	s_mov_b64 s[2:3], 0
	global_store_byte v[0:1], v3, off
.LBB151_115:
	s_branch .LBB151_34
.LBB151_116:
	s_and_b32 s12, 0xffff, s12
	s_cmp_lt_i32 s12, 5
	s_mov_b64 s[14:15], -1
	s_cbranch_scc1 .LBB151_137
; %bb.117:
	s_cmp_lt_i32 s12, 8
	s_cbranch_scc1 .LBB151_127
; %bb.118:
	s_cmp_lt_i32 s12, 9
	s_cbranch_scc1 .LBB151_124
; %bb.119:
	s_cmp_gt_i32 s12, 9
	s_cbranch_scc0 .LBB151_121
; %bb.120:
	v_cvt_f64_f32_e32 v[3:4], v2
	v_mov_b32_e32 v5, 0
	v_mov_b32_e32 v6, v5
	s_mov_b64 s[14:15], 0
	global_store_dwordx4 v[0:1], v[3:6], off
.LBB151_121:
	s_andn2_b64 vcc, exec, s[14:15]
	s_cbranch_vccnz .LBB151_123
; %bb.122:
	v_mov_b32_e32 v3, 0
	global_store_dwordx2 v[0:1], v[2:3], off
.LBB151_123:
	s_mov_b64 s[14:15], 0
.LBB151_124:
	s_andn2_b64 vcc, exec, s[14:15]
	s_cbranch_vccnz .LBB151_126
; %bb.125:
	v_cvt_f16_f32_e32 v3, v2
	global_store_dword v[0:1], v3, off
.LBB151_126:
	s_mov_b64 s[14:15], 0
.LBB151_127:
	s_andn2_b64 vcc, exec, s[14:15]
	s_cbranch_vccnz .LBB151_136
; %bb.128:
	s_cmp_lt_i32 s12, 6
	s_mov_b64 s[14:15], -1
	s_cbranch_scc1 .LBB151_134
; %bb.129:
	s_cmp_gt_i32 s12, 6
	s_cbranch_scc0 .LBB151_131
; %bb.130:
	v_cvt_f64_f32_e32 v[3:4], v2
	s_mov_b64 s[14:15], 0
	global_store_dwordx2 v[0:1], v[3:4], off
.LBB151_131:
	s_andn2_b64 vcc, exec, s[14:15]
	s_cbranch_vccnz .LBB151_133
; %bb.132:
	global_store_dword v[0:1], v2, off
.LBB151_133:
	s_mov_b64 s[14:15], 0
.LBB151_134:
	s_andn2_b64 vcc, exec, s[14:15]
	s_cbranch_vccnz .LBB151_136
; %bb.135:
	v_cvt_f16_f32_e32 v3, v2
	global_store_short v[0:1], v3, off
.LBB151_136:
	s_mov_b64 s[14:15], 0
.LBB151_137:
	s_andn2_b64 vcc, exec, s[14:15]
	s_cbranch_vccnz .LBB151_153
; %bb.138:
	s_cmp_lt_i32 s12, 2
	s_mov_b64 s[14:15], -1
	s_cbranch_scc1 .LBB151_148
; %bb.139:
	s_cmp_lt_i32 s12, 3
	s_cbranch_scc1 .LBB151_145
; %bb.140:
	s_cmp_gt_i32 s12, 3
	s_cbranch_scc0 .LBB151_142
; %bb.141:
	v_trunc_f32_e32 v3, v2
	s_mov_b32 s14, 0x2f800000
	v_mul_f32_e64 v4, |v3|, s14
	v_floor_f32_e32 v4, v4
	s_mov_b32 s14, 0xcf800000
	v_cvt_u32_f32_e32 v5, v4
	v_fma_f32 v4, v4, s14, |v3|
	v_cvt_u32_f32_e32 v4, v4
	v_ashrrev_i32_e32 v6, 31, v3
	v_xor_b32_e32 v5, v5, v6
	s_mov_b64 s[14:15], 0
	v_xor_b32_e32 v3, v4, v6
	v_sub_co_u32_e32 v3, vcc, v3, v6
	v_subb_co_u32_e32 v4, vcc, v5, v6, vcc
	global_store_dwordx2 v[0:1], v[3:4], off
.LBB151_142:
	s_andn2_b64 vcc, exec, s[14:15]
	s_cbranch_vccnz .LBB151_144
; %bb.143:
	v_cvt_i32_f32_e32 v3, v2
	global_store_dword v[0:1], v3, off
.LBB151_144:
	s_mov_b64 s[14:15], 0
.LBB151_145:
	s_andn2_b64 vcc, exec, s[14:15]
	s_cbranch_vccnz .LBB151_147
; %bb.146:
	v_cvt_i32_f32_e32 v3, v2
	global_store_short v[0:1], v3, off
.LBB151_147:
	s_mov_b64 s[14:15], 0
.LBB151_148:
	s_andn2_b64 vcc, exec, s[14:15]
	s_cbranch_vccnz .LBB151_153
; %bb.149:
	s_cmp_gt_i32 s12, 0
	s_mov_b64 s[14:15], -1
	s_cbranch_scc0 .LBB151_151
; %bb.150:
	v_cvt_i32_f32_e32 v3, v2
	s_mov_b64 s[14:15], 0
	global_store_byte v[0:1], v3, off
.LBB151_151:
	s_andn2_b64 vcc, exec, s[14:15]
	s_cbranch_vccnz .LBB151_153
; %bb.152:
	v_trunc_f32_e32 v2, v2
	s_mov_b32 s12, 0x2f800000
	v_mul_f32_e64 v3, |v2|, s12
	v_floor_f32_e32 v3, v3
	s_mov_b32 s12, 0xcf800000
	v_fma_f32 v3, v3, s12, |v2|
	v_cvt_u32_f32_e32 v3, v3
	v_ashrrev_i32_e32 v2, 31, v2
	v_xor_b32_e32 v3, v3, v2
	v_sub_u32_e32 v2, v3, v2
	global_store_byte v[0:1], v2, off
.LBB151_153:
.LBB151_154:
	v_add_u32_e32 v8, 0x80, v8
	s_mov_b64 s[18:19], -1
	s_branch .LBB151_265
.LBB151_155:
	s_mov_b64 s[16:17], -1
                                        ; implicit-def: $vgpr3
.LBB151_156:
	s_mov_b64 s[14:15], 0
.LBB151_157:
	s_and_b64 vcc, exec, s[14:15]
	s_cbranch_vccz .LBB151_161
; %bb.158:
	s_cmp_eq_u32 s12, 29
	s_cbranch_scc0 .LBB151_160
; %bb.159:
	global_load_dwordx2 v[3:4], v[1:2], off
	s_mov_b64 s[2:3], -1
	s_mov_b64 s[16:17], 0
	s_mov_b64 s[14:15], 0
	s_waitcnt vmcnt(0)
	v_ffbh_u32_e32 v5, v4
	v_min_u32_e32 v5, 32, v5
	v_lshlrev_b64 v[3:4], v5, v[3:4]
	v_min_u32_e32 v3, 1, v3
	v_or_b32_e32 v3, v4, v3
	v_cvt_f32_u32_e32 v3, v3
	v_sub_u32_e32 v4, 32, v5
	v_ldexp_f32 v3, v3, v4
	s_branch .LBB151_162
.LBB151_160:
	s_mov_b64 s[16:17], -1
                                        ; implicit-def: $vgpr3
.LBB151_161:
	s_mov_b64 s[14:15], 0
.LBB151_162:
	s_and_b64 vcc, exec, s[14:15]
	s_cbranch_vccz .LBB151_180
; %bb.163:
	s_cmp_lt_i32 s12, 27
	s_cbranch_scc1 .LBB151_166
; %bb.164:
	s_cmp_gt_i32 s12, 27
	s_cbranch_scc0 .LBB151_167
; %bb.165:
	global_load_dword v3, v[1:2], off
	s_mov_b64 s[2:3], 0
	s_waitcnt vmcnt(0)
	v_cvt_f32_u32_e32 v3, v3
	s_branch .LBB151_168
.LBB151_166:
	s_mov_b64 s[2:3], -1
                                        ; implicit-def: $vgpr3
	s_branch .LBB151_171
.LBB151_167:
	s_mov_b64 s[2:3], -1
                                        ; implicit-def: $vgpr3
.LBB151_168:
	s_andn2_b64 vcc, exec, s[2:3]
	s_cbranch_vccnz .LBB151_170
; %bb.169:
	global_load_ushort v3, v[1:2], off
	s_waitcnt vmcnt(0)
	v_cvt_f32_u32_e32 v3, v3
.LBB151_170:
	s_mov_b64 s[2:3], 0
.LBB151_171:
	s_andn2_b64 vcc, exec, s[2:3]
	s_cbranch_vccnz .LBB151_179
; %bb.172:
	global_load_ubyte v4, v[1:2], off
	s_movk_i32 s2, 0x7f
	s_waitcnt vmcnt(0)
	v_cmp_lt_i16_e32 vcc, s2, v4
	s_mov_b64 s[2:3], 0
	s_and_saveexec_b64 s[14:15], vcc
	s_xor_b64 s[14:15], exec, s[14:15]
	s_cbranch_execz .LBB151_192
; %bb.173:
	s_movk_i32 s2, 0x80
	v_cmp_eq_u16_e32 vcc, s2, v4
	s_mov_b64 s[2:3], -1
	s_and_saveexec_b64 s[18:19], vcc
; %bb.174:
	s_xor_b64 s[2:3], exec, -1
; %bb.175:
	s_or_b64 exec, exec, s[18:19]
	s_and_b64 s[2:3], s[2:3], exec
	s_or_saveexec_b64 s[14:15], s[14:15]
	v_mov_b32_e32 v3, 0x7f800001
	s_xor_b64 exec, exec, s[14:15]
	s_cbranch_execnz .LBB151_193
.LBB151_176:
	s_or_b64 exec, exec, s[14:15]
	s_and_saveexec_b64 s[14:15], s[2:3]
	s_cbranch_execz .LBB151_178
.LBB151_177:
	v_lshlrev_b32_e32 v3, 24, v4
	v_and_b32_e32 v4, 0xffff, v4
	v_and_b32_e32 v5, 7, v4
	v_ffbh_u32_e32 v7, v5
	v_min_u32_e32 v7, 32, v7
	v_subrev_u32_e32 v9, 28, v7
	v_bfe_u32 v6, v4, 3, 4
	v_lshlrev_b32_e32 v4, v9, v4
	v_sub_u32_e32 v7, 29, v7
	v_and_b32_e32 v4, 7, v4
	v_cmp_eq_u32_e32 vcc, 0, v6
	v_cndmask_b32_e32 v6, v6, v7, vcc
	v_cndmask_b32_e32 v4, v5, v4, vcc
	v_mov_b32_e32 v5, 0x3b800000
	v_lshlrev_b32_e32 v4, 20, v4
	v_and_b32_e32 v3, 0x80000000, v3
	v_lshl_add_u32 v5, v6, 23, v5
	v_or3_b32 v3, v3, v5, v4
.LBB151_178:
	s_or_b64 exec, exec, s[14:15]
.LBB151_179:
	s_mov_b64 s[2:3], -1
.LBB151_180:
	s_branch .LBB151_215
.LBB151_181:
	s_cmp_gt_i32 s12, 22
	s_cbranch_scc0 .LBB151_191
; %bb.182:
	s_cmp_lt_i32 s12, 24
	s_cbranch_scc1 .LBB151_194
; %bb.183:
	s_cmp_gt_i32 s12, 24
	s_cbranch_scc0 .LBB151_195
; %bb.184:
	global_load_ubyte v4, v[1:2], off
	s_movk_i32 s2, 0x7f
	s_waitcnt vmcnt(0)
	v_cmp_lt_i16_e32 vcc, s2, v4
	s_mov_b64 s[2:3], 0
	s_and_saveexec_b64 s[14:15], vcc
	s_xor_b64 s[14:15], exec, s[14:15]
	s_cbranch_execz .LBB151_207
; %bb.185:
	s_movk_i32 s2, 0x80
	v_cmp_eq_u16_e32 vcc, s2, v4
	s_mov_b64 s[2:3], -1
	s_and_saveexec_b64 s[18:19], vcc
; %bb.186:
	s_xor_b64 s[2:3], exec, -1
; %bb.187:
	s_or_b64 exec, exec, s[18:19]
	s_and_b64 s[2:3], s[2:3], exec
	s_or_saveexec_b64 s[14:15], s[14:15]
	v_mov_b32_e32 v3, 0x7f800001
	s_xor_b64 exec, exec, s[14:15]
	s_cbranch_execnz .LBB151_208
.LBB151_188:
	s_or_b64 exec, exec, s[14:15]
	s_and_saveexec_b64 s[14:15], s[2:3]
	s_cbranch_execz .LBB151_190
.LBB151_189:
	v_lshlrev_b32_e32 v3, 24, v4
	v_and_b32_e32 v4, 0xffff, v4
	v_and_b32_e32 v5, 3, v4
	v_ffbh_u32_e32 v7, v5
	v_min_u32_e32 v7, 32, v7
	v_subrev_u32_e32 v9, 29, v7
	v_bfe_u32 v6, v4, 2, 5
	v_lshlrev_b32_e32 v4, v9, v4
	v_sub_u32_e32 v7, 30, v7
	v_and_b32_e32 v4, 3, v4
	v_cmp_eq_u32_e32 vcc, 0, v6
	v_cndmask_b32_e32 v6, v6, v7, vcc
	v_cndmask_b32_e32 v4, v5, v4, vcc
	v_mov_b32_e32 v5, 0x37800000
	v_lshlrev_b32_e32 v4, 21, v4
	v_and_b32_e32 v3, 0x80000000, v3
	v_lshl_add_u32 v5, v6, 23, v5
	v_or3_b32 v3, v3, v5, v4
.LBB151_190:
	s_or_b64 exec, exec, s[14:15]
	s_mov_b64 s[2:3], 0
	s_branch .LBB151_196
.LBB151_191:
	s_mov_b64 s[14:15], -1
                                        ; implicit-def: $vgpr3
	s_branch .LBB151_202
.LBB151_192:
	s_or_saveexec_b64 s[14:15], s[14:15]
	v_mov_b32_e32 v3, 0x7f800001
	s_xor_b64 exec, exec, s[14:15]
	s_cbranch_execz .LBB151_176
.LBB151_193:
	v_cmp_ne_u16_e32 vcc, 0, v4
	s_andn2_b64 s[2:3], s[2:3], exec
	s_and_b64 s[18:19], vcc, exec
	v_mov_b32_e32 v3, 0
	s_or_b64 s[2:3], s[2:3], s[18:19]
	s_or_b64 exec, exec, s[14:15]
	s_and_saveexec_b64 s[14:15], s[2:3]
	s_cbranch_execnz .LBB151_177
	s_branch .LBB151_178
.LBB151_194:
	s_mov_b64 s[2:3], -1
                                        ; implicit-def: $vgpr3
	s_branch .LBB151_199
.LBB151_195:
	s_mov_b64 s[2:3], -1
                                        ; implicit-def: $vgpr3
.LBB151_196:
	s_and_b64 vcc, exec, s[2:3]
	s_cbranch_vccz .LBB151_198
; %bb.197:
	global_load_ubyte v3, v[1:2], off
	s_mov_b32 s2, 0x7f800000
	s_waitcnt vmcnt(0)
	v_lshlrev_b32_e32 v3, 24, v3
	v_and_b32_e32 v4, 0x7f000000, v3
	v_ffbh_u32_e32 v5, v4
	v_min_u32_e32 v5, 32, v5
	v_sub_u32_e64 v5, v5, 4 clamp
	v_lshlrev_b32_e32 v7, v5, v4
	v_lshlrev_b32_e32 v5, 23, v5
	v_lshrrev_b32_e32 v7, 4, v7
	v_add_u32_e32 v6, 0x1000000, v4
	v_sub_u32_e32 v5, v7, v5
	v_ashrrev_i32_e32 v6, 8, v6
	v_add_u32_e32 v5, 0x3c000000, v5
	v_and_or_b32 v5, v6, s2, v5
	v_cmp_ne_u32_e32 vcc, 0, v4
	v_cndmask_b32_e32 v4, 0, v5, vcc
	s_brev_b32 s2, 1
	v_and_or_b32 v3, v3, s2, v4
.LBB151_198:
	s_mov_b64 s[2:3], 0
.LBB151_199:
	s_andn2_b64 vcc, exec, s[2:3]
	s_cbranch_vccnz .LBB151_201
; %bb.200:
	global_load_ubyte v3, v[1:2], off
	s_movk_i32 s2, 0x7f00
	s_brev_b32 s3, 16
	s_waitcnt vmcnt(0)
	v_lshlrev_b16_e32 v4, 8, v3
	v_lshlrev_b32_e32 v3, 25, v3
	v_lshrrev_b32_e32 v5, 4, v3
	v_and_or_b32 v6, v4, s2, 0.5
	v_or_b32_e32 v5, 0x70000000, v5
	v_add_f32_e32 v6, -0.5, v6
	v_mul_f32_e32 v5, 0x7800000, v5
	v_cmp_gt_u32_e32 vcc, s3, v3
	v_bfe_i32 v4, v4, 0, 16
	v_cndmask_b32_e32 v3, v5, v6, vcc
	s_brev_b32 s2, 1
	v_and_or_b32 v3, v4, s2, v3
.LBB151_201:
	s_mov_b64 s[14:15], 0
	s_mov_b64 s[2:3], -1
.LBB151_202:
	s_andn2_b64 vcc, exec, s[14:15]
	s_cbranch_vccnz .LBB151_215
; %bb.203:
	s_cmp_gt_i32 s12, 14
	s_cbranch_scc0 .LBB151_206
; %bb.204:
	s_cmp_eq_u32 s12, 15
	s_cbranch_scc0 .LBB151_209
; %bb.205:
	global_load_ushort v3, v[1:2], off
	s_mov_b64 s[2:3], -1
	s_mov_b64 s[16:17], 0
	s_waitcnt vmcnt(0)
	v_lshlrev_b32_e32 v3, 16, v3
	s_branch .LBB151_210
.LBB151_206:
	s_mov_b64 s[14:15], -1
                                        ; implicit-def: $vgpr3
	s_branch .LBB151_211
.LBB151_207:
	s_or_saveexec_b64 s[14:15], s[14:15]
	v_mov_b32_e32 v3, 0x7f800001
	s_xor_b64 exec, exec, s[14:15]
	s_cbranch_execz .LBB151_188
.LBB151_208:
	v_cmp_ne_u16_e32 vcc, 0, v4
	s_andn2_b64 s[2:3], s[2:3], exec
	s_and_b64 s[18:19], vcc, exec
	v_mov_b32_e32 v3, 0
	s_or_b64 s[2:3], s[2:3], s[18:19]
	s_or_b64 exec, exec, s[14:15]
	s_and_saveexec_b64 s[14:15], s[2:3]
	s_cbranch_execnz .LBB151_189
	s_branch .LBB151_190
.LBB151_209:
	s_mov_b64 s[16:17], -1
                                        ; implicit-def: $vgpr3
.LBB151_210:
	s_mov_b64 s[14:15], 0
.LBB151_211:
	s_and_b64 vcc, exec, s[14:15]
	s_cbranch_vccz .LBB151_215
; %bb.212:
	s_cmp_eq_u32 s12, 11
	s_cbranch_scc0 .LBB151_214
; %bb.213:
	global_load_ubyte v3, v[1:2], off
	s_mov_b64 s[2:3], -1
	s_mov_b64 s[16:17], 0
	s_waitcnt vmcnt(0)
	v_cmp_ne_u16_e32 vcc, 0, v3
	v_cndmask_b32_e64 v3, 0, 1.0, vcc
	s_branch .LBB151_215
.LBB151_214:
	s_mov_b64 s[16:17], -1
                                        ; implicit-def: $vgpr3
.LBB151_215:
	s_branch .LBB151_24
.LBB151_216:
	s_cmp_lt_i32 s12, 5
	s_cbranch_scc1 .LBB151_221
; %bb.217:
	s_cmp_lt_i32 s12, 8
	s_cbranch_scc1 .LBB151_222
; %bb.218:
	;; [unrolled: 3-line block ×3, first 2 shown]
	s_cmp_gt_i32 s12, 9
	s_cbranch_scc0 .LBB151_224
; %bb.220:
	global_load_dwordx2 v[3:4], v[1:2], off
	s_mov_b64 s[2:3], 0
	s_waitcnt vmcnt(0)
	v_cvt_f32_f64_e32 v3, v[3:4]
	s_branch .LBB151_225
.LBB151_221:
                                        ; implicit-def: $vgpr3
	s_branch .LBB151_243
.LBB151_222:
	s_mov_b64 s[2:3], -1
                                        ; implicit-def: $vgpr3
	s_branch .LBB151_231
.LBB151_223:
	s_mov_b64 s[2:3], -1
                                        ; implicit-def: $vgpr3
	s_branch .LBB151_228
.LBB151_224:
	s_mov_b64 s[2:3], -1
                                        ; implicit-def: $vgpr3
.LBB151_225:
	s_andn2_b64 vcc, exec, s[2:3]
	s_cbranch_vccnz .LBB151_227
; %bb.226:
	global_load_dword v3, v[1:2], off
.LBB151_227:
	s_mov_b64 s[2:3], 0
.LBB151_228:
	s_andn2_b64 vcc, exec, s[2:3]
	s_cbranch_vccnz .LBB151_230
; %bb.229:
	global_load_dword v3, v[1:2], off
	s_waitcnt vmcnt(0)
	v_cvt_f32_f16_e32 v3, v3
.LBB151_230:
	s_mov_b64 s[2:3], 0
.LBB151_231:
	s_andn2_b64 vcc, exec, s[2:3]
	s_cbranch_vccnz .LBB151_242
; %bb.232:
	s_cmp_lt_i32 s12, 6
	s_cbranch_scc1 .LBB151_235
; %bb.233:
	s_cmp_gt_i32 s12, 6
	s_cbranch_scc0 .LBB151_236
; %bb.234:
	global_load_dwordx2 v[3:4], v[1:2], off
	s_mov_b64 s[2:3], 0
	s_waitcnt vmcnt(0)
	v_cvt_f32_f64_e32 v3, v[3:4]
	s_branch .LBB151_237
.LBB151_235:
	s_mov_b64 s[2:3], -1
                                        ; implicit-def: $vgpr3
	s_branch .LBB151_240
.LBB151_236:
	s_mov_b64 s[2:3], -1
                                        ; implicit-def: $vgpr3
.LBB151_237:
	s_andn2_b64 vcc, exec, s[2:3]
	s_cbranch_vccnz .LBB151_239
; %bb.238:
	global_load_dword v3, v[1:2], off
.LBB151_239:
	s_mov_b64 s[2:3], 0
.LBB151_240:
	s_andn2_b64 vcc, exec, s[2:3]
	s_cbranch_vccnz .LBB151_242
; %bb.241:
	global_load_ushort v3, v[1:2], off
	s_waitcnt vmcnt(0)
	v_cvt_f32_f16_e32 v3, v3
.LBB151_242:
	s_cbranch_execnz .LBB151_262
.LBB151_243:
	s_cmp_lt_i32 s12, 2
	s_cbranch_scc1 .LBB151_247
; %bb.244:
	s_cmp_lt_i32 s12, 3
	s_cbranch_scc1 .LBB151_248
; %bb.245:
	s_cmp_gt_i32 s12, 3
	s_cbranch_scc0 .LBB151_249
; %bb.246:
	global_load_dwordx2 v[3:4], v[1:2], off
	s_mov_b64 s[2:3], 0
	s_waitcnt vmcnt(0)
	v_xor_b32_e32 v6, v3, v4
	v_ffbh_i32_e32 v5, v4
	v_ashrrev_i32_e32 v6, 31, v6
	v_add_u32_e32 v5, -1, v5
	v_add_u32_e32 v6, 32, v6
	v_min_u32_e32 v5, v5, v6
	v_lshlrev_b64 v[3:4], v5, v[3:4]
	v_min_u32_e32 v3, 1, v3
	v_or_b32_e32 v3, v4, v3
	v_cvt_f32_i32_e32 v3, v3
	v_sub_u32_e32 v4, 32, v5
	v_ldexp_f32 v3, v3, v4
	s_branch .LBB151_250
.LBB151_247:
	s_mov_b64 s[2:3], -1
                                        ; implicit-def: $vgpr3
	s_branch .LBB151_256
.LBB151_248:
	s_mov_b64 s[2:3], -1
                                        ; implicit-def: $vgpr3
	s_branch .LBB151_253
.LBB151_249:
	s_mov_b64 s[2:3], -1
                                        ; implicit-def: $vgpr3
.LBB151_250:
	s_andn2_b64 vcc, exec, s[2:3]
	s_cbranch_vccnz .LBB151_252
; %bb.251:
	global_load_dword v3, v[1:2], off
	s_waitcnt vmcnt(0)
	v_cvt_f32_i32_e32 v3, v3
.LBB151_252:
	s_mov_b64 s[2:3], 0
.LBB151_253:
	s_andn2_b64 vcc, exec, s[2:3]
	s_cbranch_vccnz .LBB151_255
; %bb.254:
	global_load_sshort v3, v[1:2], off
	s_waitcnt vmcnt(0)
	v_cvt_f32_i32_e32 v3, v3
.LBB151_255:
	s_mov_b64 s[2:3], 0
.LBB151_256:
	s_andn2_b64 vcc, exec, s[2:3]
	s_cbranch_vccnz .LBB151_262
; %bb.257:
	s_cmp_gt_i32 s12, 0
	s_cbranch_scc0 .LBB151_259
; %bb.258:
	global_load_sbyte v3, v[1:2], off
	s_mov_b64 s[2:3], 0
	s_waitcnt vmcnt(0)
	v_cvt_f32_i32_e32 v3, v3
	s_branch .LBB151_260
.LBB151_259:
	s_mov_b64 s[2:3], -1
                                        ; implicit-def: $vgpr3
.LBB151_260:
	s_andn2_b64 vcc, exec, s[2:3]
	s_cbranch_vccnz .LBB151_262
; %bb.261:
	global_load_ubyte v1, v[1:2], off
	s_waitcnt vmcnt(0)
	v_cvt_f32_ubyte0_e32 v3, v1
.LBB151_262:
	s_branch .LBB151_25
.LBB151_263:
	s_mov_b64 s[2:3], 0
.LBB151_264:
	s_mov_b64 s[18:19], 0
                                        ; implicit-def: $vgpr8
.LBB151_265:
	s_and_b64 s[14:15], s[2:3], exec
	s_and_b64 s[60:61], s[16:17], exec
	s_orn2_b64 s[2:3], s[18:19], exec
.LBB151_266:
	s_or_b64 exec, exec, s[62:63]
	s_mov_b64 s[18:19], 0
	s_mov_b64 s[16:17], 0
                                        ; implicit-def: $vgpr1_vgpr2
                                        ; implicit-def: $vgpr0
                                        ; implicit-def: $vgpr4
	s_and_saveexec_b64 s[62:63], s[2:3]
	s_cbranch_execz .LBB151_273
; %bb.267:
	v_cmp_gt_i32_e32 vcc, s74, v8
	s_mov_b64 s[2:3], -1
	s_mov_b64 s[64:65], s[60:61]
	s_mov_b64 s[66:67], s[14:15]
	s_and_saveexec_b64 s[68:69], vcc
	s_cbranch_execz .LBB151_542
; %bb.268:
	s_andn2_b64 vcc, exec, s[48:49]
	s_cbranch_vccnz .LBB151_276
; %bb.269:
	s_andn2_b64 vcc, exec, s[58:59]
	s_cbranch_vccnz .LBB151_277
; %bb.270:
	s_add_i32 s66, s79, 1
	s_cmp_eq_u32 s76, 2
	s_cbranch_scc1 .LBB151_278
; %bb.271:
	s_and_b32 s12, s66, 28
	v_mov_b32_e32 v2, 0
	s_mov_b32 s67, 0
	s_mov_b64 s[2:3], s[34:35]
	s_mov_b64 s[64:65], s[56:57]
	v_mov_b32_e32 v0, 0
	v_mov_b32_e32 v1, v8
.LBB151_272:                            ; =>This Inner Loop Header: Depth=1
	s_load_dwordx8 s[24:31], s[2:3], 0x4
	s_load_dwordx4 s[44:47], s[2:3], 0x24
	s_load_dwordx8 s[16:23], s[64:65], 0x0
	s_add_u32 s2, s2, 48
	s_addc_u32 s3, s3, 0
	s_waitcnt vmcnt(0) lgkmcnt(0)
	v_mul_hi_u32 v3, s25, v1
	s_add_i32 s67, s67, 4
	s_add_u32 s64, s64, 32
	s_addc_u32 s65, s65, 0
	v_add_u32_e32 v3, v1, v3
	v_lshrrev_b32_e32 v3, s26, v3
	v_mul_lo_u32 v4, v3, s24
	v_mul_hi_u32 v5, s28, v3
	s_cmp_eq_u32 s12, s67
	v_sub_u32_e32 v1, v1, v4
	v_add_u32_e32 v4, v3, v5
	v_mul_lo_u32 v5, v1, s16
	v_mul_lo_u32 v6, v1, s17
	v_lshrrev_b32_e32 v1, s29, v4
	v_mul_lo_u32 v4, v1, s27
	v_mul_hi_u32 v7, s31, v1
	v_sub_u32_e32 v3, v3, v4
	v_add_u32_e32 v4, v1, v7
	v_lshrrev_b32_e32 v4, s44, v4
	v_mul_hi_u32 v9, s46, v4
	v_mul_lo_u32 v10, v4, s30
	v_mul_lo_u32 v7, v3, s18
	;; [unrolled: 1-line block ×3, first 2 shown]
	v_sub_u32_e32 v10, v1, v10
	v_add_u32_e32 v1, v4, v9
	v_lshrrev_b32_e32 v1, s47, v1
	v_mul_lo_u32 v9, v1, s45
	v_mul_lo_u32 v11, v10, s20
	;; [unrolled: 1-line block ×3, first 2 shown]
	v_add3_u32 v0, v5, v0, v7
	v_sub_u32_e32 v4, v4, v9
	v_mul_lo_u32 v9, v4, s22
	v_mul_lo_u32 v4, v4, s23
	v_add3_u32 v2, v6, v2, v3
	v_add3_u32 v0, v11, v0, v9
	v_add3_u32 v2, v10, v2, v4
	s_cbranch_scc0 .LBB151_272
	s_branch .LBB151_279
.LBB151_273:
	s_or_b64 exec, exec, s[62:63]
	s_mov_b64 s[2:3], 0
	s_and_saveexec_b64 s[10:11], s[60:61]
	s_cbranch_execnz .LBB151_918
.LBB151_274:
	s_or_b64 exec, exec, s[10:11]
	s_and_saveexec_b64 s[10:11], s[66:67]
	s_xor_b64 s[10:11], exec, s[10:11]
	s_cbranch_execz .LBB151_919
.LBB151_275:
	global_load_ubyte v3, v[1:2], off
	s_or_b64 s[16:17], s[16:17], exec
	s_waitcnt vmcnt(0)
	v_cmp_ne_u16_e32 vcc, 0, v3
	v_cndmask_b32_e64 v4, 0, 1.0, vcc
	s_or_b64 exec, exec, s[10:11]
	s_and_saveexec_b64 s[10:11], s[18:19]
	s_cbranch_execz .LBB151_965
	s_branch .LBB151_920
.LBB151_276:
                                        ; implicit-def: $vgpr0
                                        ; implicit-def: $vgpr2
	s_andn2_b64 vcc, exec, s[2:3]
	s_cbranch_vccz .LBB151_283
	s_branch .LBB151_285
.LBB151_277:
	v_mov_b32_e32 v0, 0
	v_mov_b32_e32 v2, 0
	s_branch .LBB151_282
.LBB151_278:
	s_mov_b32 s12, 0
	v_mov_b32_e32 v0, 0
	v_mov_b32_e32 v2, 0
	;; [unrolled: 1-line block ×3, first 2 shown]
.LBB151_279:
	s_and_b32 s18, s66, 3
	s_cmp_eq_u32 s18, 0
	s_cbranch_scc1 .LBB151_282
; %bb.280:
	s_lshl_b32 s2, s12, 3
	s_add_u32 s2, s34, s2
	s_addc_u32 s3, s35, 0
	s_add_u32 s2, s2, 0xc4
	s_addc_u32 s3, s3, 0
	s_mul_i32 s12, s12, 12
	s_add_u32 s16, s34, s12
	s_addc_u32 s17, s35, 0
.LBB151_281:                            ; =>This Inner Loop Header: Depth=1
	s_load_dwordx2 s[20:21], s[16:17], 0x4
	s_load_dword s12, s[16:17], 0xc
	s_load_dwordx2 s[22:23], s[2:3], 0x0
	s_add_u32 s16, s16, 12
	s_addc_u32 s17, s17, 0
	s_waitcnt vmcnt(0) lgkmcnt(0)
	v_mul_hi_u32 v3, s21, v1
	s_add_u32 s2, s2, 8
	s_addc_u32 s3, s3, 0
	s_add_i32 s18, s18, -1
	v_add_u32_e32 v3, v1, v3
	v_lshrrev_b32_e32 v4, s12, v3
	v_mul_lo_u32 v3, v4, s20
	s_cmp_lg_u32 s18, 0
	v_sub_u32_e32 v3, v1, v3
	v_mad_u64_u32 v[0:1], s[20:21], v3, s22, v[0:1]
	v_mad_u64_u32 v[2:3], s[20:21], v3, s23, v[2:3]
	v_mov_b32_e32 v1, v4
	s_cbranch_scc1 .LBB151_281
.LBB151_282:
	s_cbranch_execnz .LBB151_285
.LBB151_283:
	v_mul_hi_u32 v0, s37, v8
	s_andn2_b64 vcc, exec, s[54:55]
	v_add_u32_e32 v0, v8, v0
	v_lshrrev_b32_e32 v1, s38, v0
	v_mul_lo_u32 v0, v1, s36
	v_sub_u32_e32 v2, v8, v0
	v_mul_lo_u32 v0, v2, s40
	v_mul_lo_u32 v2, v2, s41
	s_cbranch_vccnz .LBB151_285
; %bb.284:
	s_waitcnt vmcnt(0)
	v_mul_hi_u32 v3, s52, v1
	v_add_u32_e32 v3, v1, v3
	v_lshrrev_b32_e32 v3, s53, v3
	v_mul_lo_u32 v3, v3, s39
	v_sub_u32_e32 v3, v1, v3
	v_mad_u64_u32 v[0:1], s[2:3], v3, s42, v[0:1]
	v_mad_u64_u32 v[2:3], s[2:3], v3, s43, v[2:3]
.LBB151_285:
	s_waitcnt vmcnt(0)
	v_mov_b32_e32 v3, s11
	s_and_b32 s12, 0xffff, s78
	v_add_co_u32_e32 v1, vcc, s10, v2
	s_cmp_lt_i32 s12, 11
	v_addc_co_u32_e32 v2, vcc, 0, v3, vcc
	s_cbranch_scc1 .LBB151_292
; %bb.286:
	s_cmp_gt_i32 s12, 25
	s_cbranch_scc0 .LBB151_301
; %bb.287:
	s_cmp_gt_i32 s12, 28
	s_cbranch_scc0 .LBB151_303
	;; [unrolled: 3-line block ×4, first 2 shown]
; %bb.290:
	s_cmp_eq_u32 s12, 46
	s_mov_b64 s[18:19], 0
	s_cbranch_scc0 .LBB151_313
; %bb.291:
	global_load_dword v3, v[1:2], off
	s_mov_b64 s[2:3], -1
	s_mov_b64 s[16:17], 0
	s_waitcnt vmcnt(0)
	v_lshlrev_b32_e32 v3, 16, v3
	s_branch .LBB151_314
.LBB151_292:
	s_mov_b64 s[2:3], 0
                                        ; implicit-def: $vgpr3
	s_mov_b64 s[16:17], s[60:61]
	s_cbranch_execnz .LBB151_491
.LBB151_293:
	s_andn2_b64 vcc, exec, s[2:3]
	s_cbranch_vccnz .LBB151_539
.LBB151_294:
	v_mov_b32_e32 v1, s13
	s_waitcnt vmcnt(0)
	v_cndmask_b32_e64 v2, v1, v3, s[0:1]
	v_mov_b32_e32 v1, s9
	s_and_b32 s12, s77, 0xff
	v_add_co_u32_e32 v0, vcc, s8, v0
	s_cmp_lt_i32 s12, 11
	v_addc_co_u32_e32 v1, vcc, 0, v1, vcc
	s_cbranch_scc1 .LBB151_302
; %bb.295:
	s_and_b32 s24, 0xffff, s12
	s_cmp_gt_i32 s24, 25
	s_cbranch_scc0 .LBB151_304
; %bb.296:
	s_cmp_gt_i32 s24, 28
	s_cbranch_scc0 .LBB151_306
; %bb.297:
	;; [unrolled: 3-line block ×4, first 2 shown]
	s_mov_b64 s[20:21], 0
	s_mov_b64 s[2:3], -1
	s_cmp_eq_u32 s24, 46
	s_mov_b64 s[18:19], 0
	s_cbranch_scc0 .LBB151_318
; %bb.300:
	v_bfe_u32 v3, v2, 16, 1
	s_movk_i32 s2, 0x7fff
	v_add3_u32 v3, v2, v3, s2
	v_cmp_o_f32_e32 vcc, v2, v2
	v_mov_b32_e32 v4, 0x7fc0
	v_cndmask_b32_sdwa v3, v4, v3, vcc dst_sel:DWORD dst_unused:UNUSED_PAD src0_sel:DWORD src1_sel:WORD_1
	global_store_dword v[0:1], v3, off
	s_mov_b64 s[18:19], -1
	s_mov_b64 s[2:3], 0
	s_branch .LBB151_318
.LBB151_301:
	s_mov_b64 s[18:19], -1
	s_mov_b64 s[2:3], 0
	s_mov_b64 s[16:17], s[60:61]
                                        ; implicit-def: $vgpr3
	s_branch .LBB151_455
.LBB151_302:
	s_mov_b64 s[20:21], -1
	s_mov_b64 s[18:19], 0
	s_mov_b64 s[2:3], s[14:15]
	s_branch .LBB151_387
.LBB151_303:
	s_mov_b64 s[18:19], -1
	s_mov_b64 s[2:3], 0
	s_mov_b64 s[16:17], s[60:61]
                                        ; implicit-def: $vgpr3
	s_branch .LBB151_436
.LBB151_304:
	s_mov_b64 s[20:21], -1
	s_mov_b64 s[18:19], 0
	s_mov_b64 s[2:3], s[14:15]
	s_branch .LBB151_345
.LBB151_305:
	s_mov_b64 s[18:19], -1
	s_mov_b64 s[2:3], 0
	s_mov_b64 s[16:17], s[60:61]
                                        ; implicit-def: $vgpr3
	s_branch .LBB151_431
.LBB151_306:
	s_mov_b64 s[20:21], -1
	s_mov_b64 s[18:19], 0
	s_mov_b64 s[2:3], s[14:15]
	s_branch .LBB151_328
.LBB151_307:
	s_andn2_saveexec_b64 s[20:21], s[20:21]
	s_cbranch_execz .LBB151_68
.LBB151_308:
	s_mov_b32 s23, 0x46000000
	v_add_f32_e64 v3, |v2|, s23
	v_and_b32_e32 v3, 0xff, v3
	v_cmp_ne_u32_e32 vcc, 0, v3
	s_andn2_b64 s[18:19], s[18:19], exec
	s_and_b64 s[24:25], vcc, exec
	s_or_b64 s[18:19], s[18:19], s[24:25]
	s_or_b64 exec, exec, s[20:21]
	v_mov_b32_e32 v4, 0
	s_and_saveexec_b64 s[20:21], s[18:19]
	s_cbranch_execnz .LBB151_69
	s_branch .LBB151_70
.LBB151_309:
	s_mov_b64 s[18:19], -1
	s_mov_b64 s[2:3], 0
	s_mov_b64 s[16:17], s[60:61]
                                        ; implicit-def: $vgpr3
	s_branch .LBB151_314
.LBB151_310:
	s_mov_b64 s[20:21], -1
	s_mov_b64 s[18:19], 0
	s_mov_b64 s[2:3], s[14:15]
	s_branch .LBB151_324
.LBB151_311:
	s_andn2_saveexec_b64 s[20:21], s[20:21]
	s_cbranch_execz .LBB151_81
.LBB151_312:
	s_mov_b32 s23, 0x42800000
	v_add_f32_e64 v3, |v2|, s23
	v_and_b32_e32 v3, 0xff, v3
	v_cmp_ne_u32_e32 vcc, 0, v3
	s_andn2_b64 s[18:19], s[18:19], exec
	s_and_b64 s[24:25], vcc, exec
	s_or_b64 s[18:19], s[18:19], s[24:25]
	s_or_b64 exec, exec, s[20:21]
	v_mov_b32_e32 v4, 0
	s_and_saveexec_b64 s[20:21], s[18:19]
	s_cbranch_execnz .LBB151_82
	s_branch .LBB151_83
.LBB151_313:
	s_mov_b64 s[16:17], -1
                                        ; implicit-def: $vgpr3
	s_mov_b64 s[2:3], 0
.LBB151_314:
	s_and_b64 vcc, exec, s[18:19]
	s_cbranch_vccz .LBB151_430
; %bb.315:
	s_cmp_eq_u32 s12, 44
	s_cbranch_scc0 .LBB151_429
; %bb.316:
	global_load_ubyte v3, v[1:2], off
	s_movk_i32 s16, 0xff
	v_mov_b32_e32 v4, 0x7f800001
	v_mov_b32_e32 v5, 0x400000
	s_mov_b64 s[2:3], -1
	s_waitcnt vmcnt(0)
	v_lshlrev_b32_e32 v6, 23, v3
	v_cmp_ne_u32_e32 vcc, s16, v3
	v_cndmask_b32_e32 v4, v4, v6, vcc
	v_cmp_ne_u32_e32 vcc, 0, v3
	v_cndmask_b32_e32 v3, v5, v4, vcc
	s_mov_b64 s[16:17], 0
	s_branch .LBB151_430
.LBB151_317:
	s_mov_b64 s[20:21], -1
	s_mov_b64 s[18:19], 0
	s_mov_b64 s[2:3], s[14:15]
.LBB151_318:
	s_and_b64 vcc, exec, s[20:21]
	s_cbranch_vccz .LBB151_323
; %bb.319:
	s_cmp_eq_u32 s24, 44
	s_mov_b64 s[2:3], -1
	s_cbranch_scc0 .LBB151_323
; %bb.320:
	v_bfe_u32 v3, v2, 23, 8
	s_movk_i32 s2, 0xff
	v_cmp_ne_u32_e32 vcc, s2, v3
	v_mov_b32_e32 v4, 0xff
	s_and_saveexec_b64 s[18:19], vcc
; %bb.321:
	s_mov_b32 s2, 0x3fffff
	v_and_b32_e32 v5, 0x400000, v2
	v_and_or_b32 v3, v2, s2, v3
	v_cmp_ne_u32_e32 vcc, 0, v5
	v_cmp_ne_u32_e64 s[2:3], 0, v3
	s_and_b64 s[2:3], vcc, s[2:3]
	v_lshrrev_b32_e32 v4, 23, v2
	v_cndmask_b32_e64 v3, 0, 1, s[2:3]
	v_add_u32_e32 v4, v4, v3
; %bb.322:
	s_or_b64 exec, exec, s[18:19]
	s_mov_b64 s[18:19], -1
	s_mov_b64 s[2:3], 0
	global_store_byte v[0:1], v4, off
.LBB151_323:
	s_mov_b64 s[20:21], 0
.LBB151_324:
	s_and_b64 vcc, exec, s[20:21]
	s_cbranch_vccz .LBB151_327
; %bb.325:
	s_cmp_eq_u32 s24, 29
	s_mov_b64 s[2:3], -1
	s_cbranch_scc0 .LBB151_327
; %bb.326:
	v_trunc_f32_e32 v3, v2
	v_mul_f32_e32 v4, 0x2f800000, v3
	v_floor_f32_e32 v5, v4
	v_fmac_f32_e32 v3, 0xcf800000, v5
	v_cvt_u32_f32_e32 v4, v5
	v_cvt_u32_f32_e32 v3, v3
	s_mov_b64 s[18:19], -1
	s_mov_b64 s[2:3], 0
	s_mov_b64 s[20:21], 0
	global_store_dwordx2 v[0:1], v[3:4], off
	s_branch .LBB151_328
.LBB151_327:
	s_mov_b64 s[20:21], 0
.LBB151_328:
	s_and_b64 vcc, exec, s[20:21]
	s_cbranch_vccz .LBB151_344
; %bb.329:
	s_cmp_lt_i32 s24, 27
	s_mov_b64 s[18:19], -1
	s_cbranch_scc1 .LBB151_335
; %bb.330:
	v_cvt_u32_f32_e32 v3, v2
	s_cmp_gt_i32 s24, 27
	s_cbranch_scc0 .LBB151_332
; %bb.331:
	s_mov_b64 s[18:19], 0
	global_store_dword v[0:1], v3, off
.LBB151_332:
	s_andn2_b64 vcc, exec, s[18:19]
	s_cbranch_vccnz .LBB151_334
; %bb.333:
	global_store_short v[0:1], v3, off
.LBB151_334:
	s_mov_b64 s[18:19], 0
.LBB151_335:
	s_andn2_b64 vcc, exec, s[18:19]
	s_cbranch_vccnz .LBB151_343
; %bb.336:
	v_and_b32_e32 v3, 0x7fffffff, v2
	s_mov_b32 s18, 0x43800000
	v_cmp_gt_u32_e32 vcc, s18, v3
	v_mov_b32_e32 v4, 0x80
	s_and_saveexec_b64 s[18:19], vcc
	s_cbranch_execz .LBB151_342
; %bb.337:
	s_mov_b32 s20, 0x3bffffff
	v_cmp_lt_u32_e32 vcc, s20, v3
	s_mov_b64 s[20:21], 0
                                        ; implicit-def: $vgpr3
	s_and_saveexec_b64 s[22:23], vcc
	s_xor_b64 s[22:23], exec, s[22:23]
	s_cbranch_execz .LBB151_570
; %bb.338:
	v_bfe_u32 v3, v2, 20, 1
	s_mov_b32 s25, 0x487ffff
	v_add3_u32 v3, v2, v3, s25
	s_mov_b64 s[20:21], exec
	v_lshrrev_b32_e32 v3, 20, v3
	s_andn2_saveexec_b64 s[22:23], s[22:23]
	s_cbranch_execnz .LBB151_571
.LBB151_339:
	s_or_b64 exec, exec, s[22:23]
	v_mov_b32_e32 v4, 0
	s_and_saveexec_b64 s[22:23], s[20:21]
.LBB151_340:
	v_lshrrev_b32_e32 v4, 24, v2
	s_movk_i32 s20, 0x80
	v_and_or_b32 v4, v4, s20, v3
.LBB151_341:
	s_or_b64 exec, exec, s[22:23]
.LBB151_342:
	s_or_b64 exec, exec, s[18:19]
	global_store_byte v[0:1], v4, off
.LBB151_343:
	s_mov_b64 s[18:19], -1
.LBB151_344:
	s_mov_b64 s[20:21], 0
.LBB151_345:
	s_and_b64 vcc, exec, s[20:21]
	s_cbranch_vccz .LBB151_386
; %bb.346:
	s_cmp_gt_i32 s24, 22
	s_mov_b64 s[20:21], -1
	s_cbranch_scc0 .LBB151_378
; %bb.347:
	s_cmp_lt_i32 s24, 24
	s_mov_b64 s[18:19], -1
	s_cbranch_scc1 .LBB151_367
; %bb.348:
	s_cmp_gt_i32 s24, 24
	s_cbranch_scc0 .LBB151_356
; %bb.349:
	v_and_b32_e32 v3, 0x7fffffff, v2
	s_mov_b32 s18, 0x47800000
	v_cmp_gt_u32_e32 vcc, s18, v3
	v_mov_b32_e32 v4, 0x80
	s_and_saveexec_b64 s[18:19], vcc
	s_cbranch_execz .LBB151_355
; %bb.350:
	s_mov_b32 s20, 0x37ffffff
	v_cmp_lt_u32_e32 vcc, s20, v3
	s_mov_b64 s[20:21], 0
                                        ; implicit-def: $vgpr3
	s_and_saveexec_b64 s[22:23], vcc
	s_xor_b64 s[22:23], exec, s[22:23]
	s_cbranch_execz .LBB151_573
; %bb.351:
	v_bfe_u32 v3, v2, 21, 1
	s_mov_b32 s25, 0x88fffff
	v_add3_u32 v3, v2, v3, s25
	s_mov_b64 s[20:21], exec
	v_lshrrev_b32_e32 v3, 21, v3
	s_andn2_saveexec_b64 s[22:23], s[22:23]
	s_cbranch_execnz .LBB151_574
.LBB151_352:
	s_or_b64 exec, exec, s[22:23]
	v_mov_b32_e32 v4, 0
	s_and_saveexec_b64 s[22:23], s[20:21]
.LBB151_353:
	v_lshrrev_b32_e32 v4, 24, v2
	s_movk_i32 s20, 0x80
	v_and_or_b32 v4, v4, s20, v3
.LBB151_354:
	s_or_b64 exec, exec, s[22:23]
.LBB151_355:
	s_or_b64 exec, exec, s[18:19]
	s_mov_b64 s[18:19], 0
	global_store_byte v[0:1], v4, off
.LBB151_356:
	s_and_b64 vcc, exec, s[18:19]
	s_cbranch_vccz .LBB151_366
; %bb.357:
	v_and_b32_e32 v4, 0x7fffffff, v2
	s_mov_b32 s18, 0x43f00000
	v_cmp_gt_u32_e32 vcc, s18, v4
                                        ; implicit-def: $vgpr3
	s_and_saveexec_b64 s[18:19], vcc
	s_xor_b64 s[18:19], exec, s[18:19]
	s_cbranch_execz .LBB151_363
; %bb.358:
	s_mov_b32 s20, 0x3c7fffff
	v_cmp_lt_u32_e32 vcc, s20, v4
                                        ; implicit-def: $vgpr3
	s_and_saveexec_b64 s[20:21], vcc
	s_xor_b64 s[20:21], exec, s[20:21]
; %bb.359:
	v_bfe_u32 v3, v2, 20, 1
	s_mov_b32 s22, 0x407ffff
	v_add3_u32 v3, v2, v3, s22
	v_lshrrev_b32_e32 v4, 20, v3
	v_and_b32_e32 v3, 0xff00000, v3
	s_mov_b32 s22, 0x7f00000
	v_mov_b32_e32 v5, 0x7e
	v_cmp_ne_u32_e32 vcc, s22, v3
	v_cndmask_b32_e32 v3, v5, v4, vcc
; %bb.360:
	s_andn2_saveexec_b64 s[20:21], s[20:21]
; %bb.361:
	s_mov_b32 s22, 0x46800000
	v_add_f32_e64 v3, |v2|, s22
; %bb.362:
	s_or_b64 exec, exec, s[20:21]
                                        ; implicit-def: $vgpr4
.LBB151_363:
	s_andn2_saveexec_b64 s[18:19], s[18:19]
; %bb.364:
	s_mov_b32 s20, 0x7f800000
	v_mov_b32_e32 v3, 0x7e
	v_mov_b32_e32 v5, 0x7f
	v_cmp_lt_u32_e32 vcc, s20, v4
	v_cndmask_b32_e32 v3, v3, v5, vcc
; %bb.365:
	s_or_b64 exec, exec, s[18:19]
	v_lshrrev_b32_e32 v4, 24, v2
	s_movk_i32 s18, 0x80
	v_and_or_b32 v3, v4, s18, v3
	global_store_byte v[0:1], v3, off
.LBB151_366:
	s_mov_b64 s[18:19], 0
.LBB151_367:
	s_andn2_b64 vcc, exec, s[18:19]
	s_cbranch_vccnz .LBB151_377
; %bb.368:
	v_and_b32_e32 v4, 0x7fffffff, v2
	s_mov_b32 s18, 0x47800000
	v_cmp_gt_u32_e32 vcc, s18, v4
                                        ; implicit-def: $vgpr3
	s_and_saveexec_b64 s[18:19], vcc
	s_xor_b64 s[18:19], exec, s[18:19]
	s_cbranch_execz .LBB151_374
; %bb.369:
	s_mov_b32 s20, 0x387fffff
	v_cmp_lt_u32_e32 vcc, s20, v4
                                        ; implicit-def: $vgpr3
	s_and_saveexec_b64 s[20:21], vcc
	s_xor_b64 s[20:21], exec, s[20:21]
; %bb.370:
	v_bfe_u32 v3, v2, 21, 1
	s_mov_b32 s22, 0x80fffff
	v_add3_u32 v3, v2, v3, s22
	v_lshrrev_b32_e32 v3, 21, v3
; %bb.371:
	s_andn2_saveexec_b64 s[20:21], s[20:21]
; %bb.372:
	s_mov_b32 s22, 0x43000000
	v_add_f32_e64 v3, |v2|, s22
; %bb.373:
	s_or_b64 exec, exec, s[20:21]
                                        ; implicit-def: $vgpr4
.LBB151_374:
	s_andn2_saveexec_b64 s[18:19], s[18:19]
; %bb.375:
	s_mov_b32 s20, 0x7f800000
	v_mov_b32_e32 v3, 0x7c
	v_mov_b32_e32 v5, 0x7f
	v_cmp_lt_u32_e32 vcc, s20, v4
	v_cndmask_b32_e32 v3, v3, v5, vcc
; %bb.376:
	s_or_b64 exec, exec, s[18:19]
	v_lshrrev_b32_e32 v4, 24, v2
	s_movk_i32 s18, 0x80
	v_and_or_b32 v3, v4, s18, v3
	global_store_byte v[0:1], v3, off
.LBB151_377:
	s_mov_b64 s[20:21], 0
	s_mov_b64 s[18:19], -1
.LBB151_378:
	s_andn2_b64 vcc, exec, s[20:21]
	s_cbranch_vccnz .LBB151_386
; %bb.379:
	s_cmp_gt_i32 s24, 14
	s_mov_b64 s[20:21], -1
	s_cbranch_scc0 .LBB151_383
; %bb.380:
	s_cmp_eq_u32 s24, 15
	s_mov_b64 s[2:3], -1
	s_cbranch_scc0 .LBB151_382
; %bb.381:
	v_bfe_u32 v3, v2, 16, 1
	s_movk_i32 s2, 0x7fff
	v_add3_u32 v3, v2, v3, s2
	v_cmp_o_f32_e32 vcc, v2, v2
	v_mov_b32_e32 v4, 0x7fc0
	v_cndmask_b32_sdwa v3, v4, v3, vcc dst_sel:DWORD dst_unused:UNUSED_PAD src0_sel:DWORD src1_sel:WORD_1
	global_store_short v[0:1], v3, off
	s_mov_b64 s[18:19], -1
	s_mov_b64 s[2:3], 0
.LBB151_382:
	s_mov_b64 s[20:21], 0
.LBB151_383:
	s_and_b64 vcc, exec, s[20:21]
	s_cbranch_vccz .LBB151_386
; %bb.384:
	s_cmp_eq_u32 s24, 11
	s_mov_b64 s[2:3], -1
	s_cbranch_scc0 .LBB151_386
; %bb.385:
	v_cmp_neq_f32_e32 vcc, 0, v2
	v_cndmask_b32_e64 v3, 0, 1, vcc
	s_mov_b64 s[18:19], -1
	s_mov_b64 s[2:3], 0
	global_store_byte v[0:1], v3, off
.LBB151_386:
	s_mov_b64 s[20:21], 0
.LBB151_387:
	s_and_b64 vcc, exec, s[20:21]
	s_cbranch_vccz .LBB151_426
; %bb.388:
	s_and_b32 s12, 0xffff, s12
	s_cmp_lt_i32 s12, 5
	s_mov_b64 s[18:19], -1
	s_cbranch_scc1 .LBB151_409
; %bb.389:
	s_cmp_lt_i32 s12, 8
	s_cbranch_scc1 .LBB151_399
; %bb.390:
	s_cmp_lt_i32 s12, 9
	s_cbranch_scc1 .LBB151_396
; %bb.391:
	s_cmp_gt_i32 s12, 9
	s_cbranch_scc0 .LBB151_393
; %bb.392:
	v_cvt_f64_f32_e32 v[3:4], v2
	v_mov_b32_e32 v5, 0
	v_mov_b32_e32 v6, v5
	s_mov_b64 s[18:19], 0
	global_store_dwordx4 v[0:1], v[3:6], off
.LBB151_393:
	s_andn2_b64 vcc, exec, s[18:19]
	s_cbranch_vccnz .LBB151_395
; %bb.394:
	v_mov_b32_e32 v3, 0
	global_store_dwordx2 v[0:1], v[2:3], off
.LBB151_395:
	s_mov_b64 s[18:19], 0
.LBB151_396:
	s_andn2_b64 vcc, exec, s[18:19]
	s_cbranch_vccnz .LBB151_398
; %bb.397:
	v_cvt_f16_f32_e32 v3, v2
	global_store_dword v[0:1], v3, off
.LBB151_398:
	s_mov_b64 s[18:19], 0
.LBB151_399:
	s_andn2_b64 vcc, exec, s[18:19]
	s_cbranch_vccnz .LBB151_408
; %bb.400:
	s_cmp_lt_i32 s12, 6
	s_mov_b64 s[18:19], -1
	s_cbranch_scc1 .LBB151_406
; %bb.401:
	s_cmp_gt_i32 s12, 6
	s_cbranch_scc0 .LBB151_403
; %bb.402:
	v_cvt_f64_f32_e32 v[3:4], v2
	s_mov_b64 s[18:19], 0
	global_store_dwordx2 v[0:1], v[3:4], off
.LBB151_403:
	s_andn2_b64 vcc, exec, s[18:19]
	s_cbranch_vccnz .LBB151_405
; %bb.404:
	global_store_dword v[0:1], v2, off
.LBB151_405:
	s_mov_b64 s[18:19], 0
.LBB151_406:
	s_andn2_b64 vcc, exec, s[18:19]
	s_cbranch_vccnz .LBB151_408
; %bb.407:
	v_cvt_f16_f32_e32 v3, v2
	global_store_short v[0:1], v3, off
.LBB151_408:
	s_mov_b64 s[18:19], 0
.LBB151_409:
	s_andn2_b64 vcc, exec, s[18:19]
	s_cbranch_vccnz .LBB151_425
; %bb.410:
	s_cmp_lt_i32 s12, 2
	s_mov_b64 s[18:19], -1
	s_cbranch_scc1 .LBB151_420
; %bb.411:
	s_cmp_lt_i32 s12, 3
	s_cbranch_scc1 .LBB151_417
; %bb.412:
	s_cmp_gt_i32 s12, 3
	s_cbranch_scc0 .LBB151_414
; %bb.413:
	v_trunc_f32_e32 v3, v2
	s_mov_b32 s18, 0x2f800000
	v_mul_f32_e64 v4, |v3|, s18
	v_floor_f32_e32 v4, v4
	s_mov_b32 s18, 0xcf800000
	v_cvt_u32_f32_e32 v5, v4
	v_fma_f32 v4, v4, s18, |v3|
	v_cvt_u32_f32_e32 v4, v4
	v_ashrrev_i32_e32 v6, 31, v3
	v_xor_b32_e32 v5, v5, v6
	s_mov_b64 s[18:19], 0
	v_xor_b32_e32 v3, v4, v6
	v_sub_co_u32_e32 v3, vcc, v3, v6
	v_subb_co_u32_e32 v4, vcc, v5, v6, vcc
	global_store_dwordx2 v[0:1], v[3:4], off
.LBB151_414:
	s_andn2_b64 vcc, exec, s[18:19]
	s_cbranch_vccnz .LBB151_416
; %bb.415:
	v_cvt_i32_f32_e32 v3, v2
	global_store_dword v[0:1], v3, off
.LBB151_416:
	s_mov_b64 s[18:19], 0
.LBB151_417:
	s_andn2_b64 vcc, exec, s[18:19]
	s_cbranch_vccnz .LBB151_419
; %bb.418:
	v_cvt_i32_f32_e32 v3, v2
	global_store_short v[0:1], v3, off
.LBB151_419:
	s_mov_b64 s[18:19], 0
.LBB151_420:
	s_andn2_b64 vcc, exec, s[18:19]
	s_cbranch_vccnz .LBB151_425
; %bb.421:
	s_cmp_gt_i32 s12, 0
	s_mov_b64 s[18:19], -1
	s_cbranch_scc0 .LBB151_423
; %bb.422:
	v_cvt_i32_f32_e32 v3, v2
	s_mov_b64 s[18:19], 0
	global_store_byte v[0:1], v3, off
.LBB151_423:
	s_andn2_b64 vcc, exec, s[18:19]
	s_cbranch_vccnz .LBB151_425
; %bb.424:
	v_trunc_f32_e32 v2, v2
	s_mov_b32 s12, 0x2f800000
	v_mul_f32_e64 v3, |v2|, s12
	v_floor_f32_e32 v3, v3
	s_mov_b32 s12, 0xcf800000
	v_fma_f32 v3, v3, s12, |v2|
	v_cvt_u32_f32_e32 v3, v3
	v_ashrrev_i32_e32 v2, 31, v2
	v_xor_b32_e32 v3, v3, v2
	v_sub_u32_e32 v2, v3, v2
	global_store_byte v[0:1], v2, off
.LBB151_425:
	s_mov_b64 s[18:19], -1
.LBB151_426:
	s_andn2_b64 vcc, exec, s[18:19]
	s_cbranch_vccnz .LBB151_428
; %bb.427:
	v_add_u32_e32 v8, 0x80, v8
	s_mov_b64 s[18:19], -1
	s_branch .LBB151_541
.LBB151_428:
	s_mov_b64 s[18:19], 0
	s_branch .LBB151_540
.LBB151_429:
	s_mov_b64 s[16:17], -1
                                        ; implicit-def: $vgpr3
.LBB151_430:
	s_mov_b64 s[18:19], 0
.LBB151_431:
	s_and_b64 vcc, exec, s[18:19]
	s_cbranch_vccz .LBB151_435
; %bb.432:
	s_cmp_eq_u32 s12, 29
	s_cbranch_scc0 .LBB151_434
; %bb.433:
	global_load_dwordx2 v[3:4], v[1:2], off
	s_mov_b64 s[2:3], -1
	s_mov_b64 s[16:17], 0
	s_mov_b64 s[18:19], 0
	s_waitcnt vmcnt(0)
	v_ffbh_u32_e32 v5, v4
	v_min_u32_e32 v5, 32, v5
	v_lshlrev_b64 v[3:4], v5, v[3:4]
	v_min_u32_e32 v3, 1, v3
	v_or_b32_e32 v3, v4, v3
	v_cvt_f32_u32_e32 v3, v3
	v_sub_u32_e32 v4, 32, v5
	v_ldexp_f32 v3, v3, v4
	s_branch .LBB151_436
.LBB151_434:
	s_mov_b64 s[16:17], -1
                                        ; implicit-def: $vgpr3
.LBB151_435:
	s_mov_b64 s[18:19], 0
.LBB151_436:
	s_and_b64 vcc, exec, s[18:19]
	s_cbranch_vccz .LBB151_454
; %bb.437:
	s_cmp_lt_i32 s12, 27
	s_cbranch_scc1 .LBB151_440
; %bb.438:
	s_cmp_gt_i32 s12, 27
	s_cbranch_scc0 .LBB151_441
; %bb.439:
	global_load_dword v3, v[1:2], off
	s_mov_b64 s[2:3], 0
	s_waitcnt vmcnt(0)
	v_cvt_f32_u32_e32 v3, v3
	s_branch .LBB151_442
.LBB151_440:
	s_mov_b64 s[2:3], -1
                                        ; implicit-def: $vgpr3
	s_branch .LBB151_445
.LBB151_441:
	s_mov_b64 s[2:3], -1
                                        ; implicit-def: $vgpr3
.LBB151_442:
	s_andn2_b64 vcc, exec, s[2:3]
	s_cbranch_vccnz .LBB151_444
; %bb.443:
	global_load_ushort v3, v[1:2], off
	s_waitcnt vmcnt(0)
	v_cvt_f32_u32_e32 v3, v3
.LBB151_444:
	s_mov_b64 s[2:3], 0
.LBB151_445:
	s_andn2_b64 vcc, exec, s[2:3]
	s_cbranch_vccnz .LBB151_453
; %bb.446:
	global_load_ubyte v4, v[1:2], off
	s_movk_i32 s2, 0x7f
	s_waitcnt vmcnt(0)
	v_cmp_lt_i16_e32 vcc, s2, v4
	s_mov_b64 s[2:3], 0
	s_and_saveexec_b64 s[18:19], vcc
	s_xor_b64 s[18:19], exec, s[18:19]
	s_cbranch_execz .LBB151_467
; %bb.447:
	s_movk_i32 s2, 0x80
	v_cmp_eq_u16_e32 vcc, s2, v4
	s_mov_b64 s[2:3], -1
	s_and_saveexec_b64 s[20:21], vcc
; %bb.448:
	s_xor_b64 s[2:3], exec, -1
; %bb.449:
	s_or_b64 exec, exec, s[20:21]
	s_and_b64 s[2:3], s[2:3], exec
	s_or_saveexec_b64 s[18:19], s[18:19]
	v_mov_b32_e32 v3, 0x7f800001
	s_xor_b64 exec, exec, s[18:19]
	s_cbranch_execnz .LBB151_468
.LBB151_450:
	s_or_b64 exec, exec, s[18:19]
	s_and_saveexec_b64 s[18:19], s[2:3]
	s_cbranch_execz .LBB151_452
.LBB151_451:
	v_lshlrev_b32_e32 v3, 24, v4
	v_and_b32_e32 v4, 0xffff, v4
	v_and_b32_e32 v5, 7, v4
	v_ffbh_u32_e32 v7, v5
	v_min_u32_e32 v7, 32, v7
	v_subrev_u32_e32 v9, 28, v7
	v_bfe_u32 v6, v4, 3, 4
	v_lshlrev_b32_e32 v4, v9, v4
	v_sub_u32_e32 v7, 29, v7
	v_and_b32_e32 v4, 7, v4
	v_cmp_eq_u32_e32 vcc, 0, v6
	v_cndmask_b32_e32 v6, v6, v7, vcc
	v_cndmask_b32_e32 v4, v5, v4, vcc
	v_mov_b32_e32 v5, 0x3b800000
	v_lshlrev_b32_e32 v4, 20, v4
	v_and_b32_e32 v3, 0x80000000, v3
	v_lshl_add_u32 v5, v6, 23, v5
	v_or3_b32 v3, v3, v5, v4
.LBB151_452:
	s_or_b64 exec, exec, s[18:19]
.LBB151_453:
	s_mov_b64 s[2:3], -1
.LBB151_454:
	s_mov_b64 s[18:19], 0
.LBB151_455:
	s_and_b64 vcc, exec, s[18:19]
	s_cbranch_vccz .LBB151_490
; %bb.456:
	s_cmp_gt_i32 s12, 22
	s_cbranch_scc0 .LBB151_466
; %bb.457:
	s_cmp_lt_i32 s12, 24
	s_cbranch_scc1 .LBB151_469
; %bb.458:
	s_cmp_gt_i32 s12, 24
	s_cbranch_scc0 .LBB151_470
; %bb.459:
	global_load_ubyte v4, v[1:2], off
	s_movk_i32 s2, 0x7f
	s_waitcnt vmcnt(0)
	v_cmp_lt_i16_e32 vcc, s2, v4
	s_mov_b64 s[2:3], 0
	s_and_saveexec_b64 s[18:19], vcc
	s_xor_b64 s[18:19], exec, s[18:19]
	s_cbranch_execz .LBB151_482
; %bb.460:
	s_movk_i32 s2, 0x80
	v_cmp_eq_u16_e32 vcc, s2, v4
	s_mov_b64 s[2:3], -1
	s_and_saveexec_b64 s[20:21], vcc
; %bb.461:
	s_xor_b64 s[2:3], exec, -1
; %bb.462:
	s_or_b64 exec, exec, s[20:21]
	s_and_b64 s[2:3], s[2:3], exec
	s_or_saveexec_b64 s[18:19], s[18:19]
	v_mov_b32_e32 v3, 0x7f800001
	s_xor_b64 exec, exec, s[18:19]
	s_cbranch_execnz .LBB151_483
.LBB151_463:
	s_or_b64 exec, exec, s[18:19]
	s_and_saveexec_b64 s[18:19], s[2:3]
	s_cbranch_execz .LBB151_465
.LBB151_464:
	v_lshlrev_b32_e32 v3, 24, v4
	v_and_b32_e32 v4, 0xffff, v4
	v_and_b32_e32 v5, 3, v4
	v_ffbh_u32_e32 v7, v5
	v_min_u32_e32 v7, 32, v7
	v_subrev_u32_e32 v9, 29, v7
	v_bfe_u32 v6, v4, 2, 5
	v_lshlrev_b32_e32 v4, v9, v4
	v_sub_u32_e32 v7, 30, v7
	v_and_b32_e32 v4, 3, v4
	v_cmp_eq_u32_e32 vcc, 0, v6
	v_cndmask_b32_e32 v6, v6, v7, vcc
	v_cndmask_b32_e32 v4, v5, v4, vcc
	v_mov_b32_e32 v5, 0x37800000
	v_lshlrev_b32_e32 v4, 21, v4
	v_and_b32_e32 v3, 0x80000000, v3
	v_lshl_add_u32 v5, v6, 23, v5
	v_or3_b32 v3, v3, v5, v4
.LBB151_465:
	s_or_b64 exec, exec, s[18:19]
	s_mov_b64 s[2:3], 0
	s_branch .LBB151_471
.LBB151_466:
	s_mov_b64 s[18:19], -1
                                        ; implicit-def: $vgpr3
	s_branch .LBB151_477
.LBB151_467:
	s_or_saveexec_b64 s[18:19], s[18:19]
	v_mov_b32_e32 v3, 0x7f800001
	s_xor_b64 exec, exec, s[18:19]
	s_cbranch_execz .LBB151_450
.LBB151_468:
	v_cmp_ne_u16_e32 vcc, 0, v4
	s_andn2_b64 s[2:3], s[2:3], exec
	s_and_b64 s[20:21], vcc, exec
	v_mov_b32_e32 v3, 0
	s_or_b64 s[2:3], s[2:3], s[20:21]
	s_or_b64 exec, exec, s[18:19]
	s_and_saveexec_b64 s[18:19], s[2:3]
	s_cbranch_execnz .LBB151_451
	s_branch .LBB151_452
.LBB151_469:
	s_mov_b64 s[2:3], -1
                                        ; implicit-def: $vgpr3
	s_branch .LBB151_474
.LBB151_470:
	s_mov_b64 s[2:3], -1
                                        ; implicit-def: $vgpr3
.LBB151_471:
	s_and_b64 vcc, exec, s[2:3]
	s_cbranch_vccz .LBB151_473
; %bb.472:
	global_load_ubyte v3, v[1:2], off
	s_mov_b32 s2, 0x7f800000
	s_waitcnt vmcnt(0)
	v_lshlrev_b32_e32 v3, 24, v3
	v_and_b32_e32 v4, 0x7f000000, v3
	v_ffbh_u32_e32 v5, v4
	v_min_u32_e32 v5, 32, v5
	v_sub_u32_e64 v5, v5, 4 clamp
	v_lshlrev_b32_e32 v7, v5, v4
	v_lshlrev_b32_e32 v5, 23, v5
	v_lshrrev_b32_e32 v7, 4, v7
	v_add_u32_e32 v6, 0x1000000, v4
	v_sub_u32_e32 v5, v7, v5
	v_ashrrev_i32_e32 v6, 8, v6
	v_add_u32_e32 v5, 0x3c000000, v5
	v_and_or_b32 v5, v6, s2, v5
	v_cmp_ne_u32_e32 vcc, 0, v4
	v_cndmask_b32_e32 v4, 0, v5, vcc
	s_brev_b32 s2, 1
	v_and_or_b32 v3, v3, s2, v4
.LBB151_473:
	s_mov_b64 s[2:3], 0
.LBB151_474:
	s_andn2_b64 vcc, exec, s[2:3]
	s_cbranch_vccnz .LBB151_476
; %bb.475:
	global_load_ubyte v3, v[1:2], off
	s_movk_i32 s2, 0x7f00
	s_brev_b32 s3, 16
	s_waitcnt vmcnt(0)
	v_lshlrev_b16_e32 v4, 8, v3
	v_lshlrev_b32_e32 v3, 25, v3
	v_lshrrev_b32_e32 v5, 4, v3
	v_and_or_b32 v6, v4, s2, 0.5
	v_or_b32_e32 v5, 0x70000000, v5
	v_add_f32_e32 v6, -0.5, v6
	v_mul_f32_e32 v5, 0x7800000, v5
	v_cmp_gt_u32_e32 vcc, s3, v3
	v_bfe_i32 v4, v4, 0, 16
	v_cndmask_b32_e32 v3, v5, v6, vcc
	s_brev_b32 s2, 1
	v_and_or_b32 v3, v4, s2, v3
.LBB151_476:
	s_mov_b64 s[18:19], 0
	s_mov_b64 s[2:3], -1
.LBB151_477:
	s_andn2_b64 vcc, exec, s[18:19]
	s_cbranch_vccnz .LBB151_490
; %bb.478:
	s_cmp_gt_i32 s12, 14
	s_cbranch_scc0 .LBB151_481
; %bb.479:
	s_cmp_eq_u32 s12, 15
	s_cbranch_scc0 .LBB151_484
; %bb.480:
	global_load_ushort v3, v[1:2], off
	s_mov_b64 s[2:3], -1
	s_mov_b64 s[16:17], 0
	s_waitcnt vmcnt(0)
	v_lshlrev_b32_e32 v3, 16, v3
	s_branch .LBB151_485
.LBB151_481:
	s_mov_b64 s[18:19], -1
                                        ; implicit-def: $vgpr3
	s_branch .LBB151_486
.LBB151_482:
	s_or_saveexec_b64 s[18:19], s[18:19]
	v_mov_b32_e32 v3, 0x7f800001
	s_xor_b64 exec, exec, s[18:19]
	s_cbranch_execz .LBB151_463
.LBB151_483:
	v_cmp_ne_u16_e32 vcc, 0, v4
	s_andn2_b64 s[2:3], s[2:3], exec
	s_and_b64 s[20:21], vcc, exec
	v_mov_b32_e32 v3, 0
	s_or_b64 s[2:3], s[2:3], s[20:21]
	s_or_b64 exec, exec, s[18:19]
	s_and_saveexec_b64 s[18:19], s[2:3]
	s_cbranch_execnz .LBB151_464
	s_branch .LBB151_465
.LBB151_484:
	s_mov_b64 s[16:17], -1
                                        ; implicit-def: $vgpr3
.LBB151_485:
	s_mov_b64 s[18:19], 0
.LBB151_486:
	s_and_b64 vcc, exec, s[18:19]
	s_cbranch_vccz .LBB151_490
; %bb.487:
	s_cmp_eq_u32 s12, 11
	s_cbranch_scc0 .LBB151_489
; %bb.488:
	global_load_ubyte v3, v[1:2], off
	s_mov_b64 s[2:3], -1
	s_mov_b64 s[16:17], 0
	s_waitcnt vmcnt(0)
	v_cmp_ne_u16_e32 vcc, 0, v3
	v_cndmask_b32_e64 v3, 0, 1.0, vcc
	s_branch .LBB151_490
.LBB151_489:
	s_mov_b64 s[16:17], -1
                                        ; implicit-def: $vgpr3
.LBB151_490:
	s_branch .LBB151_293
.LBB151_491:
	s_cmp_lt_i32 s12, 5
	s_cbranch_scc1 .LBB151_496
; %bb.492:
	s_cmp_lt_i32 s12, 8
	s_cbranch_scc1 .LBB151_497
; %bb.493:
	;; [unrolled: 3-line block ×3, first 2 shown]
	s_cmp_gt_i32 s12, 9
	s_cbranch_scc0 .LBB151_499
; %bb.495:
	global_load_dwordx2 v[3:4], v[1:2], off
	s_mov_b64 s[2:3], 0
	s_waitcnt vmcnt(0)
	v_cvt_f32_f64_e32 v3, v[3:4]
	s_branch .LBB151_500
.LBB151_496:
	s_mov_b64 s[2:3], -1
                                        ; implicit-def: $vgpr3
	s_branch .LBB151_518
.LBB151_497:
	s_mov_b64 s[2:3], -1
                                        ; implicit-def: $vgpr3
	s_branch .LBB151_506
.LBB151_498:
	s_mov_b64 s[2:3], -1
                                        ; implicit-def: $vgpr3
	s_branch .LBB151_503
.LBB151_499:
	s_mov_b64 s[2:3], -1
                                        ; implicit-def: $vgpr3
.LBB151_500:
	s_andn2_b64 vcc, exec, s[2:3]
	s_cbranch_vccnz .LBB151_502
; %bb.501:
	global_load_dword v3, v[1:2], off
.LBB151_502:
	s_mov_b64 s[2:3], 0
.LBB151_503:
	s_andn2_b64 vcc, exec, s[2:3]
	s_cbranch_vccnz .LBB151_505
; %bb.504:
	global_load_dword v3, v[1:2], off
	s_waitcnt vmcnt(0)
	v_cvt_f32_f16_e32 v3, v3
.LBB151_505:
	s_mov_b64 s[2:3], 0
.LBB151_506:
	s_andn2_b64 vcc, exec, s[2:3]
	s_cbranch_vccnz .LBB151_517
; %bb.507:
	s_cmp_lt_i32 s12, 6
	s_cbranch_scc1 .LBB151_510
; %bb.508:
	s_cmp_gt_i32 s12, 6
	s_cbranch_scc0 .LBB151_511
; %bb.509:
	global_load_dwordx2 v[3:4], v[1:2], off
	s_mov_b64 s[2:3], 0
	s_waitcnt vmcnt(0)
	v_cvt_f32_f64_e32 v3, v[3:4]
	s_branch .LBB151_512
.LBB151_510:
	s_mov_b64 s[2:3], -1
                                        ; implicit-def: $vgpr3
	s_branch .LBB151_515
.LBB151_511:
	s_mov_b64 s[2:3], -1
                                        ; implicit-def: $vgpr3
.LBB151_512:
	s_andn2_b64 vcc, exec, s[2:3]
	s_cbranch_vccnz .LBB151_514
; %bb.513:
	global_load_dword v3, v[1:2], off
.LBB151_514:
	s_mov_b64 s[2:3], 0
.LBB151_515:
	s_andn2_b64 vcc, exec, s[2:3]
	s_cbranch_vccnz .LBB151_517
; %bb.516:
	global_load_ushort v3, v[1:2], off
	s_waitcnt vmcnt(0)
	v_cvt_f32_f16_e32 v3, v3
.LBB151_517:
	s_mov_b64 s[2:3], 0
.LBB151_518:
	s_andn2_b64 vcc, exec, s[2:3]
	s_cbranch_vccnz .LBB151_538
; %bb.519:
	s_cmp_lt_i32 s12, 2
	s_cbranch_scc1 .LBB151_523
; %bb.520:
	s_cmp_lt_i32 s12, 3
	s_cbranch_scc1 .LBB151_524
; %bb.521:
	s_cmp_gt_i32 s12, 3
	s_cbranch_scc0 .LBB151_525
; %bb.522:
	global_load_dwordx2 v[3:4], v[1:2], off
	s_mov_b64 s[2:3], 0
	s_waitcnt vmcnt(0)
	v_xor_b32_e32 v6, v3, v4
	v_ffbh_i32_e32 v5, v4
	v_ashrrev_i32_e32 v6, 31, v6
	v_add_u32_e32 v5, -1, v5
	v_add_u32_e32 v6, 32, v6
	v_min_u32_e32 v5, v5, v6
	v_lshlrev_b64 v[3:4], v5, v[3:4]
	v_min_u32_e32 v3, 1, v3
	v_or_b32_e32 v3, v4, v3
	v_cvt_f32_i32_e32 v3, v3
	v_sub_u32_e32 v4, 32, v5
	v_ldexp_f32 v3, v3, v4
	s_branch .LBB151_526
.LBB151_523:
	s_mov_b64 s[2:3], -1
                                        ; implicit-def: $vgpr3
	s_branch .LBB151_532
.LBB151_524:
	s_mov_b64 s[2:3], -1
                                        ; implicit-def: $vgpr3
	s_branch .LBB151_529
.LBB151_525:
	s_mov_b64 s[2:3], -1
                                        ; implicit-def: $vgpr3
.LBB151_526:
	s_andn2_b64 vcc, exec, s[2:3]
	s_cbranch_vccnz .LBB151_528
; %bb.527:
	global_load_dword v3, v[1:2], off
	s_waitcnt vmcnt(0)
	v_cvt_f32_i32_e32 v3, v3
.LBB151_528:
	s_mov_b64 s[2:3], 0
.LBB151_529:
	s_andn2_b64 vcc, exec, s[2:3]
	s_cbranch_vccnz .LBB151_531
; %bb.530:
	global_load_sshort v3, v[1:2], off
	s_waitcnt vmcnt(0)
	v_cvt_f32_i32_e32 v3, v3
.LBB151_531:
	s_mov_b64 s[2:3], 0
.LBB151_532:
	s_andn2_b64 vcc, exec, s[2:3]
	s_cbranch_vccnz .LBB151_538
; %bb.533:
	s_cmp_gt_i32 s12, 0
	s_cbranch_scc0 .LBB151_535
; %bb.534:
	global_load_sbyte v3, v[1:2], off
	s_mov_b64 s[2:3], 0
	s_waitcnt vmcnt(0)
	v_cvt_f32_i32_e32 v3, v3
	s_branch .LBB151_536
.LBB151_535:
	s_mov_b64 s[2:3], -1
                                        ; implicit-def: $vgpr3
.LBB151_536:
	s_andn2_b64 vcc, exec, s[2:3]
	s_cbranch_vccnz .LBB151_538
; %bb.537:
	global_load_ubyte v1, v[1:2], off
	s_waitcnt vmcnt(0)
	v_cvt_f32_ubyte0_e32 v3, v1
.LBB151_538:
	s_branch .LBB151_294
.LBB151_539:
	s_mov_b64 s[18:19], 0
	s_mov_b64 s[2:3], s[14:15]
.LBB151_540:
                                        ; implicit-def: $vgpr8
.LBB151_541:
	s_andn2_b64 s[20:21], s[14:15], exec
	s_and_b64 s[2:3], s[2:3], exec
	s_or_b64 s[66:67], s[20:21], s[2:3]
	s_andn2_b64 s[2:3], s[60:61], exec
	s_and_b64 s[16:17], s[16:17], exec
	s_or_b64 s[64:65], s[2:3], s[16:17]
	s_orn2_b64 s[2:3], s[18:19], exec
.LBB151_542:
	s_or_b64 exec, exec, s[68:69]
	s_mov_b64 s[20:21], 0
	s_mov_b64 s[18:19], 0
	;; [unrolled: 1-line block ×3, first 2 shown]
                                        ; implicit-def: $vgpr1_vgpr2
                                        ; implicit-def: $vgpr0
                                        ; implicit-def: $vgpr4
	s_and_saveexec_b64 s[68:69], s[2:3]
	s_cbranch_execz .LBB151_917
; %bb.543:
	v_cmp_gt_i32_e32 vcc, s74, v8
	s_mov_b64 s[22:23], -1
	s_mov_b64 s[2:3], s[64:65]
	s_mov_b64 s[72:73], s[66:67]
	s_and_saveexec_b64 s[70:71], vcc
	s_cbranch_execz .LBB151_817
; %bb.544:
	s_andn2_b64 vcc, exec, s[48:49]
	s_cbranch_vccnz .LBB151_549
; %bb.545:
	s_andn2_b64 vcc, exec, s[58:59]
	s_cbranch_vccnz .LBB151_550
; %bb.546:
	s_add_i32 s75, s79, 1
	s_cmp_eq_u32 s76, 2
	s_cbranch_scc1 .LBB151_551
; %bb.547:
	s_and_b32 s12, s75, 28
	v_mov_b32_e32 v2, 0
	s_mov_b32 s80, 0
	s_mov_b64 s[2:3], s[34:35]
	s_mov_b64 s[72:73], s[56:57]
	v_mov_b32_e32 v0, 0
	v_mov_b32_e32 v1, v8
.LBB151_548:                            ; =>This Inner Loop Header: Depth=1
	s_load_dwordx8 s[24:31], s[2:3], 0x4
	s_load_dwordx4 s[44:47], s[2:3], 0x24
	s_load_dwordx8 s[16:23], s[72:73], 0x0
	s_add_u32 s2, s2, 48
	s_addc_u32 s3, s3, 0
	s_waitcnt vmcnt(0) lgkmcnt(0)
	v_mul_hi_u32 v3, s25, v1
	s_add_i32 s80, s80, 4
	s_add_u32 s72, s72, 32
	s_addc_u32 s73, s73, 0
	v_add_u32_e32 v3, v1, v3
	v_lshrrev_b32_e32 v3, s26, v3
	v_mul_lo_u32 v4, v3, s24
	v_mul_hi_u32 v5, s28, v3
	s_cmp_eq_u32 s12, s80
	v_sub_u32_e32 v1, v1, v4
	v_add_u32_e32 v4, v3, v5
	v_mul_lo_u32 v5, v1, s16
	v_mul_lo_u32 v6, v1, s17
	v_lshrrev_b32_e32 v1, s29, v4
	v_mul_lo_u32 v4, v1, s27
	v_mul_hi_u32 v7, s31, v1
	v_sub_u32_e32 v3, v3, v4
	v_add_u32_e32 v4, v1, v7
	v_lshrrev_b32_e32 v4, s44, v4
	v_mul_hi_u32 v9, s46, v4
	v_mul_lo_u32 v10, v4, s30
	v_mul_lo_u32 v7, v3, s18
	v_mul_lo_u32 v3, v3, s19
	v_sub_u32_e32 v10, v1, v10
	v_add_u32_e32 v1, v4, v9
	v_lshrrev_b32_e32 v1, s47, v1
	v_mul_lo_u32 v9, v1, s45
	v_mul_lo_u32 v11, v10, s20
	v_mul_lo_u32 v10, v10, s21
	v_add3_u32 v0, v5, v0, v7
	v_sub_u32_e32 v4, v4, v9
	v_mul_lo_u32 v9, v4, s22
	v_mul_lo_u32 v4, v4, s23
	v_add3_u32 v2, v6, v2, v3
	v_add3_u32 v0, v11, v0, v9
	;; [unrolled: 1-line block ×3, first 2 shown]
	s_cbranch_scc0 .LBB151_548
	s_branch .LBB151_552
.LBB151_549:
	s_mov_b64 s[2:3], -1
                                        ; implicit-def: $vgpr0
                                        ; implicit-def: $vgpr2
	s_branch .LBB151_556
.LBB151_550:
	v_mov_b32_e32 v0, 0
	v_mov_b32_e32 v2, 0
	s_branch .LBB151_555
.LBB151_551:
	s_mov_b32 s12, 0
	v_mov_b32_e32 v0, 0
	v_mov_b32_e32 v2, 0
	;; [unrolled: 1-line block ×3, first 2 shown]
.LBB151_552:
	s_and_b32 s18, s75, 3
	s_cmp_eq_u32 s18, 0
	s_cbranch_scc1 .LBB151_555
; %bb.553:
	s_lshl_b32 s2, s12, 3
	s_add_u32 s2, s34, s2
	s_addc_u32 s3, s35, 0
	s_add_u32 s2, s2, 0xc4
	s_addc_u32 s3, s3, 0
	s_mul_i32 s12, s12, 12
	s_add_u32 s16, s34, s12
	s_addc_u32 s17, s35, 0
.LBB151_554:                            ; =>This Inner Loop Header: Depth=1
	s_load_dwordx2 s[20:21], s[16:17], 0x4
	s_load_dword s12, s[16:17], 0xc
	s_load_dwordx2 s[22:23], s[2:3], 0x0
	s_add_u32 s16, s16, 12
	s_addc_u32 s17, s17, 0
	s_waitcnt vmcnt(0) lgkmcnt(0)
	v_mul_hi_u32 v3, s21, v1
	s_add_u32 s2, s2, 8
	s_addc_u32 s3, s3, 0
	s_add_i32 s18, s18, -1
	v_add_u32_e32 v3, v1, v3
	v_lshrrev_b32_e32 v4, s12, v3
	v_mul_lo_u32 v3, v4, s20
	s_cmp_lg_u32 s18, 0
	v_sub_u32_e32 v3, v1, v3
	v_mad_u64_u32 v[0:1], s[20:21], v3, s22, v[0:1]
	v_mad_u64_u32 v[2:3], s[20:21], v3, s23, v[2:3]
	v_mov_b32_e32 v1, v4
	s_cbranch_scc1 .LBB151_554
.LBB151_555:
	s_mov_b64 s[2:3], 0
.LBB151_556:
	s_andn2_b64 vcc, exec, s[2:3]
	s_cbranch_vccnz .LBB151_559
; %bb.557:
	v_mul_hi_u32 v0, s37, v8
	s_andn2_b64 vcc, exec, s[54:55]
	v_add_u32_e32 v0, v8, v0
	v_lshrrev_b32_e32 v1, s38, v0
	v_mul_lo_u32 v0, v1, s36
	v_sub_u32_e32 v2, v8, v0
	v_mul_lo_u32 v0, v2, s40
	v_mul_lo_u32 v2, v2, s41
	s_cbranch_vccnz .LBB151_559
; %bb.558:
	s_waitcnt vmcnt(0)
	v_mul_hi_u32 v3, s52, v1
	v_add_u32_e32 v3, v1, v3
	v_lshrrev_b32_e32 v3, s53, v3
	v_mul_lo_u32 v3, v3, s39
	v_sub_u32_e32 v3, v1, v3
	v_mad_u64_u32 v[0:1], s[2:3], v3, s42, v[0:1]
	v_mad_u64_u32 v[2:3], s[2:3], v3, s43, v[2:3]
.LBB151_559:
	s_waitcnt vmcnt(0)
	v_mov_b32_e32 v3, s11
	s_and_b32 s12, 0xffff, s78
	v_add_co_u32_e32 v1, vcc, s10, v2
	s_cmp_lt_i32 s12, 11
	v_addc_co_u32_e32 v2, vcc, 0, v3, vcc
	s_cbranch_scc1 .LBB151_566
; %bb.560:
	s_cmp_gt_i32 s12, 25
	s_cbranch_scc0 .LBB151_567
; %bb.561:
	s_cmp_gt_i32 s12, 28
	s_cbranch_scc0 .LBB151_568
	;; [unrolled: 3-line block ×4, first 2 shown]
; %bb.564:
	s_cmp_eq_u32 s12, 46
	s_mov_b64 s[18:19], 0
	s_cbranch_scc0 .LBB151_575
; %bb.565:
	global_load_dword v3, v[1:2], off
	s_mov_b64 s[2:3], -1
	s_mov_b64 s[16:17], 0
	s_waitcnt vmcnt(0)
	v_lshlrev_b32_e32 v3, 16, v3
	s_branch .LBB151_576
.LBB151_566:
	s_mov_b64 s[18:19], -1
	s_mov_b64 s[2:3], 0
                                        ; implicit-def: $vgpr3
	s_mov_b64 s[16:17], s[64:65]
	s_branch .LBB151_641
.LBB151_567:
	s_mov_b64 s[18:19], -1
	s_mov_b64 s[2:3], 0
	s_mov_b64 s[16:17], s[64:65]
                                        ; implicit-def: $vgpr3
	s_branch .LBB151_605
.LBB151_568:
	s_mov_b64 s[18:19], -1
	s_mov_b64 s[2:3], 0
	s_mov_b64 s[16:17], s[64:65]
                                        ; implicit-def: $vgpr3
	s_branch .LBB151_586
.LBB151_569:
	s_mov_b64 s[18:19], -1
	s_mov_b64 s[2:3], 0
	s_mov_b64 s[16:17], s[64:65]
                                        ; implicit-def: $vgpr3
	s_branch .LBB151_581
.LBB151_570:
	s_andn2_saveexec_b64 s[22:23], s[22:23]
	s_cbranch_execz .LBB151_339
.LBB151_571:
	s_mov_b32 s25, 0x46000000
	v_add_f32_e64 v3, |v2|, s25
	v_and_b32_e32 v3, 0xff, v3
	v_cmp_ne_u32_e32 vcc, 0, v3
	s_andn2_b64 s[20:21], s[20:21], exec
	s_and_b64 s[26:27], vcc, exec
	s_or_b64 s[20:21], s[20:21], s[26:27]
	s_or_b64 exec, exec, s[22:23]
	v_mov_b32_e32 v4, 0
	s_and_saveexec_b64 s[22:23], s[20:21]
	s_cbranch_execnz .LBB151_340
	s_branch .LBB151_341
.LBB151_572:
	s_mov_b64 s[18:19], -1
	s_mov_b64 s[2:3], 0
	s_mov_b64 s[16:17], s[64:65]
                                        ; implicit-def: $vgpr3
	s_branch .LBB151_576
.LBB151_573:
	s_andn2_saveexec_b64 s[22:23], s[22:23]
	s_cbranch_execz .LBB151_352
.LBB151_574:
	s_mov_b32 s25, 0x42800000
	v_add_f32_e64 v3, |v2|, s25
	v_and_b32_e32 v3, 0xff, v3
	v_cmp_ne_u32_e32 vcc, 0, v3
	s_andn2_b64 s[20:21], s[20:21], exec
	s_and_b64 s[26:27], vcc, exec
	s_or_b64 s[20:21], s[20:21], s[26:27]
	s_or_b64 exec, exec, s[22:23]
	v_mov_b32_e32 v4, 0
	s_and_saveexec_b64 s[22:23], s[20:21]
	s_cbranch_execnz .LBB151_353
	s_branch .LBB151_354
.LBB151_575:
	s_mov_b64 s[16:17], -1
                                        ; implicit-def: $vgpr3
	s_mov_b64 s[2:3], 0
.LBB151_576:
	s_and_b64 vcc, exec, s[18:19]
	s_cbranch_vccz .LBB151_580
; %bb.577:
	s_cmp_eq_u32 s12, 44
	s_cbranch_scc0 .LBB151_579
; %bb.578:
	global_load_ubyte v3, v[1:2], off
	s_movk_i32 s16, 0xff
	v_mov_b32_e32 v4, 0x7f800001
	v_mov_b32_e32 v5, 0x400000
	s_mov_b64 s[2:3], -1
	s_waitcnt vmcnt(0)
	v_lshlrev_b32_e32 v6, 23, v3
	v_cmp_ne_u32_e32 vcc, s16, v3
	v_cndmask_b32_e32 v4, v4, v6, vcc
	v_cmp_ne_u32_e32 vcc, 0, v3
	v_cndmask_b32_e32 v3, v5, v4, vcc
	s_mov_b64 s[16:17], 0
	s_branch .LBB151_580
.LBB151_579:
	s_mov_b64 s[16:17], -1
                                        ; implicit-def: $vgpr3
.LBB151_580:
	s_mov_b64 s[18:19], 0
.LBB151_581:
	s_and_b64 vcc, exec, s[18:19]
	s_cbranch_vccz .LBB151_585
; %bb.582:
	s_cmp_eq_u32 s12, 29
	s_cbranch_scc0 .LBB151_584
; %bb.583:
	global_load_dwordx2 v[3:4], v[1:2], off
	s_mov_b64 s[2:3], -1
	s_mov_b64 s[16:17], 0
	s_mov_b64 s[18:19], 0
	s_waitcnt vmcnt(0)
	v_ffbh_u32_e32 v5, v4
	v_min_u32_e32 v5, 32, v5
	v_lshlrev_b64 v[3:4], v5, v[3:4]
	v_min_u32_e32 v3, 1, v3
	v_or_b32_e32 v3, v4, v3
	v_cvt_f32_u32_e32 v3, v3
	v_sub_u32_e32 v4, 32, v5
	v_ldexp_f32 v3, v3, v4
	s_branch .LBB151_586
.LBB151_584:
	s_mov_b64 s[16:17], -1
                                        ; implicit-def: $vgpr3
.LBB151_585:
	s_mov_b64 s[18:19], 0
.LBB151_586:
	s_and_b64 vcc, exec, s[18:19]
	s_cbranch_vccz .LBB151_604
; %bb.587:
	s_cmp_lt_i32 s12, 27
	s_cbranch_scc1 .LBB151_590
; %bb.588:
	s_cmp_gt_i32 s12, 27
	s_cbranch_scc0 .LBB151_591
; %bb.589:
	global_load_dword v3, v[1:2], off
	s_mov_b64 s[2:3], 0
	s_waitcnt vmcnt(0)
	v_cvt_f32_u32_e32 v3, v3
	s_branch .LBB151_592
.LBB151_590:
	s_mov_b64 s[2:3], -1
                                        ; implicit-def: $vgpr3
	s_branch .LBB151_595
.LBB151_591:
	s_mov_b64 s[2:3], -1
                                        ; implicit-def: $vgpr3
.LBB151_592:
	s_andn2_b64 vcc, exec, s[2:3]
	s_cbranch_vccnz .LBB151_594
; %bb.593:
	global_load_ushort v3, v[1:2], off
	s_waitcnt vmcnt(0)
	v_cvt_f32_u32_e32 v3, v3
.LBB151_594:
	s_mov_b64 s[2:3], 0
.LBB151_595:
	s_andn2_b64 vcc, exec, s[2:3]
	s_cbranch_vccnz .LBB151_603
; %bb.596:
	global_load_ubyte v4, v[1:2], off
	s_movk_i32 s2, 0x7f
	s_waitcnt vmcnt(0)
	v_cmp_lt_i16_e32 vcc, s2, v4
	s_mov_b64 s[2:3], 0
	s_and_saveexec_b64 s[18:19], vcc
	s_xor_b64 s[18:19], exec, s[18:19]
	s_cbranch_execz .LBB151_617
; %bb.597:
	s_movk_i32 s2, 0x80
	v_cmp_eq_u16_e32 vcc, s2, v4
	s_mov_b64 s[2:3], -1
	s_and_saveexec_b64 s[20:21], vcc
; %bb.598:
	s_xor_b64 s[2:3], exec, -1
; %bb.599:
	s_or_b64 exec, exec, s[20:21]
	s_and_b64 s[2:3], s[2:3], exec
	s_or_saveexec_b64 s[18:19], s[18:19]
	v_mov_b32_e32 v3, 0x7f800001
	s_xor_b64 exec, exec, s[18:19]
	s_cbranch_execnz .LBB151_618
.LBB151_600:
	s_or_b64 exec, exec, s[18:19]
	s_and_saveexec_b64 s[18:19], s[2:3]
	s_cbranch_execz .LBB151_602
.LBB151_601:
	v_lshlrev_b32_e32 v3, 24, v4
	v_and_b32_e32 v4, 0xffff, v4
	v_and_b32_e32 v5, 7, v4
	v_ffbh_u32_e32 v7, v5
	v_min_u32_e32 v7, 32, v7
	v_subrev_u32_e32 v9, 28, v7
	v_bfe_u32 v6, v4, 3, 4
	v_lshlrev_b32_e32 v4, v9, v4
	v_sub_u32_e32 v7, 29, v7
	v_and_b32_e32 v4, 7, v4
	v_cmp_eq_u32_e32 vcc, 0, v6
	v_cndmask_b32_e32 v6, v6, v7, vcc
	v_cndmask_b32_e32 v4, v5, v4, vcc
	v_mov_b32_e32 v5, 0x3b800000
	v_lshlrev_b32_e32 v4, 20, v4
	v_and_b32_e32 v3, 0x80000000, v3
	v_lshl_add_u32 v5, v6, 23, v5
	v_or3_b32 v3, v3, v5, v4
.LBB151_602:
	s_or_b64 exec, exec, s[18:19]
.LBB151_603:
	s_mov_b64 s[2:3], -1
.LBB151_604:
	s_mov_b64 s[18:19], 0
.LBB151_605:
	s_and_b64 vcc, exec, s[18:19]
	s_cbranch_vccz .LBB151_640
; %bb.606:
	s_cmp_gt_i32 s12, 22
	s_cbranch_scc0 .LBB151_616
; %bb.607:
	s_cmp_lt_i32 s12, 24
	s_cbranch_scc1 .LBB151_619
; %bb.608:
	s_cmp_gt_i32 s12, 24
	s_cbranch_scc0 .LBB151_620
; %bb.609:
	global_load_ubyte v4, v[1:2], off
	s_movk_i32 s2, 0x7f
	s_waitcnt vmcnt(0)
	v_cmp_lt_i16_e32 vcc, s2, v4
	s_mov_b64 s[2:3], 0
	s_and_saveexec_b64 s[18:19], vcc
	s_xor_b64 s[18:19], exec, s[18:19]
	s_cbranch_execz .LBB151_632
; %bb.610:
	s_movk_i32 s2, 0x80
	v_cmp_eq_u16_e32 vcc, s2, v4
	s_mov_b64 s[2:3], -1
	s_and_saveexec_b64 s[20:21], vcc
; %bb.611:
	s_xor_b64 s[2:3], exec, -1
; %bb.612:
	s_or_b64 exec, exec, s[20:21]
	s_and_b64 s[2:3], s[2:3], exec
	s_or_saveexec_b64 s[18:19], s[18:19]
	v_mov_b32_e32 v3, 0x7f800001
	s_xor_b64 exec, exec, s[18:19]
	s_cbranch_execnz .LBB151_633
.LBB151_613:
	s_or_b64 exec, exec, s[18:19]
	s_and_saveexec_b64 s[18:19], s[2:3]
	s_cbranch_execz .LBB151_615
.LBB151_614:
	v_lshlrev_b32_e32 v3, 24, v4
	v_and_b32_e32 v4, 0xffff, v4
	v_and_b32_e32 v5, 3, v4
	v_ffbh_u32_e32 v7, v5
	v_min_u32_e32 v7, 32, v7
	v_subrev_u32_e32 v9, 29, v7
	v_bfe_u32 v6, v4, 2, 5
	v_lshlrev_b32_e32 v4, v9, v4
	v_sub_u32_e32 v7, 30, v7
	v_and_b32_e32 v4, 3, v4
	v_cmp_eq_u32_e32 vcc, 0, v6
	v_cndmask_b32_e32 v6, v6, v7, vcc
	v_cndmask_b32_e32 v4, v5, v4, vcc
	v_mov_b32_e32 v5, 0x37800000
	v_lshlrev_b32_e32 v4, 21, v4
	v_and_b32_e32 v3, 0x80000000, v3
	v_lshl_add_u32 v5, v6, 23, v5
	v_or3_b32 v3, v3, v5, v4
.LBB151_615:
	s_or_b64 exec, exec, s[18:19]
	s_mov_b64 s[2:3], 0
	s_branch .LBB151_621
.LBB151_616:
	s_mov_b64 s[18:19], -1
                                        ; implicit-def: $vgpr3
	s_branch .LBB151_627
.LBB151_617:
	s_or_saveexec_b64 s[18:19], s[18:19]
	v_mov_b32_e32 v3, 0x7f800001
	s_xor_b64 exec, exec, s[18:19]
	s_cbranch_execz .LBB151_600
.LBB151_618:
	v_cmp_ne_u16_e32 vcc, 0, v4
	s_andn2_b64 s[2:3], s[2:3], exec
	s_and_b64 s[20:21], vcc, exec
	v_mov_b32_e32 v3, 0
	s_or_b64 s[2:3], s[2:3], s[20:21]
	s_or_b64 exec, exec, s[18:19]
	s_and_saveexec_b64 s[18:19], s[2:3]
	s_cbranch_execnz .LBB151_601
	s_branch .LBB151_602
.LBB151_619:
	s_mov_b64 s[2:3], -1
                                        ; implicit-def: $vgpr3
	s_branch .LBB151_624
.LBB151_620:
	s_mov_b64 s[2:3], -1
                                        ; implicit-def: $vgpr3
.LBB151_621:
	s_and_b64 vcc, exec, s[2:3]
	s_cbranch_vccz .LBB151_623
; %bb.622:
	global_load_ubyte v3, v[1:2], off
	s_mov_b32 s2, 0x7f800000
	s_waitcnt vmcnt(0)
	v_lshlrev_b32_e32 v3, 24, v3
	v_and_b32_e32 v4, 0x7f000000, v3
	v_ffbh_u32_e32 v5, v4
	v_min_u32_e32 v5, 32, v5
	v_sub_u32_e64 v5, v5, 4 clamp
	v_lshlrev_b32_e32 v7, v5, v4
	v_lshlrev_b32_e32 v5, 23, v5
	v_lshrrev_b32_e32 v7, 4, v7
	v_add_u32_e32 v6, 0x1000000, v4
	v_sub_u32_e32 v5, v7, v5
	v_ashrrev_i32_e32 v6, 8, v6
	v_add_u32_e32 v5, 0x3c000000, v5
	v_and_or_b32 v5, v6, s2, v5
	v_cmp_ne_u32_e32 vcc, 0, v4
	v_cndmask_b32_e32 v4, 0, v5, vcc
	s_brev_b32 s2, 1
	v_and_or_b32 v3, v3, s2, v4
.LBB151_623:
	s_mov_b64 s[2:3], 0
.LBB151_624:
	s_andn2_b64 vcc, exec, s[2:3]
	s_cbranch_vccnz .LBB151_626
; %bb.625:
	global_load_ubyte v3, v[1:2], off
	s_movk_i32 s2, 0x7f00
	s_brev_b32 s3, 16
	s_waitcnt vmcnt(0)
	v_lshlrev_b16_e32 v4, 8, v3
	v_lshlrev_b32_e32 v3, 25, v3
	v_lshrrev_b32_e32 v5, 4, v3
	v_and_or_b32 v6, v4, s2, 0.5
	v_or_b32_e32 v5, 0x70000000, v5
	v_add_f32_e32 v6, -0.5, v6
	v_mul_f32_e32 v5, 0x7800000, v5
	v_cmp_gt_u32_e32 vcc, s3, v3
	v_bfe_i32 v4, v4, 0, 16
	v_cndmask_b32_e32 v3, v5, v6, vcc
	s_brev_b32 s2, 1
	v_and_or_b32 v3, v4, s2, v3
.LBB151_626:
	s_mov_b64 s[18:19], 0
	s_mov_b64 s[2:3], -1
.LBB151_627:
	s_andn2_b64 vcc, exec, s[18:19]
	s_cbranch_vccnz .LBB151_640
; %bb.628:
	s_cmp_gt_i32 s12, 14
	s_cbranch_scc0 .LBB151_631
; %bb.629:
	s_cmp_eq_u32 s12, 15
	s_cbranch_scc0 .LBB151_634
; %bb.630:
	global_load_ushort v3, v[1:2], off
	s_mov_b64 s[2:3], -1
	s_mov_b64 s[16:17], 0
	s_waitcnt vmcnt(0)
	v_lshlrev_b32_e32 v3, 16, v3
	s_branch .LBB151_635
.LBB151_631:
	s_mov_b64 s[18:19], -1
                                        ; implicit-def: $vgpr3
	s_branch .LBB151_636
.LBB151_632:
	s_or_saveexec_b64 s[18:19], s[18:19]
	v_mov_b32_e32 v3, 0x7f800001
	s_xor_b64 exec, exec, s[18:19]
	s_cbranch_execz .LBB151_613
.LBB151_633:
	v_cmp_ne_u16_e32 vcc, 0, v4
	s_andn2_b64 s[2:3], s[2:3], exec
	s_and_b64 s[20:21], vcc, exec
	v_mov_b32_e32 v3, 0
	s_or_b64 s[2:3], s[2:3], s[20:21]
	s_or_b64 exec, exec, s[18:19]
	s_and_saveexec_b64 s[18:19], s[2:3]
	s_cbranch_execnz .LBB151_614
	s_branch .LBB151_615
.LBB151_634:
	s_mov_b64 s[16:17], -1
                                        ; implicit-def: $vgpr3
.LBB151_635:
	s_mov_b64 s[18:19], 0
.LBB151_636:
	s_and_b64 vcc, exec, s[18:19]
	s_cbranch_vccz .LBB151_640
; %bb.637:
	s_cmp_eq_u32 s12, 11
	s_cbranch_scc0 .LBB151_639
; %bb.638:
	global_load_ubyte v3, v[1:2], off
	s_mov_b64 s[2:3], -1
	s_mov_b64 s[16:17], 0
	s_waitcnt vmcnt(0)
	v_cmp_ne_u16_e32 vcc, 0, v3
	v_cndmask_b32_e64 v3, 0, 1.0, vcc
	s_branch .LBB151_640
.LBB151_639:
	s_mov_b64 s[16:17], -1
                                        ; implicit-def: $vgpr3
.LBB151_640:
	s_mov_b64 s[18:19], 0
.LBB151_641:
	s_and_b64 vcc, exec, s[18:19]
	s_cbranch_vccz .LBB151_690
; %bb.642:
	s_cmp_lt_i32 s12, 5
	s_cbranch_scc1 .LBB151_647
; %bb.643:
	s_cmp_lt_i32 s12, 8
	s_cbranch_scc1 .LBB151_648
	;; [unrolled: 3-line block ×3, first 2 shown]
; %bb.645:
	s_cmp_gt_i32 s12, 9
	s_cbranch_scc0 .LBB151_650
; %bb.646:
	global_load_dwordx2 v[3:4], v[1:2], off
	s_mov_b64 s[2:3], 0
	s_waitcnt vmcnt(0)
	v_cvt_f32_f64_e32 v3, v[3:4]
	s_branch .LBB151_651
.LBB151_647:
	s_mov_b64 s[2:3], -1
                                        ; implicit-def: $vgpr3
	s_branch .LBB151_669
.LBB151_648:
	s_mov_b64 s[2:3], -1
                                        ; implicit-def: $vgpr3
	s_branch .LBB151_657
.LBB151_649:
	s_mov_b64 s[2:3], -1
                                        ; implicit-def: $vgpr3
	s_branch .LBB151_654
.LBB151_650:
	s_mov_b64 s[2:3], -1
                                        ; implicit-def: $vgpr3
.LBB151_651:
	s_andn2_b64 vcc, exec, s[2:3]
	s_cbranch_vccnz .LBB151_653
; %bb.652:
	global_load_dword v3, v[1:2], off
.LBB151_653:
	s_mov_b64 s[2:3], 0
.LBB151_654:
	s_andn2_b64 vcc, exec, s[2:3]
	s_cbranch_vccnz .LBB151_656
; %bb.655:
	global_load_dword v3, v[1:2], off
	s_waitcnt vmcnt(0)
	v_cvt_f32_f16_e32 v3, v3
.LBB151_656:
	s_mov_b64 s[2:3], 0
.LBB151_657:
	s_andn2_b64 vcc, exec, s[2:3]
	s_cbranch_vccnz .LBB151_668
; %bb.658:
	s_cmp_lt_i32 s12, 6
	s_cbranch_scc1 .LBB151_661
; %bb.659:
	s_cmp_gt_i32 s12, 6
	s_cbranch_scc0 .LBB151_662
; %bb.660:
	global_load_dwordx2 v[3:4], v[1:2], off
	s_mov_b64 s[2:3], 0
	s_waitcnt vmcnt(0)
	v_cvt_f32_f64_e32 v3, v[3:4]
	s_branch .LBB151_663
.LBB151_661:
	s_mov_b64 s[2:3], -1
                                        ; implicit-def: $vgpr3
	s_branch .LBB151_666
.LBB151_662:
	s_mov_b64 s[2:3], -1
                                        ; implicit-def: $vgpr3
.LBB151_663:
	s_andn2_b64 vcc, exec, s[2:3]
	s_cbranch_vccnz .LBB151_665
; %bb.664:
	global_load_dword v3, v[1:2], off
.LBB151_665:
	s_mov_b64 s[2:3], 0
.LBB151_666:
	s_andn2_b64 vcc, exec, s[2:3]
	s_cbranch_vccnz .LBB151_668
; %bb.667:
	global_load_ushort v3, v[1:2], off
	s_waitcnt vmcnt(0)
	v_cvt_f32_f16_e32 v3, v3
.LBB151_668:
	s_mov_b64 s[2:3], 0
.LBB151_669:
	s_andn2_b64 vcc, exec, s[2:3]
	s_cbranch_vccnz .LBB151_689
; %bb.670:
	s_cmp_lt_i32 s12, 2
	s_cbranch_scc1 .LBB151_674
; %bb.671:
	s_cmp_lt_i32 s12, 3
	s_cbranch_scc1 .LBB151_675
; %bb.672:
	s_cmp_gt_i32 s12, 3
	s_cbranch_scc0 .LBB151_676
; %bb.673:
	global_load_dwordx2 v[3:4], v[1:2], off
	s_mov_b64 s[2:3], 0
	s_waitcnt vmcnt(0)
	v_xor_b32_e32 v6, v3, v4
	v_ffbh_i32_e32 v5, v4
	v_ashrrev_i32_e32 v6, 31, v6
	v_add_u32_e32 v5, -1, v5
	v_add_u32_e32 v6, 32, v6
	v_min_u32_e32 v5, v5, v6
	v_lshlrev_b64 v[3:4], v5, v[3:4]
	v_min_u32_e32 v3, 1, v3
	v_or_b32_e32 v3, v4, v3
	v_cvt_f32_i32_e32 v3, v3
	v_sub_u32_e32 v4, 32, v5
	v_ldexp_f32 v3, v3, v4
	s_branch .LBB151_677
.LBB151_674:
	s_mov_b64 s[2:3], -1
                                        ; implicit-def: $vgpr3
	s_branch .LBB151_683
.LBB151_675:
	s_mov_b64 s[2:3], -1
                                        ; implicit-def: $vgpr3
	s_branch .LBB151_680
.LBB151_676:
	s_mov_b64 s[2:3], -1
                                        ; implicit-def: $vgpr3
.LBB151_677:
	s_andn2_b64 vcc, exec, s[2:3]
	s_cbranch_vccnz .LBB151_679
; %bb.678:
	global_load_dword v3, v[1:2], off
	s_waitcnt vmcnt(0)
	v_cvt_f32_i32_e32 v3, v3
.LBB151_679:
	s_mov_b64 s[2:3], 0
.LBB151_680:
	s_andn2_b64 vcc, exec, s[2:3]
	s_cbranch_vccnz .LBB151_682
; %bb.681:
	global_load_sshort v3, v[1:2], off
	s_waitcnt vmcnt(0)
	v_cvt_f32_i32_e32 v3, v3
.LBB151_682:
	s_mov_b64 s[2:3], 0
.LBB151_683:
	s_andn2_b64 vcc, exec, s[2:3]
	s_cbranch_vccnz .LBB151_689
; %bb.684:
	s_cmp_gt_i32 s12, 0
	s_cbranch_scc0 .LBB151_686
; %bb.685:
	global_load_sbyte v3, v[1:2], off
	s_mov_b64 s[2:3], 0
	s_waitcnt vmcnt(0)
	v_cvt_f32_i32_e32 v3, v3
	s_branch .LBB151_687
.LBB151_686:
	s_mov_b64 s[2:3], -1
                                        ; implicit-def: $vgpr3
.LBB151_687:
	s_andn2_b64 vcc, exec, s[2:3]
	s_cbranch_vccnz .LBB151_689
; %bb.688:
	global_load_ubyte v1, v[1:2], off
	s_waitcnt vmcnt(0)
	v_cvt_f32_ubyte0_e32 v3, v1
.LBB151_689:
	s_mov_b64 s[2:3], -1
.LBB151_690:
	s_andn2_b64 vcc, exec, s[2:3]
	s_cbranch_vccnz .LBB151_698
; %bb.691:
	v_mov_b32_e32 v1, s13
	s_waitcnt vmcnt(0)
	v_cndmask_b32_e64 v2, v1, v3, s[0:1]
	v_mov_b32_e32 v1, s9
	s_and_b32 s12, s77, 0xff
	v_add_co_u32_e32 v0, vcc, s8, v0
	s_cmp_lt_i32 s12, 11
	v_addc_co_u32_e32 v1, vcc, 0, v1, vcc
	s_cbranch_scc1 .LBB151_699
; %bb.692:
	s_and_b32 s24, 0xffff, s12
	s_cmp_gt_i32 s24, 25
	s_cbranch_scc0 .LBB151_700
; %bb.693:
	s_cmp_gt_i32 s24, 28
	s_cbranch_scc0 .LBB151_701
; %bb.694:
	;; [unrolled: 3-line block ×4, first 2 shown]
	s_mov_b64 s[20:21], 0
	s_mov_b64 s[2:3], -1
	s_cmp_eq_u32 s24, 46
	s_mov_b64 s[18:19], 0
	s_cbranch_scc0 .LBB151_704
; %bb.697:
	v_bfe_u32 v3, v2, 16, 1
	s_movk_i32 s2, 0x7fff
	v_add3_u32 v3, v2, v3, s2
	v_cmp_o_f32_e32 vcc, v2, v2
	v_mov_b32_e32 v4, 0x7fc0
	v_cndmask_b32_sdwa v3, v4, v3, vcc dst_sel:DWORD dst_unused:UNUSED_PAD src0_sel:DWORD src1_sel:WORD_1
	global_store_dword v[0:1], v3, off
	s_mov_b64 s[18:19], -1
	s_mov_b64 s[2:3], 0
	s_branch .LBB151_704
.LBB151_698:
	s_mov_b64 s[18:19], 0
	s_mov_b64 s[2:3], s[66:67]
	s_branch .LBB151_815
.LBB151_699:
	s_mov_b64 s[20:21], -1
	s_mov_b64 s[18:19], 0
	s_mov_b64 s[2:3], s[66:67]
	s_branch .LBB151_773
.LBB151_700:
	s_mov_b64 s[20:21], -1
	s_mov_b64 s[18:19], 0
	s_mov_b64 s[2:3], s[66:67]
	s_branch .LBB151_731
.LBB151_701:
	s_mov_b64 s[20:21], -1
	s_mov_b64 s[18:19], 0
	s_mov_b64 s[2:3], s[66:67]
	s_branch .LBB151_714
.LBB151_702:
	s_mov_b64 s[20:21], -1
	s_mov_b64 s[18:19], 0
	s_mov_b64 s[2:3], s[66:67]
	s_branch .LBB151_710
.LBB151_703:
	s_mov_b64 s[20:21], -1
	s_mov_b64 s[18:19], 0
	s_mov_b64 s[2:3], s[66:67]
.LBB151_704:
	s_and_b64 vcc, exec, s[20:21]
	s_cbranch_vccz .LBB151_709
; %bb.705:
	s_cmp_eq_u32 s24, 44
	s_mov_b64 s[2:3], -1
	s_cbranch_scc0 .LBB151_709
; %bb.706:
	v_bfe_u32 v3, v2, 23, 8
	s_movk_i32 s2, 0xff
	v_cmp_ne_u32_e32 vcc, s2, v3
	v_mov_b32_e32 v4, 0xff
	s_and_saveexec_b64 s[18:19], vcc
; %bb.707:
	s_mov_b32 s2, 0x3fffff
	v_and_b32_e32 v5, 0x400000, v2
	v_and_or_b32 v3, v2, s2, v3
	v_cmp_ne_u32_e32 vcc, 0, v5
	v_cmp_ne_u32_e64 s[2:3], 0, v3
	s_and_b64 s[2:3], vcc, s[2:3]
	v_lshrrev_b32_e32 v4, 23, v2
	v_cndmask_b32_e64 v3, 0, 1, s[2:3]
	v_add_u32_e32 v4, v4, v3
; %bb.708:
	s_or_b64 exec, exec, s[18:19]
	s_mov_b64 s[18:19], -1
	s_mov_b64 s[2:3], 0
	global_store_byte v[0:1], v4, off
.LBB151_709:
	s_mov_b64 s[20:21], 0
.LBB151_710:
	s_and_b64 vcc, exec, s[20:21]
	s_cbranch_vccz .LBB151_713
; %bb.711:
	s_cmp_eq_u32 s24, 29
	s_mov_b64 s[2:3], -1
	s_cbranch_scc0 .LBB151_713
; %bb.712:
	v_trunc_f32_e32 v3, v2
	v_mul_f32_e32 v4, 0x2f800000, v3
	v_floor_f32_e32 v5, v4
	v_fmac_f32_e32 v3, 0xcf800000, v5
	v_cvt_u32_f32_e32 v4, v5
	v_cvt_u32_f32_e32 v3, v3
	s_mov_b64 s[18:19], -1
	s_mov_b64 s[2:3], 0
	s_mov_b64 s[20:21], 0
	global_store_dwordx2 v[0:1], v[3:4], off
	s_branch .LBB151_714
.LBB151_713:
	s_mov_b64 s[20:21], 0
.LBB151_714:
	s_and_b64 vcc, exec, s[20:21]
	s_cbranch_vccz .LBB151_730
; %bb.715:
	s_cmp_lt_i32 s24, 27
	s_mov_b64 s[18:19], -1
	s_cbranch_scc1 .LBB151_721
; %bb.716:
	v_cvt_u32_f32_e32 v3, v2
	s_cmp_gt_i32 s24, 27
	s_cbranch_scc0 .LBB151_718
; %bb.717:
	s_mov_b64 s[18:19], 0
	global_store_dword v[0:1], v3, off
.LBB151_718:
	s_andn2_b64 vcc, exec, s[18:19]
	s_cbranch_vccnz .LBB151_720
; %bb.719:
	global_store_short v[0:1], v3, off
.LBB151_720:
	s_mov_b64 s[18:19], 0
.LBB151_721:
	s_andn2_b64 vcc, exec, s[18:19]
	s_cbranch_vccnz .LBB151_729
; %bb.722:
	v_and_b32_e32 v3, 0x7fffffff, v2
	s_mov_b32 s18, 0x43800000
	v_cmp_gt_u32_e32 vcc, s18, v3
	v_mov_b32_e32 v4, 0x80
	s_and_saveexec_b64 s[18:19], vcc
	s_cbranch_execz .LBB151_728
; %bb.723:
	s_mov_b32 s20, 0x3bffffff
	v_cmp_lt_u32_e32 vcc, s20, v3
	s_mov_b64 s[20:21], 0
                                        ; implicit-def: $vgpr3
	s_and_saveexec_b64 s[22:23], vcc
	s_xor_b64 s[22:23], exec, s[22:23]
	s_cbranch_execz .LBB151_845
; %bb.724:
	v_bfe_u32 v3, v2, 20, 1
	s_mov_b32 s25, 0x487ffff
	v_add3_u32 v3, v2, v3, s25
	s_mov_b64 s[20:21], exec
	v_lshrrev_b32_e32 v3, 20, v3
	s_andn2_saveexec_b64 s[22:23], s[22:23]
	s_cbranch_execnz .LBB151_846
.LBB151_725:
	s_or_b64 exec, exec, s[22:23]
	v_mov_b32_e32 v4, 0
	s_and_saveexec_b64 s[22:23], s[20:21]
.LBB151_726:
	v_lshrrev_b32_e32 v4, 24, v2
	s_movk_i32 s20, 0x80
	v_and_or_b32 v4, v4, s20, v3
.LBB151_727:
	s_or_b64 exec, exec, s[22:23]
.LBB151_728:
	s_or_b64 exec, exec, s[18:19]
	global_store_byte v[0:1], v4, off
.LBB151_729:
	s_mov_b64 s[18:19], -1
.LBB151_730:
	s_mov_b64 s[20:21], 0
.LBB151_731:
	s_and_b64 vcc, exec, s[20:21]
	s_cbranch_vccz .LBB151_772
; %bb.732:
	s_cmp_gt_i32 s24, 22
	s_mov_b64 s[20:21], -1
	s_cbranch_scc0 .LBB151_764
; %bb.733:
	s_cmp_lt_i32 s24, 24
	s_mov_b64 s[18:19], -1
	s_cbranch_scc1 .LBB151_753
; %bb.734:
	s_cmp_gt_i32 s24, 24
	s_cbranch_scc0 .LBB151_742
; %bb.735:
	v_and_b32_e32 v3, 0x7fffffff, v2
	s_mov_b32 s18, 0x47800000
	v_cmp_gt_u32_e32 vcc, s18, v3
	v_mov_b32_e32 v4, 0x80
	s_and_saveexec_b64 s[18:19], vcc
	s_cbranch_execz .LBB151_741
; %bb.736:
	s_mov_b32 s20, 0x37ffffff
	v_cmp_lt_u32_e32 vcc, s20, v3
	s_mov_b64 s[20:21], 0
                                        ; implicit-def: $vgpr3
	s_and_saveexec_b64 s[22:23], vcc
	s_xor_b64 s[22:23], exec, s[22:23]
	s_cbranch_execz .LBB151_848
; %bb.737:
	v_bfe_u32 v3, v2, 21, 1
	s_mov_b32 s25, 0x88fffff
	v_add3_u32 v3, v2, v3, s25
	s_mov_b64 s[20:21], exec
	v_lshrrev_b32_e32 v3, 21, v3
	s_andn2_saveexec_b64 s[22:23], s[22:23]
	s_cbranch_execnz .LBB151_849
.LBB151_738:
	s_or_b64 exec, exec, s[22:23]
	v_mov_b32_e32 v4, 0
	s_and_saveexec_b64 s[22:23], s[20:21]
.LBB151_739:
	v_lshrrev_b32_e32 v4, 24, v2
	s_movk_i32 s20, 0x80
	v_and_or_b32 v4, v4, s20, v3
.LBB151_740:
	s_or_b64 exec, exec, s[22:23]
.LBB151_741:
	s_or_b64 exec, exec, s[18:19]
	s_mov_b64 s[18:19], 0
	global_store_byte v[0:1], v4, off
.LBB151_742:
	s_and_b64 vcc, exec, s[18:19]
	s_cbranch_vccz .LBB151_752
; %bb.743:
	v_and_b32_e32 v4, 0x7fffffff, v2
	s_mov_b32 s18, 0x43f00000
	v_cmp_gt_u32_e32 vcc, s18, v4
                                        ; implicit-def: $vgpr3
	s_and_saveexec_b64 s[18:19], vcc
	s_xor_b64 s[18:19], exec, s[18:19]
	s_cbranch_execz .LBB151_749
; %bb.744:
	s_mov_b32 s20, 0x3c7fffff
	v_cmp_lt_u32_e32 vcc, s20, v4
                                        ; implicit-def: $vgpr3
	s_and_saveexec_b64 s[20:21], vcc
	s_xor_b64 s[20:21], exec, s[20:21]
; %bb.745:
	v_bfe_u32 v3, v2, 20, 1
	s_mov_b32 s22, 0x407ffff
	v_add3_u32 v3, v2, v3, s22
	v_lshrrev_b32_e32 v4, 20, v3
	v_and_b32_e32 v3, 0xff00000, v3
	s_mov_b32 s22, 0x7f00000
	v_mov_b32_e32 v5, 0x7e
	v_cmp_ne_u32_e32 vcc, s22, v3
	v_cndmask_b32_e32 v3, v5, v4, vcc
; %bb.746:
	s_andn2_saveexec_b64 s[20:21], s[20:21]
; %bb.747:
	s_mov_b32 s22, 0x46800000
	v_add_f32_e64 v3, |v2|, s22
; %bb.748:
	s_or_b64 exec, exec, s[20:21]
                                        ; implicit-def: $vgpr4
.LBB151_749:
	s_andn2_saveexec_b64 s[18:19], s[18:19]
; %bb.750:
	s_mov_b32 s20, 0x7f800000
	v_mov_b32_e32 v3, 0x7e
	v_mov_b32_e32 v5, 0x7f
	v_cmp_lt_u32_e32 vcc, s20, v4
	v_cndmask_b32_e32 v3, v3, v5, vcc
; %bb.751:
	s_or_b64 exec, exec, s[18:19]
	v_lshrrev_b32_e32 v4, 24, v2
	s_movk_i32 s18, 0x80
	v_and_or_b32 v3, v4, s18, v3
	global_store_byte v[0:1], v3, off
.LBB151_752:
	s_mov_b64 s[18:19], 0
.LBB151_753:
	s_andn2_b64 vcc, exec, s[18:19]
	s_cbranch_vccnz .LBB151_763
; %bb.754:
	v_and_b32_e32 v4, 0x7fffffff, v2
	s_mov_b32 s18, 0x47800000
	v_cmp_gt_u32_e32 vcc, s18, v4
                                        ; implicit-def: $vgpr3
	s_and_saveexec_b64 s[18:19], vcc
	s_xor_b64 s[18:19], exec, s[18:19]
	s_cbranch_execz .LBB151_760
; %bb.755:
	s_mov_b32 s20, 0x387fffff
	v_cmp_lt_u32_e32 vcc, s20, v4
                                        ; implicit-def: $vgpr3
	s_and_saveexec_b64 s[20:21], vcc
	s_xor_b64 s[20:21], exec, s[20:21]
; %bb.756:
	v_bfe_u32 v3, v2, 21, 1
	s_mov_b32 s22, 0x80fffff
	v_add3_u32 v3, v2, v3, s22
	v_lshrrev_b32_e32 v3, 21, v3
; %bb.757:
	s_andn2_saveexec_b64 s[20:21], s[20:21]
; %bb.758:
	s_mov_b32 s22, 0x43000000
	v_add_f32_e64 v3, |v2|, s22
; %bb.759:
	s_or_b64 exec, exec, s[20:21]
                                        ; implicit-def: $vgpr4
.LBB151_760:
	s_andn2_saveexec_b64 s[18:19], s[18:19]
; %bb.761:
	s_mov_b32 s20, 0x7f800000
	v_mov_b32_e32 v3, 0x7c
	v_mov_b32_e32 v5, 0x7f
	v_cmp_lt_u32_e32 vcc, s20, v4
	v_cndmask_b32_e32 v3, v3, v5, vcc
; %bb.762:
	s_or_b64 exec, exec, s[18:19]
	v_lshrrev_b32_e32 v4, 24, v2
	s_movk_i32 s18, 0x80
	v_and_or_b32 v3, v4, s18, v3
	global_store_byte v[0:1], v3, off
.LBB151_763:
	s_mov_b64 s[20:21], 0
	s_mov_b64 s[18:19], -1
.LBB151_764:
	s_andn2_b64 vcc, exec, s[20:21]
	s_cbranch_vccnz .LBB151_772
; %bb.765:
	s_cmp_gt_i32 s24, 14
	s_mov_b64 s[20:21], -1
	s_cbranch_scc0 .LBB151_769
; %bb.766:
	s_cmp_eq_u32 s24, 15
	s_mov_b64 s[2:3], -1
	s_cbranch_scc0 .LBB151_768
; %bb.767:
	v_bfe_u32 v3, v2, 16, 1
	s_movk_i32 s2, 0x7fff
	v_add3_u32 v3, v2, v3, s2
	v_cmp_o_f32_e32 vcc, v2, v2
	v_mov_b32_e32 v4, 0x7fc0
	v_cndmask_b32_sdwa v3, v4, v3, vcc dst_sel:DWORD dst_unused:UNUSED_PAD src0_sel:DWORD src1_sel:WORD_1
	global_store_short v[0:1], v3, off
	s_mov_b64 s[18:19], -1
	s_mov_b64 s[2:3], 0
.LBB151_768:
	s_mov_b64 s[20:21], 0
.LBB151_769:
	s_and_b64 vcc, exec, s[20:21]
	s_cbranch_vccz .LBB151_772
; %bb.770:
	s_cmp_eq_u32 s24, 11
	s_mov_b64 s[2:3], -1
	s_cbranch_scc0 .LBB151_772
; %bb.771:
	v_cmp_neq_f32_e32 vcc, 0, v2
	v_cndmask_b32_e64 v3, 0, 1, vcc
	s_mov_b64 s[18:19], -1
	s_mov_b64 s[2:3], 0
	global_store_byte v[0:1], v3, off
.LBB151_772:
	s_mov_b64 s[20:21], 0
.LBB151_773:
	s_and_b64 vcc, exec, s[20:21]
	s_cbranch_vccz .LBB151_812
; %bb.774:
	s_and_b32 s12, 0xffff, s12
	s_cmp_lt_i32 s12, 5
	s_mov_b64 s[18:19], -1
	s_cbranch_scc1 .LBB151_795
; %bb.775:
	s_cmp_lt_i32 s12, 8
	s_cbranch_scc1 .LBB151_785
; %bb.776:
	s_cmp_lt_i32 s12, 9
	s_cbranch_scc1 .LBB151_782
; %bb.777:
	s_cmp_gt_i32 s12, 9
	s_cbranch_scc0 .LBB151_779
; %bb.778:
	v_cvt_f64_f32_e32 v[3:4], v2
	v_mov_b32_e32 v5, 0
	v_mov_b32_e32 v6, v5
	s_mov_b64 s[18:19], 0
	global_store_dwordx4 v[0:1], v[3:6], off
.LBB151_779:
	s_andn2_b64 vcc, exec, s[18:19]
	s_cbranch_vccnz .LBB151_781
; %bb.780:
	v_mov_b32_e32 v3, 0
	global_store_dwordx2 v[0:1], v[2:3], off
.LBB151_781:
	s_mov_b64 s[18:19], 0
.LBB151_782:
	s_andn2_b64 vcc, exec, s[18:19]
	s_cbranch_vccnz .LBB151_784
; %bb.783:
	v_cvt_f16_f32_e32 v3, v2
	global_store_dword v[0:1], v3, off
.LBB151_784:
	s_mov_b64 s[18:19], 0
.LBB151_785:
	s_andn2_b64 vcc, exec, s[18:19]
	s_cbranch_vccnz .LBB151_794
; %bb.786:
	s_cmp_lt_i32 s12, 6
	s_mov_b64 s[18:19], -1
	s_cbranch_scc1 .LBB151_792
; %bb.787:
	s_cmp_gt_i32 s12, 6
	s_cbranch_scc0 .LBB151_789
; %bb.788:
	v_cvt_f64_f32_e32 v[3:4], v2
	s_mov_b64 s[18:19], 0
	global_store_dwordx2 v[0:1], v[3:4], off
.LBB151_789:
	s_andn2_b64 vcc, exec, s[18:19]
	s_cbranch_vccnz .LBB151_791
; %bb.790:
	global_store_dword v[0:1], v2, off
.LBB151_791:
	s_mov_b64 s[18:19], 0
.LBB151_792:
	s_andn2_b64 vcc, exec, s[18:19]
	s_cbranch_vccnz .LBB151_794
; %bb.793:
	v_cvt_f16_f32_e32 v3, v2
	global_store_short v[0:1], v3, off
.LBB151_794:
	s_mov_b64 s[18:19], 0
.LBB151_795:
	s_andn2_b64 vcc, exec, s[18:19]
	s_cbranch_vccnz .LBB151_811
; %bb.796:
	s_cmp_lt_i32 s12, 2
	s_mov_b64 s[18:19], -1
	s_cbranch_scc1 .LBB151_806
; %bb.797:
	s_cmp_lt_i32 s12, 3
	s_cbranch_scc1 .LBB151_803
; %bb.798:
	s_cmp_gt_i32 s12, 3
	s_cbranch_scc0 .LBB151_800
; %bb.799:
	v_trunc_f32_e32 v3, v2
	s_mov_b32 s18, 0x2f800000
	v_mul_f32_e64 v4, |v3|, s18
	v_floor_f32_e32 v4, v4
	s_mov_b32 s18, 0xcf800000
	v_cvt_u32_f32_e32 v5, v4
	v_fma_f32 v4, v4, s18, |v3|
	v_cvt_u32_f32_e32 v4, v4
	v_ashrrev_i32_e32 v6, 31, v3
	v_xor_b32_e32 v5, v5, v6
	s_mov_b64 s[18:19], 0
	v_xor_b32_e32 v3, v4, v6
	v_sub_co_u32_e32 v3, vcc, v3, v6
	v_subb_co_u32_e32 v4, vcc, v5, v6, vcc
	global_store_dwordx2 v[0:1], v[3:4], off
.LBB151_800:
	s_andn2_b64 vcc, exec, s[18:19]
	s_cbranch_vccnz .LBB151_802
; %bb.801:
	v_cvt_i32_f32_e32 v3, v2
	global_store_dword v[0:1], v3, off
.LBB151_802:
	s_mov_b64 s[18:19], 0
.LBB151_803:
	s_andn2_b64 vcc, exec, s[18:19]
	s_cbranch_vccnz .LBB151_805
; %bb.804:
	v_cvt_i32_f32_e32 v3, v2
	global_store_short v[0:1], v3, off
.LBB151_805:
	s_mov_b64 s[18:19], 0
.LBB151_806:
	s_andn2_b64 vcc, exec, s[18:19]
	s_cbranch_vccnz .LBB151_811
; %bb.807:
	s_cmp_gt_i32 s12, 0
	s_mov_b64 s[18:19], -1
	s_cbranch_scc0 .LBB151_809
; %bb.808:
	v_cvt_i32_f32_e32 v3, v2
	s_mov_b64 s[18:19], 0
	global_store_byte v[0:1], v3, off
.LBB151_809:
	s_andn2_b64 vcc, exec, s[18:19]
	s_cbranch_vccnz .LBB151_811
; %bb.810:
	v_trunc_f32_e32 v2, v2
	s_mov_b32 s12, 0x2f800000
	v_mul_f32_e64 v3, |v2|, s12
	v_floor_f32_e32 v3, v3
	s_mov_b32 s12, 0xcf800000
	v_fma_f32 v3, v3, s12, |v2|
	v_cvt_u32_f32_e32 v3, v3
	v_ashrrev_i32_e32 v2, 31, v2
	v_xor_b32_e32 v3, v3, v2
	v_sub_u32_e32 v2, v3, v2
	global_store_byte v[0:1], v2, off
.LBB151_811:
	s_mov_b64 s[18:19], -1
.LBB151_812:
	s_andn2_b64 vcc, exec, s[18:19]
	s_cbranch_vccnz .LBB151_814
; %bb.813:
	v_add_u32_e32 v8, 0x80, v8
	s_mov_b64 s[18:19], -1
	s_branch .LBB151_816
.LBB151_814:
	s_mov_b64 s[18:19], 0
.LBB151_815:
                                        ; implicit-def: $vgpr8
.LBB151_816:
	s_andn2_b64 s[20:21], s[66:67], exec
	s_and_b64 s[2:3], s[2:3], exec
	s_or_b64 s[72:73], s[20:21], s[2:3]
	s_andn2_b64 s[2:3], s[64:65], exec
	s_and_b64 s[16:17], s[16:17], exec
	s_or_b64 s[2:3], s[2:3], s[16:17]
	s_orn2_b64 s[22:23], s[18:19], exec
.LBB151_817:
	s_or_b64 exec, exec, s[70:71]
	s_mov_b64 s[16:17], 0
	s_mov_b64 s[18:19], 0
	;; [unrolled: 1-line block ×3, first 2 shown]
                                        ; implicit-def: $vgpr1_vgpr2
                                        ; implicit-def: $vgpr0
                                        ; implicit-def: $vgpr4
	s_and_saveexec_b64 s[70:71], s[22:23]
	s_cbranch_execz .LBB151_916
; %bb.818:
	v_cmp_gt_i32_e32 vcc, s74, v8
	s_mov_b64 s[22:23], s[2:3]
                                        ; implicit-def: $vgpr1_vgpr2
                                        ; implicit-def: $vgpr0
                                        ; implicit-def: $vgpr4
	s_and_saveexec_b64 s[74:75], vcc
	s_cbranch_execz .LBB151_915
; %bb.819:
	s_andn2_b64 vcc, exec, s[48:49]
	s_cbranch_vccnz .LBB151_824
; %bb.820:
	s_andn2_b64 vcc, exec, s[58:59]
	s_cbranch_vccnz .LBB151_825
; %bb.821:
	s_add_i32 s79, s79, 1
	s_cmp_eq_u32 s76, 2
	s_cbranch_scc1 .LBB151_826
; %bb.822:
	s_and_b32 s12, s79, 28
	v_mov_b32_e32 v2, 0
	s_mov_b32 s80, 0
	s_mov_b64 s[58:59], s[34:35]
	v_mov_b32_e32 v0, 0
	v_mov_b32_e32 v1, v8
.LBB151_823:                            ; =>This Inner Loop Header: Depth=1
	s_load_dwordx8 s[24:31], s[58:59], 0x4
	s_load_dwordx4 s[44:47], s[58:59], 0x24
	s_load_dwordx8 s[16:23], s[56:57], 0x0
	s_add_u32 s58, s58, 48
	s_addc_u32 s59, s59, 0
	s_waitcnt vmcnt(0) lgkmcnt(0)
	v_mul_hi_u32 v3, s25, v1
	s_add_i32 s80, s80, 4
	s_add_u32 s56, s56, 32
	s_addc_u32 s57, s57, 0
	v_add_u32_e32 v3, v1, v3
	v_lshrrev_b32_e32 v3, s26, v3
	v_mul_lo_u32 v4, v3, s24
	v_mul_hi_u32 v5, s28, v3
	s_cmp_eq_u32 s12, s80
	v_sub_u32_e32 v1, v1, v4
	v_add_u32_e32 v4, v3, v5
	v_mul_lo_u32 v5, v1, s16
	v_mul_lo_u32 v6, v1, s17
	v_lshrrev_b32_e32 v1, s29, v4
	v_mul_lo_u32 v4, v1, s27
	v_mul_hi_u32 v7, s31, v1
	v_sub_u32_e32 v3, v3, v4
	v_add_u32_e32 v4, v1, v7
	v_lshrrev_b32_e32 v4, s44, v4
	v_mul_hi_u32 v9, s46, v4
	v_mul_lo_u32 v10, v4, s30
	v_mul_lo_u32 v7, v3, s18
	;; [unrolled: 1-line block ×3, first 2 shown]
	v_sub_u32_e32 v10, v1, v10
	v_add_u32_e32 v1, v4, v9
	v_lshrrev_b32_e32 v1, s47, v1
	v_mul_lo_u32 v9, v1, s45
	v_mul_lo_u32 v11, v10, s20
	;; [unrolled: 1-line block ×3, first 2 shown]
	v_add3_u32 v0, v5, v0, v7
	v_sub_u32_e32 v4, v4, v9
	v_mul_lo_u32 v9, v4, s22
	v_mul_lo_u32 v4, v4, s23
	v_add3_u32 v2, v6, v2, v3
	v_add3_u32 v0, v11, v0, v9
	;; [unrolled: 1-line block ×3, first 2 shown]
	s_cbranch_scc0 .LBB151_823
	s_branch .LBB151_827
.LBB151_824:
	s_mov_b64 s[16:17], -1
                                        ; implicit-def: $vgpr0
                                        ; implicit-def: $vgpr2
	s_branch .LBB151_831
.LBB151_825:
	v_mov_b32_e32 v0, 0
	v_mov_b32_e32 v2, 0
	s_branch .LBB151_830
.LBB151_826:
	s_mov_b32 s12, 0
	v_mov_b32_e32 v0, 0
	v_mov_b32_e32 v2, 0
	;; [unrolled: 1-line block ×3, first 2 shown]
.LBB151_827:
	s_and_b32 s20, s79, 3
	s_cmp_eq_u32 s20, 0
	s_cbranch_scc1 .LBB151_830
; %bb.828:
	s_lshl_b32 s16, s12, 3
	s_add_u32 s16, s34, s16
	s_addc_u32 s17, s35, 0
	s_add_u32 s16, s16, 0xc4
	s_addc_u32 s17, s17, 0
	s_mul_i32 s12, s12, 12
	s_add_u32 s18, s34, s12
	s_addc_u32 s19, s35, 0
.LBB151_829:                            ; =>This Inner Loop Header: Depth=1
	s_load_dwordx2 s[22:23], s[18:19], 0x4
	s_load_dword s12, s[18:19], 0xc
	s_load_dwordx2 s[24:25], s[16:17], 0x0
	s_add_u32 s18, s18, 12
	s_addc_u32 s19, s19, 0
	s_waitcnt vmcnt(0) lgkmcnt(0)
	v_mul_hi_u32 v3, s23, v1
	s_add_u32 s16, s16, 8
	s_addc_u32 s17, s17, 0
	s_add_i32 s20, s20, -1
	v_add_u32_e32 v3, v1, v3
	v_lshrrev_b32_e32 v4, s12, v3
	v_mul_lo_u32 v3, v4, s22
	s_cmp_lg_u32 s20, 0
	v_sub_u32_e32 v3, v1, v3
	v_mad_u64_u32 v[0:1], s[22:23], v3, s24, v[0:1]
	v_mad_u64_u32 v[2:3], s[22:23], v3, s25, v[2:3]
	v_mov_b32_e32 v1, v4
	s_cbranch_scc1 .LBB151_829
.LBB151_830:
	s_mov_b64 s[16:17], 0
.LBB151_831:
	s_andn2_b64 vcc, exec, s[16:17]
	s_cbranch_vccnz .LBB151_834
; %bb.832:
	v_mul_hi_u32 v0, s37, v8
	s_andn2_b64 vcc, exec, s[54:55]
	v_add_u32_e32 v0, v8, v0
	v_lshrrev_b32_e32 v1, s38, v0
	v_mul_lo_u32 v0, v1, s36
	v_sub_u32_e32 v2, v8, v0
	v_mul_lo_u32 v0, v2, s40
	v_mul_lo_u32 v2, v2, s41
	s_cbranch_vccnz .LBB151_834
; %bb.833:
	s_waitcnt vmcnt(0)
	v_mul_hi_u32 v3, s52, v1
	v_add_u32_e32 v3, v1, v3
	v_lshrrev_b32_e32 v3, s53, v3
	v_mul_lo_u32 v3, v3, s39
	v_sub_u32_e32 v3, v1, v3
	v_mad_u64_u32 v[0:1], s[16:17], v3, s42, v[0:1]
	v_mad_u64_u32 v[2:3], s[16:17], v3, s43, v[2:3]
.LBB151_834:
	s_waitcnt vmcnt(0)
	v_mov_b32_e32 v3, s11
	s_and_b32 s12, 0xffff, s78
	v_add_co_u32_e32 v1, vcc, s10, v2
	s_cmp_lt_i32 s12, 11
	v_addc_co_u32_e32 v2, vcc, 0, v3, vcc
	s_cbranch_scc1 .LBB151_841
; %bb.835:
	s_cmp_gt_i32 s12, 25
	s_mov_b64 s[16:17], 0
	s_cbranch_scc0 .LBB151_842
; %bb.836:
	s_cmp_gt_i32 s12, 28
	s_cbranch_scc0 .LBB151_843
; %bb.837:
	s_cmp_gt_i32 s12, 43
	;; [unrolled: 3-line block ×3, first 2 shown]
	s_cbranch_scc0 .LBB151_847
; %bb.839:
	s_cmp_eq_u32 s12, 46
	s_mov_b64 s[20:21], 0
	s_cbranch_scc0 .LBB151_850
; %bb.840:
	global_load_dword v3, v[1:2], off
	s_mov_b64 s[10:11], 0
	s_mov_b64 s[18:19], -1
	s_waitcnt vmcnt(0)
	v_lshlrev_b32_e32 v4, 16, v3
	s_branch .LBB151_851
.LBB151_841:
	s_mov_b64 s[22:23], -1
	s_mov_b64 s[18:19], 0
	s_mov_b64 s[16:17], 0
	s_mov_b64 s[10:11], s[2:3]
                                        ; implicit-def: $vgpr4
	s_branch .LBB151_914
.LBB151_842:
	s_mov_b64 s[20:21], -1
	s_mov_b64 s[18:19], 0
	s_mov_b64 s[10:11], s[2:3]
                                        ; implicit-def: $vgpr4
	s_branch .LBB151_880
.LBB151_843:
	s_mov_b64 s[20:21], -1
	s_mov_b64 s[18:19], 0
	s_mov_b64 s[10:11], s[2:3]
                                        ; implicit-def: $vgpr4
	s_branch .LBB151_861
.LBB151_844:
	s_mov_b64 s[20:21], -1
	s_mov_b64 s[18:19], 0
	s_mov_b64 s[10:11], s[2:3]
                                        ; implicit-def: $vgpr4
	s_branch .LBB151_856
.LBB151_845:
	s_andn2_saveexec_b64 s[22:23], s[22:23]
	s_cbranch_execz .LBB151_725
.LBB151_846:
	s_mov_b32 s25, 0x46000000
	v_add_f32_e64 v3, |v2|, s25
	v_and_b32_e32 v3, 0xff, v3
	v_cmp_ne_u32_e32 vcc, 0, v3
	s_andn2_b64 s[20:21], s[20:21], exec
	s_and_b64 s[26:27], vcc, exec
	s_or_b64 s[20:21], s[20:21], s[26:27]
	s_or_b64 exec, exec, s[22:23]
	v_mov_b32_e32 v4, 0
	s_and_saveexec_b64 s[22:23], s[20:21]
	s_cbranch_execnz .LBB151_726
	s_branch .LBB151_727
.LBB151_847:
	s_mov_b64 s[20:21], -1
	s_mov_b64 s[18:19], 0
	s_mov_b64 s[10:11], s[2:3]
                                        ; implicit-def: $vgpr4
	s_branch .LBB151_851
.LBB151_848:
	s_andn2_saveexec_b64 s[22:23], s[22:23]
	s_cbranch_execz .LBB151_738
.LBB151_849:
	s_mov_b32 s25, 0x42800000
	v_add_f32_e64 v3, |v2|, s25
	v_and_b32_e32 v3, 0xff, v3
	v_cmp_ne_u32_e32 vcc, 0, v3
	s_andn2_b64 s[20:21], s[20:21], exec
	s_and_b64 s[26:27], vcc, exec
	s_or_b64 s[20:21], s[20:21], s[26:27]
	s_or_b64 exec, exec, s[22:23]
	v_mov_b32_e32 v4, 0
	s_and_saveexec_b64 s[22:23], s[20:21]
	s_cbranch_execnz .LBB151_739
	s_branch .LBB151_740
.LBB151_850:
	s_mov_b64 s[10:11], -1
                                        ; implicit-def: $vgpr4
	s_mov_b64 s[18:19], 0
.LBB151_851:
	s_and_b64 vcc, exec, s[20:21]
	s_cbranch_vccz .LBB151_855
; %bb.852:
	s_cmp_eq_u32 s12, 44
	s_cbranch_scc0 .LBB151_854
; %bb.853:
	global_load_ubyte v3, v[1:2], off
	s_movk_i32 s18, 0xff
	v_mov_b32_e32 v4, 0x7f800001
	v_mov_b32_e32 v5, 0x400000
	s_mov_b64 s[10:11], 0
	s_waitcnt vmcnt(0)
	v_lshlrev_b32_e32 v6, 23, v3
	v_cmp_ne_u32_e32 vcc, s18, v3
	v_cndmask_b32_e32 v4, v4, v6, vcc
	v_cmp_ne_u32_e32 vcc, 0, v3
	v_cndmask_b32_e32 v4, v5, v4, vcc
	s_mov_b64 s[18:19], -1
	s_branch .LBB151_855
.LBB151_854:
	s_mov_b64 s[10:11], -1
                                        ; implicit-def: $vgpr4
.LBB151_855:
	s_mov_b64 s[20:21], 0
.LBB151_856:
	s_and_b64 vcc, exec, s[20:21]
	s_cbranch_vccz .LBB151_860
; %bb.857:
	s_cmp_eq_u32 s12, 29
	s_cbranch_scc0 .LBB151_859
; %bb.858:
	global_load_dwordx2 v[3:4], v[1:2], off
	s_mov_b64 s[10:11], 0
	s_mov_b64 s[18:19], -1
	s_mov_b64 s[20:21], 0
	s_waitcnt vmcnt(0)
	v_ffbh_u32_e32 v5, v4
	v_min_u32_e32 v5, 32, v5
	v_lshlrev_b64 v[3:4], v5, v[3:4]
	v_min_u32_e32 v3, 1, v3
	v_or_b32_e32 v3, v4, v3
	v_cvt_f32_u32_e32 v3, v3
	v_sub_u32_e32 v4, 32, v5
	v_ldexp_f32 v4, v3, v4
	s_branch .LBB151_861
.LBB151_859:
	s_mov_b64 s[10:11], -1
                                        ; implicit-def: $vgpr4
.LBB151_860:
	s_mov_b64 s[20:21], 0
.LBB151_861:
	s_and_b64 vcc, exec, s[20:21]
	s_cbranch_vccz .LBB151_879
; %bb.862:
	s_cmp_lt_i32 s12, 27
	s_cbranch_scc1 .LBB151_865
; %bb.863:
	s_cmp_gt_i32 s12, 27
	s_cbranch_scc0 .LBB151_866
; %bb.864:
	global_load_dword v3, v[1:2], off
	s_mov_b64 s[18:19], 0
	s_waitcnt vmcnt(0)
	v_cvt_f32_u32_e32 v4, v3
	s_branch .LBB151_867
.LBB151_865:
	s_mov_b64 s[18:19], -1
                                        ; implicit-def: $vgpr4
	s_branch .LBB151_870
.LBB151_866:
	s_mov_b64 s[18:19], -1
                                        ; implicit-def: $vgpr4
.LBB151_867:
	s_andn2_b64 vcc, exec, s[18:19]
	s_cbranch_vccnz .LBB151_869
; %bb.868:
	global_load_ushort v3, v[1:2], off
	s_waitcnt vmcnt(0)
	v_cvt_f32_u32_e32 v4, v3
.LBB151_869:
	s_mov_b64 s[18:19], 0
.LBB151_870:
	s_andn2_b64 vcc, exec, s[18:19]
	s_cbranch_vccnz .LBB151_878
; %bb.871:
	global_load_ubyte v3, v[1:2], off
	s_movk_i32 s18, 0x7f
	s_waitcnt vmcnt(0)
	v_cmp_lt_i16_e32 vcc, s18, v3
	s_mov_b64 s[18:19], 0
	s_and_saveexec_b64 s[20:21], vcc
	s_xor_b64 s[20:21], exec, s[20:21]
	s_cbranch_execz .LBB151_892
; %bb.872:
	s_movk_i32 s18, 0x80
	v_cmp_eq_u16_e32 vcc, s18, v3
	s_mov_b64 s[18:19], -1
	s_and_saveexec_b64 s[22:23], vcc
; %bb.873:
	s_xor_b64 s[18:19], exec, -1
; %bb.874:
	s_or_b64 exec, exec, s[22:23]
	s_and_b64 s[18:19], s[18:19], exec
	s_or_saveexec_b64 s[20:21], s[20:21]
	v_mov_b32_e32 v4, 0x7f800001
	s_xor_b64 exec, exec, s[20:21]
	s_cbranch_execnz .LBB151_893
.LBB151_875:
	s_or_b64 exec, exec, s[20:21]
	s_and_saveexec_b64 s[20:21], s[18:19]
	s_cbranch_execz .LBB151_877
.LBB151_876:
	v_lshlrev_b32_e32 v4, 24, v3
	v_and_b32_e32 v3, 0xffff, v3
	v_and_b32_e32 v5, 7, v3
	v_ffbh_u32_e32 v7, v5
	v_min_u32_e32 v7, 32, v7
	v_subrev_u32_e32 v8, 28, v7
	v_bfe_u32 v6, v3, 3, 4
	v_lshlrev_b32_e32 v3, v8, v3
	v_sub_u32_e32 v7, 29, v7
	v_and_b32_e32 v3, 7, v3
	v_cmp_eq_u32_e32 vcc, 0, v6
	v_cndmask_b32_e32 v6, v6, v7, vcc
	v_cndmask_b32_e32 v3, v5, v3, vcc
	v_mov_b32_e32 v5, 0x3b800000
	v_lshlrev_b32_e32 v3, 20, v3
	v_and_b32_e32 v4, 0x80000000, v4
	v_lshl_add_u32 v5, v6, 23, v5
	v_or3_b32 v4, v4, v5, v3
.LBB151_877:
	s_or_b64 exec, exec, s[20:21]
.LBB151_878:
	s_mov_b64 s[18:19], -1
.LBB151_879:
	s_mov_b64 s[20:21], 0
.LBB151_880:
	s_and_b64 vcc, exec, s[20:21]
	s_cbranch_vccz .LBB151_913
; %bb.881:
	s_cmp_gt_i32 s12, 22
	s_cbranch_scc0 .LBB151_891
; %bb.882:
	s_cmp_lt_i32 s12, 24
	s_cbranch_scc1 .LBB151_894
; %bb.883:
	s_cmp_gt_i32 s12, 24
	s_cbranch_scc0 .LBB151_895
; %bb.884:
	global_load_ubyte v3, v[1:2], off
	s_movk_i32 s16, 0x7f
	s_waitcnt vmcnt(0)
	v_cmp_lt_i16_e32 vcc, s16, v3
	s_mov_b64 s[16:17], 0
	s_and_saveexec_b64 s[18:19], vcc
	s_xor_b64 s[18:19], exec, s[18:19]
	s_cbranch_execz .LBB151_907
; %bb.885:
	s_movk_i32 s16, 0x80
	v_cmp_eq_u16_e32 vcc, s16, v3
	s_mov_b64 s[16:17], -1
	s_and_saveexec_b64 s[20:21], vcc
; %bb.886:
	s_xor_b64 s[16:17], exec, -1
; %bb.887:
	s_or_b64 exec, exec, s[20:21]
	s_and_b64 s[16:17], s[16:17], exec
	s_or_saveexec_b64 s[18:19], s[18:19]
	v_mov_b32_e32 v4, 0x7f800001
	s_xor_b64 exec, exec, s[18:19]
	s_cbranch_execnz .LBB151_908
.LBB151_888:
	s_or_b64 exec, exec, s[18:19]
	s_and_saveexec_b64 s[18:19], s[16:17]
	s_cbranch_execz .LBB151_890
.LBB151_889:
	v_lshlrev_b32_e32 v4, 24, v3
	v_and_b32_e32 v3, 0xffff, v3
	v_and_b32_e32 v5, 3, v3
	v_ffbh_u32_e32 v7, v5
	v_min_u32_e32 v7, 32, v7
	v_subrev_u32_e32 v8, 29, v7
	v_bfe_u32 v6, v3, 2, 5
	v_lshlrev_b32_e32 v3, v8, v3
	v_sub_u32_e32 v7, 30, v7
	v_and_b32_e32 v3, 3, v3
	v_cmp_eq_u32_e32 vcc, 0, v6
	v_cndmask_b32_e32 v6, v6, v7, vcc
	v_cndmask_b32_e32 v3, v5, v3, vcc
	v_mov_b32_e32 v5, 0x37800000
	v_lshlrev_b32_e32 v3, 21, v3
	v_and_b32_e32 v4, 0x80000000, v4
	v_lshl_add_u32 v5, v6, 23, v5
	v_or3_b32 v4, v4, v5, v3
.LBB151_890:
	s_or_b64 exec, exec, s[18:19]
	s_mov_b64 s[16:17], 0
	s_branch .LBB151_896
.LBB151_891:
	s_mov_b64 s[16:17], -1
                                        ; implicit-def: $vgpr4
	s_branch .LBB151_902
.LBB151_892:
	s_or_saveexec_b64 s[20:21], s[20:21]
	v_mov_b32_e32 v4, 0x7f800001
	s_xor_b64 exec, exec, s[20:21]
	s_cbranch_execz .LBB151_875
.LBB151_893:
	v_cmp_ne_u16_e32 vcc, 0, v3
	s_andn2_b64 s[18:19], s[18:19], exec
	s_and_b64 s[22:23], vcc, exec
	v_mov_b32_e32 v4, 0
	s_or_b64 s[18:19], s[18:19], s[22:23]
	s_or_b64 exec, exec, s[20:21]
	s_and_saveexec_b64 s[20:21], s[18:19]
	s_cbranch_execnz .LBB151_876
	s_branch .LBB151_877
.LBB151_894:
	s_mov_b64 s[16:17], -1
                                        ; implicit-def: $vgpr4
	s_branch .LBB151_899
.LBB151_895:
	s_mov_b64 s[16:17], -1
                                        ; implicit-def: $vgpr4
.LBB151_896:
	s_and_b64 vcc, exec, s[16:17]
	s_cbranch_vccz .LBB151_898
; %bb.897:
	global_load_ubyte v3, v[1:2], off
	s_mov_b32 s16, 0x7f800000
	s_waitcnt vmcnt(0)
	v_lshlrev_b32_e32 v3, 24, v3
	v_and_b32_e32 v4, 0x7f000000, v3
	v_ffbh_u32_e32 v5, v4
	v_min_u32_e32 v5, 32, v5
	v_sub_u32_e64 v5, v5, 4 clamp
	v_lshlrev_b32_e32 v7, v5, v4
	v_lshlrev_b32_e32 v5, 23, v5
	v_lshrrev_b32_e32 v7, 4, v7
	v_add_u32_e32 v6, 0x1000000, v4
	v_sub_u32_e32 v5, v7, v5
	v_ashrrev_i32_e32 v6, 8, v6
	v_add_u32_e32 v5, 0x3c000000, v5
	v_and_or_b32 v5, v6, s16, v5
	v_cmp_ne_u32_e32 vcc, 0, v4
	v_cndmask_b32_e32 v4, 0, v5, vcc
	s_brev_b32 s16, 1
	v_and_or_b32 v4, v3, s16, v4
.LBB151_898:
	s_mov_b64 s[16:17], 0
.LBB151_899:
	s_andn2_b64 vcc, exec, s[16:17]
	s_cbranch_vccnz .LBB151_901
; %bb.900:
	global_load_ubyte v3, v[1:2], off
	s_movk_i32 s16, 0x7f00
	s_brev_b32 s17, 16
	s_waitcnt vmcnt(0)
	v_lshlrev_b16_e32 v4, 8, v3
	v_lshlrev_b32_e32 v3, 25, v3
	v_lshrrev_b32_e32 v5, 4, v3
	v_and_or_b32 v6, v4, s16, 0.5
	v_or_b32_e32 v5, 0x70000000, v5
	v_add_f32_e32 v6, -0.5, v6
	v_mul_f32_e32 v5, 0x7800000, v5
	v_cmp_gt_u32_e32 vcc, s17, v3
	v_bfe_i32 v4, v4, 0, 16
	v_cndmask_b32_e32 v3, v5, v6, vcc
	s_brev_b32 s16, 1
	v_and_or_b32 v4, v4, s16, v3
.LBB151_901:
	s_mov_b64 s[16:17], 0
	s_mov_b64 s[18:19], -1
.LBB151_902:
	s_andn2_b64 vcc, exec, s[16:17]
	s_mov_b64 s[16:17], 0
	s_cbranch_vccnz .LBB151_913
; %bb.903:
	s_cmp_gt_i32 s12, 14
	s_cbranch_scc0 .LBB151_906
; %bb.904:
	s_cmp_eq_u32 s12, 15
	s_cbranch_scc0 .LBB151_909
; %bb.905:
	global_load_ushort v3, v[1:2], off
	s_mov_b64 s[10:11], 0
	s_mov_b64 s[18:19], -1
	s_waitcnt vmcnt(0)
	v_lshlrev_b32_e32 v4, 16, v3
	s_branch .LBB151_910
.LBB151_906:
	s_mov_b64 s[20:21], -1
                                        ; implicit-def: $vgpr4
	s_branch .LBB151_911
.LBB151_907:
	s_or_saveexec_b64 s[18:19], s[18:19]
	v_mov_b32_e32 v4, 0x7f800001
	s_xor_b64 exec, exec, s[18:19]
	s_cbranch_execz .LBB151_888
.LBB151_908:
	v_cmp_ne_u16_e32 vcc, 0, v3
	s_andn2_b64 s[16:17], s[16:17], exec
	s_and_b64 s[20:21], vcc, exec
	v_mov_b32_e32 v4, 0
	s_or_b64 s[16:17], s[16:17], s[20:21]
	s_or_b64 exec, exec, s[18:19]
	s_and_saveexec_b64 s[18:19], s[16:17]
	s_cbranch_execnz .LBB151_889
	s_branch .LBB151_890
.LBB151_909:
	s_mov_b64 s[10:11], -1
                                        ; implicit-def: $vgpr4
.LBB151_910:
	s_mov_b64 s[20:21], 0
.LBB151_911:
	s_and_b64 vcc, exec, s[20:21]
	s_cbranch_vccz .LBB151_913
; %bb.912:
	s_cmp_lg_u32 s12, 11
	s_cselect_b64 s[20:21], -1, 0
	s_andn2_b64 s[10:11], s[10:11], exec
	s_and_b64 s[20:21], s[20:21], exec
	s_mov_b64 s[16:17], -1
	s_or_b64 s[10:11], s[10:11], s[20:21]
.LBB151_913:
	s_mov_b64 s[22:23], 0
.LBB151_914:
	s_and_b64 s[20:21], s[18:19], exec
	s_and_b64 s[18:19], s[22:23], exec
	s_andn2_b64 s[22:23], s[2:3], exec
	s_and_b64 s[10:11], s[10:11], exec
	s_and_b64 s[16:17], s[16:17], exec
	s_or_b64 s[22:23], s[22:23], s[10:11]
.LBB151_915:
	s_or_b64 exec, exec, s[74:75]
	s_andn2_b64 s[2:3], s[2:3], exec
	s_and_b64 s[10:11], s[22:23], exec
	s_and_b64 s[20:21], s[20:21], exec
	;; [unrolled: 1-line block ×4, first 2 shown]
	s_or_b64 s[2:3], s[2:3], s[10:11]
.LBB151_916:
	s_or_b64 exec, exec, s[70:71]
	s_andn2_b64 s[10:11], s[66:67], exec
	s_and_b64 s[22:23], s[72:73], exec
	s_or_b64 s[66:67], s[10:11], s[22:23]
	s_andn2_b64 s[10:11], s[64:65], exec
	s_and_b64 s[2:3], s[2:3], exec
	s_and_b64 s[22:23], s[20:21], exec
	;; [unrolled: 1-line block ×4, first 2 shown]
	s_or_b64 s[64:65], s[10:11], s[2:3]
.LBB151_917:
	s_or_b64 exec, exec, s[68:69]
	s_andn2_b64 s[2:3], s[14:15], exec
	s_and_b64 s[10:11], s[66:67], exec
	s_or_b64 s[14:15], s[2:3], s[10:11]
	s_andn2_b64 s[2:3], s[60:61], exec
	s_and_b64 s[10:11], s[64:65], exec
	s_and_b64 s[16:17], s[22:23], exec
	;; [unrolled: 1-line block ×4, first 2 shown]
	s_or_b64 s[60:61], s[2:3], s[10:11]
	s_or_b64 exec, exec, s[62:63]
	s_mov_b64 s[2:3], 0
	s_and_saveexec_b64 s[10:11], s[60:61]
	s_cbranch_execz .LBB151_274
.LBB151_918:
	s_mov_b64 s[2:3], exec
	s_andn2_b64 s[66:67], s[66:67], exec
	s_trap 2
	s_or_b64 exec, exec, s[10:11]
	s_and_saveexec_b64 s[10:11], s[66:67]
	s_xor_b64 s[10:11], exec, s[10:11]
	s_cbranch_execnz .LBB151_275
.LBB151_919:
	s_or_b64 exec, exec, s[10:11]
	s_and_saveexec_b64 s[10:11], s[18:19]
	s_cbranch_execz .LBB151_965
.LBB151_920:
	s_sext_i32_i16 s12, s78
	s_cmp_lt_i32 s12, 5
	s_cbranch_scc1 .LBB151_925
; %bb.921:
	s_cmp_lt_i32 s12, 8
	s_cbranch_scc1 .LBB151_926
; %bb.922:
	;; [unrolled: 3-line block ×3, first 2 shown]
	s_cmp_gt_i32 s12, 9
	s_cbranch_scc0 .LBB151_928
; %bb.924:
	global_load_dwordx2 v[3:4], v[1:2], off
	s_mov_b64 s[18:19], 0
	s_waitcnt vmcnt(0)
	v_cvt_f32_f64_e32 v4, v[3:4]
	s_branch .LBB151_929
.LBB151_925:
                                        ; implicit-def: $vgpr4
	s_branch .LBB151_946
.LBB151_926:
                                        ; implicit-def: $vgpr4
	s_branch .LBB151_935
.LBB151_927:
	s_mov_b64 s[18:19], -1
                                        ; implicit-def: $vgpr4
	s_branch .LBB151_932
.LBB151_928:
	s_mov_b64 s[18:19], -1
                                        ; implicit-def: $vgpr4
.LBB151_929:
	s_andn2_b64 vcc, exec, s[18:19]
	s_cbranch_vccnz .LBB151_931
; %bb.930:
	global_load_dword v4, v[1:2], off
.LBB151_931:
	s_mov_b64 s[18:19], 0
.LBB151_932:
	s_andn2_b64 vcc, exec, s[18:19]
	s_cbranch_vccnz .LBB151_934
; %bb.933:
	global_load_dword v3, v[1:2], off
	s_waitcnt vmcnt(0)
	v_cvt_f32_f16_e32 v4, v3
.LBB151_934:
	s_cbranch_execnz .LBB151_945
.LBB151_935:
	s_sext_i32_i16 s12, s78
	s_cmp_lt_i32 s12, 6
	s_cbranch_scc1 .LBB151_938
; %bb.936:
	s_cmp_gt_i32 s12, 6
	s_cbranch_scc0 .LBB151_939
; %bb.937:
	global_load_dwordx2 v[3:4], v[1:2], off
	s_mov_b64 s[18:19], 0
	s_waitcnt vmcnt(0)
	v_cvt_f32_f64_e32 v4, v[3:4]
	s_branch .LBB151_940
.LBB151_938:
	s_mov_b64 s[18:19], -1
                                        ; implicit-def: $vgpr4
	s_branch .LBB151_943
.LBB151_939:
	s_mov_b64 s[18:19], -1
                                        ; implicit-def: $vgpr4
.LBB151_940:
	s_andn2_b64 vcc, exec, s[18:19]
	s_cbranch_vccnz .LBB151_942
; %bb.941:
	global_load_dword v4, v[1:2], off
.LBB151_942:
	s_mov_b64 s[18:19], 0
.LBB151_943:
	s_andn2_b64 vcc, exec, s[18:19]
	s_cbranch_vccnz .LBB151_945
; %bb.944:
	global_load_ushort v3, v[1:2], off
	s_waitcnt vmcnt(0)
	v_cvt_f32_f16_e32 v4, v3
.LBB151_945:
	s_cbranch_execnz .LBB151_964
.LBB151_946:
	s_sext_i32_i16 s12, s78
	s_cmp_lt_i32 s12, 2
	s_cbranch_scc1 .LBB151_950
; %bb.947:
	s_cmp_lt_i32 s12, 3
	s_cbranch_scc1 .LBB151_951
; %bb.948:
	s_cmp_gt_i32 s12, 3
	s_cbranch_scc0 .LBB151_952
; %bb.949:
	global_load_dwordx2 v[3:4], v[1:2], off
	s_mov_b64 s[18:19], 0
	s_waitcnt vmcnt(0)
	v_xor_b32_e32 v6, v3, v4
	v_ffbh_i32_e32 v5, v4
	v_ashrrev_i32_e32 v6, 31, v6
	v_add_u32_e32 v5, -1, v5
	v_add_u32_e32 v6, 32, v6
	v_min_u32_e32 v5, v5, v6
	v_lshlrev_b64 v[3:4], v5, v[3:4]
	v_min_u32_e32 v3, 1, v3
	v_or_b32_e32 v3, v4, v3
	v_cvt_f32_i32_e32 v3, v3
	v_sub_u32_e32 v4, 32, v5
	v_ldexp_f32 v4, v3, v4
	s_branch .LBB151_953
.LBB151_950:
                                        ; implicit-def: $vgpr4
	s_branch .LBB151_959
.LBB151_951:
	s_mov_b64 s[18:19], -1
                                        ; implicit-def: $vgpr4
	s_branch .LBB151_956
.LBB151_952:
	s_mov_b64 s[18:19], -1
                                        ; implicit-def: $vgpr4
.LBB151_953:
	s_andn2_b64 vcc, exec, s[18:19]
	s_cbranch_vccnz .LBB151_955
; %bb.954:
	global_load_dword v3, v[1:2], off
	s_waitcnt vmcnt(0)
	v_cvt_f32_i32_e32 v4, v3
.LBB151_955:
	s_mov_b64 s[18:19], 0
.LBB151_956:
	s_andn2_b64 vcc, exec, s[18:19]
	s_cbranch_vccnz .LBB151_958
; %bb.957:
	global_load_sshort v3, v[1:2], off
	s_waitcnt vmcnt(0)
	v_cvt_f32_i32_e32 v4, v3
.LBB151_958:
	s_cbranch_execnz .LBB151_964
.LBB151_959:
	s_sext_i32_i16 s12, s78
	s_cmp_gt_i32 s12, 0
	s_cbranch_scc0 .LBB151_961
; %bb.960:
	global_load_sbyte v3, v[1:2], off
	s_mov_b64 s[18:19], 0
	s_waitcnt vmcnt(0)
	v_cvt_f32_i32_e32 v4, v3
	s_branch .LBB151_962
.LBB151_961:
	s_mov_b64 s[18:19], -1
                                        ; implicit-def: $vgpr4
.LBB151_962:
	s_andn2_b64 vcc, exec, s[18:19]
	s_cbranch_vccnz .LBB151_964
; %bb.963:
	global_load_ubyte v1, v[1:2], off
	s_waitcnt vmcnt(0)
	v_cvt_f32_ubyte0_e32 v4, v1
.LBB151_964:
	s_or_b64 s[16:17], s[16:17], exec
.LBB151_965:
	s_or_b64 exec, exec, s[10:11]
	s_mov_b64 s[20:21], 0
	s_mov_b64 s[18:19], 0
                                        ; implicit-def: $sgpr22
                                        ; implicit-def: $vgpr1_vgpr2
                                        ; implicit-def: $vgpr3
	s_and_saveexec_b64 s[10:11], s[16:17]
	s_cbranch_execz .LBB151_983
; %bb.966:
	v_mov_b32_e32 v1, s13
	s_waitcnt vmcnt(0)
	v_cndmask_b32_e64 v3, v1, v4, s[0:1]
	v_mov_b32_e32 v2, s9
	s_and_b32 s22, s77, 0xff
	v_add_co_u32_e32 v1, vcc, s8, v0
	s_cmp_lt_i32 s22, 11
	v_addc_co_u32_e32 v2, vcc, 0, v2, vcc
	s_cbranch_scc1 .LBB151_986
; %bb.967:
	s_and_b32 s20, 0xffff, s22
	s_mov_b64 s[12:13], -1
	s_cmp_gt_i32 s20, 25
	s_mov_b64 s[0:1], s[14:15]
	s_cbranch_scc0 .LBB151_1004
; %bb.968:
	s_mov_b64 s[8:9], -1
	s_cmp_gt_i32 s20, 28
	s_mov_b64 s[0:1], s[14:15]
	s_cbranch_scc0 .LBB151_988
; %bb.969:
	s_cmp_gt_i32 s20, 43
	s_mov_b64 s[0:1], s[14:15]
	s_cbranch_scc0 .LBB151_980
; %bb.970:
	;; [unrolled: 4-line block ×3, first 2 shown]
	s_cmp_eq_u32 s20, 46
	s_mov_b64 s[0:1], -1
	s_cbranch_scc0 .LBB151_973
; %bb.972:
	v_bfe_u32 v0, v3, 16, 1
	s_movk_i32 s0, 0x7fff
	v_add3_u32 v0, v3, v0, s0
	v_cmp_o_f32_e32 vcc, v3, v3
	v_mov_b32_e32 v4, 0x7fc0
	v_cndmask_b32_sdwa v0, v4, v0, vcc dst_sel:DWORD dst_unused:UNUSED_PAD src0_sel:DWORD src1_sel:WORD_1
	global_store_dword v[1:2], v0, off
	s_mov_b64 s[0:1], 0
.LBB151_973:
	s_mov_b64 s[8:9], 0
.LBB151_974:
	s_and_b64 vcc, exec, s[8:9]
	s_cbranch_vccz .LBB151_979
; %bb.975:
	s_cmp_eq_u32 s20, 44
	s_mov_b64 s[0:1], -1
	s_cbranch_scc0 .LBB151_979
; %bb.976:
	v_bfe_u32 v0, v3, 23, 8
	s_movk_i32 s0, 0xff
	v_cmp_ne_u32_e32 vcc, s0, v0
	v_mov_b32_e32 v4, 0xff
	s_and_saveexec_b64 s[8:9], vcc
; %bb.977:
	s_mov_b32 s0, 0x3fffff
	v_and_b32_e32 v5, 0x400000, v3
	v_and_or_b32 v0, v3, s0, v0
	v_cmp_ne_u32_e32 vcc, 0, v5
	v_cmp_ne_u32_e64 s[0:1], 0, v0
	s_and_b64 s[0:1], vcc, s[0:1]
	v_lshrrev_b32_e32 v4, 23, v3
	v_cndmask_b32_e64 v0, 0, 1, s[0:1]
	v_add_u32_e32 v4, v4, v0
; %bb.978:
	s_or_b64 exec, exec, s[8:9]
	s_mov_b64 s[0:1], 0
	global_store_byte v[1:2], v4, off
.LBB151_979:
	s_mov_b64 s[8:9], 0
.LBB151_980:
	s_and_b64 vcc, exec, s[8:9]
	s_cbranch_vccz .LBB151_987
; %bb.981:
	s_cmp_eq_u32 s20, 29
	s_mov_b64 s[0:1], -1
	s_cbranch_scc0 .LBB151_987
; %bb.982:
	v_trunc_f32_e32 v0, v3
	v_mul_f32_e32 v4, 0x2f800000, v0
	v_floor_f32_e32 v4, v4
	v_fmac_f32_e32 v0, 0xcf800000, v4
	v_cvt_u32_f32_e32 v5, v4
	v_cvt_u32_f32_e32 v4, v0
	s_mov_b64 s[0:1], 0
	s_mov_b64 s[8:9], 0
	global_store_dwordx2 v[1:2], v[4:5], off
	s_branch .LBB151_988
.LBB151_983:
	s_or_b64 exec, exec, s[10:11]
	s_and_saveexec_b64 s[0:1], s[14:15]
	s_cbranch_execnz .LBB151_1046
.LBB151_984:
	s_or_b64 exec, exec, s[0:1]
	s_and_saveexec_b64 s[0:1], s[20:21]
	s_xor_b64 s[0:1], exec, s[0:1]
	s_cbranch_execz .LBB151_1047
.LBB151_985:
	s_waitcnt vmcnt(0)
	v_cmp_neq_f32_e32 vcc, 0, v3
	v_cndmask_b32_e64 v0, 0, 1, vcc
	global_store_byte v[1:2], v0, off
	s_or_b64 exec, exec, s[0:1]
	s_and_saveexec_b64 s[0:1], s[18:19]
	s_xor_b64 s[0:1], exec, s[0:1]
	s_cbranch_execz .LBB151_1085
	s_branch .LBB151_1048
.LBB151_986:
	s_mov_b64 s[12:13], 0
	s_mov_b64 s[8:9], -1
	s_mov_b64 s[0:1], s[14:15]
	s_branch .LBB151_1045
.LBB151_987:
	s_mov_b64 s[8:9], 0
.LBB151_988:
	s_and_b64 vcc, exec, s[8:9]
	s_cbranch_vccz .LBB151_1003
; %bb.989:
	s_cmp_lt_i32 s20, 27
	s_mov_b64 s[8:9], -1
	s_cbranch_scc1 .LBB151_995
; %bb.990:
	s_cmp_gt_i32 s20, 27
	s_cbranch_scc0 .LBB151_992
; %bb.991:
	v_cvt_u32_f32_e32 v0, v3
	s_mov_b64 s[8:9], 0
	global_store_dword v[1:2], v0, off
.LBB151_992:
	s_andn2_b64 vcc, exec, s[8:9]
	s_cbranch_vccnz .LBB151_994
; %bb.993:
	v_cvt_u32_f32_e32 v0, v3
	global_store_short v[1:2], v0, off
.LBB151_994:
	s_mov_b64 s[8:9], 0
.LBB151_995:
	s_andn2_b64 vcc, exec, s[8:9]
	s_cbranch_vccnz .LBB151_1003
; %bb.996:
	v_and_b32_e32 v0, 0x7fffffff, v3
	s_mov_b32 s8, 0x43800000
	v_cmp_gt_u32_e32 vcc, s8, v0
	v_mov_b32_e32 v4, 0x80
	s_and_saveexec_b64 s[8:9], vcc
	s_cbranch_execz .LBB151_1002
; %bb.997:
	s_mov_b32 s12, 0x3bffffff
	v_cmp_lt_u32_e32 vcc, s12, v0
	s_mov_b64 s[12:13], 0
                                        ; implicit-def: $vgpr0
	s_and_saveexec_b64 s[16:17], vcc
	s_xor_b64 s[16:17], exec, s[16:17]
	s_cbranch_execz .LBB151_1156
; %bb.998:
	v_bfe_u32 v0, v3, 20, 1
	s_mov_b32 s18, 0x487ffff
	v_add3_u32 v0, v3, v0, s18
	s_mov_b64 s[12:13], exec
	v_lshrrev_b32_e32 v0, 20, v0
	s_andn2_saveexec_b64 s[16:17], s[16:17]
	s_cbranch_execnz .LBB151_1157
.LBB151_999:
	s_or_b64 exec, exec, s[16:17]
	v_mov_b32_e32 v4, 0
	s_and_saveexec_b64 s[16:17], s[12:13]
.LBB151_1000:
	v_lshrrev_b32_e32 v4, 24, v3
	s_movk_i32 s12, 0x80
	v_and_or_b32 v4, v4, s12, v0
.LBB151_1001:
	s_or_b64 exec, exec, s[16:17]
.LBB151_1002:
	s_or_b64 exec, exec, s[8:9]
	global_store_byte v[1:2], v4, off
.LBB151_1003:
	s_mov_b64 s[12:13], 0
.LBB151_1004:
	s_mov_b64 s[8:9], 0
	s_and_b64 vcc, exec, s[12:13]
	s_cbranch_vccz .LBB151_1044
; %bb.1005:
	s_cmp_gt_i32 s20, 22
	s_mov_b64 s[12:13], -1
	s_cbranch_scc0 .LBB151_1037
; %bb.1006:
	s_cmp_lt_i32 s20, 24
	s_cbranch_scc1 .LBB151_1026
; %bb.1007:
	s_cmp_gt_i32 s20, 24
	s_cbranch_scc0 .LBB151_1015
; %bb.1008:
	v_and_b32_e32 v0, 0x7fffffff, v3
	s_mov_b32 s12, 0x47800000
	v_cmp_gt_u32_e32 vcc, s12, v0
	v_mov_b32_e32 v4, 0x80
	s_and_saveexec_b64 s[12:13], vcc
	s_cbranch_execz .LBB151_1014
; %bb.1009:
	s_mov_b32 s16, 0x37ffffff
	v_cmp_lt_u32_e32 vcc, s16, v0
	s_mov_b64 s[16:17], 0
                                        ; implicit-def: $vgpr0
	s_and_saveexec_b64 s[18:19], vcc
	s_xor_b64 s[18:19], exec, s[18:19]
	s_cbranch_execz .LBB151_1281
; %bb.1010:
	v_bfe_u32 v0, v3, 21, 1
	s_mov_b32 s21, 0x88fffff
	v_add3_u32 v0, v3, v0, s21
	s_mov_b64 s[16:17], exec
	v_lshrrev_b32_e32 v0, 21, v0
	s_andn2_saveexec_b64 s[18:19], s[18:19]
	s_cbranch_execnz .LBB151_1282
.LBB151_1011:
	s_or_b64 exec, exec, s[18:19]
	v_mov_b32_e32 v4, 0
	s_and_saveexec_b64 s[18:19], s[16:17]
.LBB151_1012:
	v_lshrrev_b32_e32 v4, 24, v3
	s_movk_i32 s16, 0x80
	v_and_or_b32 v4, v4, s16, v0
.LBB151_1013:
	s_or_b64 exec, exec, s[18:19]
.LBB151_1014:
	s_or_b64 exec, exec, s[12:13]
	s_mov_b64 s[12:13], 0
	global_store_byte v[1:2], v4, off
.LBB151_1015:
	s_and_b64 vcc, exec, s[12:13]
	s_cbranch_vccz .LBB151_1025
; %bb.1016:
	v_and_b32_e32 v4, 0x7fffffff, v3
	s_mov_b32 s12, 0x43f00000
	v_cmp_gt_u32_e32 vcc, s12, v4
                                        ; implicit-def: $vgpr0
	s_and_saveexec_b64 s[12:13], vcc
	s_xor_b64 s[12:13], exec, s[12:13]
	s_cbranch_execz .LBB151_1022
; %bb.1017:
	s_mov_b32 s16, 0x3c7fffff
	v_cmp_lt_u32_e32 vcc, s16, v4
                                        ; implicit-def: $vgpr0
	s_and_saveexec_b64 s[16:17], vcc
	s_xor_b64 s[16:17], exec, s[16:17]
; %bb.1018:
	v_bfe_u32 v0, v3, 20, 1
	s_mov_b32 s18, 0x407ffff
	v_add3_u32 v0, v3, v0, s18
	v_lshrrev_b32_e32 v4, 20, v0
	v_and_b32_e32 v0, 0xff00000, v0
	s_mov_b32 s18, 0x7f00000
	v_mov_b32_e32 v5, 0x7e
	v_cmp_ne_u32_e32 vcc, s18, v0
	v_cndmask_b32_e32 v0, v5, v4, vcc
; %bb.1019:
	s_andn2_saveexec_b64 s[16:17], s[16:17]
; %bb.1020:
	s_mov_b32 s18, 0x46800000
	v_add_f32_e64 v0, |v3|, s18
; %bb.1021:
	s_or_b64 exec, exec, s[16:17]
                                        ; implicit-def: $vgpr4
.LBB151_1022:
	s_andn2_saveexec_b64 s[12:13], s[12:13]
; %bb.1023:
	s_mov_b32 s16, 0x7f800000
	v_mov_b32_e32 v0, 0x7e
	v_mov_b32_e32 v5, 0x7f
	v_cmp_lt_u32_e32 vcc, s16, v4
	v_cndmask_b32_e32 v0, v0, v5, vcc
; %bb.1024:
	s_or_b64 exec, exec, s[12:13]
	v_lshrrev_b32_e32 v4, 24, v3
	s_movk_i32 s12, 0x80
	v_and_or_b32 v0, v4, s12, v0
	global_store_byte v[1:2], v0, off
.LBB151_1025:
	s_mov_b64 s[12:13], 0
.LBB151_1026:
	s_andn2_b64 vcc, exec, s[12:13]
	s_cbranch_vccnz .LBB151_1036
; %bb.1027:
	v_and_b32_e32 v4, 0x7fffffff, v3
	s_mov_b32 s12, 0x47800000
	v_cmp_gt_u32_e32 vcc, s12, v4
                                        ; implicit-def: $vgpr0
	s_and_saveexec_b64 s[12:13], vcc
	s_xor_b64 s[12:13], exec, s[12:13]
	s_cbranch_execz .LBB151_1033
; %bb.1028:
	s_mov_b32 s16, 0x387fffff
	v_cmp_lt_u32_e32 vcc, s16, v4
                                        ; implicit-def: $vgpr0
	s_and_saveexec_b64 s[16:17], vcc
	s_xor_b64 s[16:17], exec, s[16:17]
; %bb.1029:
	v_bfe_u32 v0, v3, 21, 1
	s_mov_b32 s18, 0x80fffff
	v_add3_u32 v0, v3, v0, s18
	v_lshrrev_b32_e32 v0, 21, v0
; %bb.1030:
	s_andn2_saveexec_b64 s[16:17], s[16:17]
; %bb.1031:
	s_mov_b32 s18, 0x43000000
	v_add_f32_e64 v0, |v3|, s18
; %bb.1032:
	s_or_b64 exec, exec, s[16:17]
                                        ; implicit-def: $vgpr4
.LBB151_1033:
	s_andn2_saveexec_b64 s[12:13], s[12:13]
; %bb.1034:
	s_mov_b32 s16, 0x7f800000
	v_mov_b32_e32 v0, 0x7c
	v_mov_b32_e32 v5, 0x7f
	v_cmp_lt_u32_e32 vcc, s16, v4
	v_cndmask_b32_e32 v0, v0, v5, vcc
; %bb.1035:
	s_or_b64 exec, exec, s[12:13]
	v_lshrrev_b32_e32 v4, 24, v3
	s_movk_i32 s12, 0x80
	v_and_or_b32 v0, v4, s12, v0
	global_store_byte v[1:2], v0, off
.LBB151_1036:
	s_mov_b64 s[12:13], 0
.LBB151_1037:
	s_andn2_b64 vcc, exec, s[12:13]
	s_mov_b64 s[12:13], 0
	s_cbranch_vccnz .LBB151_1045
; %bb.1038:
	s_cmp_gt_i32 s20, 14
	s_mov_b64 s[16:17], -1
	s_cbranch_scc0 .LBB151_1042
; %bb.1039:
	s_cmp_eq_u32 s20, 15
	s_mov_b64 s[0:1], -1
	s_cbranch_scc0 .LBB151_1041
; %bb.1040:
	v_bfe_u32 v0, v3, 16, 1
	s_movk_i32 s0, 0x7fff
	v_add3_u32 v0, v3, v0, s0
	v_cmp_o_f32_e32 vcc, v3, v3
	v_mov_b32_e32 v4, 0x7fc0
	v_cndmask_b32_sdwa v0, v4, v0, vcc dst_sel:DWORD dst_unused:UNUSED_PAD src0_sel:DWORD src1_sel:WORD_1
	global_store_short v[1:2], v0, off
	s_mov_b64 s[0:1], 0
.LBB151_1041:
	s_mov_b64 s[16:17], 0
.LBB151_1042:
	s_and_b64 vcc, exec, s[16:17]
	s_cbranch_vccz .LBB151_1045
; %bb.1043:
	s_cmp_lg_u32 s20, 11
	s_cselect_b64 s[16:17], -1, 0
	s_andn2_b64 s[0:1], s[0:1], exec
	s_and_b64 s[16:17], s[16:17], exec
	s_mov_b64 s[12:13], -1
	s_or_b64 s[0:1], s[0:1], s[16:17]
	s_branch .LBB151_1045
.LBB151_1044:
	s_mov_b64 s[12:13], 0
.LBB151_1045:
	s_and_b64 s[18:19], s[8:9], exec
	s_andn2_b64 s[8:9], s[14:15], exec
	s_and_b64 s[0:1], s[0:1], exec
	s_and_b64 s[20:21], s[12:13], exec
	s_or_b64 s[14:15], s[8:9], s[0:1]
	s_or_b64 exec, exec, s[10:11]
	s_and_saveexec_b64 s[0:1], s[14:15]
	s_cbranch_execz .LBB151_984
.LBB151_1046:
	s_or_b64 s[2:3], s[2:3], exec
	s_andn2_b64 s[20:21], s[20:21], exec
	s_trap 2
	s_or_b64 exec, exec, s[0:1]
	s_and_saveexec_b64 s[0:1], s[20:21]
	s_xor_b64 s[0:1], exec, s[0:1]
	s_cbranch_execnz .LBB151_985
.LBB151_1047:
	s_or_b64 exec, exec, s[0:1]
	s_and_saveexec_b64 s[0:1], s[18:19]
	s_xor_b64 s[0:1], exec, s[0:1]
	s_cbranch_execz .LBB151_1085
.LBB151_1048:
	s_sext_i32_i16 s10, s22
	s_cmp_lt_i32 s10, 5
	s_mov_b64 s[8:9], -1
	s_cbranch_scc1 .LBB151_1069
; %bb.1049:
	s_cmp_lt_i32 s10, 8
	s_cbranch_scc1 .LBB151_1059
; %bb.1050:
	s_cmp_lt_i32 s10, 9
	s_cbranch_scc1 .LBB151_1056
; %bb.1051:
	s_cmp_gt_i32 s10, 9
	s_cbranch_scc0 .LBB151_1053
; %bb.1052:
	s_waitcnt vmcnt(0)
	v_cvt_f64_f32_e32 v[4:5], v3
	v_mov_b32_e32 v6, 0
	v_mov_b32_e32 v7, v6
	s_mov_b64 s[8:9], 0
	global_store_dwordx4 v[1:2], v[4:7], off
.LBB151_1053:
	s_andn2_b64 vcc, exec, s[8:9]
	s_cbranch_vccnz .LBB151_1055
; %bb.1054:
	s_waitcnt vmcnt(0)
	v_mov_b32_e32 v4, 0
	global_store_dwordx2 v[1:2], v[3:4], off
.LBB151_1055:
	s_mov_b64 s[8:9], 0
.LBB151_1056:
	s_andn2_b64 vcc, exec, s[8:9]
	s_cbranch_vccnz .LBB151_1058
; %bb.1057:
	s_waitcnt vmcnt(0)
	v_cvt_f16_f32_e32 v0, v3
	global_store_dword v[1:2], v0, off
.LBB151_1058:
	s_mov_b64 s[8:9], 0
.LBB151_1059:
	s_andn2_b64 vcc, exec, s[8:9]
	s_cbranch_vccnz .LBB151_1068
; %bb.1060:
	s_sext_i32_i16 s10, s22
	s_cmp_lt_i32 s10, 6
	s_mov_b64 s[8:9], -1
	s_cbranch_scc1 .LBB151_1066
; %bb.1061:
	s_cmp_gt_i32 s10, 6
	s_cbranch_scc0 .LBB151_1063
; %bb.1062:
	s_waitcnt vmcnt(0)
	v_cvt_f64_f32_e32 v[4:5], v3
	s_mov_b64 s[8:9], 0
	global_store_dwordx2 v[1:2], v[4:5], off
.LBB151_1063:
	s_andn2_b64 vcc, exec, s[8:9]
	s_cbranch_vccnz .LBB151_1065
; %bb.1064:
	s_waitcnt vmcnt(0)
	global_store_dword v[1:2], v3, off
.LBB151_1065:
	s_mov_b64 s[8:9], 0
.LBB151_1066:
	s_andn2_b64 vcc, exec, s[8:9]
	s_cbranch_vccnz .LBB151_1068
; %bb.1067:
	s_waitcnt vmcnt(0)
	v_cvt_f16_f32_e32 v0, v3
	global_store_short v[1:2], v0, off
.LBB151_1068:
	s_mov_b64 s[8:9], 0
.LBB151_1069:
	s_andn2_b64 vcc, exec, s[8:9]
	s_cbranch_vccnz .LBB151_1085
; %bb.1070:
	s_sext_i32_i16 s10, s22
	s_cmp_lt_i32 s10, 2
	s_mov_b64 s[8:9], -1
	s_cbranch_scc1 .LBB151_1080
; %bb.1071:
	s_cmp_lt_i32 s10, 3
	s_cbranch_scc1 .LBB151_1077
; %bb.1072:
	s_cmp_gt_i32 s10, 3
	s_cbranch_scc0 .LBB151_1074
; %bb.1073:
	s_waitcnt vmcnt(0)
	v_trunc_f32_e32 v0, v3
	s_mov_b32 s8, 0x2f800000
	v_mul_f32_e64 v4, |v0|, s8
	v_floor_f32_e32 v4, v4
	s_mov_b32 s8, 0xcf800000
	v_cvt_u32_f32_e32 v5, v4
	v_fma_f32 v4, v4, s8, |v0|
	v_cvt_u32_f32_e32 v4, v4
	v_ashrrev_i32_e32 v0, 31, v0
	v_xor_b32_e32 v5, v5, v0
	s_mov_b64 s[8:9], 0
	v_xor_b32_e32 v4, v4, v0
	v_sub_co_u32_e32 v4, vcc, v4, v0
	v_subb_co_u32_e32 v5, vcc, v5, v0, vcc
	global_store_dwordx2 v[1:2], v[4:5], off
.LBB151_1074:
	s_andn2_b64 vcc, exec, s[8:9]
	s_cbranch_vccnz .LBB151_1076
; %bb.1075:
	s_waitcnt vmcnt(0)
	v_cvt_i32_f32_e32 v0, v3
	global_store_dword v[1:2], v0, off
.LBB151_1076:
	s_mov_b64 s[8:9], 0
.LBB151_1077:
	s_andn2_b64 vcc, exec, s[8:9]
	s_cbranch_vccnz .LBB151_1079
; %bb.1078:
	s_waitcnt vmcnt(0)
	v_cvt_i32_f32_e32 v0, v3
	global_store_short v[1:2], v0, off
.LBB151_1079:
	s_mov_b64 s[8:9], 0
.LBB151_1080:
	s_andn2_b64 vcc, exec, s[8:9]
	s_cbranch_vccnz .LBB151_1085
; %bb.1081:
	s_sext_i32_i16 s8, s22
	s_cmp_gt_i32 s8, 0
	s_mov_b64 s[8:9], -1
	s_cbranch_scc0 .LBB151_1083
; %bb.1082:
	s_waitcnt vmcnt(0)
	v_cvt_i32_f32_e32 v0, v3
	s_mov_b64 s[8:9], 0
	global_store_byte v[1:2], v0, off
.LBB151_1083:
	s_andn2_b64 vcc, exec, s[8:9]
	s_cbranch_vccnz .LBB151_1085
; %bb.1084:
	s_waitcnt vmcnt(0)
	v_trunc_f32_e32 v0, v3
	s_mov_b32 s8, 0x2f800000
	v_mul_f32_e64 v3, |v0|, s8
	v_floor_f32_e32 v3, v3
	s_mov_b32 s8, 0xcf800000
	v_fma_f32 v3, v3, s8, |v0|
	v_cvt_u32_f32_e32 v3, v3
	v_ashrrev_i32_e32 v0, 31, v0
	v_xor_b32_e32 v3, v3, v0
	v_sub_u32_e32 v0, v3, v0
	global_store_byte v[1:2], v0, off
.LBB151_1085:
	s_or_b64 exec, exec, s[0:1]
	s_and_b64 s[28:29], s[2:3], exec
                                        ; implicit-def: $vgpr15
                                        ; implicit-def: $vgpr8
.LBB151_1086:
	s_or_saveexec_b64 s[30:31], s[50:51]
	s_mov_b64 s[0:1], 0
                                        ; implicit-def: $vgpr0_vgpr1
                                        ; implicit-def: $sgpr18
                                        ; implicit-def: $vgpr2
	s_xor_b64 exec, exec, s[30:31]
	s_cbranch_execz .LBB151_2090
; %bb.1087:
	v_cndmask_b32_e64 v0, 0, 1, s[48:49]
	v_cmp_ne_u32_e64 s[0:1], 1, v0
	s_andn2_b64 vcc, exec, s[48:49]
	s_cbranch_vccnz .LBB151_1093
; %bb.1088:
	s_cmp_lg_u32 s33, 0
	s_mov_b32 s36, 0
	s_cbranch_scc0 .LBB151_1094
; %bb.1089:
	s_min_u32 s37, s76, 15
	s_add_i32 s37, s37, 1
	s_cmp_eq_u32 s76, 2
	s_cbranch_scc1 .LBB151_1095
; %bb.1090:
	s_and_b32 s36, s37, 28
	s_add_u32 s2, s34, 0xc4
	s_addc_u32 s3, s35, 0
	v_mov_b32_e32 v13, 0
	s_mov_b32 s38, 0
	s_mov_b64 s[6:7], s[34:35]
	v_mov_b32_e32 v6, 0
	v_mov_b32_e32 v0, v8
.LBB151_1091:                           ; =>This Inner Loop Header: Depth=1
	s_load_dwordx8 s[16:23], s[6:7], 0x4
	s_load_dwordx4 s[24:27], s[6:7], 0x24
	s_load_dwordx8 s[8:15], s[2:3], 0x0
	s_add_u32 s6, s6, 48
	s_addc_u32 s7, s7, 0
	s_waitcnt lgkmcnt(0)
	v_mul_hi_u32 v1, s17, v0
	s_add_i32 s38, s38, 4
	s_add_u32 s2, s2, 32
	s_addc_u32 s3, s3, 0
	v_add_u32_e32 v1, v0, v1
	v_lshrrev_b32_e32 v1, s18, v1
	v_mul_lo_u32 v2, v1, s16
	s_waitcnt vmcnt(0)
	v_mul_hi_u32 v3, s20, v1
	s_cmp_lg_u32 s36, s38
	v_sub_u32_e32 v0, v0, v2
	v_add_u32_e32 v2, v1, v3
	v_mul_lo_u32 v3, v0, s8
	v_mul_lo_u32 v4, v0, s9
	v_lshrrev_b32_e32 v0, s21, v2
	v_mul_lo_u32 v2, v0, s19
	v_mul_hi_u32 v5, s23, v0
	v_sub_u32_e32 v1, v1, v2
	v_add_u32_e32 v2, v0, v5
	v_lshrrev_b32_e32 v2, s24, v2
	v_mul_hi_u32 v7, s26, v2
	v_mul_lo_u32 v9, v2, s22
	v_mul_lo_u32 v5, v1, s10
	;; [unrolled: 1-line block ×3, first 2 shown]
	v_sub_u32_e32 v9, v0, v9
	v_add_u32_e32 v0, v2, v7
	v_lshrrev_b32_e32 v0, s27, v0
	v_mul_lo_u32 v7, v0, s25
	v_mul_lo_u32 v10, v9, s12
	;; [unrolled: 1-line block ×3, first 2 shown]
	v_add3_u32 v3, v3, v6, v5
	v_sub_u32_e32 v2, v2, v7
	v_mul_lo_u32 v7, v2, s14
	v_mul_lo_u32 v2, v2, s15
	v_add3_u32 v1, v4, v13, v1
	v_add3_u32 v6, v10, v3, v7
	;; [unrolled: 1-line block ×3, first 2 shown]
	s_cbranch_scc1 .LBB151_1091
; %bb.1092:
	s_and_b32 s8, s37, 3
	s_cmp_eq_u32 s8, 0
	s_cbranch_scc0 .LBB151_1096
	s_branch .LBB151_1098
.LBB151_1093:
                                        ; implicit-def: $vgpr6
                                        ; implicit-def: $vgpr13
	s_branch .LBB151_1099
.LBB151_1094:
	v_mov_b32_e32 v6, 0
	v_mov_b32_e32 v13, 0
	s_branch .LBB151_1098
.LBB151_1095:
	v_mov_b32_e32 v6, 0
	v_mov_b32_e32 v13, 0
	;; [unrolled: 1-line block ×3, first 2 shown]
	s_and_b32 s8, s37, 3
	s_cmp_eq_u32 s8, 0
	s_cbranch_scc1 .LBB151_1098
.LBB151_1096:
	s_lshl_b32 s2, s36, 3
	s_add_u32 s2, s34, s2
	s_addc_u32 s3, s35, 0
	s_add_u32 s2, s2, 0xc4
	s_addc_u32 s3, s3, 0
	s_mul_i32 s6, s36, 12
	s_add_u32 s6, s34, s6
	s_addc_u32 s7, s35, 0
.LBB151_1097:                           ; =>This Inner Loop Header: Depth=1
	s_load_dwordx2 s[10:11], s[6:7], 0x4
	s_load_dword s9, s[6:7], 0xc
	s_load_dwordx2 s[12:13], s[2:3], 0x0
	s_add_u32 s6, s6, 12
	s_addc_u32 s7, s7, 0
	s_waitcnt lgkmcnt(0)
	v_mul_hi_u32 v1, s11, v0
	s_add_u32 s2, s2, 8
	s_addc_u32 s3, s3, 0
	s_add_i32 s8, s8, -1
	v_add_u32_e32 v1, v0, v1
	v_lshrrev_b32_e32 v1, s9, v1
	v_mul_lo_u32 v2, v1, s10
	s_cmp_lg_u32 s8, 0
	v_sub_u32_e32 v0, v0, v2
	v_mad_u64_u32 v[6:7], s[10:11], v0, s12, v[6:7]
	v_mad_u64_u32 v[13:14], s[10:11], v0, s13, v[13:14]
	v_mov_b32_e32 v0, v1
	s_cbranch_scc1 .LBB151_1097
.LBB151_1098:
	s_cbranch_execnz .LBB151_1101
.LBB151_1099:
	s_load_dwordx4 s[8:11], s[34:35], 0x4
	s_load_dwordx2 s[2:3], s[34:35], 0xc4
	s_cmp_lt_u32 s33, 2
	s_waitcnt lgkmcnt(0)
	v_mul_hi_u32 v0, s9, v8
	v_add_u32_e32 v0, v8, v0
	v_lshrrev_b32_e32 v0, s10, v0
	v_mul_lo_u32 v1, v0, s8
	v_sub_u32_e32 v1, v8, v1
	v_mul_lo_u32 v6, v1, s2
	v_mul_lo_u32 v13, v1, s3
	s_cbranch_scc1 .LBB151_1101
; %bb.1100:
	s_load_dwordx4 s[8:11], s[34:35], 0x10
	s_load_dwordx2 s[2:3], s[34:35], 0xcc
	s_waitcnt lgkmcnt(0)
	v_mul_hi_u32 v1, s9, v0
	v_add_u32_e32 v1, v0, v1
	v_lshrrev_b32_e32 v1, s10, v1
	v_mul_lo_u32 v1, v1, s8
	v_sub_u32_e32 v0, v0, v1
	v_mad_u64_u32 v[6:7], s[6:7], v0, s2, v[6:7]
	v_mad_u64_u32 v[13:14], s[2:3], v0, s3, v[13:14]
.LBB151_1101:
	s_and_b64 vcc, exec, s[0:1]
	v_add_u32_e32 v0, 0x80, v8
	s_cbranch_vccnz .LBB151_1107
; %bb.1102:
	s_cmp_lg_u32 s33, 0
	s_mov_b32 s36, 0
	s_cbranch_scc0 .LBB151_1108
; %bb.1103:
	s_min_u32 s37, s76, 15
	s_add_i32 s37, s37, 1
	s_cmp_eq_u32 s76, 2
	s_cbranch_scc1 .LBB151_1109
; %bb.1104:
	s_and_b32 s36, s37, 28
	s_add_u32 s2, s34, 0xc4
	s_addc_u32 s3, s35, 0
	v_mov_b32_e32 v11, 0
	s_mov_b32 s38, 0
	s_mov_b64 s[6:7], s[34:35]
	s_waitcnt vmcnt(0)
	v_mov_b32_e32 v4, 0
	v_mov_b32_e32 v1, v0
.LBB151_1105:                           ; =>This Inner Loop Header: Depth=1
	s_load_dwordx8 s[16:23], s[6:7], 0x4
	s_load_dwordx4 s[24:27], s[6:7], 0x24
	s_load_dwordx8 s[8:15], s[2:3], 0x0
	s_add_u32 s6, s6, 48
	s_addc_u32 s7, s7, 0
	s_waitcnt lgkmcnt(0)
	v_mul_hi_u32 v2, s17, v1
	s_add_i32 s38, s38, 4
	s_add_u32 s2, s2, 32
	s_addc_u32 s3, s3, 0
	v_add_u32_e32 v2, v1, v2
	v_lshrrev_b32_e32 v2, s18, v2
	v_mul_lo_u32 v3, v2, s16
	v_mul_hi_u32 v5, s20, v2
	s_cmp_lg_u32 s36, s38
	v_sub_u32_e32 v1, v1, v3
	v_add_u32_e32 v3, v2, v5
	v_mul_lo_u32 v5, v1, s8
	v_mul_lo_u32 v7, v1, s9
	v_lshrrev_b32_e32 v1, s21, v3
	v_mul_lo_u32 v3, v1, s19
	v_mul_hi_u32 v9, s23, v1
	v_sub_u32_e32 v2, v2, v3
	v_add_u32_e32 v3, v1, v9
	v_lshrrev_b32_e32 v3, s24, v3
	v_mul_hi_u32 v10, s26, v3
	v_mul_lo_u32 v12, v3, s22
	v_mul_lo_u32 v9, v2, s10
	v_mul_lo_u32 v2, v2, s11
	v_sub_u32_e32 v12, v1, v12
	v_add_u32_e32 v1, v3, v10
	v_lshrrev_b32_e32 v1, s27, v1
	v_mul_lo_u32 v10, v1, s25
	v_mul_lo_u32 v14, v12, s12
	v_mul_lo_u32 v12, v12, s13
	v_add3_u32 v4, v5, v4, v9
	v_sub_u32_e32 v3, v3, v10
	v_mul_lo_u32 v10, v3, s14
	v_mul_lo_u32 v3, v3, s15
	v_add3_u32 v2, v7, v11, v2
	v_add3_u32 v4, v14, v4, v10
	;; [unrolled: 1-line block ×3, first 2 shown]
	s_cbranch_scc1 .LBB151_1105
; %bb.1106:
	s_and_b32 s8, s37, 3
	s_cmp_eq_u32 s8, 0
	s_cbranch_scc0 .LBB151_1110
	s_branch .LBB151_1112
.LBB151_1107:
                                        ; implicit-def: $vgpr4
                                        ; implicit-def: $vgpr11
	s_branch .LBB151_1113
.LBB151_1108:
	s_waitcnt vmcnt(0)
	v_mov_b32_e32 v4, 0
	v_mov_b32_e32 v11, 0
	s_branch .LBB151_1112
.LBB151_1109:
	s_waitcnt vmcnt(0)
	v_mov_b32_e32 v4, 0
	v_mov_b32_e32 v11, 0
	;; [unrolled: 1-line block ×3, first 2 shown]
	s_and_b32 s8, s37, 3
	s_cmp_eq_u32 s8, 0
	s_cbranch_scc1 .LBB151_1112
.LBB151_1110:
	s_lshl_b32 s2, s36, 3
	s_add_u32 s2, s34, s2
	s_addc_u32 s3, s35, 0
	s_add_u32 s2, s2, 0xc4
	s_addc_u32 s3, s3, 0
	s_mul_i32 s6, s36, 12
	s_add_u32 s6, s34, s6
	s_addc_u32 s7, s35, 0
.LBB151_1111:                           ; =>This Inner Loop Header: Depth=1
	s_load_dwordx2 s[10:11], s[6:7], 0x4
	s_load_dword s9, s[6:7], 0xc
	s_load_dwordx2 s[12:13], s[2:3], 0x0
	s_add_u32 s6, s6, 12
	s_addc_u32 s7, s7, 0
	s_waitcnt lgkmcnt(0)
	v_mul_hi_u32 v2, s11, v1
	s_add_u32 s2, s2, 8
	s_addc_u32 s3, s3, 0
	s_add_i32 s8, s8, -1
	v_add_u32_e32 v2, v1, v2
	v_lshrrev_b32_e32 v2, s9, v2
	v_mul_lo_u32 v3, v2, s10
	s_cmp_lg_u32 s8, 0
	v_sub_u32_e32 v1, v1, v3
	v_mad_u64_u32 v[4:5], s[10:11], v1, s12, v[4:5]
	v_mad_u64_u32 v[11:12], s[10:11], v1, s13, v[11:12]
	v_mov_b32_e32 v1, v2
	s_cbranch_scc1 .LBB151_1111
.LBB151_1112:
	s_cbranch_execnz .LBB151_1115
.LBB151_1113:
	s_load_dwordx4 s[8:11], s[34:35], 0x4
	s_load_dwordx2 s[2:3], s[34:35], 0xc4
	s_cmp_lt_u32 s33, 2
	s_waitcnt lgkmcnt(0)
	v_mul_hi_u32 v1, s9, v0
	v_add_u32_e32 v1, v0, v1
	v_lshrrev_b32_e32 v1, s10, v1
	v_mul_lo_u32 v2, v1, s8
	v_sub_u32_e32 v0, v0, v2
	s_waitcnt vmcnt(0)
	v_mul_lo_u32 v4, v0, s2
	v_mul_lo_u32 v11, v0, s3
	s_cbranch_scc1 .LBB151_1115
; %bb.1114:
	s_load_dwordx4 s[8:11], s[34:35], 0x10
	s_load_dwordx2 s[2:3], s[34:35], 0xcc
	s_waitcnt lgkmcnt(0)
	v_mul_hi_u32 v0, s9, v1
	v_add_u32_e32 v0, v1, v0
	v_lshrrev_b32_e32 v0, s10, v0
	v_mul_lo_u32 v0, v0, s8
	v_sub_u32_e32 v0, v1, v0
	v_mad_u64_u32 v[4:5], s[6:7], v0, s2, v[4:5]
	v_mad_u64_u32 v[11:12], s[2:3], v0, s3, v[11:12]
.LBB151_1115:
	s_and_b64 vcc, exec, s[0:1]
	v_add_u32_e32 v0, 0x100, v8
	s_cbranch_vccnz .LBB151_1121
; %bb.1116:
	s_cmp_lg_u32 s33, 0
	s_mov_b32 s36, 0
	s_cbranch_scc0 .LBB151_1122
; %bb.1117:
	s_min_u32 s37, s76, 15
	s_add_i32 s37, s37, 1
	s_cmp_eq_u32 s76, 2
	s_cbranch_scc1 .LBB151_1123
; %bb.1118:
	s_and_b32 s36, s37, 28
	s_add_u32 s2, s34, 0xc4
	s_addc_u32 s3, s35, 0
	v_mov_b32_e32 v9, 0
	s_mov_b32 s38, 0
	s_mov_b64 s[6:7], s[34:35]
	v_mov_b32_e32 v2, 0
	v_mov_b32_e32 v1, v0
.LBB151_1119:                           ; =>This Inner Loop Header: Depth=1
	s_load_dwordx8 s[16:23], s[6:7], 0x4
	s_load_dwordx4 s[24:27], s[6:7], 0x24
	s_load_dwordx8 s[8:15], s[2:3], 0x0
	s_add_u32 s6, s6, 48
	s_addc_u32 s7, s7, 0
	s_waitcnt vmcnt(0) lgkmcnt(0)
	v_mul_hi_u32 v3, s17, v1
	s_add_i32 s38, s38, 4
	s_add_u32 s2, s2, 32
	s_addc_u32 s3, s3, 0
	v_add_u32_e32 v3, v1, v3
	v_lshrrev_b32_e32 v3, s18, v3
	v_mul_lo_u32 v5, v3, s16
	v_mul_hi_u32 v7, s20, v3
	s_cmp_lg_u32 s36, s38
	v_sub_u32_e32 v1, v1, v5
	v_add_u32_e32 v5, v3, v7
	v_mul_lo_u32 v7, v1, s8
	v_mul_lo_u32 v8, v1, s9
	v_lshrrev_b32_e32 v1, s21, v5
	v_mul_lo_u32 v5, v1, s19
	v_mul_hi_u32 v10, s23, v1
	v_sub_u32_e32 v3, v3, v5
	v_add_u32_e32 v5, v1, v10
	v_lshrrev_b32_e32 v5, s24, v5
	v_mul_hi_u32 v12, s26, v5
	v_mul_lo_u32 v14, v5, s22
	v_mul_lo_u32 v10, v3, s10
	;; [unrolled: 1-line block ×3, first 2 shown]
	v_sub_u32_e32 v14, v1, v14
	v_add_u32_e32 v1, v5, v12
	v_lshrrev_b32_e32 v1, s27, v1
	v_mul_lo_u32 v12, v1, s25
	v_mul_lo_u32 v16, v14, s12
	;; [unrolled: 1-line block ×3, first 2 shown]
	v_add3_u32 v2, v7, v2, v10
	v_sub_u32_e32 v5, v5, v12
	v_mul_lo_u32 v12, v5, s14
	v_mul_lo_u32 v5, v5, s15
	v_add3_u32 v3, v8, v9, v3
	v_add3_u32 v2, v16, v2, v12
	;; [unrolled: 1-line block ×3, first 2 shown]
	s_cbranch_scc1 .LBB151_1119
; %bb.1120:
	s_and_b32 s8, s37, 3
	s_cmp_eq_u32 s8, 0
	s_cbranch_scc0 .LBB151_1124
	s_branch .LBB151_1126
.LBB151_1121:
                                        ; implicit-def: $vgpr2
                                        ; implicit-def: $vgpr9
	s_branch .LBB151_1127
.LBB151_1122:
	v_mov_b32_e32 v2, 0
	v_mov_b32_e32 v9, 0
	s_branch .LBB151_1126
.LBB151_1123:
	v_mov_b32_e32 v2, 0
	v_mov_b32_e32 v9, 0
	;; [unrolled: 1-line block ×3, first 2 shown]
	s_and_b32 s8, s37, 3
	s_cmp_eq_u32 s8, 0
	s_cbranch_scc1 .LBB151_1126
.LBB151_1124:
	s_lshl_b32 s2, s36, 3
	s_add_u32 s2, s34, s2
	s_addc_u32 s3, s35, 0
	s_add_u32 s2, s2, 0xc4
	s_addc_u32 s3, s3, 0
	s_mul_i32 s6, s36, 12
	s_add_u32 s6, s34, s6
	s_addc_u32 s7, s35, 0
.LBB151_1125:                           ; =>This Inner Loop Header: Depth=1
	s_load_dwordx2 s[10:11], s[6:7], 0x4
	s_load_dword s9, s[6:7], 0xc
	s_load_dwordx2 s[12:13], s[2:3], 0x0
	s_add_u32 s6, s6, 12
	s_addc_u32 s7, s7, 0
	s_waitcnt vmcnt(0) lgkmcnt(0)
	v_mul_hi_u32 v3, s11, v1
	s_add_u32 s2, s2, 8
	s_addc_u32 s3, s3, 0
	s_add_i32 s8, s8, -1
	v_add_u32_e32 v3, v1, v3
	v_lshrrev_b32_e32 v5, s9, v3
	v_mul_lo_u32 v3, v5, s10
	s_cmp_lg_u32 s8, 0
	v_sub_u32_e32 v1, v1, v3
	v_mad_u64_u32 v[2:3], s[10:11], v1, s12, v[2:3]
	v_mad_u64_u32 v[9:10], s[10:11], v1, s13, v[9:10]
	v_mov_b32_e32 v1, v5
	s_cbranch_scc1 .LBB151_1125
.LBB151_1126:
	s_cbranch_execnz .LBB151_1129
.LBB151_1127:
	s_load_dwordx4 s[8:11], s[34:35], 0x4
	s_load_dwordx2 s[2:3], s[34:35], 0xc4
	s_cmp_lt_u32 s33, 2
	s_waitcnt lgkmcnt(0)
	v_mul_hi_u32 v1, s9, v0
	v_add_u32_e32 v1, v0, v1
	v_lshrrev_b32_e32 v1, s10, v1
	v_mul_lo_u32 v2, v1, s8
	v_sub_u32_e32 v0, v0, v2
	v_mul_lo_u32 v2, v0, s2
	v_mul_lo_u32 v9, v0, s3
	s_cbranch_scc1 .LBB151_1129
; %bb.1128:
	s_load_dwordx4 s[8:11], s[34:35], 0x10
	s_load_dwordx2 s[2:3], s[34:35], 0xcc
	s_waitcnt lgkmcnt(0)
	v_mul_hi_u32 v0, s9, v1
	v_add_u32_e32 v0, v1, v0
	v_lshrrev_b32_e32 v0, s10, v0
	v_mul_lo_u32 v0, v0, s8
	v_sub_u32_e32 v0, v1, v0
	s_waitcnt vmcnt(0)
	v_mad_u64_u32 v[2:3], s[6:7], v0, s2, v[2:3]
	v_mad_u64_u32 v[9:10], s[2:3], v0, s3, v[9:10]
.LBB151_1129:
	s_and_b64 vcc, exec, s[0:1]
	s_cbranch_vccnz .LBB151_1135
; %bb.1130:
	s_cmp_lg_u32 s33, 0
	s_mov_b32 s26, 0
	s_cbranch_scc0 .LBB151_1136
; %bb.1131:
	s_min_u32 s27, s76, 15
	s_add_i32 s27, s27, 1
	s_cmp_eq_u32 s76, 2
	s_cbranch_scc1 .LBB151_1137
; %bb.1132:
	s_and_b32 s26, s27, 28
	s_add_u32 s6, s34, 0xc4
	s_addc_u32 s7, s35, 0
	v_mov_b32_e32 v7, 0
	s_mov_b32 s36, 0
	s_mov_b64 s[24:25], s[34:35]
	v_mov_b32_e32 v0, 0
	v_mov_b32_e32 v1, v15
.LBB151_1133:                           ; =>This Inner Loop Header: Depth=1
	s_load_dwordx8 s[16:23], s[24:25], 0x4
	s_load_dwordx4 s[0:3], s[24:25], 0x24
	s_load_dwordx8 s[8:15], s[6:7], 0x0
	s_add_u32 s24, s24, 48
	s_addc_u32 s25, s25, 0
	s_waitcnt vmcnt(0) lgkmcnt(0)
	v_mul_hi_u32 v3, s17, v1
	s_add_i32 s36, s36, 4
	s_add_u32 s6, s6, 32
	s_addc_u32 s7, s7, 0
	v_add_u32_e32 v3, v1, v3
	v_lshrrev_b32_e32 v3, s18, v3
	v_mul_lo_u32 v5, v3, s16
	v_mul_hi_u32 v8, s20, v3
	s_cmp_lg_u32 s26, s36
	v_sub_u32_e32 v1, v1, v5
	v_add_u32_e32 v5, v3, v8
	v_mul_lo_u32 v8, v1, s8
	v_mul_lo_u32 v10, v1, s9
	v_lshrrev_b32_e32 v1, s21, v5
	v_mul_lo_u32 v5, v1, s19
	v_mul_hi_u32 v12, s23, v1
	v_sub_u32_e32 v3, v3, v5
	v_add_u32_e32 v5, v1, v12
	v_lshrrev_b32_e32 v5, s0, v5
	v_mul_hi_u32 v14, s2, v5
	v_mul_lo_u32 v16, v5, s22
	v_mul_lo_u32 v12, v3, s10
	;; [unrolled: 1-line block ×3, first 2 shown]
	v_sub_u32_e32 v16, v1, v16
	v_add_u32_e32 v1, v5, v14
	v_lshrrev_b32_e32 v1, s3, v1
	v_mul_lo_u32 v14, v1, s1
	v_mul_lo_u32 v17, v16, s12
	;; [unrolled: 1-line block ×3, first 2 shown]
	v_add3_u32 v0, v8, v0, v12
	v_sub_u32_e32 v5, v5, v14
	v_mul_lo_u32 v14, v5, s14
	v_mul_lo_u32 v5, v5, s15
	v_add3_u32 v3, v10, v7, v3
	v_add3_u32 v0, v17, v0, v14
	;; [unrolled: 1-line block ×3, first 2 shown]
	s_cbranch_scc1 .LBB151_1133
; %bb.1134:
	s_and_b32 s6, s27, 3
	s_cmp_eq_u32 s6, 0
	s_cbranch_scc0 .LBB151_1138
	s_branch .LBB151_1140
.LBB151_1135:
                                        ; implicit-def: $vgpr0
                                        ; implicit-def: $vgpr7
	s_branch .LBB151_1141
.LBB151_1136:
	v_mov_b32_e32 v0, 0
	v_mov_b32_e32 v7, 0
	s_branch .LBB151_1140
.LBB151_1137:
	v_mov_b32_e32 v0, 0
	v_mov_b32_e32 v7, 0
	;; [unrolled: 1-line block ×3, first 2 shown]
	s_and_b32 s6, s27, 3
	s_cmp_eq_u32 s6, 0
	s_cbranch_scc1 .LBB151_1140
.LBB151_1138:
	s_lshl_b32 s0, s26, 3
	s_add_u32 s0, s34, s0
	s_addc_u32 s1, s35, 0
	s_add_u32 s0, s0, 0xc4
	s_addc_u32 s1, s1, 0
	s_mul_i32 s2, s26, 12
	s_add_u32 s2, s34, s2
	s_addc_u32 s3, s35, 0
.LBB151_1139:                           ; =>This Inner Loop Header: Depth=1
	s_load_dwordx2 s[8:9], s[2:3], 0x4
	s_load_dword s7, s[2:3], 0xc
	s_load_dwordx2 s[10:11], s[0:1], 0x0
	s_add_u32 s2, s2, 12
	s_addc_u32 s3, s3, 0
	s_waitcnt vmcnt(0) lgkmcnt(0)
	v_mul_hi_u32 v3, s9, v1
	s_add_u32 s0, s0, 8
	s_addc_u32 s1, s1, 0
	s_add_i32 s6, s6, -1
	v_add_u32_e32 v3, v1, v3
	v_lshrrev_b32_e32 v3, s7, v3
	v_mul_lo_u32 v5, v3, s8
	s_cmp_lg_u32 s6, 0
	v_sub_u32_e32 v5, v1, v5
	v_mad_u64_u32 v[0:1], s[8:9], v5, s10, v[0:1]
	v_mad_u64_u32 v[7:8], s[8:9], v5, s11, v[7:8]
	v_mov_b32_e32 v1, v3
	s_cbranch_scc1 .LBB151_1139
.LBB151_1140:
	s_cbranch_execnz .LBB151_1143
.LBB151_1141:
	s_load_dwordx4 s[0:3], s[34:35], 0x4
	s_load_dwordx2 s[6:7], s[34:35], 0xc4
	s_cmp_lt_u32 s33, 2
	s_waitcnt lgkmcnt(0)
	v_mul_hi_u32 v0, s1, v15
	v_add_u32_e32 v0, v15, v0
	v_lshrrev_b32_e32 v1, s2, v0
	v_mul_lo_u32 v0, v1, s0
	s_waitcnt vmcnt(0)
	v_sub_u32_e32 v3, v15, v0
	v_mul_lo_u32 v0, v3, s6
	v_mul_lo_u32 v7, v3, s7
	s_cbranch_scc1 .LBB151_1143
; %bb.1142:
	s_load_dwordx4 s[0:3], s[34:35], 0x10
	s_load_dwordx2 s[6:7], s[34:35], 0xcc
	s_waitcnt lgkmcnt(0)
	v_mul_hi_u32 v3, s1, v1
	v_add_u32_e32 v3, v1, v3
	v_lshrrev_b32_e32 v3, s2, v3
	v_mul_lo_u32 v3, v3, s0
	v_sub_u32_e32 v3, v1, v3
	v_mad_u64_u32 v[0:1], s[0:1], v3, s6, v[0:1]
	v_mad_u64_u32 v[7:8], s[0:1], v3, s7, v[7:8]
.LBB151_1143:
	s_load_dwordx4 s[8:11], s[34:35], 0x148
	s_load_dword s14, s[4:5], 0x16c
	s_waitcnt lgkmcnt(0)
	v_mov_b32_e32 v1, s11
	s_bfe_u32 s15, s14, 0x80008
	v_add_co_u32_e32 v12, vcc, s10, v13
	s_cmp_lt_i32 s15, 11
	v_addc_co_u32_e32 v13, vcc, 0, v1, vcc
	s_cbranch_scc1 .LBB151_1150
; %bb.1144:
	s_and_b32 s16, 0xffff, s15
	s_cmp_gt_i32 s16, 25
	s_mov_b64 s[2:3], 0
	s_cbranch_scc0 .LBB151_1152
; %bb.1145:
	s_cmp_gt_i32 s16, 28
	s_cbranch_scc0 .LBB151_1153
; %bb.1146:
	s_cmp_gt_i32 s16, 43
	;; [unrolled: 3-line block ×3, first 2 shown]
	s_cbranch_scc0 .LBB151_1155
; %bb.1148:
	s_cmp_eq_u32 s16, 46
	s_mov_b64 s[6:7], 0
	s_cbranch_scc0 .LBB151_1158
; %bb.1149:
	global_load_dword v1, v[12:13], off
	s_mov_b64 s[0:1], 0
	s_mov_b64 s[4:5], -1
	s_waitcnt vmcnt(0)
	v_lshlrev_b32_e32 v1, 16, v1
	s_branch .LBB151_1159
.LBB151_1150:
	s_mov_b64 s[4:5], 0
                                        ; implicit-def: $vgpr1
	s_mov_b64 s[12:13], s[28:29]
	s_cbranch_execnz .LBB151_1222
.LBB151_1151:
	s_andn2_b64 vcc, exec, s[4:5]
	s_cbranch_vccz .LBB151_1267
	s_branch .LBB151_2088
.LBB151_1152:
	s_mov_b64 s[4:5], 0
	s_mov_b64 s[0:1], 0
                                        ; implicit-def: $vgpr1
	s_cbranch_execnz .LBB151_1187
	s_branch .LBB151_1218
.LBB151_1153:
	s_mov_b64 s[6:7], -1
	s_mov_b64 s[4:5], 0
	s_mov_b64 s[0:1], 0
                                        ; implicit-def: $vgpr1
	s_branch .LBB151_1168
.LBB151_1154:
	s_mov_b64 s[4:5], 0
	s_mov_b64 s[0:1], 0
                                        ; implicit-def: $vgpr1
	s_cbranch_execnz .LBB151_1164
	s_branch .LBB151_1167
.LBB151_1155:
	s_mov_b64 s[6:7], -1
	s_mov_b64 s[4:5], 0
	s_mov_b64 s[0:1], 0
                                        ; implicit-def: $vgpr1
	s_branch .LBB151_1159
.LBB151_1156:
	s_andn2_saveexec_b64 s[16:17], s[16:17]
	s_cbranch_execz .LBB151_999
.LBB151_1157:
	s_mov_b32 s18, 0x46000000
	v_add_f32_e64 v0, |v3|, s18
	v_and_b32_e32 v0, 0xff, v0
	v_cmp_ne_u32_e32 vcc, 0, v0
	s_andn2_b64 s[12:13], s[12:13], exec
	s_and_b64 s[18:19], vcc, exec
	s_or_b64 s[12:13], s[12:13], s[18:19]
	s_or_b64 exec, exec, s[16:17]
	v_mov_b32_e32 v4, 0
	s_and_saveexec_b64 s[16:17], s[12:13]
	s_cbranch_execnz .LBB151_1000
	s_branch .LBB151_1001
.LBB151_1158:
	s_mov_b64 s[0:1], -1
                                        ; implicit-def: $vgpr1
	s_mov_b64 s[4:5], 0
.LBB151_1159:
	s_and_b64 vcc, exec, s[6:7]
	s_cbranch_vccz .LBB151_1162
; %bb.1160:
	s_cmp_eq_u32 s16, 44
	s_cbranch_scc0 .LBB151_1163
; %bb.1161:
	global_load_ubyte v1, v[12:13], off
	s_movk_i32 s4, 0xff
	s_waitcnt vmcnt(1)
	v_mov_b32_e32 v3, 0x7f800001
	v_mov_b32_e32 v5, 0x400000
	s_mov_b64 s[0:1], 0
	s_waitcnt vmcnt(0)
	v_lshlrev_b32_e32 v8, 23, v1
	v_cmp_ne_u32_e32 vcc, s4, v1
	v_cndmask_b32_e32 v3, v3, v8, vcc
	v_cmp_ne_u32_e32 vcc, 0, v1
	v_cndmask_b32_e32 v1, v5, v3, vcc
	s_mov_b64 s[4:5], -1
.LBB151_1162:
	s_branch .LBB151_1167
.LBB151_1163:
	s_mov_b64 s[0:1], -1
                                        ; implicit-def: $vgpr1
	s_branch .LBB151_1167
.LBB151_1164:
	s_cmp_eq_u32 s16, 29
	s_cbranch_scc0 .LBB151_1166
; %bb.1165:
	global_load_dwordx2 v[14:15], v[12:13], off
	s_mov_b64 s[0:1], 0
	s_mov_b64 s[4:5], -1
	s_mov_b64 s[6:7], 0
	s_waitcnt vmcnt(0)
	v_ffbh_u32_e32 v1, v15
	v_min_u32_e32 v1, 32, v1
	v_lshlrev_b64 v[14:15], v1, v[14:15]
	v_sub_u32_e32 v1, 32, v1
	v_min_u32_e32 v3, 1, v14
	v_or_b32_e32 v3, v15, v3
	v_cvt_f32_u32_e32 v3, v3
	v_ldexp_f32 v1, v3, v1
	s_branch .LBB151_1168
.LBB151_1166:
	s_mov_b64 s[0:1], -1
                                        ; implicit-def: $vgpr1
.LBB151_1167:
	s_mov_b64 s[6:7], 0
.LBB151_1168:
	s_and_b64 vcc, exec, s[6:7]
	s_cbranch_vccz .LBB151_1186
; %bb.1169:
	s_cmp_lt_i32 s16, 27
	s_cbranch_scc1 .LBB151_1172
; %bb.1170:
	s_cmp_gt_i32 s16, 27
	s_cbranch_scc0 .LBB151_1173
; %bb.1171:
	global_load_dword v1, v[12:13], off
	s_mov_b64 s[4:5], 0
	s_waitcnt vmcnt(0)
	v_cvt_f32_u32_e32 v1, v1
	s_branch .LBB151_1174
.LBB151_1172:
	s_mov_b64 s[4:5], -1
                                        ; implicit-def: $vgpr1
	s_branch .LBB151_1177
.LBB151_1173:
	s_mov_b64 s[4:5], -1
                                        ; implicit-def: $vgpr1
.LBB151_1174:
	s_andn2_b64 vcc, exec, s[4:5]
	s_cbranch_vccnz .LBB151_1176
; %bb.1175:
	global_load_ushort v1, v[12:13], off
	s_waitcnt vmcnt(0)
	v_cvt_f32_u32_e32 v1, v1
.LBB151_1176:
	s_mov_b64 s[4:5], 0
.LBB151_1177:
	s_andn2_b64 vcc, exec, s[4:5]
	s_cbranch_vccnz .LBB151_1185
; %bb.1178:
	global_load_ubyte v3, v[12:13], off
	s_movk_i32 s4, 0x7f
	s_waitcnt vmcnt(0)
	v_cmp_lt_i16_e32 vcc, s4, v3
	s_mov_b64 s[4:5], 0
	s_and_saveexec_b64 s[6:7], vcc
	s_xor_b64 s[6:7], exec, s[6:7]
	s_cbranch_execz .LBB151_1198
; %bb.1179:
	s_movk_i32 s4, 0x80
	v_cmp_eq_u16_e32 vcc, s4, v3
	s_mov_b64 s[4:5], -1
	s_and_saveexec_b64 s[12:13], vcc
; %bb.1180:
	s_xor_b64 s[4:5], exec, -1
; %bb.1181:
	s_or_b64 exec, exec, s[12:13]
	s_and_b64 s[4:5], s[4:5], exec
	s_or_saveexec_b64 s[6:7], s[6:7]
	v_mov_b32_e32 v1, 0x7f800001
	s_xor_b64 exec, exec, s[6:7]
	s_cbranch_execnz .LBB151_1199
.LBB151_1182:
	s_or_b64 exec, exec, s[6:7]
	s_and_saveexec_b64 s[6:7], s[4:5]
	s_cbranch_execz .LBB151_1184
.LBB151_1183:
	v_lshlrev_b32_e32 v1, 24, v3
	v_and_b32_e32 v3, 0xffff, v3
	v_and_b32_e32 v5, 7, v3
	v_ffbh_u32_e32 v10, v5
	v_min_u32_e32 v10, 32, v10
	v_subrev_u32_e32 v14, 28, v10
	v_bfe_u32 v8, v3, 3, 4
	v_lshlrev_b32_e32 v3, v14, v3
	v_sub_u32_e32 v10, 29, v10
	v_and_b32_e32 v3, 7, v3
	v_cmp_eq_u32_e32 vcc, 0, v8
	v_cndmask_b32_e32 v8, v8, v10, vcc
	v_cndmask_b32_e32 v3, v5, v3, vcc
	v_mov_b32_e32 v5, 0x3b800000
	v_lshlrev_b32_e32 v3, 20, v3
	v_and_b32_e32 v1, 0x80000000, v1
	v_lshl_add_u32 v5, v8, 23, v5
	v_or3_b32 v1, v1, v5, v3
.LBB151_1184:
	s_or_b64 exec, exec, s[6:7]
.LBB151_1185:
	s_mov_b64 s[4:5], -1
.LBB151_1186:
	s_branch .LBB151_1218
.LBB151_1187:
	s_cmp_gt_i32 s16, 22
	s_cbranch_scc0 .LBB151_1197
; %bb.1188:
	s_cmp_lt_i32 s16, 24
	s_cbranch_scc1 .LBB151_1200
; %bb.1189:
	s_cmp_gt_i32 s16, 24
	s_cbranch_scc0 .LBB151_1201
; %bb.1190:
	global_load_ubyte v3, v[12:13], off
	s_movk_i32 s2, 0x7f
	s_waitcnt vmcnt(0)
	v_cmp_lt_i16_e32 vcc, s2, v3
	s_mov_b64 s[2:3], 0
	s_and_saveexec_b64 s[4:5], vcc
	s_xor_b64 s[4:5], exec, s[4:5]
	s_cbranch_execz .LBB151_1212
; %bb.1191:
	s_movk_i32 s2, 0x80
	v_cmp_eq_u16_e32 vcc, s2, v3
	s_mov_b64 s[2:3], -1
	s_and_saveexec_b64 s[6:7], vcc
; %bb.1192:
	s_xor_b64 s[2:3], exec, -1
; %bb.1193:
	s_or_b64 exec, exec, s[6:7]
	s_and_b64 s[2:3], s[2:3], exec
	s_or_saveexec_b64 s[4:5], s[4:5]
	v_mov_b32_e32 v1, 0x7f800001
	s_xor_b64 exec, exec, s[4:5]
	s_cbranch_execnz .LBB151_1213
.LBB151_1194:
	s_or_b64 exec, exec, s[4:5]
	s_and_saveexec_b64 s[4:5], s[2:3]
	s_cbranch_execz .LBB151_1196
.LBB151_1195:
	v_lshlrev_b32_e32 v1, 24, v3
	v_and_b32_e32 v3, 0xffff, v3
	v_and_b32_e32 v5, 3, v3
	v_ffbh_u32_e32 v10, v5
	v_min_u32_e32 v10, 32, v10
	v_subrev_u32_e32 v14, 29, v10
	v_bfe_u32 v8, v3, 2, 5
	v_lshlrev_b32_e32 v3, v14, v3
	v_sub_u32_e32 v10, 30, v10
	v_and_b32_e32 v3, 3, v3
	v_cmp_eq_u32_e32 vcc, 0, v8
	v_cndmask_b32_e32 v8, v8, v10, vcc
	v_cndmask_b32_e32 v3, v5, v3, vcc
	v_mov_b32_e32 v5, 0x37800000
	v_lshlrev_b32_e32 v3, 21, v3
	v_and_b32_e32 v1, 0x80000000, v1
	v_lshl_add_u32 v5, v8, 23, v5
	v_or3_b32 v1, v1, v5, v3
.LBB151_1196:
	s_or_b64 exec, exec, s[4:5]
	s_mov_b64 s[2:3], 0
	s_branch .LBB151_1202
.LBB151_1197:
                                        ; implicit-def: $vgpr1
	s_mov_b64 s[2:3], 0
	s_branch .LBB151_1208
.LBB151_1198:
	s_or_saveexec_b64 s[6:7], s[6:7]
	v_mov_b32_e32 v1, 0x7f800001
	s_xor_b64 exec, exec, s[6:7]
	s_cbranch_execz .LBB151_1182
.LBB151_1199:
	v_cmp_ne_u16_e32 vcc, 0, v3
	s_andn2_b64 s[4:5], s[4:5], exec
	s_and_b64 s[12:13], vcc, exec
	v_mov_b32_e32 v1, 0
	s_or_b64 s[4:5], s[4:5], s[12:13]
	s_or_b64 exec, exec, s[6:7]
	s_and_saveexec_b64 s[6:7], s[4:5]
	s_cbranch_execnz .LBB151_1183
	s_branch .LBB151_1184
.LBB151_1200:
	s_mov_b64 s[2:3], -1
                                        ; implicit-def: $vgpr1
	s_branch .LBB151_1205
.LBB151_1201:
	s_mov_b64 s[2:3], -1
                                        ; implicit-def: $vgpr1
.LBB151_1202:
	s_and_b64 vcc, exec, s[2:3]
	s_cbranch_vccz .LBB151_1204
; %bb.1203:
	global_load_ubyte v1, v[12:13], off
	s_mov_b32 s2, 0x7f800000
	s_waitcnt vmcnt(0)
	v_lshlrev_b32_e32 v1, 24, v1
	v_and_b32_e32 v3, 0x7f000000, v1
	v_ffbh_u32_e32 v5, v3
	v_min_u32_e32 v5, 32, v5
	v_sub_u32_e64 v5, v5, 4 clamp
	v_lshlrev_b32_e32 v10, v5, v3
	v_lshlrev_b32_e32 v5, 23, v5
	v_lshrrev_b32_e32 v10, 4, v10
	v_add_u32_e32 v8, 0x1000000, v3
	v_sub_u32_e32 v5, v10, v5
	v_ashrrev_i32_e32 v8, 8, v8
	v_add_u32_e32 v5, 0x3c000000, v5
	v_and_or_b32 v5, v8, s2, v5
	v_cmp_ne_u32_e32 vcc, 0, v3
	v_cndmask_b32_e32 v3, 0, v5, vcc
	s_brev_b32 s2, 1
	v_and_or_b32 v1, v1, s2, v3
.LBB151_1204:
	s_mov_b64 s[2:3], 0
.LBB151_1205:
	s_andn2_b64 vcc, exec, s[2:3]
	s_cbranch_vccnz .LBB151_1207
; %bb.1206:
	global_load_ubyte v1, v[12:13], off
	s_movk_i32 s2, 0x7f00
	s_brev_b32 s3, 16
	s_waitcnt vmcnt(0)
	v_lshlrev_b16_e32 v3, 8, v1
	v_lshlrev_b32_e32 v1, 25, v1
	v_lshrrev_b32_e32 v5, 4, v1
	v_and_or_b32 v8, v3, s2, 0.5
	v_or_b32_e32 v5, 0x70000000, v5
	v_add_f32_e32 v8, -0.5, v8
	v_mul_f32_e32 v5, 0x7800000, v5
	v_cmp_gt_u32_e32 vcc, s3, v1
	v_bfe_i32 v3, v3, 0, 16
	v_cndmask_b32_e32 v1, v5, v8, vcc
	s_brev_b32 s2, 1
	v_and_or_b32 v1, v3, s2, v1
.LBB151_1207:
	s_mov_b64 s[4:5], -1
	s_mov_b64 s[2:3], 0
	s_cbranch_execnz .LBB151_1218
.LBB151_1208:
	s_cmp_gt_i32 s16, 14
	s_cbranch_scc0 .LBB151_1211
; %bb.1209:
	s_cmp_eq_u32 s16, 15
	s_cbranch_scc0 .LBB151_1214
; %bb.1210:
	global_load_ushort v1, v[12:13], off
	s_mov_b64 s[0:1], 0
	s_mov_b64 s[4:5], -1
	s_waitcnt vmcnt(0)
	v_lshlrev_b32_e32 v1, 16, v1
	s_branch .LBB151_1215
.LBB151_1211:
	s_mov_b64 s[6:7], -1
                                        ; implicit-def: $vgpr1
	s_branch .LBB151_1216
.LBB151_1212:
	s_or_saveexec_b64 s[4:5], s[4:5]
	v_mov_b32_e32 v1, 0x7f800001
	s_xor_b64 exec, exec, s[4:5]
	s_cbranch_execz .LBB151_1194
.LBB151_1213:
	v_cmp_ne_u16_e32 vcc, 0, v3
	s_andn2_b64 s[2:3], s[2:3], exec
	s_and_b64 s[6:7], vcc, exec
	v_mov_b32_e32 v1, 0
	s_or_b64 s[2:3], s[2:3], s[6:7]
	s_or_b64 exec, exec, s[4:5]
	s_and_saveexec_b64 s[4:5], s[2:3]
	s_cbranch_execnz .LBB151_1195
	s_branch .LBB151_1196
.LBB151_1214:
	s_mov_b64 s[0:1], -1
                                        ; implicit-def: $vgpr1
.LBB151_1215:
	s_mov_b64 s[6:7], 0
.LBB151_1216:
	s_and_b64 vcc, exec, s[6:7]
	s_cbranch_vccz .LBB151_1218
; %bb.1217:
	s_cmp_lg_u32 s16, 11
	s_mov_b64 s[2:3], -1
	s_cselect_b64 s[0:1], -1, 0
.LBB151_1218:
	s_and_b64 vcc, exec, s[0:1]
	s_mov_b64 s[12:13], s[28:29]
	s_cbranch_vccnz .LBB151_1279
; %bb.1219:
	s_andn2_b64 vcc, exec, s[2:3]
	s_cbranch_vccnz .LBB151_1221
.LBB151_1220:
	global_load_ubyte v1, v[12:13], off
	s_mov_b64 s[4:5], -1
	s_waitcnt vmcnt(0)
	v_cmp_ne_u16_e32 vcc, 0, v1
	v_cndmask_b32_e64 v1, 0, 1.0, vcc
.LBB151_1221:
	s_branch .LBB151_1151
.LBB151_1222:
	s_and_b32 s2, 0xffff, s15
	s_cmp_lt_i32 s2, 5
	s_cbranch_scc1 .LBB151_1227
; %bb.1223:
	s_cmp_lt_i32 s2, 8
	s_cbranch_scc1 .LBB151_1228
; %bb.1224:
	s_cmp_lt_i32 s2, 9
	s_cbranch_scc1 .LBB151_1229
; %bb.1225:
	s_cmp_gt_i32 s2, 9
	s_cbranch_scc0 .LBB151_1230
; %bb.1226:
	global_load_dwordx2 v[14:15], v[12:13], off
	s_mov_b64 s[0:1], 0
	s_waitcnt vmcnt(0)
	v_cvt_f32_f64_e32 v1, v[14:15]
	s_branch .LBB151_1231
.LBB151_1227:
                                        ; implicit-def: $vgpr1
	s_branch .LBB151_1248
.LBB151_1228:
                                        ; implicit-def: $vgpr1
	s_branch .LBB151_1237
.LBB151_1229:
	s_mov_b64 s[0:1], -1
                                        ; implicit-def: $vgpr1
	s_branch .LBB151_1234
.LBB151_1230:
	s_mov_b64 s[0:1], -1
                                        ; implicit-def: $vgpr1
.LBB151_1231:
	s_andn2_b64 vcc, exec, s[0:1]
	s_cbranch_vccnz .LBB151_1233
; %bb.1232:
	global_load_dword v1, v[12:13], off
.LBB151_1233:
	s_mov_b64 s[0:1], 0
.LBB151_1234:
	s_andn2_b64 vcc, exec, s[0:1]
	s_cbranch_vccnz .LBB151_1236
; %bb.1235:
	global_load_dword v1, v[12:13], off
	s_waitcnt vmcnt(0)
	v_cvt_f32_f16_e32 v1, v1
.LBB151_1236:
	s_cbranch_execnz .LBB151_1247
.LBB151_1237:
	s_cmp_lt_i32 s2, 6
	s_cbranch_scc1 .LBB151_1240
; %bb.1238:
	s_cmp_gt_i32 s2, 6
	s_cbranch_scc0 .LBB151_1241
; %bb.1239:
	global_load_dwordx2 v[14:15], v[12:13], off
	s_mov_b64 s[0:1], 0
	s_waitcnt vmcnt(0)
	v_cvt_f32_f64_e32 v1, v[14:15]
	s_branch .LBB151_1242
.LBB151_1240:
	s_mov_b64 s[0:1], -1
                                        ; implicit-def: $vgpr1
	s_branch .LBB151_1245
.LBB151_1241:
	s_mov_b64 s[0:1], -1
                                        ; implicit-def: $vgpr1
.LBB151_1242:
	s_andn2_b64 vcc, exec, s[0:1]
	s_cbranch_vccnz .LBB151_1244
; %bb.1243:
	global_load_dword v1, v[12:13], off
.LBB151_1244:
	s_mov_b64 s[0:1], 0
.LBB151_1245:
	s_andn2_b64 vcc, exec, s[0:1]
	s_cbranch_vccnz .LBB151_1247
; %bb.1246:
	global_load_ushort v1, v[12:13], off
	s_waitcnt vmcnt(0)
	v_cvt_f32_f16_e32 v1, v1
.LBB151_1247:
	s_cbranch_execnz .LBB151_1266
.LBB151_1248:
	s_cmp_lt_i32 s2, 2
	s_cbranch_scc1 .LBB151_1252
; %bb.1249:
	s_cmp_lt_i32 s2, 3
	s_cbranch_scc1 .LBB151_1253
; %bb.1250:
	s_cmp_gt_i32 s2, 3
	s_cbranch_scc0 .LBB151_1254
; %bb.1251:
	global_load_dwordx2 v[14:15], v[12:13], off
	s_mov_b64 s[0:1], 0
	s_waitcnt vmcnt(0)
	v_xor_b32_e32 v3, v14, v15
	v_ffbh_i32_e32 v1, v15
	v_ashrrev_i32_e32 v3, 31, v3
	v_add_u32_e32 v1, -1, v1
	v_add_u32_e32 v3, 32, v3
	v_min_u32_e32 v1, v1, v3
	v_lshlrev_b64 v[14:15], v1, v[14:15]
	v_sub_u32_e32 v1, 32, v1
	v_min_u32_e32 v3, 1, v14
	v_or_b32_e32 v3, v15, v3
	v_cvt_f32_i32_e32 v3, v3
	v_ldexp_f32 v1, v3, v1
	s_branch .LBB151_1255
.LBB151_1252:
                                        ; implicit-def: $vgpr1
	s_branch .LBB151_1261
.LBB151_1253:
	s_mov_b64 s[0:1], -1
                                        ; implicit-def: $vgpr1
	s_branch .LBB151_1258
.LBB151_1254:
	s_mov_b64 s[0:1], -1
                                        ; implicit-def: $vgpr1
.LBB151_1255:
	s_andn2_b64 vcc, exec, s[0:1]
	s_cbranch_vccnz .LBB151_1257
; %bb.1256:
	global_load_dword v1, v[12:13], off
	s_waitcnt vmcnt(0)
	v_cvt_f32_i32_e32 v1, v1
.LBB151_1257:
	s_mov_b64 s[0:1], 0
.LBB151_1258:
	s_andn2_b64 vcc, exec, s[0:1]
	s_cbranch_vccnz .LBB151_1260
; %bb.1259:
	global_load_sshort v1, v[12:13], off
	s_waitcnt vmcnt(0)
	v_cvt_f32_i32_e32 v1, v1
.LBB151_1260:
	s_cbranch_execnz .LBB151_1266
.LBB151_1261:
	s_cmp_gt_i32 s2, 0
	s_cbranch_scc0 .LBB151_1263
; %bb.1262:
	global_load_sbyte v1, v[12:13], off
	s_mov_b64 s[0:1], 0
	s_waitcnt vmcnt(0)
	v_cvt_f32_i32_e32 v1, v1
	s_branch .LBB151_1264
.LBB151_1263:
	s_mov_b64 s[0:1], -1
                                        ; implicit-def: $vgpr1
.LBB151_1264:
	s_andn2_b64 vcc, exec, s[0:1]
	s_cbranch_vccnz .LBB151_1266
; %bb.1265:
	global_load_ubyte v1, v[12:13], off
	s_waitcnt vmcnt(0)
	v_cvt_f32_ubyte0_e32 v1, v1
.LBB151_1266:
.LBB151_1267:
	s_lshr_b32 s0, s14, 8
	s_waitcnt vmcnt(0)
	v_mov_b32_e32 v3, s11
	s_and_b32 s16, s0, 0xff
	v_add_co_u32_e32 v10, vcc, s10, v11
	s_cmp_lt_i32 s16, 11
	v_addc_co_u32_e32 v11, vcc, 0, v3, vcc
	s_cbranch_scc1 .LBB151_1274
; %bb.1268:
	s_and_b32 s17, 0xffff, s16
	s_cmp_gt_i32 s17, 25
	s_mov_b64 s[2:3], 0
	s_cbranch_scc0 .LBB151_1276
; %bb.1269:
	s_cmp_gt_i32 s17, 28
	s_cbranch_scc0 .LBB151_1277
; %bb.1270:
	s_cmp_gt_i32 s17, 43
	;; [unrolled: 3-line block ×3, first 2 shown]
	s_cbranch_scc0 .LBB151_1280
; %bb.1272:
	s_cmp_eq_u32 s17, 46
	s_mov_b64 s[6:7], 0
	s_cbranch_scc0 .LBB151_1283
; %bb.1273:
	global_load_dword v3, v[10:11], off
	s_mov_b64 s[0:1], 0
	s_mov_b64 s[4:5], -1
	s_waitcnt vmcnt(0)
	v_lshlrev_b32_e32 v3, 16, v3
	s_branch .LBB151_1284
.LBB151_1274:
	s_mov_b64 s[4:5], 0
                                        ; implicit-def: $vgpr3
	s_cbranch_execnz .LBB151_1349
.LBB151_1275:
	s_andn2_b64 vcc, exec, s[4:5]
	s_cbranch_vccnz .LBB151_2088
	s_branch .LBB151_1396
.LBB151_1276:
	s_mov_b64 s[4:5], 0
	s_mov_b64 s[0:1], 0
                                        ; implicit-def: $vgpr3
	s_cbranch_execnz .LBB151_1313
	s_branch .LBB151_1345
.LBB151_1277:
	s_mov_b64 s[6:7], -1
	s_mov_b64 s[4:5], 0
	s_mov_b64 s[0:1], 0
                                        ; implicit-def: $vgpr3
	s_branch .LBB151_1294
.LBB151_1278:
	s_mov_b64 s[6:7], -1
	s_mov_b64 s[4:5], 0
	s_mov_b64 s[0:1], 0
                                        ; implicit-def: $vgpr3
	s_branch .LBB151_1289
.LBB151_1279:
	s_or_b64 s[12:13], s[28:29], exec
	s_trap 2
	s_cbranch_execz .LBB151_1220
	s_branch .LBB151_1221
.LBB151_1280:
	s_mov_b64 s[6:7], -1
	s_mov_b64 s[4:5], 0
	s_mov_b64 s[0:1], 0
                                        ; implicit-def: $vgpr3
	s_branch .LBB151_1284
.LBB151_1281:
	s_andn2_saveexec_b64 s[18:19], s[18:19]
	s_cbranch_execz .LBB151_1011
.LBB151_1282:
	s_mov_b32 s21, 0x42800000
	v_add_f32_e64 v0, |v3|, s21
	v_and_b32_e32 v0, 0xff, v0
	v_cmp_ne_u32_e32 vcc, 0, v0
	s_andn2_b64 s[16:17], s[16:17], exec
	s_and_b64 s[24:25], vcc, exec
	s_or_b64 s[16:17], s[16:17], s[24:25]
	s_or_b64 exec, exec, s[18:19]
	v_mov_b32_e32 v4, 0
	s_and_saveexec_b64 s[18:19], s[16:17]
	s_cbranch_execnz .LBB151_1012
	s_branch .LBB151_1013
.LBB151_1283:
	s_mov_b64 s[0:1], -1
                                        ; implicit-def: $vgpr3
	s_mov_b64 s[4:5], 0
.LBB151_1284:
	s_and_b64 vcc, exec, s[6:7]
	s_cbranch_vccz .LBB151_1288
; %bb.1285:
	s_cmp_eq_u32 s17, 44
	s_cbranch_scc0 .LBB151_1287
; %bb.1286:
	global_load_ubyte v3, v[10:11], off
	s_movk_i32 s4, 0xff
	v_mov_b32_e32 v5, 0x7f800001
	v_mov_b32_e32 v8, 0x400000
	s_mov_b64 s[0:1], 0
	s_waitcnt vmcnt(0)
	v_lshlrev_b32_e32 v12, 23, v3
	v_cmp_ne_u32_e32 vcc, s4, v3
	v_cndmask_b32_e32 v5, v5, v12, vcc
	v_cmp_ne_u32_e32 vcc, 0, v3
	v_cndmask_b32_e32 v3, v8, v5, vcc
	s_mov_b64 s[4:5], -1
	s_branch .LBB151_1288
.LBB151_1287:
	s_mov_b64 s[0:1], -1
                                        ; implicit-def: $vgpr3
.LBB151_1288:
	s_mov_b64 s[6:7], 0
.LBB151_1289:
	s_and_b64 vcc, exec, s[6:7]
	s_cbranch_vccz .LBB151_1293
; %bb.1290:
	s_cmp_eq_u32 s17, 29
	s_cbranch_scc0 .LBB151_1292
; %bb.1291:
	global_load_dwordx2 v[12:13], v[10:11], off
	s_mov_b64 s[0:1], 0
	s_mov_b64 s[4:5], -1
	s_mov_b64 s[6:7], 0
	s_waitcnt vmcnt(0)
	v_ffbh_u32_e32 v3, v13
	v_min_u32_e32 v3, 32, v3
	v_lshlrev_b64 v[12:13], v3, v[12:13]
	v_sub_u32_e32 v3, 32, v3
	v_min_u32_e32 v5, 1, v12
	v_or_b32_e32 v5, v13, v5
	v_cvt_f32_u32_e32 v5, v5
	v_ldexp_f32 v3, v5, v3
	s_branch .LBB151_1294
.LBB151_1292:
	s_mov_b64 s[0:1], -1
                                        ; implicit-def: $vgpr3
.LBB151_1293:
	s_mov_b64 s[6:7], 0
.LBB151_1294:
	s_and_b64 vcc, exec, s[6:7]
	s_cbranch_vccz .LBB151_1312
; %bb.1295:
	s_cmp_lt_i32 s17, 27
	s_cbranch_scc1 .LBB151_1298
; %bb.1296:
	s_cmp_gt_i32 s17, 27
	s_cbranch_scc0 .LBB151_1299
; %bb.1297:
	global_load_dword v3, v[10:11], off
	s_mov_b64 s[4:5], 0
	s_waitcnt vmcnt(0)
	v_cvt_f32_u32_e32 v3, v3
	s_branch .LBB151_1300
.LBB151_1298:
	s_mov_b64 s[4:5], -1
                                        ; implicit-def: $vgpr3
	s_branch .LBB151_1303
.LBB151_1299:
	s_mov_b64 s[4:5], -1
                                        ; implicit-def: $vgpr3
.LBB151_1300:
	s_andn2_b64 vcc, exec, s[4:5]
	s_cbranch_vccnz .LBB151_1302
; %bb.1301:
	global_load_ushort v3, v[10:11], off
	s_waitcnt vmcnt(0)
	v_cvt_f32_u32_e32 v3, v3
.LBB151_1302:
	s_mov_b64 s[4:5], 0
.LBB151_1303:
	s_andn2_b64 vcc, exec, s[4:5]
	s_cbranch_vccnz .LBB151_1311
; %bb.1304:
	global_load_ubyte v5, v[10:11], off
	s_movk_i32 s4, 0x7f
	s_waitcnt vmcnt(0)
	v_cmp_lt_i16_e32 vcc, s4, v5
	s_mov_b64 s[4:5], 0
	s_and_saveexec_b64 s[6:7], vcc
	s_xor_b64 s[6:7], exec, s[6:7]
	s_cbranch_execz .LBB151_1324
; %bb.1305:
	s_movk_i32 s4, 0x80
	v_cmp_eq_u16_e32 vcc, s4, v5
	s_mov_b64 s[4:5], -1
	s_and_saveexec_b64 s[14:15], vcc
; %bb.1306:
	s_xor_b64 s[4:5], exec, -1
; %bb.1307:
	s_or_b64 exec, exec, s[14:15]
	s_and_b64 s[4:5], s[4:5], exec
	s_or_saveexec_b64 s[6:7], s[6:7]
	v_mov_b32_e32 v3, 0x7f800001
	s_xor_b64 exec, exec, s[6:7]
	s_cbranch_execnz .LBB151_1325
.LBB151_1308:
	s_or_b64 exec, exec, s[6:7]
	s_and_saveexec_b64 s[6:7], s[4:5]
	s_cbranch_execz .LBB151_1310
.LBB151_1309:
	v_lshlrev_b32_e32 v3, 24, v5
	v_and_b32_e32 v5, 0xffff, v5
	v_and_b32_e32 v8, 7, v5
	v_ffbh_u32_e32 v13, v8
	v_min_u32_e32 v13, 32, v13
	v_subrev_u32_e32 v14, 28, v13
	v_bfe_u32 v12, v5, 3, 4
	v_lshlrev_b32_e32 v5, v14, v5
	v_sub_u32_e32 v13, 29, v13
	v_and_b32_e32 v5, 7, v5
	v_cmp_eq_u32_e32 vcc, 0, v12
	v_cndmask_b32_e32 v12, v12, v13, vcc
	v_cndmask_b32_e32 v5, v8, v5, vcc
	v_mov_b32_e32 v8, 0x3b800000
	v_lshlrev_b32_e32 v5, 20, v5
	v_and_b32_e32 v3, 0x80000000, v3
	v_lshl_add_u32 v8, v12, 23, v8
	v_or3_b32 v3, v3, v8, v5
.LBB151_1310:
	s_or_b64 exec, exec, s[6:7]
.LBB151_1311:
	s_mov_b64 s[4:5], -1
.LBB151_1312:
	s_branch .LBB151_1345
.LBB151_1313:
	s_cmp_gt_i32 s17, 22
	s_cbranch_scc0 .LBB151_1323
; %bb.1314:
	s_cmp_lt_i32 s17, 24
	s_cbranch_scc1 .LBB151_1326
; %bb.1315:
	s_cmp_gt_i32 s17, 24
	s_cbranch_scc0 .LBB151_1327
; %bb.1316:
	global_load_ubyte v5, v[10:11], off
	s_movk_i32 s2, 0x7f
	s_waitcnt vmcnt(0)
	v_cmp_lt_i16_e32 vcc, s2, v5
	s_mov_b64 s[2:3], 0
	s_and_saveexec_b64 s[4:5], vcc
	s_xor_b64 s[4:5], exec, s[4:5]
	s_cbranch_execz .LBB151_1339
; %bb.1317:
	s_movk_i32 s2, 0x80
	v_cmp_eq_u16_e32 vcc, s2, v5
	s_mov_b64 s[2:3], -1
	s_and_saveexec_b64 s[6:7], vcc
; %bb.1318:
	s_xor_b64 s[2:3], exec, -1
; %bb.1319:
	s_or_b64 exec, exec, s[6:7]
	s_and_b64 s[2:3], s[2:3], exec
	s_or_saveexec_b64 s[4:5], s[4:5]
	v_mov_b32_e32 v3, 0x7f800001
	s_xor_b64 exec, exec, s[4:5]
	s_cbranch_execnz .LBB151_1340
.LBB151_1320:
	s_or_b64 exec, exec, s[4:5]
	s_and_saveexec_b64 s[4:5], s[2:3]
	s_cbranch_execz .LBB151_1322
.LBB151_1321:
	v_lshlrev_b32_e32 v3, 24, v5
	v_and_b32_e32 v5, 0xffff, v5
	v_and_b32_e32 v8, 3, v5
	v_ffbh_u32_e32 v13, v8
	v_min_u32_e32 v13, 32, v13
	v_subrev_u32_e32 v14, 29, v13
	v_bfe_u32 v12, v5, 2, 5
	v_lshlrev_b32_e32 v5, v14, v5
	v_sub_u32_e32 v13, 30, v13
	v_and_b32_e32 v5, 3, v5
	v_cmp_eq_u32_e32 vcc, 0, v12
	v_cndmask_b32_e32 v12, v12, v13, vcc
	v_cndmask_b32_e32 v5, v8, v5, vcc
	v_mov_b32_e32 v8, 0x37800000
	v_lshlrev_b32_e32 v5, 21, v5
	v_and_b32_e32 v3, 0x80000000, v3
	v_lshl_add_u32 v8, v12, 23, v8
	v_or3_b32 v3, v3, v8, v5
.LBB151_1322:
	s_or_b64 exec, exec, s[4:5]
	s_mov_b64 s[2:3], 0
	s_branch .LBB151_1328
.LBB151_1323:
	s_mov_b64 s[2:3], -1
                                        ; implicit-def: $vgpr3
	s_branch .LBB151_1334
.LBB151_1324:
	s_or_saveexec_b64 s[6:7], s[6:7]
	v_mov_b32_e32 v3, 0x7f800001
	s_xor_b64 exec, exec, s[6:7]
	s_cbranch_execz .LBB151_1308
.LBB151_1325:
	v_cmp_ne_u16_e32 vcc, 0, v5
	s_andn2_b64 s[4:5], s[4:5], exec
	s_and_b64 s[14:15], vcc, exec
	v_mov_b32_e32 v3, 0
	s_or_b64 s[4:5], s[4:5], s[14:15]
	s_or_b64 exec, exec, s[6:7]
	s_and_saveexec_b64 s[6:7], s[4:5]
	s_cbranch_execnz .LBB151_1309
	s_branch .LBB151_1310
.LBB151_1326:
	s_mov_b64 s[2:3], -1
                                        ; implicit-def: $vgpr3
	s_branch .LBB151_1331
.LBB151_1327:
	s_mov_b64 s[2:3], -1
                                        ; implicit-def: $vgpr3
.LBB151_1328:
	s_and_b64 vcc, exec, s[2:3]
	s_cbranch_vccz .LBB151_1330
; %bb.1329:
	global_load_ubyte v3, v[10:11], off
	s_mov_b32 s2, 0x7f800000
	s_waitcnt vmcnt(0)
	v_lshlrev_b32_e32 v3, 24, v3
	v_and_b32_e32 v5, 0x7f000000, v3
	v_ffbh_u32_e32 v8, v5
	v_min_u32_e32 v8, 32, v8
	v_sub_u32_e64 v8, v8, 4 clamp
	v_lshlrev_b32_e32 v13, v8, v5
	v_lshlrev_b32_e32 v8, 23, v8
	v_lshrrev_b32_e32 v13, 4, v13
	v_add_u32_e32 v12, 0x1000000, v5
	v_sub_u32_e32 v8, v13, v8
	v_ashrrev_i32_e32 v12, 8, v12
	v_add_u32_e32 v8, 0x3c000000, v8
	v_and_or_b32 v8, v12, s2, v8
	v_cmp_ne_u32_e32 vcc, 0, v5
	v_cndmask_b32_e32 v5, 0, v8, vcc
	s_brev_b32 s2, 1
	v_and_or_b32 v3, v3, s2, v5
.LBB151_1330:
	s_mov_b64 s[2:3], 0
.LBB151_1331:
	s_andn2_b64 vcc, exec, s[2:3]
	s_cbranch_vccnz .LBB151_1333
; %bb.1332:
	global_load_ubyte v3, v[10:11], off
	s_movk_i32 s2, 0x7f00
	s_brev_b32 s3, 16
	s_waitcnt vmcnt(0)
	v_lshlrev_b16_e32 v5, 8, v3
	v_lshlrev_b32_e32 v3, 25, v3
	v_lshrrev_b32_e32 v8, 4, v3
	v_and_or_b32 v12, v5, s2, 0.5
	v_or_b32_e32 v8, 0x70000000, v8
	v_add_f32_e32 v12, -0.5, v12
	v_mul_f32_e32 v8, 0x7800000, v8
	v_cmp_gt_u32_e32 vcc, s3, v3
	v_bfe_i32 v5, v5, 0, 16
	v_cndmask_b32_e32 v3, v8, v12, vcc
	s_brev_b32 s2, 1
	v_and_or_b32 v3, v5, s2, v3
.LBB151_1333:
	s_mov_b64 s[2:3], 0
	s_mov_b64 s[4:5], -1
.LBB151_1334:
	s_andn2_b64 vcc, exec, s[2:3]
	s_mov_b64 s[2:3], 0
	s_cbranch_vccnz .LBB151_1345
; %bb.1335:
	s_cmp_gt_i32 s17, 14
	s_cbranch_scc0 .LBB151_1338
; %bb.1336:
	s_cmp_eq_u32 s17, 15
	s_cbranch_scc0 .LBB151_1341
; %bb.1337:
	global_load_ushort v3, v[10:11], off
	s_mov_b64 s[0:1], 0
	s_mov_b64 s[4:5], -1
	s_waitcnt vmcnt(0)
	v_lshlrev_b32_e32 v3, 16, v3
	s_branch .LBB151_1342
.LBB151_1338:
	s_mov_b64 s[6:7], -1
                                        ; implicit-def: $vgpr3
	s_branch .LBB151_1343
.LBB151_1339:
	s_or_saveexec_b64 s[4:5], s[4:5]
	v_mov_b32_e32 v3, 0x7f800001
	s_xor_b64 exec, exec, s[4:5]
	s_cbranch_execz .LBB151_1320
.LBB151_1340:
	v_cmp_ne_u16_e32 vcc, 0, v5
	s_andn2_b64 s[2:3], s[2:3], exec
	s_and_b64 s[6:7], vcc, exec
	v_mov_b32_e32 v3, 0
	s_or_b64 s[2:3], s[2:3], s[6:7]
	s_or_b64 exec, exec, s[4:5]
	s_and_saveexec_b64 s[4:5], s[2:3]
	s_cbranch_execnz .LBB151_1321
	s_branch .LBB151_1322
.LBB151_1341:
	s_mov_b64 s[0:1], -1
                                        ; implicit-def: $vgpr3
.LBB151_1342:
	s_mov_b64 s[6:7], 0
.LBB151_1343:
	s_and_b64 vcc, exec, s[6:7]
	s_cbranch_vccz .LBB151_1345
; %bb.1344:
	s_cmp_lg_u32 s17, 11
	s_mov_b64 s[2:3], -1
	s_cselect_b64 s[0:1], -1, 0
.LBB151_1345:
	s_and_b64 vcc, exec, s[0:1]
	s_cbranch_vccnz .LBB151_1408
; %bb.1346:
	s_andn2_b64 vcc, exec, s[2:3]
	s_cbranch_vccnz .LBB151_1348
.LBB151_1347:
	global_load_ubyte v3, v[10:11], off
	s_mov_b64 s[4:5], -1
	s_waitcnt vmcnt(0)
	v_cmp_ne_u16_e32 vcc, 0, v3
	v_cndmask_b32_e64 v3, 0, 1.0, vcc
.LBB151_1348:
	s_branch .LBB151_1275
.LBB151_1349:
	s_and_b32 s2, 0xffff, s16
	s_cmp_lt_i32 s2, 5
	s_cbranch_scc1 .LBB151_1354
; %bb.1350:
	s_cmp_lt_i32 s2, 8
	s_cbranch_scc1 .LBB151_1355
; %bb.1351:
	s_cmp_lt_i32 s2, 9
	s_cbranch_scc1 .LBB151_1356
; %bb.1352:
	s_cmp_gt_i32 s2, 9
	s_cbranch_scc0 .LBB151_1357
; %bb.1353:
	global_load_dwordx2 v[12:13], v[10:11], off
	s_mov_b64 s[0:1], 0
	s_waitcnt vmcnt(0)
	v_cvt_f32_f64_e32 v3, v[12:13]
	s_branch .LBB151_1358
.LBB151_1354:
                                        ; implicit-def: $vgpr3
	s_branch .LBB151_1376
.LBB151_1355:
	s_mov_b64 s[0:1], -1
                                        ; implicit-def: $vgpr3
	s_branch .LBB151_1364
.LBB151_1356:
	s_mov_b64 s[0:1], -1
                                        ; implicit-def: $vgpr3
	s_branch .LBB151_1361
.LBB151_1357:
	s_mov_b64 s[0:1], -1
                                        ; implicit-def: $vgpr3
.LBB151_1358:
	s_andn2_b64 vcc, exec, s[0:1]
	s_cbranch_vccnz .LBB151_1360
; %bb.1359:
	global_load_dword v3, v[10:11], off
.LBB151_1360:
	s_mov_b64 s[0:1], 0
.LBB151_1361:
	s_andn2_b64 vcc, exec, s[0:1]
	s_cbranch_vccnz .LBB151_1363
; %bb.1362:
	global_load_dword v3, v[10:11], off
	s_waitcnt vmcnt(0)
	v_cvt_f32_f16_e32 v3, v3
.LBB151_1363:
	s_mov_b64 s[0:1], 0
.LBB151_1364:
	s_andn2_b64 vcc, exec, s[0:1]
	s_cbranch_vccnz .LBB151_1375
; %bb.1365:
	s_cmp_lt_i32 s2, 6
	s_cbranch_scc1 .LBB151_1368
; %bb.1366:
	s_cmp_gt_i32 s2, 6
	s_cbranch_scc0 .LBB151_1369
; %bb.1367:
	global_load_dwordx2 v[12:13], v[10:11], off
	s_mov_b64 s[0:1], 0
	s_waitcnt vmcnt(0)
	v_cvt_f32_f64_e32 v3, v[12:13]
	s_branch .LBB151_1370
.LBB151_1368:
	s_mov_b64 s[0:1], -1
                                        ; implicit-def: $vgpr3
	s_branch .LBB151_1373
.LBB151_1369:
	s_mov_b64 s[0:1], -1
                                        ; implicit-def: $vgpr3
.LBB151_1370:
	s_andn2_b64 vcc, exec, s[0:1]
	s_cbranch_vccnz .LBB151_1372
; %bb.1371:
	global_load_dword v3, v[10:11], off
.LBB151_1372:
	s_mov_b64 s[0:1], 0
.LBB151_1373:
	s_andn2_b64 vcc, exec, s[0:1]
	s_cbranch_vccnz .LBB151_1375
; %bb.1374:
	global_load_ushort v3, v[10:11], off
	s_waitcnt vmcnt(0)
	v_cvt_f32_f16_e32 v3, v3
.LBB151_1375:
	s_cbranch_execnz .LBB151_1395
.LBB151_1376:
	s_cmp_lt_i32 s2, 2
	s_cbranch_scc1 .LBB151_1380
; %bb.1377:
	s_cmp_lt_i32 s2, 3
	s_cbranch_scc1 .LBB151_1381
; %bb.1378:
	s_cmp_gt_i32 s2, 3
	s_cbranch_scc0 .LBB151_1382
; %bb.1379:
	global_load_dwordx2 v[12:13], v[10:11], off
	s_mov_b64 s[0:1], 0
	s_waitcnt vmcnt(0)
	v_xor_b32_e32 v5, v12, v13
	v_ffbh_i32_e32 v3, v13
	v_ashrrev_i32_e32 v5, 31, v5
	v_add_u32_e32 v3, -1, v3
	v_add_u32_e32 v5, 32, v5
	v_min_u32_e32 v3, v3, v5
	v_lshlrev_b64 v[12:13], v3, v[12:13]
	v_sub_u32_e32 v3, 32, v3
	v_min_u32_e32 v5, 1, v12
	v_or_b32_e32 v5, v13, v5
	v_cvt_f32_i32_e32 v5, v5
	v_ldexp_f32 v3, v5, v3
	s_branch .LBB151_1383
.LBB151_1380:
	s_mov_b64 s[0:1], -1
                                        ; implicit-def: $vgpr3
	s_branch .LBB151_1389
.LBB151_1381:
	s_mov_b64 s[0:1], -1
                                        ; implicit-def: $vgpr3
	s_branch .LBB151_1386
.LBB151_1382:
	s_mov_b64 s[0:1], -1
                                        ; implicit-def: $vgpr3
.LBB151_1383:
	s_andn2_b64 vcc, exec, s[0:1]
	s_cbranch_vccnz .LBB151_1385
; %bb.1384:
	global_load_dword v3, v[10:11], off
	s_waitcnt vmcnt(0)
	v_cvt_f32_i32_e32 v3, v3
.LBB151_1385:
	s_mov_b64 s[0:1], 0
.LBB151_1386:
	s_andn2_b64 vcc, exec, s[0:1]
	s_cbranch_vccnz .LBB151_1388
; %bb.1387:
	global_load_sshort v3, v[10:11], off
	s_waitcnt vmcnt(0)
	v_cvt_f32_i32_e32 v3, v3
.LBB151_1388:
	s_mov_b64 s[0:1], 0
.LBB151_1389:
	s_andn2_b64 vcc, exec, s[0:1]
	s_cbranch_vccnz .LBB151_1395
; %bb.1390:
	s_cmp_gt_i32 s2, 0
	s_cbranch_scc0 .LBB151_1392
; %bb.1391:
	global_load_sbyte v3, v[10:11], off
	s_mov_b64 s[0:1], 0
	s_waitcnt vmcnt(0)
	v_cvt_f32_i32_e32 v3, v3
	s_branch .LBB151_1393
.LBB151_1392:
	s_mov_b64 s[0:1], -1
                                        ; implicit-def: $vgpr3
.LBB151_1393:
	s_andn2_b64 vcc, exec, s[0:1]
	s_cbranch_vccnz .LBB151_1395
; %bb.1394:
	global_load_ubyte v3, v[10:11], off
	s_waitcnt vmcnt(0)
	v_cvt_f32_ubyte0_e32 v3, v3
.LBB151_1395:
.LBB151_1396:
	v_mov_b32_e32 v5, s11
	v_add_co_u32_e32 v8, vcc, s10, v9
	s_cmp_lt_i32 s16, 11
	v_addc_co_u32_e32 v9, vcc, 0, v5, vcc
	s_cbranch_scc1 .LBB151_1403
; %bb.1397:
	s_and_b32 s17, 0xffff, s16
	s_cmp_gt_i32 s17, 25
	s_mov_b64 s[2:3], 0
	s_cbranch_scc0 .LBB151_1405
; %bb.1398:
	s_cmp_gt_i32 s17, 28
	s_cbranch_scc0 .LBB151_1406
; %bb.1399:
	s_cmp_gt_i32 s17, 43
	;; [unrolled: 3-line block ×3, first 2 shown]
	s_cbranch_scc0 .LBB151_1409
; %bb.1401:
	s_cmp_eq_u32 s17, 46
	s_mov_b64 s[6:7], 0
	s_cbranch_scc0 .LBB151_1410
; %bb.1402:
	global_load_dword v5, v[8:9], off
	s_mov_b64 s[0:1], 0
	s_mov_b64 s[4:5], -1
	s_waitcnt vmcnt(0)
	v_lshlrev_b32_e32 v10, 16, v5
	s_branch .LBB151_1411
.LBB151_1403:
	s_mov_b64 s[4:5], 0
                                        ; implicit-def: $vgpr10
	s_cbranch_execnz .LBB151_1477
.LBB151_1404:
	s_andn2_b64 vcc, exec, s[4:5]
	s_cbranch_vccnz .LBB151_2088
	s_branch .LBB151_1525
.LBB151_1405:
	s_mov_b64 s[6:7], -1
	s_mov_b64 s[4:5], 0
	s_mov_b64 s[0:1], 0
                                        ; implicit-def: $vgpr10
	s_branch .LBB151_1440
.LBB151_1406:
	s_mov_b64 s[6:7], -1
	s_mov_b64 s[4:5], 0
	s_mov_b64 s[0:1], 0
                                        ; implicit-def: $vgpr10
	s_branch .LBB151_1421
.LBB151_1407:
	s_mov_b64 s[6:7], -1
	s_mov_b64 s[4:5], 0
	s_mov_b64 s[0:1], 0
                                        ; implicit-def: $vgpr10
	s_branch .LBB151_1416
.LBB151_1408:
	s_trap 2
	s_or_b64 s[12:13], s[12:13], exec
	s_cbranch_execz .LBB151_1347
	s_branch .LBB151_1348
.LBB151_1409:
	s_mov_b64 s[6:7], -1
	s_mov_b64 s[4:5], 0
	s_mov_b64 s[0:1], 0
                                        ; implicit-def: $vgpr10
	s_branch .LBB151_1411
.LBB151_1410:
	s_mov_b64 s[0:1], -1
                                        ; implicit-def: $vgpr10
	s_mov_b64 s[4:5], 0
.LBB151_1411:
	s_and_b64 vcc, exec, s[6:7]
	s_cbranch_vccz .LBB151_1415
; %bb.1412:
	s_cmp_eq_u32 s17, 44
	s_cbranch_scc0 .LBB151_1414
; %bb.1413:
	global_load_ubyte v5, v[8:9], off
	s_movk_i32 s4, 0xff
	v_mov_b32_e32 v10, 0x7f800001
	v_mov_b32_e32 v11, 0x400000
	s_mov_b64 s[0:1], 0
	s_waitcnt vmcnt(0)
	v_lshlrev_b32_e32 v12, 23, v5
	v_cmp_ne_u32_e32 vcc, s4, v5
	v_cndmask_b32_e32 v10, v10, v12, vcc
	v_cmp_ne_u32_e32 vcc, 0, v5
	v_cndmask_b32_e32 v10, v11, v10, vcc
	s_mov_b64 s[4:5], -1
	s_branch .LBB151_1415
.LBB151_1414:
	s_mov_b64 s[0:1], -1
                                        ; implicit-def: $vgpr10
.LBB151_1415:
	s_mov_b64 s[6:7], 0
.LBB151_1416:
	s_and_b64 vcc, exec, s[6:7]
	s_cbranch_vccz .LBB151_1420
; %bb.1417:
	s_cmp_eq_u32 s17, 29
	s_cbranch_scc0 .LBB151_1419
; %bb.1418:
	global_load_dwordx2 v[10:11], v[8:9], off
	s_mov_b64 s[0:1], 0
	s_mov_b64 s[4:5], -1
	s_mov_b64 s[6:7], 0
	s_waitcnt vmcnt(0)
	v_ffbh_u32_e32 v5, v11
	v_min_u32_e32 v5, 32, v5
	v_lshlrev_b64 v[10:11], v5, v[10:11]
	v_sub_u32_e32 v5, 32, v5
	v_min_u32_e32 v10, 1, v10
	v_or_b32_e32 v10, v11, v10
	v_cvt_f32_u32_e32 v10, v10
	v_ldexp_f32 v10, v10, v5
	s_branch .LBB151_1421
.LBB151_1419:
	s_mov_b64 s[0:1], -1
                                        ; implicit-def: $vgpr10
.LBB151_1420:
	s_mov_b64 s[6:7], 0
.LBB151_1421:
	s_and_b64 vcc, exec, s[6:7]
	s_cbranch_vccz .LBB151_1439
; %bb.1422:
	s_cmp_lt_i32 s17, 27
	s_cbranch_scc1 .LBB151_1425
; %bb.1423:
	s_cmp_gt_i32 s17, 27
	s_cbranch_scc0 .LBB151_1426
; %bb.1424:
	global_load_dword v5, v[8:9], off
	s_mov_b64 s[4:5], 0
	s_waitcnt vmcnt(0)
	v_cvt_f32_u32_e32 v10, v5
	s_branch .LBB151_1427
.LBB151_1425:
	s_mov_b64 s[4:5], -1
                                        ; implicit-def: $vgpr10
	s_branch .LBB151_1430
.LBB151_1426:
	s_mov_b64 s[4:5], -1
                                        ; implicit-def: $vgpr10
.LBB151_1427:
	s_andn2_b64 vcc, exec, s[4:5]
	s_cbranch_vccnz .LBB151_1429
; %bb.1428:
	global_load_ushort v5, v[8:9], off
	s_waitcnt vmcnt(0)
	v_cvt_f32_u32_e32 v10, v5
.LBB151_1429:
	s_mov_b64 s[4:5], 0
.LBB151_1430:
	s_andn2_b64 vcc, exec, s[4:5]
	s_cbranch_vccnz .LBB151_1438
; %bb.1431:
	global_load_ubyte v5, v[8:9], off
	s_movk_i32 s4, 0x7f
	s_waitcnt vmcnt(0)
	v_cmp_lt_i16_e32 vcc, s4, v5
	s_mov_b64 s[4:5], 0
	s_and_saveexec_b64 s[6:7], vcc
	s_xor_b64 s[6:7], exec, s[6:7]
	s_cbranch_execz .LBB151_1452
; %bb.1432:
	s_movk_i32 s4, 0x80
	v_cmp_eq_u16_e32 vcc, s4, v5
	s_mov_b64 s[4:5], -1
	s_and_saveexec_b64 s[14:15], vcc
; %bb.1433:
	s_xor_b64 s[4:5], exec, -1
; %bb.1434:
	s_or_b64 exec, exec, s[14:15]
	s_and_b64 s[4:5], s[4:5], exec
	s_or_saveexec_b64 s[6:7], s[6:7]
	v_mov_b32_e32 v10, 0x7f800001
	s_xor_b64 exec, exec, s[6:7]
	s_cbranch_execnz .LBB151_1453
.LBB151_1435:
	s_or_b64 exec, exec, s[6:7]
	s_and_saveexec_b64 s[6:7], s[4:5]
	s_cbranch_execz .LBB151_1437
.LBB151_1436:
	v_lshlrev_b32_e32 v10, 24, v5
	v_and_b32_e32 v5, 0xffff, v5
	v_and_b32_e32 v11, 7, v5
	v_ffbh_u32_e32 v13, v11
	v_min_u32_e32 v13, 32, v13
	v_subrev_u32_e32 v14, 28, v13
	v_bfe_u32 v12, v5, 3, 4
	v_lshlrev_b32_e32 v5, v14, v5
	v_sub_u32_e32 v13, 29, v13
	v_and_b32_e32 v5, 7, v5
	v_cmp_eq_u32_e32 vcc, 0, v12
	v_cndmask_b32_e32 v12, v12, v13, vcc
	v_cndmask_b32_e32 v5, v11, v5, vcc
	v_mov_b32_e32 v11, 0x3b800000
	v_lshlrev_b32_e32 v5, 20, v5
	v_and_b32_e32 v10, 0x80000000, v10
	v_lshl_add_u32 v11, v12, 23, v11
	v_or3_b32 v10, v10, v11, v5
.LBB151_1437:
	s_or_b64 exec, exec, s[6:7]
.LBB151_1438:
	s_mov_b64 s[4:5], -1
.LBB151_1439:
	s_mov_b64 s[6:7], 0
.LBB151_1440:
	s_and_b64 vcc, exec, s[6:7]
	s_cbranch_vccz .LBB151_1473
; %bb.1441:
	s_cmp_gt_i32 s17, 22
	s_cbranch_scc0 .LBB151_1451
; %bb.1442:
	s_cmp_lt_i32 s17, 24
	s_cbranch_scc1 .LBB151_1454
; %bb.1443:
	s_cmp_gt_i32 s17, 24
	s_cbranch_scc0 .LBB151_1455
; %bb.1444:
	global_load_ubyte v5, v[8:9], off
	s_movk_i32 s2, 0x7f
	s_waitcnt vmcnt(0)
	v_cmp_lt_i16_e32 vcc, s2, v5
	s_mov_b64 s[2:3], 0
	s_and_saveexec_b64 s[4:5], vcc
	s_xor_b64 s[4:5], exec, s[4:5]
	s_cbranch_execz .LBB151_1467
; %bb.1445:
	s_movk_i32 s2, 0x80
	v_cmp_eq_u16_e32 vcc, s2, v5
	s_mov_b64 s[2:3], -1
	s_and_saveexec_b64 s[6:7], vcc
; %bb.1446:
	s_xor_b64 s[2:3], exec, -1
; %bb.1447:
	s_or_b64 exec, exec, s[6:7]
	s_and_b64 s[2:3], s[2:3], exec
	s_or_saveexec_b64 s[4:5], s[4:5]
	v_mov_b32_e32 v10, 0x7f800001
	s_xor_b64 exec, exec, s[4:5]
	s_cbranch_execnz .LBB151_1468
.LBB151_1448:
	s_or_b64 exec, exec, s[4:5]
	s_and_saveexec_b64 s[4:5], s[2:3]
	s_cbranch_execz .LBB151_1450
.LBB151_1449:
	v_lshlrev_b32_e32 v10, 24, v5
	v_and_b32_e32 v5, 0xffff, v5
	v_and_b32_e32 v11, 3, v5
	v_ffbh_u32_e32 v13, v11
	v_min_u32_e32 v13, 32, v13
	v_subrev_u32_e32 v14, 29, v13
	v_bfe_u32 v12, v5, 2, 5
	v_lshlrev_b32_e32 v5, v14, v5
	v_sub_u32_e32 v13, 30, v13
	v_and_b32_e32 v5, 3, v5
	v_cmp_eq_u32_e32 vcc, 0, v12
	v_cndmask_b32_e32 v12, v12, v13, vcc
	v_cndmask_b32_e32 v5, v11, v5, vcc
	v_mov_b32_e32 v11, 0x37800000
	v_lshlrev_b32_e32 v5, 21, v5
	v_and_b32_e32 v10, 0x80000000, v10
	v_lshl_add_u32 v11, v12, 23, v11
	v_or3_b32 v10, v10, v11, v5
.LBB151_1450:
	s_or_b64 exec, exec, s[4:5]
	s_mov_b64 s[2:3], 0
	s_branch .LBB151_1456
.LBB151_1451:
	s_mov_b64 s[2:3], -1
                                        ; implicit-def: $vgpr10
	s_branch .LBB151_1462
.LBB151_1452:
	s_or_saveexec_b64 s[6:7], s[6:7]
	v_mov_b32_e32 v10, 0x7f800001
	s_xor_b64 exec, exec, s[6:7]
	s_cbranch_execz .LBB151_1435
.LBB151_1453:
	v_cmp_ne_u16_e32 vcc, 0, v5
	s_andn2_b64 s[4:5], s[4:5], exec
	s_and_b64 s[14:15], vcc, exec
	v_mov_b32_e32 v10, 0
	s_or_b64 s[4:5], s[4:5], s[14:15]
	s_or_b64 exec, exec, s[6:7]
	s_and_saveexec_b64 s[6:7], s[4:5]
	s_cbranch_execnz .LBB151_1436
	s_branch .LBB151_1437
.LBB151_1454:
	s_mov_b64 s[2:3], -1
                                        ; implicit-def: $vgpr10
	s_branch .LBB151_1459
.LBB151_1455:
	s_mov_b64 s[2:3], -1
                                        ; implicit-def: $vgpr10
.LBB151_1456:
	s_and_b64 vcc, exec, s[2:3]
	s_cbranch_vccz .LBB151_1458
; %bb.1457:
	global_load_ubyte v5, v[8:9], off
	s_mov_b32 s2, 0x7f800000
	s_waitcnt vmcnt(0)
	v_lshlrev_b32_e32 v5, 24, v5
	v_and_b32_e32 v10, 0x7f000000, v5
	v_ffbh_u32_e32 v11, v10
	v_min_u32_e32 v11, 32, v11
	v_sub_u32_e64 v11, v11, 4 clamp
	v_lshlrev_b32_e32 v13, v11, v10
	v_lshlrev_b32_e32 v11, 23, v11
	v_lshrrev_b32_e32 v13, 4, v13
	v_add_u32_e32 v12, 0x1000000, v10
	v_sub_u32_e32 v11, v13, v11
	v_ashrrev_i32_e32 v12, 8, v12
	v_add_u32_e32 v11, 0x3c000000, v11
	v_and_or_b32 v11, v12, s2, v11
	v_cmp_ne_u32_e32 vcc, 0, v10
	v_cndmask_b32_e32 v10, 0, v11, vcc
	s_brev_b32 s2, 1
	v_and_or_b32 v10, v5, s2, v10
.LBB151_1458:
	s_mov_b64 s[2:3], 0
.LBB151_1459:
	s_andn2_b64 vcc, exec, s[2:3]
	s_cbranch_vccnz .LBB151_1461
; %bb.1460:
	global_load_ubyte v5, v[8:9], off
	s_movk_i32 s2, 0x7f00
	s_brev_b32 s3, 16
	s_waitcnt vmcnt(0)
	v_lshlrev_b16_e32 v10, 8, v5
	v_lshlrev_b32_e32 v5, 25, v5
	v_lshrrev_b32_e32 v11, 4, v5
	v_and_or_b32 v12, v10, s2, 0.5
	v_or_b32_e32 v11, 0x70000000, v11
	v_add_f32_e32 v12, -0.5, v12
	v_mul_f32_e32 v11, 0x7800000, v11
	v_cmp_gt_u32_e32 vcc, s3, v5
	v_bfe_i32 v10, v10, 0, 16
	v_cndmask_b32_e32 v5, v11, v12, vcc
	s_brev_b32 s2, 1
	v_and_or_b32 v10, v10, s2, v5
.LBB151_1461:
	s_mov_b64 s[2:3], 0
	s_mov_b64 s[4:5], -1
.LBB151_1462:
	s_andn2_b64 vcc, exec, s[2:3]
	s_mov_b64 s[2:3], 0
	s_cbranch_vccnz .LBB151_1473
; %bb.1463:
	s_cmp_gt_i32 s17, 14
	s_cbranch_scc0 .LBB151_1466
; %bb.1464:
	s_cmp_eq_u32 s17, 15
	s_cbranch_scc0 .LBB151_1469
; %bb.1465:
	global_load_ushort v5, v[8:9], off
	s_mov_b64 s[0:1], 0
	s_mov_b64 s[4:5], -1
	s_waitcnt vmcnt(0)
	v_lshlrev_b32_e32 v10, 16, v5
	s_branch .LBB151_1470
.LBB151_1466:
	s_mov_b64 s[6:7], -1
                                        ; implicit-def: $vgpr10
	s_branch .LBB151_1471
.LBB151_1467:
	s_or_saveexec_b64 s[4:5], s[4:5]
	v_mov_b32_e32 v10, 0x7f800001
	s_xor_b64 exec, exec, s[4:5]
	s_cbranch_execz .LBB151_1448
.LBB151_1468:
	v_cmp_ne_u16_e32 vcc, 0, v5
	s_andn2_b64 s[2:3], s[2:3], exec
	s_and_b64 s[6:7], vcc, exec
	v_mov_b32_e32 v10, 0
	s_or_b64 s[2:3], s[2:3], s[6:7]
	s_or_b64 exec, exec, s[4:5]
	s_and_saveexec_b64 s[4:5], s[2:3]
	s_cbranch_execnz .LBB151_1449
	s_branch .LBB151_1450
.LBB151_1469:
	s_mov_b64 s[0:1], -1
                                        ; implicit-def: $vgpr10
.LBB151_1470:
	s_mov_b64 s[6:7], 0
.LBB151_1471:
	s_and_b64 vcc, exec, s[6:7]
	s_cbranch_vccz .LBB151_1473
; %bb.1472:
	s_cmp_lg_u32 s17, 11
	s_mov_b64 s[2:3], -1
	s_cselect_b64 s[0:1], -1, 0
.LBB151_1473:
	s_and_b64 vcc, exec, s[0:1]
	s_cbranch_vccnz .LBB151_1536
; %bb.1474:
	s_andn2_b64 vcc, exec, s[2:3]
	s_cbranch_vccnz .LBB151_1476
.LBB151_1475:
	global_load_ubyte v5, v[8:9], off
	s_mov_b64 s[4:5], -1
	s_waitcnt vmcnt(0)
	v_cmp_ne_u16_e32 vcc, 0, v5
	v_cndmask_b32_e64 v10, 0, 1.0, vcc
.LBB151_1476:
	s_branch .LBB151_1404
.LBB151_1477:
	s_and_b32 s2, 0xffff, s16
	s_cmp_lt_i32 s2, 5
	s_cbranch_scc1 .LBB151_1482
; %bb.1478:
	s_cmp_lt_i32 s2, 8
	s_cbranch_scc1 .LBB151_1483
; %bb.1479:
	;; [unrolled: 3-line block ×3, first 2 shown]
	s_cmp_gt_i32 s2, 9
	s_cbranch_scc0 .LBB151_1485
; %bb.1481:
	global_load_dwordx2 v[10:11], v[8:9], off
	s_mov_b64 s[0:1], 0
	s_waitcnt vmcnt(0)
	v_cvt_f32_f64_e32 v10, v[10:11]
	s_branch .LBB151_1486
.LBB151_1482:
	s_mov_b64 s[0:1], -1
                                        ; implicit-def: $vgpr10
	s_branch .LBB151_1504
.LBB151_1483:
	s_mov_b64 s[0:1], -1
                                        ; implicit-def: $vgpr10
	s_branch .LBB151_1492
.LBB151_1484:
	s_mov_b64 s[0:1], -1
                                        ; implicit-def: $vgpr10
	s_branch .LBB151_1489
.LBB151_1485:
	s_mov_b64 s[0:1], -1
                                        ; implicit-def: $vgpr10
.LBB151_1486:
	s_andn2_b64 vcc, exec, s[0:1]
	s_cbranch_vccnz .LBB151_1488
; %bb.1487:
	global_load_dword v10, v[8:9], off
.LBB151_1488:
	s_mov_b64 s[0:1], 0
.LBB151_1489:
	s_andn2_b64 vcc, exec, s[0:1]
	s_cbranch_vccnz .LBB151_1491
; %bb.1490:
	global_load_dword v5, v[8:9], off
	s_waitcnt vmcnt(0)
	v_cvt_f32_f16_e32 v10, v5
.LBB151_1491:
	s_mov_b64 s[0:1], 0
.LBB151_1492:
	s_andn2_b64 vcc, exec, s[0:1]
	s_cbranch_vccnz .LBB151_1503
; %bb.1493:
	s_cmp_lt_i32 s2, 6
	s_cbranch_scc1 .LBB151_1496
; %bb.1494:
	s_cmp_gt_i32 s2, 6
	s_cbranch_scc0 .LBB151_1497
; %bb.1495:
	global_load_dwordx2 v[10:11], v[8:9], off
	s_mov_b64 s[0:1], 0
	s_waitcnt vmcnt(0)
	v_cvt_f32_f64_e32 v10, v[10:11]
	s_branch .LBB151_1498
.LBB151_1496:
	s_mov_b64 s[0:1], -1
                                        ; implicit-def: $vgpr10
	s_branch .LBB151_1501
.LBB151_1497:
	s_mov_b64 s[0:1], -1
                                        ; implicit-def: $vgpr10
.LBB151_1498:
	s_andn2_b64 vcc, exec, s[0:1]
	s_cbranch_vccnz .LBB151_1500
; %bb.1499:
	global_load_dword v10, v[8:9], off
.LBB151_1500:
	s_mov_b64 s[0:1], 0
.LBB151_1501:
	s_andn2_b64 vcc, exec, s[0:1]
	s_cbranch_vccnz .LBB151_1503
; %bb.1502:
	global_load_ushort v5, v[8:9], off
	s_waitcnt vmcnt(0)
	v_cvt_f32_f16_e32 v10, v5
.LBB151_1503:
	s_mov_b64 s[0:1], 0
.LBB151_1504:
	s_andn2_b64 vcc, exec, s[0:1]
	s_cbranch_vccnz .LBB151_1524
; %bb.1505:
	s_cmp_lt_i32 s2, 2
	s_cbranch_scc1 .LBB151_1509
; %bb.1506:
	s_cmp_lt_i32 s2, 3
	s_cbranch_scc1 .LBB151_1510
; %bb.1507:
	s_cmp_gt_i32 s2, 3
	s_cbranch_scc0 .LBB151_1511
; %bb.1508:
	global_load_dwordx2 v[10:11], v[8:9], off
	s_mov_b64 s[0:1], 0
	s_waitcnt vmcnt(0)
	v_xor_b32_e32 v12, v10, v11
	v_ffbh_i32_e32 v5, v11
	v_ashrrev_i32_e32 v12, 31, v12
	v_add_u32_e32 v5, -1, v5
	v_add_u32_e32 v12, 32, v12
	v_min_u32_e32 v5, v5, v12
	v_lshlrev_b64 v[10:11], v5, v[10:11]
	v_sub_u32_e32 v5, 32, v5
	v_min_u32_e32 v10, 1, v10
	v_or_b32_e32 v10, v11, v10
	v_cvt_f32_i32_e32 v10, v10
	v_ldexp_f32 v10, v10, v5
	s_branch .LBB151_1512
.LBB151_1509:
	s_mov_b64 s[0:1], -1
                                        ; implicit-def: $vgpr10
	s_branch .LBB151_1518
.LBB151_1510:
	s_mov_b64 s[0:1], -1
                                        ; implicit-def: $vgpr10
	s_branch .LBB151_1515
.LBB151_1511:
	s_mov_b64 s[0:1], -1
                                        ; implicit-def: $vgpr10
.LBB151_1512:
	s_andn2_b64 vcc, exec, s[0:1]
	s_cbranch_vccnz .LBB151_1514
; %bb.1513:
	global_load_dword v5, v[8:9], off
	s_waitcnt vmcnt(0)
	v_cvt_f32_i32_e32 v10, v5
.LBB151_1514:
	s_mov_b64 s[0:1], 0
.LBB151_1515:
	s_andn2_b64 vcc, exec, s[0:1]
	s_cbranch_vccnz .LBB151_1517
; %bb.1516:
	global_load_sshort v5, v[8:9], off
	s_waitcnt vmcnt(0)
	v_cvt_f32_i32_e32 v10, v5
.LBB151_1517:
	s_mov_b64 s[0:1], 0
.LBB151_1518:
	s_andn2_b64 vcc, exec, s[0:1]
	s_cbranch_vccnz .LBB151_1524
; %bb.1519:
	s_cmp_gt_i32 s2, 0
	s_cbranch_scc0 .LBB151_1521
; %bb.1520:
	global_load_sbyte v5, v[8:9], off
	s_mov_b64 s[0:1], 0
	s_waitcnt vmcnt(0)
	v_cvt_f32_i32_e32 v10, v5
	s_branch .LBB151_1522
.LBB151_1521:
	s_mov_b64 s[0:1], -1
                                        ; implicit-def: $vgpr10
.LBB151_1522:
	s_andn2_b64 vcc, exec, s[0:1]
	s_cbranch_vccnz .LBB151_1524
; %bb.1523:
	global_load_ubyte v5, v[8:9], off
	s_waitcnt vmcnt(0)
	v_cvt_f32_ubyte0_e32 v10, v5
.LBB151_1524:
.LBB151_1525:
	v_mov_b32_e32 v5, s11
	v_add_co_u32_e32 v7, vcc, s10, v7
	s_cmp_lt_i32 s16, 11
	v_addc_co_u32_e32 v8, vcc, 0, v5, vcc
	s_cbranch_scc1 .LBB151_1532
; %bb.1526:
	s_and_b32 s14, 0xffff, s16
	s_cmp_gt_i32 s14, 25
	s_mov_b64 s[2:3], 0
	s_cbranch_scc0 .LBB151_1533
; %bb.1527:
	s_cmp_gt_i32 s14, 28
	s_cbranch_scc0 .LBB151_1534
; %bb.1528:
	s_cmp_gt_i32 s14, 43
	;; [unrolled: 3-line block ×3, first 2 shown]
	s_cbranch_scc0 .LBB151_1537
; %bb.1530:
	s_cmp_eq_u32 s14, 46
	s_mov_b64 s[6:7], 0
	s_cbranch_scc0 .LBB151_1538
; %bb.1531:
	global_load_dword v5, v[7:8], off
	s_mov_b64 s[0:1], 0
	s_mov_b64 s[4:5], -1
	s_waitcnt vmcnt(0)
	v_lshlrev_b32_e32 v9, 16, v5
	s_branch .LBB151_1539
.LBB151_1532:
	s_mov_b64 s[0:1], -1
	s_mov_b64 s[4:5], 0
                                        ; implicit-def: $vgpr9
	s_branch .LBB151_1605
.LBB151_1533:
	s_mov_b64 s[6:7], -1
	s_mov_b64 s[4:5], 0
	s_mov_b64 s[0:1], 0
                                        ; implicit-def: $vgpr9
	s_branch .LBB151_1568
.LBB151_1534:
	s_mov_b64 s[6:7], -1
	s_mov_b64 s[4:5], 0
	s_mov_b64 s[0:1], 0
                                        ; implicit-def: $vgpr9
	s_branch .LBB151_1549
.LBB151_1535:
	s_mov_b64 s[6:7], -1
	s_mov_b64 s[4:5], 0
	s_mov_b64 s[0:1], 0
                                        ; implicit-def: $vgpr9
	s_branch .LBB151_1544
.LBB151_1536:
	s_trap 2
	s_or_b64 s[12:13], s[12:13], exec
	s_cbranch_execz .LBB151_1475
	s_branch .LBB151_1476
.LBB151_1537:
	s_mov_b64 s[6:7], -1
	s_mov_b64 s[4:5], 0
	s_mov_b64 s[0:1], 0
                                        ; implicit-def: $vgpr9
	s_branch .LBB151_1539
.LBB151_1538:
	s_mov_b64 s[0:1], -1
                                        ; implicit-def: $vgpr9
	s_mov_b64 s[4:5], 0
.LBB151_1539:
	s_and_b64 vcc, exec, s[6:7]
	s_cbranch_vccz .LBB151_1543
; %bb.1540:
	s_cmp_eq_u32 s14, 44
	s_cbranch_scc0 .LBB151_1542
; %bb.1541:
	global_load_ubyte v5, v[7:8], off
	s_movk_i32 s4, 0xff
	v_mov_b32_e32 v9, 0x7f800001
	v_mov_b32_e32 v11, 0x400000
	s_mov_b64 s[0:1], 0
	s_waitcnt vmcnt(0)
	v_lshlrev_b32_e32 v12, 23, v5
	v_cmp_ne_u32_e32 vcc, s4, v5
	v_cndmask_b32_e32 v9, v9, v12, vcc
	v_cmp_ne_u32_e32 vcc, 0, v5
	v_cndmask_b32_e32 v9, v11, v9, vcc
	s_mov_b64 s[4:5], -1
	s_branch .LBB151_1543
.LBB151_1542:
	s_mov_b64 s[0:1], -1
                                        ; implicit-def: $vgpr9
.LBB151_1543:
	s_mov_b64 s[6:7], 0
.LBB151_1544:
	s_and_b64 vcc, exec, s[6:7]
	s_cbranch_vccz .LBB151_1548
; %bb.1545:
	s_cmp_eq_u32 s14, 29
	s_cbranch_scc0 .LBB151_1547
; %bb.1546:
	global_load_dwordx2 v[11:12], v[7:8], off
	s_mov_b64 s[0:1], 0
	s_mov_b64 s[4:5], -1
	s_mov_b64 s[6:7], 0
	s_waitcnt vmcnt(0)
	v_ffbh_u32_e32 v5, v12
	v_min_u32_e32 v5, 32, v5
	v_lshlrev_b64 v[11:12], v5, v[11:12]
	v_sub_u32_e32 v5, 32, v5
	v_min_u32_e32 v9, 1, v11
	v_or_b32_e32 v9, v12, v9
	v_cvt_f32_u32_e32 v9, v9
	v_ldexp_f32 v9, v9, v5
	s_branch .LBB151_1549
.LBB151_1547:
	s_mov_b64 s[0:1], -1
                                        ; implicit-def: $vgpr9
.LBB151_1548:
	s_mov_b64 s[6:7], 0
.LBB151_1549:
	s_and_b64 vcc, exec, s[6:7]
	s_cbranch_vccz .LBB151_1567
; %bb.1550:
	s_cmp_lt_i32 s14, 27
	s_cbranch_scc1 .LBB151_1553
; %bb.1551:
	s_cmp_gt_i32 s14, 27
	s_cbranch_scc0 .LBB151_1554
; %bb.1552:
	global_load_dword v5, v[7:8], off
	s_mov_b64 s[4:5], 0
	s_waitcnt vmcnt(0)
	v_cvt_f32_u32_e32 v9, v5
	s_branch .LBB151_1555
.LBB151_1553:
	s_mov_b64 s[4:5], -1
                                        ; implicit-def: $vgpr9
	s_branch .LBB151_1558
.LBB151_1554:
	s_mov_b64 s[4:5], -1
                                        ; implicit-def: $vgpr9
.LBB151_1555:
	s_andn2_b64 vcc, exec, s[4:5]
	s_cbranch_vccnz .LBB151_1557
; %bb.1556:
	global_load_ushort v5, v[7:8], off
	s_waitcnt vmcnt(0)
	v_cvt_f32_u32_e32 v9, v5
.LBB151_1557:
	s_mov_b64 s[4:5], 0
.LBB151_1558:
	s_andn2_b64 vcc, exec, s[4:5]
	s_cbranch_vccnz .LBB151_1566
; %bb.1559:
	global_load_ubyte v5, v[7:8], off
	s_movk_i32 s4, 0x7f
	s_waitcnt vmcnt(0)
	v_cmp_lt_i16_e32 vcc, s4, v5
	s_mov_b64 s[4:5], 0
	s_and_saveexec_b64 s[6:7], vcc
	s_xor_b64 s[6:7], exec, s[6:7]
	s_cbranch_execz .LBB151_1580
; %bb.1560:
	s_movk_i32 s4, 0x80
	v_cmp_eq_u16_e32 vcc, s4, v5
	s_mov_b64 s[4:5], -1
	s_and_saveexec_b64 s[10:11], vcc
; %bb.1561:
	s_xor_b64 s[4:5], exec, -1
; %bb.1562:
	s_or_b64 exec, exec, s[10:11]
	s_and_b64 s[4:5], s[4:5], exec
	s_or_saveexec_b64 s[6:7], s[6:7]
	v_mov_b32_e32 v9, 0x7f800001
	s_xor_b64 exec, exec, s[6:7]
	s_cbranch_execnz .LBB151_1581
.LBB151_1563:
	s_or_b64 exec, exec, s[6:7]
	s_and_saveexec_b64 s[6:7], s[4:5]
	s_cbranch_execz .LBB151_1565
.LBB151_1564:
	v_lshlrev_b32_e32 v9, 24, v5
	v_and_b32_e32 v5, 0xffff, v5
	v_and_b32_e32 v11, 7, v5
	v_ffbh_u32_e32 v13, v11
	v_min_u32_e32 v13, 32, v13
	v_subrev_u32_e32 v14, 28, v13
	v_bfe_u32 v12, v5, 3, 4
	v_lshlrev_b32_e32 v5, v14, v5
	v_sub_u32_e32 v13, 29, v13
	v_and_b32_e32 v5, 7, v5
	v_cmp_eq_u32_e32 vcc, 0, v12
	v_cndmask_b32_e32 v12, v12, v13, vcc
	v_cndmask_b32_e32 v5, v11, v5, vcc
	v_mov_b32_e32 v11, 0x3b800000
	v_lshlrev_b32_e32 v5, 20, v5
	v_and_b32_e32 v9, 0x80000000, v9
	v_lshl_add_u32 v11, v12, 23, v11
	v_or3_b32 v9, v9, v11, v5
.LBB151_1565:
	s_or_b64 exec, exec, s[6:7]
.LBB151_1566:
	s_mov_b64 s[4:5], -1
.LBB151_1567:
	s_mov_b64 s[6:7], 0
.LBB151_1568:
	s_and_b64 vcc, exec, s[6:7]
	s_cbranch_vccz .LBB151_1601
; %bb.1569:
	s_cmp_gt_i32 s14, 22
	s_cbranch_scc0 .LBB151_1579
; %bb.1570:
	s_cmp_lt_i32 s14, 24
	s_cbranch_scc1 .LBB151_1582
; %bb.1571:
	s_cmp_gt_i32 s14, 24
	s_cbranch_scc0 .LBB151_1583
; %bb.1572:
	global_load_ubyte v5, v[7:8], off
	s_movk_i32 s2, 0x7f
	s_waitcnt vmcnt(0)
	v_cmp_lt_i16_e32 vcc, s2, v5
	s_mov_b64 s[2:3], 0
	s_and_saveexec_b64 s[4:5], vcc
	s_xor_b64 s[4:5], exec, s[4:5]
	s_cbranch_execz .LBB151_1595
; %bb.1573:
	s_movk_i32 s2, 0x80
	v_cmp_eq_u16_e32 vcc, s2, v5
	s_mov_b64 s[2:3], -1
	s_and_saveexec_b64 s[6:7], vcc
; %bb.1574:
	s_xor_b64 s[2:3], exec, -1
; %bb.1575:
	s_or_b64 exec, exec, s[6:7]
	s_and_b64 s[2:3], s[2:3], exec
	s_or_saveexec_b64 s[4:5], s[4:5]
	v_mov_b32_e32 v9, 0x7f800001
	s_xor_b64 exec, exec, s[4:5]
	s_cbranch_execnz .LBB151_1596
.LBB151_1576:
	s_or_b64 exec, exec, s[4:5]
	s_and_saveexec_b64 s[4:5], s[2:3]
	s_cbranch_execz .LBB151_1578
.LBB151_1577:
	v_lshlrev_b32_e32 v9, 24, v5
	v_and_b32_e32 v5, 0xffff, v5
	v_and_b32_e32 v11, 3, v5
	v_ffbh_u32_e32 v13, v11
	v_min_u32_e32 v13, 32, v13
	v_subrev_u32_e32 v14, 29, v13
	v_bfe_u32 v12, v5, 2, 5
	v_lshlrev_b32_e32 v5, v14, v5
	v_sub_u32_e32 v13, 30, v13
	v_and_b32_e32 v5, 3, v5
	v_cmp_eq_u32_e32 vcc, 0, v12
	v_cndmask_b32_e32 v12, v12, v13, vcc
	v_cndmask_b32_e32 v5, v11, v5, vcc
	v_mov_b32_e32 v11, 0x37800000
	v_lshlrev_b32_e32 v5, 21, v5
	v_and_b32_e32 v9, 0x80000000, v9
	v_lshl_add_u32 v11, v12, 23, v11
	v_or3_b32 v9, v9, v11, v5
.LBB151_1578:
	s_or_b64 exec, exec, s[4:5]
	s_mov_b64 s[2:3], 0
	s_branch .LBB151_1584
.LBB151_1579:
	s_mov_b64 s[2:3], -1
                                        ; implicit-def: $vgpr9
	s_branch .LBB151_1590
.LBB151_1580:
	s_or_saveexec_b64 s[6:7], s[6:7]
	v_mov_b32_e32 v9, 0x7f800001
	s_xor_b64 exec, exec, s[6:7]
	s_cbranch_execz .LBB151_1563
.LBB151_1581:
	v_cmp_ne_u16_e32 vcc, 0, v5
	s_andn2_b64 s[4:5], s[4:5], exec
	s_and_b64 s[10:11], vcc, exec
	v_mov_b32_e32 v9, 0
	s_or_b64 s[4:5], s[4:5], s[10:11]
	s_or_b64 exec, exec, s[6:7]
	s_and_saveexec_b64 s[6:7], s[4:5]
	s_cbranch_execnz .LBB151_1564
	s_branch .LBB151_1565
.LBB151_1582:
	s_mov_b64 s[2:3], -1
                                        ; implicit-def: $vgpr9
	s_branch .LBB151_1587
.LBB151_1583:
	s_mov_b64 s[2:3], -1
                                        ; implicit-def: $vgpr9
.LBB151_1584:
	s_and_b64 vcc, exec, s[2:3]
	s_cbranch_vccz .LBB151_1586
; %bb.1585:
	global_load_ubyte v5, v[7:8], off
	s_mov_b32 s2, 0x7f800000
	s_waitcnt vmcnt(0)
	v_lshlrev_b32_e32 v5, 24, v5
	v_and_b32_e32 v9, 0x7f000000, v5
	v_ffbh_u32_e32 v11, v9
	v_min_u32_e32 v11, 32, v11
	v_sub_u32_e64 v11, v11, 4 clamp
	v_lshlrev_b32_e32 v13, v11, v9
	v_lshlrev_b32_e32 v11, 23, v11
	v_lshrrev_b32_e32 v13, 4, v13
	v_add_u32_e32 v12, 0x1000000, v9
	v_sub_u32_e32 v11, v13, v11
	v_ashrrev_i32_e32 v12, 8, v12
	v_add_u32_e32 v11, 0x3c000000, v11
	v_and_or_b32 v11, v12, s2, v11
	v_cmp_ne_u32_e32 vcc, 0, v9
	v_cndmask_b32_e32 v9, 0, v11, vcc
	s_brev_b32 s2, 1
	v_and_or_b32 v9, v5, s2, v9
.LBB151_1586:
	s_mov_b64 s[2:3], 0
.LBB151_1587:
	s_andn2_b64 vcc, exec, s[2:3]
	s_cbranch_vccnz .LBB151_1589
; %bb.1588:
	global_load_ubyte v5, v[7:8], off
	s_movk_i32 s2, 0x7f00
	s_brev_b32 s3, 16
	s_waitcnt vmcnt(0)
	v_lshlrev_b16_e32 v9, 8, v5
	v_lshlrev_b32_e32 v5, 25, v5
	v_lshrrev_b32_e32 v11, 4, v5
	v_and_or_b32 v12, v9, s2, 0.5
	v_or_b32_e32 v11, 0x70000000, v11
	v_add_f32_e32 v12, -0.5, v12
	v_mul_f32_e32 v11, 0x7800000, v11
	v_cmp_gt_u32_e32 vcc, s3, v5
	v_bfe_i32 v9, v9, 0, 16
	v_cndmask_b32_e32 v5, v11, v12, vcc
	s_brev_b32 s2, 1
	v_and_or_b32 v9, v9, s2, v5
.LBB151_1589:
	s_mov_b64 s[2:3], 0
	s_mov_b64 s[4:5], -1
.LBB151_1590:
	s_andn2_b64 vcc, exec, s[2:3]
	s_mov_b64 s[2:3], 0
	s_cbranch_vccnz .LBB151_1601
; %bb.1591:
	s_cmp_gt_i32 s14, 14
	s_cbranch_scc0 .LBB151_1594
; %bb.1592:
	s_cmp_eq_u32 s14, 15
	s_cbranch_scc0 .LBB151_1597
; %bb.1593:
	global_load_ushort v5, v[7:8], off
	s_mov_b64 s[0:1], 0
	s_mov_b64 s[4:5], -1
	s_waitcnt vmcnt(0)
	v_lshlrev_b32_e32 v9, 16, v5
	s_branch .LBB151_1598
.LBB151_1594:
	s_mov_b64 s[6:7], -1
                                        ; implicit-def: $vgpr9
	s_branch .LBB151_1599
.LBB151_1595:
	s_or_saveexec_b64 s[4:5], s[4:5]
	v_mov_b32_e32 v9, 0x7f800001
	s_xor_b64 exec, exec, s[4:5]
	s_cbranch_execz .LBB151_1576
.LBB151_1596:
	v_cmp_ne_u16_e32 vcc, 0, v5
	s_andn2_b64 s[2:3], s[2:3], exec
	s_and_b64 s[6:7], vcc, exec
	v_mov_b32_e32 v9, 0
	s_or_b64 s[2:3], s[2:3], s[6:7]
	s_or_b64 exec, exec, s[4:5]
	s_and_saveexec_b64 s[4:5], s[2:3]
	s_cbranch_execnz .LBB151_1577
	s_branch .LBB151_1578
.LBB151_1597:
	s_mov_b64 s[0:1], -1
                                        ; implicit-def: $vgpr9
.LBB151_1598:
	s_mov_b64 s[6:7], 0
.LBB151_1599:
	s_and_b64 vcc, exec, s[6:7]
	s_cbranch_vccz .LBB151_1601
; %bb.1600:
	s_cmp_lg_u32 s14, 11
	s_mov_b64 s[2:3], -1
	s_cselect_b64 s[0:1], -1, 0
.LBB151_1601:
	s_and_b64 vcc, exec, s[0:1]
	s_cbranch_vccnz .LBB151_2134
; %bb.1602:
	s_andn2_b64 vcc, exec, s[2:3]
	s_cbranch_vccnz .LBB151_1604
.LBB151_1603:
	global_load_ubyte v5, v[7:8], off
	s_mov_b64 s[4:5], -1
	s_waitcnt vmcnt(0)
	v_cmp_ne_u16_e32 vcc, 0, v5
	v_cndmask_b32_e64 v9, 0, 1.0, vcc
.LBB151_1604:
	s_mov_b64 s[0:1], 0
.LBB151_1605:
	s_and_b64 vcc, exec, s[0:1]
	s_cbranch_vccz .LBB151_1654
; %bb.1606:
	s_and_b32 s2, 0xffff, s16
	s_cmp_lt_i32 s2, 5
	s_cbranch_scc1 .LBB151_1611
; %bb.1607:
	s_cmp_lt_i32 s2, 8
	s_cbranch_scc1 .LBB151_1612
; %bb.1608:
	;; [unrolled: 3-line block ×3, first 2 shown]
	s_cmp_gt_i32 s2, 9
	s_cbranch_scc0 .LBB151_1614
; %bb.1610:
	global_load_dwordx2 v[11:12], v[7:8], off
	s_mov_b64 s[0:1], 0
	s_waitcnt vmcnt(0)
	v_cvt_f32_f64_e32 v9, v[11:12]
	s_branch .LBB151_1615
.LBB151_1611:
	s_mov_b64 s[0:1], -1
                                        ; implicit-def: $vgpr9
	s_branch .LBB151_1633
.LBB151_1612:
	s_mov_b64 s[0:1], -1
                                        ; implicit-def: $vgpr9
	s_branch .LBB151_1621
.LBB151_1613:
	s_mov_b64 s[0:1], -1
                                        ; implicit-def: $vgpr9
	s_branch .LBB151_1618
.LBB151_1614:
	s_mov_b64 s[0:1], -1
                                        ; implicit-def: $vgpr9
.LBB151_1615:
	s_andn2_b64 vcc, exec, s[0:1]
	s_cbranch_vccnz .LBB151_1617
; %bb.1616:
	global_load_dword v9, v[7:8], off
.LBB151_1617:
	s_mov_b64 s[0:1], 0
.LBB151_1618:
	s_andn2_b64 vcc, exec, s[0:1]
	s_cbranch_vccnz .LBB151_1620
; %bb.1619:
	global_load_dword v5, v[7:8], off
	s_waitcnt vmcnt(0)
	v_cvt_f32_f16_e32 v9, v5
.LBB151_1620:
	s_mov_b64 s[0:1], 0
.LBB151_1621:
	s_andn2_b64 vcc, exec, s[0:1]
	s_cbranch_vccnz .LBB151_1632
; %bb.1622:
	s_cmp_lt_i32 s2, 6
	s_cbranch_scc1 .LBB151_1625
; %bb.1623:
	s_cmp_gt_i32 s2, 6
	s_cbranch_scc0 .LBB151_1626
; %bb.1624:
	global_load_dwordx2 v[11:12], v[7:8], off
	s_mov_b64 s[0:1], 0
	s_waitcnt vmcnt(0)
	v_cvt_f32_f64_e32 v9, v[11:12]
	s_branch .LBB151_1627
.LBB151_1625:
	s_mov_b64 s[0:1], -1
                                        ; implicit-def: $vgpr9
	s_branch .LBB151_1630
.LBB151_1626:
	s_mov_b64 s[0:1], -1
                                        ; implicit-def: $vgpr9
.LBB151_1627:
	s_andn2_b64 vcc, exec, s[0:1]
	s_cbranch_vccnz .LBB151_1629
; %bb.1628:
	global_load_dword v9, v[7:8], off
.LBB151_1629:
	s_mov_b64 s[0:1], 0
.LBB151_1630:
	s_andn2_b64 vcc, exec, s[0:1]
	s_cbranch_vccnz .LBB151_1632
; %bb.1631:
	global_load_ushort v5, v[7:8], off
	s_waitcnt vmcnt(0)
	v_cvt_f32_f16_e32 v9, v5
.LBB151_1632:
	s_mov_b64 s[0:1], 0
.LBB151_1633:
	s_andn2_b64 vcc, exec, s[0:1]
	s_cbranch_vccnz .LBB151_1653
; %bb.1634:
	s_cmp_lt_i32 s2, 2
	s_cbranch_scc1 .LBB151_1638
; %bb.1635:
	s_cmp_lt_i32 s2, 3
	s_cbranch_scc1 .LBB151_1639
; %bb.1636:
	s_cmp_gt_i32 s2, 3
	s_cbranch_scc0 .LBB151_1640
; %bb.1637:
	global_load_dwordx2 v[11:12], v[7:8], off
	s_mov_b64 s[0:1], 0
	s_waitcnt vmcnt(0)
	v_xor_b32_e32 v9, v11, v12
	v_ffbh_i32_e32 v5, v12
	v_ashrrev_i32_e32 v9, 31, v9
	v_add_u32_e32 v5, -1, v5
	v_add_u32_e32 v9, 32, v9
	v_min_u32_e32 v5, v5, v9
	v_lshlrev_b64 v[11:12], v5, v[11:12]
	v_sub_u32_e32 v5, 32, v5
	v_min_u32_e32 v9, 1, v11
	v_or_b32_e32 v9, v12, v9
	v_cvt_f32_i32_e32 v9, v9
	v_ldexp_f32 v9, v9, v5
	s_branch .LBB151_1641
.LBB151_1638:
	s_mov_b64 s[0:1], -1
                                        ; implicit-def: $vgpr9
	s_branch .LBB151_1647
.LBB151_1639:
	s_mov_b64 s[0:1], -1
                                        ; implicit-def: $vgpr9
	s_branch .LBB151_1644
.LBB151_1640:
	s_mov_b64 s[0:1], -1
                                        ; implicit-def: $vgpr9
.LBB151_1641:
	s_andn2_b64 vcc, exec, s[0:1]
	s_cbranch_vccnz .LBB151_1643
; %bb.1642:
	global_load_dword v5, v[7:8], off
	s_waitcnt vmcnt(0)
	v_cvt_f32_i32_e32 v9, v5
.LBB151_1643:
	s_mov_b64 s[0:1], 0
.LBB151_1644:
	s_andn2_b64 vcc, exec, s[0:1]
	s_cbranch_vccnz .LBB151_1646
; %bb.1645:
	global_load_sshort v5, v[7:8], off
	s_waitcnt vmcnt(0)
	v_cvt_f32_i32_e32 v9, v5
.LBB151_1646:
	s_mov_b64 s[0:1], 0
.LBB151_1647:
	s_andn2_b64 vcc, exec, s[0:1]
	s_cbranch_vccnz .LBB151_1653
; %bb.1648:
	s_cmp_gt_i32 s2, 0
	s_cbranch_scc0 .LBB151_1650
; %bb.1649:
	global_load_sbyte v5, v[7:8], off
	s_mov_b64 s[0:1], 0
	s_waitcnt vmcnt(0)
	v_cvt_f32_i32_e32 v9, v5
	s_branch .LBB151_1651
.LBB151_1650:
	s_mov_b64 s[0:1], -1
                                        ; implicit-def: $vgpr9
.LBB151_1651:
	s_andn2_b64 vcc, exec, s[0:1]
	s_cbranch_vccnz .LBB151_1653
; %bb.1652:
	global_load_ubyte v5, v[7:8], off
	s_waitcnt vmcnt(0)
	v_cvt_f32_ubyte0_e32 v9, v5
.LBB151_1653:
	s_mov_b64 s[4:5], -1
.LBB151_1654:
	s_andn2_b64 vcc, exec, s[4:5]
	s_cbranch_vccnz .LBB151_2088
; %bb.1655:
	s_load_dwordx4 s[4:7], s[34:35], 0x158
	s_load_dword s0, s[34:35], 0x164
	s_waitcnt lgkmcnt(0)
	v_mov_b32_e32 v5, s4
	s_and_b32 s18, s0, 0xff
	v_mov_b32_e32 v7, s5
	v_cmp_nle_f32_e64 s[0:1], s6, v5
	v_cndmask_b32_e64 v7, v7, v1, s[0:1]
	v_mov_b32_e32 v1, s9
	v_add_co_u32_e32 v5, vcc, s8, v6
	s_cmp_lt_i32 s18, 11
	v_addc_co_u32_e32 v6, vcc, 0, v1, vcc
	s_cbranch_scc1 .LBB151_1733
; %bb.1656:
	s_and_b32 s4, 0xffff, s18
	s_mov_b64 s[14:15], -1
	s_mov_b64 s[6:7], 0
	s_cmp_gt_i32 s4, 25
	s_mov_b64 s[10:11], 0
	s_mov_b64 s[2:3], 0
	s_cbranch_scc0 .LBB151_1689
; %bb.1657:
	s_cmp_gt_i32 s4, 28
	s_cbranch_scc0 .LBB151_1672
; %bb.1658:
	s_cmp_gt_i32 s4, 43
	;; [unrolled: 3-line block ×3, first 2 shown]
	s_cbranch_scc0 .LBB151_1662
; %bb.1660:
	s_mov_b64 s[2:3], -1
	s_mov_b64 s[14:15], 0
	s_cmp_eq_u32 s4, 46
	s_cbranch_scc0 .LBB151_1662
; %bb.1661:
	v_bfe_u32 v1, v7, 16, 1
	s_movk_i32 s2, 0x7fff
	v_add3_u32 v1, v7, v1, s2
	v_cmp_o_f32_e32 vcc, v7, v7
	v_mov_b32_e32 v8, 0x7fc0
	v_cndmask_b32_sdwa v1, v8, v1, vcc dst_sel:DWORD dst_unused:UNUSED_PAD src0_sel:DWORD src1_sel:WORD_1
	global_store_dword v[5:6], v1, off
	s_mov_b64 s[2:3], 0
	s_mov_b64 s[10:11], -1
.LBB151_1662:
	s_and_b64 vcc, exec, s[14:15]
	s_cbranch_vccz .LBB151_1667
; %bb.1663:
	s_cmp_eq_u32 s4, 44
	s_mov_b64 s[2:3], -1
	s_cbranch_scc0 .LBB151_1667
; %bb.1664:
	v_bfe_u32 v1, v7, 23, 8
	s_movk_i32 s2, 0xff
	v_cmp_ne_u32_e32 vcc, s2, v1
	v_mov_b32_e32 v8, 0xff
	s_and_saveexec_b64 s[10:11], vcc
; %bb.1665:
	s_mov_b32 s2, 0x3fffff
	v_and_b32_e32 v11, 0x400000, v7
	v_and_or_b32 v1, v7, s2, v1
	v_cmp_ne_u32_e32 vcc, 0, v11
	v_cmp_ne_u32_e64 s[2:3], 0, v1
	s_and_b64 s[2:3], vcc, s[2:3]
	v_lshrrev_b32_e32 v8, 23, v7
	v_cndmask_b32_e64 v1, 0, 1, s[2:3]
	v_add_u32_e32 v8, v8, v1
; %bb.1666:
	s_or_b64 exec, exec, s[10:11]
	s_mov_b64 s[2:3], 0
	s_mov_b64 s[10:11], -1
	global_store_byte v[5:6], v8, off
.LBB151_1667:
	s_mov_b64 s[14:15], 0
.LBB151_1668:
	s_and_b64 vcc, exec, s[14:15]
	s_cbranch_vccz .LBB151_1671
; %bb.1669:
	s_cmp_eq_u32 s4, 29
	s_mov_b64 s[2:3], -1
	s_cbranch_scc0 .LBB151_1671
; %bb.1670:
	v_trunc_f32_e32 v1, v7
	v_mul_f32_e32 v8, 0x2f800000, v1
	v_floor_f32_e32 v8, v8
	v_fmac_f32_e32 v1, 0xcf800000, v8
	v_cvt_u32_f32_e32 v12, v8
	v_cvt_u32_f32_e32 v11, v1
	s_mov_b64 s[2:3], 0
	s_mov_b64 s[10:11], -1
	global_store_dwordx2 v[5:6], v[11:12], off
.LBB151_1671:
	s_mov_b64 s[14:15], 0
.LBB151_1672:
	s_and_b64 vcc, exec, s[14:15]
	s_cbranch_vccz .LBB151_1688
; %bb.1673:
	s_cmp_lt_i32 s4, 27
	s_mov_b64 s[10:11], -1
	s_cbranch_scc1 .LBB151_1679
; %bb.1674:
	v_cvt_u32_f32_e32 v1, v7
	s_cmp_gt_i32 s4, 27
	s_cbranch_scc0 .LBB151_1676
; %bb.1675:
	s_mov_b64 s[10:11], 0
	global_store_dword v[5:6], v1, off
.LBB151_1676:
	s_andn2_b64 vcc, exec, s[10:11]
	s_cbranch_vccnz .LBB151_1678
; %bb.1677:
	global_store_short v[5:6], v1, off
.LBB151_1678:
	s_mov_b64 s[10:11], 0
.LBB151_1679:
	s_andn2_b64 vcc, exec, s[10:11]
	s_cbranch_vccnz .LBB151_1687
; %bb.1680:
	v_and_b32_e32 v1, 0x7fffffff, v7
	s_mov_b32 s10, 0x43800000
	v_cmp_gt_u32_e32 vcc, s10, v1
	v_mov_b32_e32 v8, 0x80
	s_and_saveexec_b64 s[10:11], vcc
	s_cbranch_execz .LBB151_1686
; %bb.1681:
	s_mov_b32 s14, 0x3bffffff
	v_cmp_lt_u32_e32 vcc, s14, v1
	s_mov_b64 s[14:15], 0
                                        ; implicit-def: $vgpr1
	s_and_saveexec_b64 s[16:17], vcc
	s_xor_b64 s[16:17], exec, s[16:17]
	s_cbranch_execz .LBB151_2135
; %bb.1682:
	v_bfe_u32 v1, v7, 20, 1
	s_mov_b32 s19, 0x487ffff
	v_add3_u32 v1, v7, v1, s19
	s_mov_b64 s[14:15], exec
	v_lshrrev_b32_e32 v1, 20, v1
	s_andn2_saveexec_b64 s[16:17], s[16:17]
	s_cbranch_execnz .LBB151_2136
.LBB151_1683:
	s_or_b64 exec, exec, s[16:17]
	v_mov_b32_e32 v8, 0
	s_and_saveexec_b64 s[16:17], s[14:15]
.LBB151_1684:
	v_lshrrev_b32_e32 v8, 24, v7
	s_movk_i32 s14, 0x80
	v_and_or_b32 v8, v8, s14, v1
.LBB151_1685:
	s_or_b64 exec, exec, s[16:17]
.LBB151_1686:
	s_or_b64 exec, exec, s[10:11]
	global_store_byte v[5:6], v8, off
.LBB151_1687:
	s_mov_b64 s[10:11], -1
.LBB151_1688:
	s_mov_b64 s[14:15], 0
.LBB151_1689:
	s_and_b64 vcc, exec, s[14:15]
	s_cbranch_vccz .LBB151_1729
; %bb.1690:
	s_cmp_gt_i32 s4, 22
	s_mov_b64 s[6:7], -1
	s_cbranch_scc0 .LBB151_1722
; %bb.1691:
	s_cmp_lt_i32 s4, 24
	s_cbranch_scc1 .LBB151_1711
; %bb.1692:
	s_cmp_gt_i32 s4, 24
	s_cbranch_scc0 .LBB151_1700
; %bb.1693:
	v_and_b32_e32 v1, 0x7fffffff, v7
	s_mov_b32 s6, 0x47800000
	v_cmp_gt_u32_e32 vcc, s6, v1
	v_mov_b32_e32 v8, 0x80
	s_and_saveexec_b64 s[6:7], vcc
	s_cbranch_execz .LBB151_1699
; %bb.1694:
	s_mov_b32 s10, 0x37ffffff
	v_cmp_lt_u32_e32 vcc, s10, v1
	s_mov_b64 s[10:11], 0
                                        ; implicit-def: $vgpr1
	s_and_saveexec_b64 s[14:15], vcc
	s_xor_b64 s[14:15], exec, s[14:15]
	s_cbranch_execz .LBB151_2138
; %bb.1695:
	v_bfe_u32 v1, v7, 21, 1
	s_mov_b32 s16, 0x88fffff
	v_add3_u32 v1, v7, v1, s16
	s_mov_b64 s[10:11], exec
	v_lshrrev_b32_e32 v1, 21, v1
	s_andn2_saveexec_b64 s[14:15], s[14:15]
	s_cbranch_execnz .LBB151_2139
.LBB151_1696:
	s_or_b64 exec, exec, s[14:15]
	v_mov_b32_e32 v8, 0
	s_and_saveexec_b64 s[14:15], s[10:11]
.LBB151_1697:
	v_lshrrev_b32_e32 v8, 24, v7
	s_movk_i32 s10, 0x80
	v_and_or_b32 v8, v8, s10, v1
.LBB151_1698:
	s_or_b64 exec, exec, s[14:15]
.LBB151_1699:
	s_or_b64 exec, exec, s[6:7]
	s_mov_b64 s[6:7], 0
	global_store_byte v[5:6], v8, off
.LBB151_1700:
	s_and_b64 vcc, exec, s[6:7]
	s_cbranch_vccz .LBB151_1710
; %bb.1701:
	v_and_b32_e32 v8, 0x7fffffff, v7
	s_mov_b32 s6, 0x43f00000
	v_cmp_gt_u32_e32 vcc, s6, v8
                                        ; implicit-def: $vgpr1
	s_and_saveexec_b64 s[6:7], vcc
	s_xor_b64 s[6:7], exec, s[6:7]
	s_cbranch_execz .LBB151_1707
; %bb.1702:
	s_mov_b32 s10, 0x3c7fffff
	v_cmp_lt_u32_e32 vcc, s10, v8
                                        ; implicit-def: $vgpr1
	s_and_saveexec_b64 s[10:11], vcc
	s_xor_b64 s[10:11], exec, s[10:11]
; %bb.1703:
	v_bfe_u32 v1, v7, 20, 1
	s_mov_b32 s14, 0x407ffff
	v_add3_u32 v1, v7, v1, s14
	v_lshrrev_b32_e32 v8, 20, v1
	v_and_b32_e32 v1, 0xff00000, v1
	s_mov_b32 s14, 0x7f00000
	v_mov_b32_e32 v11, 0x7e
	v_cmp_ne_u32_e32 vcc, s14, v1
	v_cndmask_b32_e32 v1, v11, v8, vcc
; %bb.1704:
	s_andn2_saveexec_b64 s[10:11], s[10:11]
; %bb.1705:
	s_mov_b32 s14, 0x46800000
	v_add_f32_e64 v1, |v7|, s14
; %bb.1706:
	s_or_b64 exec, exec, s[10:11]
                                        ; implicit-def: $vgpr8
.LBB151_1707:
	s_andn2_saveexec_b64 s[6:7], s[6:7]
; %bb.1708:
	s_mov_b32 s10, 0x7f800000
	v_mov_b32_e32 v1, 0x7e
	v_mov_b32_e32 v11, 0x7f
	v_cmp_lt_u32_e32 vcc, s10, v8
	v_cndmask_b32_e32 v1, v1, v11, vcc
; %bb.1709:
	s_or_b64 exec, exec, s[6:7]
	v_lshrrev_b32_e32 v8, 24, v7
	s_movk_i32 s6, 0x80
	v_and_or_b32 v1, v8, s6, v1
	global_store_byte v[5:6], v1, off
.LBB151_1710:
	s_mov_b64 s[6:7], 0
.LBB151_1711:
	s_andn2_b64 vcc, exec, s[6:7]
	s_cbranch_vccnz .LBB151_1721
; %bb.1712:
	v_and_b32_e32 v8, 0x7fffffff, v7
	s_mov_b32 s6, 0x47800000
	v_cmp_gt_u32_e32 vcc, s6, v8
                                        ; implicit-def: $vgpr1
	s_and_saveexec_b64 s[6:7], vcc
	s_xor_b64 s[6:7], exec, s[6:7]
	s_cbranch_execz .LBB151_1718
; %bb.1713:
	s_mov_b32 s10, 0x387fffff
	v_cmp_lt_u32_e32 vcc, s10, v8
                                        ; implicit-def: $vgpr1
	s_and_saveexec_b64 s[10:11], vcc
	s_xor_b64 s[10:11], exec, s[10:11]
; %bb.1714:
	v_bfe_u32 v1, v7, 21, 1
	s_mov_b32 s14, 0x80fffff
	v_add3_u32 v1, v7, v1, s14
	v_lshrrev_b32_e32 v1, 21, v1
; %bb.1715:
	s_andn2_saveexec_b64 s[10:11], s[10:11]
; %bb.1716:
	s_mov_b32 s14, 0x43000000
	v_add_f32_e64 v1, |v7|, s14
; %bb.1717:
	s_or_b64 exec, exec, s[10:11]
                                        ; implicit-def: $vgpr8
.LBB151_1718:
	s_andn2_saveexec_b64 s[6:7], s[6:7]
; %bb.1719:
	s_mov_b32 s10, 0x7f800000
	v_mov_b32_e32 v1, 0x7c
	v_mov_b32_e32 v11, 0x7f
	v_cmp_lt_u32_e32 vcc, s10, v8
	v_cndmask_b32_e32 v1, v1, v11, vcc
; %bb.1720:
	s_or_b64 exec, exec, s[6:7]
	v_lshrrev_b32_e32 v8, 24, v7
	s_movk_i32 s6, 0x80
	v_and_or_b32 v1, v8, s6, v1
	global_store_byte v[5:6], v1, off
.LBB151_1721:
	s_mov_b64 s[6:7], 0
	s_mov_b64 s[10:11], -1
.LBB151_1722:
	s_andn2_b64 vcc, exec, s[6:7]
	s_mov_b64 s[6:7], 0
	s_cbranch_vccnz .LBB151_1729
; %bb.1723:
	s_cmp_gt_i32 s4, 14
	s_mov_b64 s[14:15], -1
	s_cbranch_scc0 .LBB151_1727
; %bb.1724:
	s_cmp_eq_u32 s4, 15
	s_mov_b64 s[2:3], -1
	s_cbranch_scc0 .LBB151_1726
; %bb.1725:
	v_bfe_u32 v1, v7, 16, 1
	s_movk_i32 s2, 0x7fff
	v_add3_u32 v1, v7, v1, s2
	v_cmp_o_f32_e32 vcc, v7, v7
	v_mov_b32_e32 v8, 0x7fc0
	v_cndmask_b32_sdwa v1, v8, v1, vcc dst_sel:DWORD dst_unused:UNUSED_PAD src0_sel:DWORD src1_sel:WORD_1
	global_store_short v[5:6], v1, off
	s_mov_b64 s[2:3], 0
	s_mov_b64 s[10:11], -1
.LBB151_1726:
	s_mov_b64 s[14:15], 0
.LBB151_1727:
	s_and_b64 vcc, exec, s[14:15]
	s_cbranch_vccz .LBB151_1729
; %bb.1728:
	s_cmp_lg_u32 s4, 11
	s_mov_b64 s[6:7], -1
	s_cselect_b64 s[2:3], -1, 0
.LBB151_1729:
	s_and_b64 vcc, exec, s[2:3]
	s_cbranch_vccnz .LBB151_2137
; %bb.1730:
	s_andn2_b64 vcc, exec, s[6:7]
	s_cbranch_vccnz .LBB151_1732
.LBB151_1731:
	v_cmp_neq_f32_e32 vcc, 0, v7
	v_cndmask_b32_e64 v1, 0, 1, vcc
	s_mov_b64 s[10:11], -1
	global_store_byte v[5:6], v1, off
.LBB151_1732:
	s_mov_b64 s[2:3], 0
	s_branch .LBB151_1734
.LBB151_1733:
	s_mov_b64 s[2:3], -1
	s_mov_b64 s[10:11], 0
.LBB151_1734:
	s_and_b64 vcc, exec, s[2:3]
	s_cbranch_vccz .LBB151_1773
; %bb.1735:
	s_and_b32 s4, 0xffff, s18
	s_cmp_lt_i32 s4, 5
	s_mov_b64 s[2:3], -1
	s_cbranch_scc1 .LBB151_1756
; %bb.1736:
	s_cmp_lt_i32 s4, 8
	s_cbranch_scc1 .LBB151_1746
; %bb.1737:
	s_cmp_lt_i32 s4, 9
	s_cbranch_scc1 .LBB151_1743
; %bb.1738:
	s_cmp_gt_i32 s4, 9
	s_cbranch_scc0 .LBB151_1740
; %bb.1739:
	v_cvt_f64_f32_e32 v[11:12], v7
	v_mov_b32_e32 v13, 0
	v_mov_b32_e32 v14, v13
	s_mov_b64 s[2:3], 0
	global_store_dwordx4 v[5:6], v[11:14], off
.LBB151_1740:
	s_andn2_b64 vcc, exec, s[2:3]
	s_cbranch_vccnz .LBB151_1742
; %bb.1741:
	v_mov_b32_e32 v8, 0
	global_store_dwordx2 v[5:6], v[7:8], off
.LBB151_1742:
	s_mov_b64 s[2:3], 0
.LBB151_1743:
	s_andn2_b64 vcc, exec, s[2:3]
	s_cbranch_vccnz .LBB151_1745
; %bb.1744:
	v_cvt_f16_f32_e32 v1, v7
	global_store_dword v[5:6], v1, off
.LBB151_1745:
	s_mov_b64 s[2:3], 0
.LBB151_1746:
	s_andn2_b64 vcc, exec, s[2:3]
	s_cbranch_vccnz .LBB151_1755
; %bb.1747:
	s_cmp_lt_i32 s4, 6
	s_mov_b64 s[2:3], -1
	s_cbranch_scc1 .LBB151_1753
; %bb.1748:
	s_cmp_gt_i32 s4, 6
	s_cbranch_scc0 .LBB151_1750
; %bb.1749:
	v_cvt_f64_f32_e32 v[11:12], v7
	s_mov_b64 s[2:3], 0
	global_store_dwordx2 v[5:6], v[11:12], off
.LBB151_1750:
	s_andn2_b64 vcc, exec, s[2:3]
	s_cbranch_vccnz .LBB151_1752
; %bb.1751:
	global_store_dword v[5:6], v7, off
.LBB151_1752:
	s_mov_b64 s[2:3], 0
.LBB151_1753:
	s_andn2_b64 vcc, exec, s[2:3]
	s_cbranch_vccnz .LBB151_1755
; %bb.1754:
	v_cvt_f16_f32_e32 v1, v7
	global_store_short v[5:6], v1, off
.LBB151_1755:
	s_mov_b64 s[2:3], 0
.LBB151_1756:
	s_andn2_b64 vcc, exec, s[2:3]
	s_cbranch_vccnz .LBB151_1772
; %bb.1757:
	s_cmp_lt_i32 s4, 2
	s_mov_b64 s[2:3], -1
	s_cbranch_scc1 .LBB151_1767
; %bb.1758:
	s_cmp_lt_i32 s4, 3
	s_cbranch_scc1 .LBB151_1764
; %bb.1759:
	s_cmp_gt_i32 s4, 3
	s_cbranch_scc0 .LBB151_1761
; %bb.1760:
	v_trunc_f32_e32 v1, v7
	s_mov_b32 s2, 0x2f800000
	v_mul_f32_e64 v8, |v1|, s2
	v_floor_f32_e32 v8, v8
	s_mov_b32 s2, 0xcf800000
	v_cvt_u32_f32_e32 v11, v8
	v_fma_f32 v8, v8, s2, |v1|
	v_cvt_u32_f32_e32 v8, v8
	v_ashrrev_i32_e32 v1, 31, v1
	v_xor_b32_e32 v12, v11, v1
	s_mov_b64 s[2:3], 0
	v_xor_b32_e32 v8, v8, v1
	v_sub_co_u32_e32 v11, vcc, v8, v1
	v_subb_co_u32_e32 v12, vcc, v12, v1, vcc
	global_store_dwordx2 v[5:6], v[11:12], off
.LBB151_1761:
	s_andn2_b64 vcc, exec, s[2:3]
	s_cbranch_vccnz .LBB151_1763
; %bb.1762:
	v_cvt_i32_f32_e32 v1, v7
	global_store_dword v[5:6], v1, off
.LBB151_1763:
	s_mov_b64 s[2:3], 0
.LBB151_1764:
	s_andn2_b64 vcc, exec, s[2:3]
	s_cbranch_vccnz .LBB151_1766
; %bb.1765:
	v_cvt_i32_f32_e32 v1, v7
	global_store_short v[5:6], v1, off
.LBB151_1766:
	s_mov_b64 s[2:3], 0
.LBB151_1767:
	s_andn2_b64 vcc, exec, s[2:3]
	s_cbranch_vccnz .LBB151_1772
; %bb.1768:
	s_cmp_gt_i32 s4, 0
	s_mov_b64 s[2:3], -1
	s_cbranch_scc0 .LBB151_1770
; %bb.1769:
	v_cvt_i32_f32_e32 v1, v7
	s_mov_b64 s[2:3], 0
	global_store_byte v[5:6], v1, off
.LBB151_1770:
	s_andn2_b64 vcc, exec, s[2:3]
	s_cbranch_vccnz .LBB151_1772
; %bb.1771:
	v_trunc_f32_e32 v1, v7
	s_mov_b32 s2, 0x2f800000
	v_mul_f32_e64 v7, |v1|, s2
	v_floor_f32_e32 v7, v7
	s_mov_b32 s2, 0xcf800000
	v_fma_f32 v7, v7, s2, |v1|
	v_cvt_u32_f32_e32 v7, v7
	v_ashrrev_i32_e32 v1, 31, v1
	v_xor_b32_e32 v7, v7, v1
	v_sub_u32_e32 v1, v7, v1
	global_store_byte v[5:6], v1, off
.LBB151_1772:
	s_mov_b64 s[10:11], -1
.LBB151_1773:
	s_andn2_b64 vcc, exec, s[10:11]
	s_cbranch_vccnz .LBB151_2088
; %bb.1774:
	v_mov_b32_e32 v1, s5
	s_waitcnt vmcnt(0)
	v_cndmask_b32_e64 v5, v1, v3, s[0:1]
	v_mov_b32_e32 v1, s9
	s_and_b32 s19, 0xffff, s18
	v_add_co_u32_e32 v3, vcc, s8, v4
	s_cmp_lt_i32 s19, 11
	v_addc_co_u32_e32 v4, vcc, 0, v1, vcc
	s_cbranch_scc1 .LBB151_1852
; %bb.1775:
	s_mov_b64 s[14:15], -1
	s_mov_b64 s[6:7], 0
	s_cmp_gt_i32 s19, 25
	s_mov_b64 s[10:11], 0
	s_mov_b64 s[2:3], 0
	s_cbranch_scc0 .LBB151_1808
; %bb.1776:
	s_cmp_gt_i32 s19, 28
	s_cbranch_scc0 .LBB151_1791
; %bb.1777:
	s_cmp_gt_i32 s19, 43
	;; [unrolled: 3-line block ×3, first 2 shown]
	s_cbranch_scc0 .LBB151_1781
; %bb.1779:
	s_mov_b64 s[2:3], -1
	s_mov_b64 s[14:15], 0
	s_cmp_eq_u32 s19, 46
	s_cbranch_scc0 .LBB151_1781
; %bb.1780:
	v_bfe_u32 v1, v5, 16, 1
	s_movk_i32 s2, 0x7fff
	v_add3_u32 v1, v5, v1, s2
	v_cmp_o_f32_e32 vcc, v5, v5
	v_mov_b32_e32 v6, 0x7fc0
	v_cndmask_b32_sdwa v1, v6, v1, vcc dst_sel:DWORD dst_unused:UNUSED_PAD src0_sel:DWORD src1_sel:WORD_1
	global_store_dword v[3:4], v1, off
	s_mov_b64 s[2:3], 0
	s_mov_b64 s[10:11], -1
.LBB151_1781:
	s_and_b64 vcc, exec, s[14:15]
	s_cbranch_vccz .LBB151_1786
; %bb.1782:
	s_cmp_eq_u32 s19, 44
	s_mov_b64 s[2:3], -1
	s_cbranch_scc0 .LBB151_1786
; %bb.1783:
	v_bfe_u32 v1, v5, 23, 8
	s_movk_i32 s2, 0xff
	v_cmp_ne_u32_e32 vcc, s2, v1
	v_mov_b32_e32 v6, 0xff
	s_and_saveexec_b64 s[10:11], vcc
; %bb.1784:
	s_mov_b32 s2, 0x3fffff
	v_and_b32_e32 v7, 0x400000, v5
	v_and_or_b32 v1, v5, s2, v1
	v_cmp_ne_u32_e32 vcc, 0, v7
	v_cmp_ne_u32_e64 s[2:3], 0, v1
	s_and_b64 s[2:3], vcc, s[2:3]
	v_lshrrev_b32_e32 v6, 23, v5
	v_cndmask_b32_e64 v1, 0, 1, s[2:3]
	v_add_u32_e32 v6, v6, v1
; %bb.1785:
	s_or_b64 exec, exec, s[10:11]
	s_mov_b64 s[2:3], 0
	s_mov_b64 s[10:11], -1
	global_store_byte v[3:4], v6, off
.LBB151_1786:
	s_mov_b64 s[14:15], 0
.LBB151_1787:
	s_and_b64 vcc, exec, s[14:15]
	s_cbranch_vccz .LBB151_1790
; %bb.1788:
	s_cmp_eq_u32 s19, 29
	s_mov_b64 s[2:3], -1
	s_cbranch_scc0 .LBB151_1790
; %bb.1789:
	v_trunc_f32_e32 v1, v5
	v_mul_f32_e32 v6, 0x2f800000, v1
	v_floor_f32_e32 v6, v6
	v_fmac_f32_e32 v1, 0xcf800000, v6
	v_cvt_u32_f32_e32 v7, v6
	v_cvt_u32_f32_e32 v6, v1
	s_mov_b64 s[2:3], 0
	s_mov_b64 s[10:11], -1
	global_store_dwordx2 v[3:4], v[6:7], off
.LBB151_1790:
	s_mov_b64 s[14:15], 0
.LBB151_1791:
	s_and_b64 vcc, exec, s[14:15]
	s_cbranch_vccz .LBB151_1807
; %bb.1792:
	s_cmp_lt_i32 s19, 27
	s_mov_b64 s[10:11], -1
	s_cbranch_scc1 .LBB151_1798
; %bb.1793:
	s_cmp_gt_i32 s19, 27
	s_cbranch_scc0 .LBB151_1795
; %bb.1794:
	v_cvt_u32_f32_e32 v1, v5
	s_mov_b64 s[10:11], 0
	global_store_dword v[3:4], v1, off
.LBB151_1795:
	s_andn2_b64 vcc, exec, s[10:11]
	s_cbranch_vccnz .LBB151_1797
; %bb.1796:
	v_cvt_u32_f32_e32 v1, v5
	global_store_short v[3:4], v1, off
.LBB151_1797:
	s_mov_b64 s[10:11], 0
.LBB151_1798:
	s_andn2_b64 vcc, exec, s[10:11]
	s_cbranch_vccnz .LBB151_1806
; %bb.1799:
	v_and_b32_e32 v1, 0x7fffffff, v5
	s_mov_b32 s4, 0x43800000
	v_cmp_gt_u32_e32 vcc, s4, v1
	v_mov_b32_e32 v6, 0x80
	s_and_saveexec_b64 s[10:11], vcc
	s_cbranch_execz .LBB151_1805
; %bb.1800:
	s_mov_b32 s4, 0x3bffffff
	v_cmp_lt_u32_e32 vcc, s4, v1
	s_mov_b64 s[14:15], 0
                                        ; implicit-def: $vgpr1
	s_and_saveexec_b64 s[16:17], vcc
	s_xor_b64 s[16:17], exec, s[16:17]
	s_cbranch_execz .LBB151_2140
; %bb.1801:
	v_bfe_u32 v1, v5, 20, 1
	s_mov_b32 s4, 0x487ffff
	v_add3_u32 v1, v5, v1, s4
	s_mov_b64 s[14:15], exec
	v_lshrrev_b32_e32 v1, 20, v1
	s_andn2_saveexec_b64 s[16:17], s[16:17]
	s_cbranch_execnz .LBB151_2141
.LBB151_1802:
	s_or_b64 exec, exec, s[16:17]
	v_mov_b32_e32 v6, 0
	s_and_saveexec_b64 s[16:17], s[14:15]
.LBB151_1803:
	v_lshrrev_b32_e32 v6, 24, v5
	s_movk_i32 s4, 0x80
	v_and_or_b32 v6, v6, s4, v1
.LBB151_1804:
	s_or_b64 exec, exec, s[16:17]
.LBB151_1805:
	s_or_b64 exec, exec, s[10:11]
	global_store_byte v[3:4], v6, off
.LBB151_1806:
	s_mov_b64 s[10:11], -1
.LBB151_1807:
	s_mov_b64 s[14:15], 0
.LBB151_1808:
	s_and_b64 vcc, exec, s[14:15]
	s_cbranch_vccz .LBB151_1848
; %bb.1809:
	s_cmp_gt_i32 s19, 22
	s_mov_b64 s[6:7], -1
	s_cbranch_scc0 .LBB151_1841
; %bb.1810:
	s_cmp_lt_i32 s19, 24
	s_cbranch_scc1 .LBB151_1830
; %bb.1811:
	s_cmp_gt_i32 s19, 24
	s_cbranch_scc0 .LBB151_1819
; %bb.1812:
	v_and_b32_e32 v1, 0x7fffffff, v5
	s_mov_b32 s4, 0x47800000
	v_cmp_gt_u32_e32 vcc, s4, v1
	v_mov_b32_e32 v6, 0x80
	s_and_saveexec_b64 s[6:7], vcc
	s_cbranch_execz .LBB151_1818
; %bb.1813:
	s_mov_b32 s4, 0x37ffffff
	v_cmp_lt_u32_e32 vcc, s4, v1
	s_mov_b64 s[10:11], 0
                                        ; implicit-def: $vgpr1
	s_and_saveexec_b64 s[14:15], vcc
	s_xor_b64 s[14:15], exec, s[14:15]
	s_cbranch_execz .LBB151_2143
; %bb.1814:
	v_bfe_u32 v1, v5, 21, 1
	s_mov_b32 s4, 0x88fffff
	v_add3_u32 v1, v5, v1, s4
	s_mov_b64 s[10:11], exec
	v_lshrrev_b32_e32 v1, 21, v1
	s_andn2_saveexec_b64 s[14:15], s[14:15]
	s_cbranch_execnz .LBB151_2144
.LBB151_1815:
	s_or_b64 exec, exec, s[14:15]
	v_mov_b32_e32 v6, 0
	s_and_saveexec_b64 s[14:15], s[10:11]
.LBB151_1816:
	v_lshrrev_b32_e32 v6, 24, v5
	s_movk_i32 s4, 0x80
	v_and_or_b32 v6, v6, s4, v1
.LBB151_1817:
	s_or_b64 exec, exec, s[14:15]
.LBB151_1818:
	s_or_b64 exec, exec, s[6:7]
	s_mov_b64 s[6:7], 0
	global_store_byte v[3:4], v6, off
.LBB151_1819:
	s_and_b64 vcc, exec, s[6:7]
	s_cbranch_vccz .LBB151_1829
; %bb.1820:
	v_and_b32_e32 v6, 0x7fffffff, v5
	s_mov_b32 s4, 0x43f00000
	v_cmp_gt_u32_e32 vcc, s4, v6
                                        ; implicit-def: $vgpr1
	s_and_saveexec_b64 s[6:7], vcc
	s_xor_b64 s[6:7], exec, s[6:7]
	s_cbranch_execz .LBB151_1826
; %bb.1821:
	s_mov_b32 s4, 0x3c7fffff
	v_cmp_lt_u32_e32 vcc, s4, v6
                                        ; implicit-def: $vgpr1
	s_and_saveexec_b64 s[10:11], vcc
	s_xor_b64 s[10:11], exec, s[10:11]
; %bb.1822:
	v_bfe_u32 v1, v5, 20, 1
	s_mov_b32 s4, 0x407ffff
	v_add3_u32 v1, v5, v1, s4
	v_lshrrev_b32_e32 v6, 20, v1
	v_and_b32_e32 v1, 0xff00000, v1
	s_mov_b32 s4, 0x7f00000
	v_mov_b32_e32 v7, 0x7e
	v_cmp_ne_u32_e32 vcc, s4, v1
	v_cndmask_b32_e32 v1, v7, v6, vcc
; %bb.1823:
	s_andn2_saveexec_b64 s[10:11], s[10:11]
; %bb.1824:
	s_mov_b32 s4, 0x46800000
	v_add_f32_e64 v1, |v5|, s4
; %bb.1825:
	s_or_b64 exec, exec, s[10:11]
                                        ; implicit-def: $vgpr6
.LBB151_1826:
	s_andn2_saveexec_b64 s[6:7], s[6:7]
; %bb.1827:
	s_mov_b32 s4, 0x7f800000
	v_mov_b32_e32 v1, 0x7e
	v_mov_b32_e32 v7, 0x7f
	v_cmp_lt_u32_e32 vcc, s4, v6
	v_cndmask_b32_e32 v1, v1, v7, vcc
; %bb.1828:
	s_or_b64 exec, exec, s[6:7]
	v_lshrrev_b32_e32 v6, 24, v5
	s_movk_i32 s4, 0x80
	v_and_or_b32 v1, v6, s4, v1
	global_store_byte v[3:4], v1, off
.LBB151_1829:
	s_mov_b64 s[6:7], 0
.LBB151_1830:
	s_andn2_b64 vcc, exec, s[6:7]
	s_cbranch_vccnz .LBB151_1840
; %bb.1831:
	v_and_b32_e32 v6, 0x7fffffff, v5
	s_mov_b32 s4, 0x47800000
	v_cmp_gt_u32_e32 vcc, s4, v6
                                        ; implicit-def: $vgpr1
	s_and_saveexec_b64 s[6:7], vcc
	s_xor_b64 s[6:7], exec, s[6:7]
	s_cbranch_execz .LBB151_1837
; %bb.1832:
	s_mov_b32 s4, 0x387fffff
	v_cmp_lt_u32_e32 vcc, s4, v6
                                        ; implicit-def: $vgpr1
	s_and_saveexec_b64 s[10:11], vcc
	s_xor_b64 s[10:11], exec, s[10:11]
; %bb.1833:
	v_bfe_u32 v1, v5, 21, 1
	s_mov_b32 s4, 0x80fffff
	v_add3_u32 v1, v5, v1, s4
	v_lshrrev_b32_e32 v1, 21, v1
; %bb.1834:
	s_andn2_saveexec_b64 s[10:11], s[10:11]
; %bb.1835:
	s_mov_b32 s4, 0x43000000
	v_add_f32_e64 v1, |v5|, s4
; %bb.1836:
	s_or_b64 exec, exec, s[10:11]
                                        ; implicit-def: $vgpr6
.LBB151_1837:
	s_andn2_saveexec_b64 s[6:7], s[6:7]
; %bb.1838:
	s_mov_b32 s4, 0x7f800000
	v_mov_b32_e32 v1, 0x7c
	v_mov_b32_e32 v7, 0x7f
	v_cmp_lt_u32_e32 vcc, s4, v6
	v_cndmask_b32_e32 v1, v1, v7, vcc
; %bb.1839:
	s_or_b64 exec, exec, s[6:7]
	v_lshrrev_b32_e32 v6, 24, v5
	s_movk_i32 s4, 0x80
	v_and_or_b32 v1, v6, s4, v1
	global_store_byte v[3:4], v1, off
.LBB151_1840:
	s_mov_b64 s[6:7], 0
	s_mov_b64 s[10:11], -1
.LBB151_1841:
	s_andn2_b64 vcc, exec, s[6:7]
	s_mov_b64 s[6:7], 0
	s_cbranch_vccnz .LBB151_1848
; %bb.1842:
	s_cmp_gt_i32 s19, 14
	s_mov_b64 s[14:15], -1
	s_cbranch_scc0 .LBB151_1846
; %bb.1843:
	s_cmp_eq_u32 s19, 15
	s_mov_b64 s[2:3], -1
	s_cbranch_scc0 .LBB151_1845
; %bb.1844:
	v_bfe_u32 v1, v5, 16, 1
	s_movk_i32 s2, 0x7fff
	v_add3_u32 v1, v5, v1, s2
	v_cmp_o_f32_e32 vcc, v5, v5
	v_mov_b32_e32 v6, 0x7fc0
	v_cndmask_b32_sdwa v1, v6, v1, vcc dst_sel:DWORD dst_unused:UNUSED_PAD src0_sel:DWORD src1_sel:WORD_1
	global_store_short v[3:4], v1, off
	s_mov_b64 s[2:3], 0
	s_mov_b64 s[10:11], -1
.LBB151_1845:
	s_mov_b64 s[14:15], 0
.LBB151_1846:
	s_and_b64 vcc, exec, s[14:15]
	s_cbranch_vccz .LBB151_1848
; %bb.1847:
	s_cmp_lg_u32 s19, 11
	s_mov_b64 s[6:7], -1
	s_cselect_b64 s[2:3], -1, 0
.LBB151_1848:
	s_and_b64 vcc, exec, s[2:3]
	s_cbranch_vccnz .LBB151_2142
; %bb.1849:
	s_andn2_b64 vcc, exec, s[6:7]
	s_cbranch_vccnz .LBB151_1851
.LBB151_1850:
	v_cmp_neq_f32_e32 vcc, 0, v5
	v_cndmask_b32_e64 v1, 0, 1, vcc
	s_mov_b64 s[10:11], -1
	global_store_byte v[3:4], v1, off
.LBB151_1851:
	s_mov_b64 s[2:3], 0
	s_branch .LBB151_1853
.LBB151_1852:
	s_mov_b64 s[2:3], -1
	s_mov_b64 s[10:11], 0
.LBB151_1853:
	s_and_b64 vcc, exec, s[2:3]
	s_cbranch_vccz .LBB151_1892
; %bb.1854:
	s_cmp_lt_i32 s19, 5
	s_mov_b64 s[2:3], -1
	s_cbranch_scc1 .LBB151_1875
; %bb.1855:
	s_cmp_lt_i32 s19, 8
	s_cbranch_scc1 .LBB151_1865
; %bb.1856:
	s_cmp_lt_i32 s19, 9
	s_cbranch_scc1 .LBB151_1862
; %bb.1857:
	s_cmp_gt_i32 s19, 9
	s_cbranch_scc0 .LBB151_1859
; %bb.1858:
	v_cvt_f64_f32_e32 v[11:12], v5
	v_mov_b32_e32 v13, 0
	v_mov_b32_e32 v14, v13
	s_mov_b64 s[2:3], 0
	global_store_dwordx4 v[3:4], v[11:14], off
.LBB151_1859:
	s_andn2_b64 vcc, exec, s[2:3]
	s_cbranch_vccnz .LBB151_1861
; %bb.1860:
	v_mov_b32_e32 v6, 0
	global_store_dwordx2 v[3:4], v[5:6], off
.LBB151_1861:
	s_mov_b64 s[2:3], 0
.LBB151_1862:
	s_andn2_b64 vcc, exec, s[2:3]
	s_cbranch_vccnz .LBB151_1864
; %bb.1863:
	v_cvt_f16_f32_e32 v1, v5
	global_store_dword v[3:4], v1, off
.LBB151_1864:
	s_mov_b64 s[2:3], 0
.LBB151_1865:
	s_andn2_b64 vcc, exec, s[2:3]
	s_cbranch_vccnz .LBB151_1874
; %bb.1866:
	s_cmp_lt_i32 s19, 6
	s_mov_b64 s[2:3], -1
	s_cbranch_scc1 .LBB151_1872
; %bb.1867:
	s_cmp_gt_i32 s19, 6
	s_cbranch_scc0 .LBB151_1869
; %bb.1868:
	v_cvt_f64_f32_e32 v[6:7], v5
	s_mov_b64 s[2:3], 0
	global_store_dwordx2 v[3:4], v[6:7], off
.LBB151_1869:
	s_andn2_b64 vcc, exec, s[2:3]
	s_cbranch_vccnz .LBB151_1871
; %bb.1870:
	global_store_dword v[3:4], v5, off
.LBB151_1871:
	s_mov_b64 s[2:3], 0
.LBB151_1872:
	s_andn2_b64 vcc, exec, s[2:3]
	s_cbranch_vccnz .LBB151_1874
; %bb.1873:
	v_cvt_f16_f32_e32 v1, v5
	global_store_short v[3:4], v1, off
.LBB151_1874:
	s_mov_b64 s[2:3], 0
.LBB151_1875:
	s_andn2_b64 vcc, exec, s[2:3]
	s_cbranch_vccnz .LBB151_1891
; %bb.1876:
	s_cmp_lt_i32 s19, 2
	s_mov_b64 s[2:3], -1
	s_cbranch_scc1 .LBB151_1886
; %bb.1877:
	s_cmp_lt_i32 s19, 3
	s_cbranch_scc1 .LBB151_1883
; %bb.1878:
	s_cmp_gt_i32 s19, 3
	s_cbranch_scc0 .LBB151_1880
; %bb.1879:
	v_trunc_f32_e32 v1, v5
	s_mov_b32 s2, 0x2f800000
	v_mul_f32_e64 v6, |v1|, s2
	v_floor_f32_e32 v6, v6
	s_mov_b32 s2, 0xcf800000
	v_cvt_u32_f32_e32 v7, v6
	v_fma_f32 v6, v6, s2, |v1|
	v_cvt_u32_f32_e32 v6, v6
	v_ashrrev_i32_e32 v1, 31, v1
	v_xor_b32_e32 v7, v7, v1
	s_mov_b64 s[2:3], 0
	v_xor_b32_e32 v6, v6, v1
	v_sub_co_u32_e32 v6, vcc, v6, v1
	v_subb_co_u32_e32 v7, vcc, v7, v1, vcc
	global_store_dwordx2 v[3:4], v[6:7], off
.LBB151_1880:
	s_andn2_b64 vcc, exec, s[2:3]
	s_cbranch_vccnz .LBB151_1882
; %bb.1881:
	v_cvt_i32_f32_e32 v1, v5
	global_store_dword v[3:4], v1, off
.LBB151_1882:
	s_mov_b64 s[2:3], 0
.LBB151_1883:
	s_andn2_b64 vcc, exec, s[2:3]
	s_cbranch_vccnz .LBB151_1885
; %bb.1884:
	v_cvt_i32_f32_e32 v1, v5
	global_store_short v[3:4], v1, off
.LBB151_1885:
	s_mov_b64 s[2:3], 0
.LBB151_1886:
	s_andn2_b64 vcc, exec, s[2:3]
	s_cbranch_vccnz .LBB151_1891
; %bb.1887:
	s_cmp_gt_i32 s19, 0
	s_mov_b64 s[2:3], -1
	s_cbranch_scc0 .LBB151_1889
; %bb.1888:
	v_cvt_i32_f32_e32 v1, v5
	s_mov_b64 s[2:3], 0
	global_store_byte v[3:4], v1, off
.LBB151_1889:
	s_andn2_b64 vcc, exec, s[2:3]
	s_cbranch_vccnz .LBB151_1891
; %bb.1890:
	v_trunc_f32_e32 v1, v5
	s_mov_b32 s2, 0x2f800000
	v_mul_f32_e64 v5, |v1|, s2
	v_floor_f32_e32 v5, v5
	s_mov_b32 s2, 0xcf800000
	v_fma_f32 v5, v5, s2, |v1|
	v_cvt_u32_f32_e32 v5, v5
	v_ashrrev_i32_e32 v1, 31, v1
	v_xor_b32_e32 v5, v5, v1
	v_sub_u32_e32 v1, v5, v1
	global_store_byte v[3:4], v1, off
.LBB151_1891:
	s_mov_b64 s[10:11], -1
.LBB151_1892:
	s_andn2_b64 vcc, exec, s[10:11]
	s_cbranch_vccnz .LBB151_2088
; %bb.1893:
	v_mov_b32_e32 v1, s5
	v_cndmask_b32_e64 v3, v1, v10, s[0:1]
	v_mov_b32_e32 v4, s9
	v_add_co_u32_e32 v1, vcc, s8, v2
	s_cmp_lt_i32 s19, 11
	v_addc_co_u32_e32 v2, vcc, 0, v4, vcc
	s_cbranch_scc1 .LBB151_1971
; %bb.1894:
	s_mov_b64 s[14:15], -1
	s_mov_b64 s[6:7], 0
	s_cmp_gt_i32 s19, 25
	s_mov_b64 s[10:11], 0
	s_mov_b64 s[2:3], 0
	s_cbranch_scc0 .LBB151_1927
; %bb.1895:
	s_cmp_gt_i32 s19, 28
	s_cbranch_scc0 .LBB151_1910
; %bb.1896:
	s_cmp_gt_i32 s19, 43
	;; [unrolled: 3-line block ×3, first 2 shown]
	s_cbranch_scc0 .LBB151_1900
; %bb.1898:
	s_mov_b64 s[2:3], -1
	s_mov_b64 s[14:15], 0
	s_cmp_eq_u32 s19, 46
	s_cbranch_scc0 .LBB151_1900
; %bb.1899:
	v_bfe_u32 v4, v3, 16, 1
	s_movk_i32 s2, 0x7fff
	v_add3_u32 v4, v3, v4, s2
	v_cmp_o_f32_e32 vcc, v3, v3
	v_mov_b32_e32 v5, 0x7fc0
	v_cndmask_b32_sdwa v4, v5, v4, vcc dst_sel:DWORD dst_unused:UNUSED_PAD src0_sel:DWORD src1_sel:WORD_1
	global_store_dword v[1:2], v4, off
	s_mov_b64 s[2:3], 0
	s_mov_b64 s[10:11], -1
.LBB151_1900:
	s_and_b64 vcc, exec, s[14:15]
	s_cbranch_vccz .LBB151_1905
; %bb.1901:
	s_cmp_eq_u32 s19, 44
	s_mov_b64 s[2:3], -1
	s_cbranch_scc0 .LBB151_1905
; %bb.1902:
	v_bfe_u32 v4, v3, 23, 8
	s_movk_i32 s2, 0xff
	v_cmp_ne_u32_e32 vcc, s2, v4
	v_mov_b32_e32 v5, 0xff
	s_and_saveexec_b64 s[10:11], vcc
; %bb.1903:
	s_mov_b32 s2, 0x3fffff
	v_and_b32_e32 v6, 0x400000, v3
	v_and_or_b32 v4, v3, s2, v4
	v_cmp_ne_u32_e32 vcc, 0, v6
	v_cmp_ne_u32_e64 s[2:3], 0, v4
	s_and_b64 s[2:3], vcc, s[2:3]
	v_lshrrev_b32_e32 v5, 23, v3
	v_cndmask_b32_e64 v4, 0, 1, s[2:3]
	v_add_u32_e32 v5, v5, v4
; %bb.1904:
	s_or_b64 exec, exec, s[10:11]
	s_mov_b64 s[2:3], 0
	s_mov_b64 s[10:11], -1
	global_store_byte v[1:2], v5, off
.LBB151_1905:
	s_mov_b64 s[14:15], 0
.LBB151_1906:
	s_and_b64 vcc, exec, s[14:15]
	s_cbranch_vccz .LBB151_1909
; %bb.1907:
	s_cmp_eq_u32 s19, 29
	s_mov_b64 s[2:3], -1
	s_cbranch_scc0 .LBB151_1909
; %bb.1908:
	v_trunc_f32_e32 v4, v3
	v_mul_f32_e32 v5, 0x2f800000, v4
	v_floor_f32_e32 v6, v5
	v_fmac_f32_e32 v4, 0xcf800000, v6
	v_cvt_u32_f32_e32 v5, v6
	v_cvt_u32_f32_e32 v4, v4
	s_mov_b64 s[2:3], 0
	s_mov_b64 s[10:11], -1
	global_store_dwordx2 v[1:2], v[4:5], off
.LBB151_1909:
	s_mov_b64 s[14:15], 0
.LBB151_1910:
	s_and_b64 vcc, exec, s[14:15]
	s_cbranch_vccz .LBB151_1926
; %bb.1911:
	s_cmp_lt_i32 s19, 27
	s_mov_b64 s[10:11], -1
	s_cbranch_scc1 .LBB151_1917
; %bb.1912:
	v_cvt_u32_f32_e32 v4, v3
	s_cmp_gt_i32 s19, 27
	s_cbranch_scc0 .LBB151_1914
; %bb.1913:
	s_mov_b64 s[10:11], 0
	global_store_dword v[1:2], v4, off
.LBB151_1914:
	s_andn2_b64 vcc, exec, s[10:11]
	s_cbranch_vccnz .LBB151_1916
; %bb.1915:
	global_store_short v[1:2], v4, off
.LBB151_1916:
	s_mov_b64 s[10:11], 0
.LBB151_1917:
	s_andn2_b64 vcc, exec, s[10:11]
	s_cbranch_vccnz .LBB151_1925
; %bb.1918:
	v_and_b32_e32 v4, 0x7fffffff, v3
	s_mov_b32 s4, 0x43800000
	v_cmp_gt_u32_e32 vcc, s4, v4
	v_mov_b32_e32 v5, 0x80
	s_and_saveexec_b64 s[10:11], vcc
	s_cbranch_execz .LBB151_1924
; %bb.1919:
	s_mov_b32 s4, 0x3bffffff
	v_cmp_lt_u32_e32 vcc, s4, v4
	s_mov_b64 s[14:15], 0
                                        ; implicit-def: $vgpr4
	s_and_saveexec_b64 s[16:17], vcc
	s_xor_b64 s[16:17], exec, s[16:17]
	s_cbranch_execz .LBB151_2145
; %bb.1920:
	v_bfe_u32 v4, v3, 20, 1
	s_mov_b32 s4, 0x487ffff
	v_add3_u32 v4, v3, v4, s4
	s_mov_b64 s[14:15], exec
	v_lshrrev_b32_e32 v4, 20, v4
	s_andn2_saveexec_b64 s[16:17], s[16:17]
	s_cbranch_execnz .LBB151_2146
.LBB151_1921:
	s_or_b64 exec, exec, s[16:17]
	v_mov_b32_e32 v5, 0
	s_and_saveexec_b64 s[16:17], s[14:15]
.LBB151_1922:
	v_lshrrev_b32_e32 v5, 24, v3
	s_movk_i32 s4, 0x80
	v_and_or_b32 v5, v5, s4, v4
.LBB151_1923:
	s_or_b64 exec, exec, s[16:17]
.LBB151_1924:
	s_or_b64 exec, exec, s[10:11]
	global_store_byte v[1:2], v5, off
.LBB151_1925:
	s_mov_b64 s[10:11], -1
.LBB151_1926:
	s_mov_b64 s[14:15], 0
.LBB151_1927:
	s_and_b64 vcc, exec, s[14:15]
	s_cbranch_vccz .LBB151_1967
; %bb.1928:
	s_cmp_gt_i32 s19, 22
	s_mov_b64 s[6:7], -1
	s_cbranch_scc0 .LBB151_1960
; %bb.1929:
	s_cmp_lt_i32 s19, 24
	s_cbranch_scc1 .LBB151_1949
; %bb.1930:
	s_cmp_gt_i32 s19, 24
	s_cbranch_scc0 .LBB151_1938
; %bb.1931:
	v_and_b32_e32 v4, 0x7fffffff, v3
	s_mov_b32 s4, 0x47800000
	v_cmp_gt_u32_e32 vcc, s4, v4
	v_mov_b32_e32 v5, 0x80
	s_and_saveexec_b64 s[6:7], vcc
	s_cbranch_execz .LBB151_1937
; %bb.1932:
	s_mov_b32 s4, 0x37ffffff
	v_cmp_lt_u32_e32 vcc, s4, v4
	s_mov_b64 s[10:11], 0
                                        ; implicit-def: $vgpr4
	s_and_saveexec_b64 s[14:15], vcc
	s_xor_b64 s[14:15], exec, s[14:15]
	s_cbranch_execz .LBB151_2148
; %bb.1933:
	v_bfe_u32 v4, v3, 21, 1
	s_mov_b32 s4, 0x88fffff
	v_add3_u32 v4, v3, v4, s4
	s_mov_b64 s[10:11], exec
	v_lshrrev_b32_e32 v4, 21, v4
	s_andn2_saveexec_b64 s[14:15], s[14:15]
	s_cbranch_execnz .LBB151_2149
.LBB151_1934:
	s_or_b64 exec, exec, s[14:15]
	v_mov_b32_e32 v5, 0
	s_and_saveexec_b64 s[14:15], s[10:11]
.LBB151_1935:
	v_lshrrev_b32_e32 v5, 24, v3
	s_movk_i32 s4, 0x80
	v_and_or_b32 v5, v5, s4, v4
.LBB151_1936:
	s_or_b64 exec, exec, s[14:15]
.LBB151_1937:
	s_or_b64 exec, exec, s[6:7]
	s_mov_b64 s[6:7], 0
	global_store_byte v[1:2], v5, off
.LBB151_1938:
	s_and_b64 vcc, exec, s[6:7]
	s_cbranch_vccz .LBB151_1948
; %bb.1939:
	v_and_b32_e32 v5, 0x7fffffff, v3
	s_mov_b32 s4, 0x43f00000
	v_cmp_gt_u32_e32 vcc, s4, v5
                                        ; implicit-def: $vgpr4
	s_and_saveexec_b64 s[6:7], vcc
	s_xor_b64 s[6:7], exec, s[6:7]
	s_cbranch_execz .LBB151_1945
; %bb.1940:
	s_mov_b32 s4, 0x3c7fffff
	v_cmp_lt_u32_e32 vcc, s4, v5
                                        ; implicit-def: $vgpr4
	s_and_saveexec_b64 s[10:11], vcc
	s_xor_b64 s[10:11], exec, s[10:11]
; %bb.1941:
	v_bfe_u32 v4, v3, 20, 1
	s_mov_b32 s4, 0x407ffff
	v_add3_u32 v4, v3, v4, s4
	v_lshrrev_b32_e32 v5, 20, v4
	v_and_b32_e32 v4, 0xff00000, v4
	s_mov_b32 s4, 0x7f00000
	v_mov_b32_e32 v6, 0x7e
	v_cmp_ne_u32_e32 vcc, s4, v4
	v_cndmask_b32_e32 v4, v6, v5, vcc
; %bb.1942:
	s_andn2_saveexec_b64 s[10:11], s[10:11]
; %bb.1943:
	s_mov_b32 s4, 0x46800000
	v_add_f32_e64 v4, |v3|, s4
; %bb.1944:
	s_or_b64 exec, exec, s[10:11]
                                        ; implicit-def: $vgpr5
.LBB151_1945:
	s_andn2_saveexec_b64 s[6:7], s[6:7]
; %bb.1946:
	s_mov_b32 s4, 0x7f800000
	v_mov_b32_e32 v4, 0x7e
	v_mov_b32_e32 v6, 0x7f
	v_cmp_lt_u32_e32 vcc, s4, v5
	v_cndmask_b32_e32 v4, v4, v6, vcc
; %bb.1947:
	s_or_b64 exec, exec, s[6:7]
	v_lshrrev_b32_e32 v5, 24, v3
	s_movk_i32 s4, 0x80
	v_and_or_b32 v4, v5, s4, v4
	global_store_byte v[1:2], v4, off
.LBB151_1948:
	s_mov_b64 s[6:7], 0
.LBB151_1949:
	s_andn2_b64 vcc, exec, s[6:7]
	s_cbranch_vccnz .LBB151_1959
; %bb.1950:
	v_and_b32_e32 v5, 0x7fffffff, v3
	s_mov_b32 s4, 0x47800000
	v_cmp_gt_u32_e32 vcc, s4, v5
                                        ; implicit-def: $vgpr4
	s_and_saveexec_b64 s[6:7], vcc
	s_xor_b64 s[6:7], exec, s[6:7]
	s_cbranch_execz .LBB151_1956
; %bb.1951:
	s_mov_b32 s4, 0x387fffff
	v_cmp_lt_u32_e32 vcc, s4, v5
                                        ; implicit-def: $vgpr4
	s_and_saveexec_b64 s[10:11], vcc
	s_xor_b64 s[10:11], exec, s[10:11]
; %bb.1952:
	v_bfe_u32 v4, v3, 21, 1
	s_mov_b32 s4, 0x80fffff
	v_add3_u32 v4, v3, v4, s4
	v_lshrrev_b32_e32 v4, 21, v4
; %bb.1953:
	s_andn2_saveexec_b64 s[10:11], s[10:11]
; %bb.1954:
	s_mov_b32 s4, 0x43000000
	v_add_f32_e64 v4, |v3|, s4
; %bb.1955:
	s_or_b64 exec, exec, s[10:11]
                                        ; implicit-def: $vgpr5
.LBB151_1956:
	s_andn2_saveexec_b64 s[6:7], s[6:7]
; %bb.1957:
	s_mov_b32 s4, 0x7f800000
	v_mov_b32_e32 v4, 0x7c
	v_mov_b32_e32 v6, 0x7f
	v_cmp_lt_u32_e32 vcc, s4, v5
	v_cndmask_b32_e32 v4, v4, v6, vcc
; %bb.1958:
	s_or_b64 exec, exec, s[6:7]
	v_lshrrev_b32_e32 v5, 24, v3
	s_movk_i32 s4, 0x80
	v_and_or_b32 v4, v5, s4, v4
	global_store_byte v[1:2], v4, off
.LBB151_1959:
	s_mov_b64 s[6:7], 0
	s_mov_b64 s[10:11], -1
.LBB151_1960:
	s_andn2_b64 vcc, exec, s[6:7]
	s_mov_b64 s[6:7], 0
	s_cbranch_vccnz .LBB151_1967
; %bb.1961:
	s_cmp_gt_i32 s19, 14
	s_mov_b64 s[14:15], -1
	s_cbranch_scc0 .LBB151_1965
; %bb.1962:
	s_cmp_eq_u32 s19, 15
	s_mov_b64 s[2:3], -1
	s_cbranch_scc0 .LBB151_1964
; %bb.1963:
	v_bfe_u32 v4, v3, 16, 1
	s_movk_i32 s2, 0x7fff
	v_add3_u32 v4, v3, v4, s2
	v_cmp_o_f32_e32 vcc, v3, v3
	v_mov_b32_e32 v5, 0x7fc0
	v_cndmask_b32_sdwa v4, v5, v4, vcc dst_sel:DWORD dst_unused:UNUSED_PAD src0_sel:DWORD src1_sel:WORD_1
	global_store_short v[1:2], v4, off
	s_mov_b64 s[2:3], 0
	s_mov_b64 s[10:11], -1
.LBB151_1964:
	s_mov_b64 s[14:15], 0
.LBB151_1965:
	s_and_b64 vcc, exec, s[14:15]
	s_cbranch_vccz .LBB151_1967
; %bb.1966:
	s_cmp_lg_u32 s19, 11
	s_mov_b64 s[6:7], -1
	s_cselect_b64 s[2:3], -1, 0
.LBB151_1967:
	s_and_b64 vcc, exec, s[2:3]
	s_cbranch_vccnz .LBB151_2147
; %bb.1968:
	s_andn2_b64 vcc, exec, s[6:7]
	s_cbranch_vccnz .LBB151_1970
.LBB151_1969:
	v_cmp_neq_f32_e32 vcc, 0, v3
	v_cndmask_b32_e64 v4, 0, 1, vcc
	s_mov_b64 s[10:11], -1
	global_store_byte v[1:2], v4, off
.LBB151_1970:
	s_mov_b64 s[2:3], 0
	s_branch .LBB151_1972
.LBB151_1971:
	s_mov_b64 s[2:3], -1
	s_mov_b64 s[10:11], 0
.LBB151_1972:
	s_and_b64 vcc, exec, s[2:3]
	s_cbranch_vccz .LBB151_2011
; %bb.1973:
	s_cmp_lt_i32 s19, 5
	s_mov_b64 s[2:3], -1
	s_cbranch_scc1 .LBB151_1994
; %bb.1974:
	s_cmp_lt_i32 s19, 8
	s_cbranch_scc1 .LBB151_1984
; %bb.1975:
	s_cmp_lt_i32 s19, 9
	s_cbranch_scc1 .LBB151_1981
; %bb.1976:
	s_cmp_gt_i32 s19, 9
	s_cbranch_scc0 .LBB151_1978
; %bb.1977:
	v_cvt_f64_f32_e32 v[4:5], v3
	v_mov_b32_e32 v6, 0
	v_mov_b32_e32 v7, v6
	s_mov_b64 s[2:3], 0
	global_store_dwordx4 v[1:2], v[4:7], off
.LBB151_1978:
	s_andn2_b64 vcc, exec, s[2:3]
	s_cbranch_vccnz .LBB151_1980
; %bb.1979:
	v_mov_b32_e32 v4, 0
	global_store_dwordx2 v[1:2], v[3:4], off
.LBB151_1980:
	s_mov_b64 s[2:3], 0
.LBB151_1981:
	s_andn2_b64 vcc, exec, s[2:3]
	s_cbranch_vccnz .LBB151_1983
; %bb.1982:
	v_cvt_f16_f32_e32 v4, v3
	global_store_dword v[1:2], v4, off
.LBB151_1983:
	s_mov_b64 s[2:3], 0
.LBB151_1984:
	s_andn2_b64 vcc, exec, s[2:3]
	s_cbranch_vccnz .LBB151_1993
; %bb.1985:
	s_cmp_lt_i32 s19, 6
	s_mov_b64 s[2:3], -1
	s_cbranch_scc1 .LBB151_1991
; %bb.1986:
	s_cmp_gt_i32 s19, 6
	s_cbranch_scc0 .LBB151_1988
; %bb.1987:
	v_cvt_f64_f32_e32 v[4:5], v3
	s_mov_b64 s[2:3], 0
	global_store_dwordx2 v[1:2], v[4:5], off
.LBB151_1988:
	s_andn2_b64 vcc, exec, s[2:3]
	s_cbranch_vccnz .LBB151_1990
; %bb.1989:
	global_store_dword v[1:2], v3, off
.LBB151_1990:
	s_mov_b64 s[2:3], 0
.LBB151_1991:
	s_andn2_b64 vcc, exec, s[2:3]
	s_cbranch_vccnz .LBB151_1993
; %bb.1992:
	v_cvt_f16_f32_e32 v4, v3
	global_store_short v[1:2], v4, off
.LBB151_1993:
	s_mov_b64 s[2:3], 0
.LBB151_1994:
	s_andn2_b64 vcc, exec, s[2:3]
	s_cbranch_vccnz .LBB151_2010
; %bb.1995:
	s_cmp_lt_i32 s19, 2
	s_mov_b64 s[2:3], -1
	s_cbranch_scc1 .LBB151_2005
; %bb.1996:
	s_cmp_lt_i32 s19, 3
	s_cbranch_scc1 .LBB151_2002
; %bb.1997:
	s_cmp_gt_i32 s19, 3
	s_cbranch_scc0 .LBB151_1999
; %bb.1998:
	v_trunc_f32_e32 v4, v3
	s_mov_b32 s2, 0x2f800000
	v_mul_f32_e64 v5, |v4|, s2
	v_floor_f32_e32 v5, v5
	s_mov_b32 s2, 0xcf800000
	v_cvt_u32_f32_e32 v6, v5
	v_fma_f32 v5, v5, s2, |v4|
	v_cvt_u32_f32_e32 v5, v5
	v_ashrrev_i32_e32 v7, 31, v4
	v_xor_b32_e32 v6, v6, v7
	s_mov_b64 s[2:3], 0
	v_xor_b32_e32 v4, v5, v7
	v_sub_co_u32_e32 v4, vcc, v4, v7
	v_subb_co_u32_e32 v5, vcc, v6, v7, vcc
	global_store_dwordx2 v[1:2], v[4:5], off
.LBB151_1999:
	s_andn2_b64 vcc, exec, s[2:3]
	s_cbranch_vccnz .LBB151_2001
; %bb.2000:
	v_cvt_i32_f32_e32 v4, v3
	global_store_dword v[1:2], v4, off
.LBB151_2001:
	s_mov_b64 s[2:3], 0
.LBB151_2002:
	s_andn2_b64 vcc, exec, s[2:3]
	s_cbranch_vccnz .LBB151_2004
; %bb.2003:
	v_cvt_i32_f32_e32 v4, v3
	global_store_short v[1:2], v4, off
.LBB151_2004:
	s_mov_b64 s[2:3], 0
.LBB151_2005:
	s_andn2_b64 vcc, exec, s[2:3]
	s_cbranch_vccnz .LBB151_2010
; %bb.2006:
	s_cmp_gt_i32 s19, 0
	s_mov_b64 s[2:3], -1
	s_cbranch_scc0 .LBB151_2008
; %bb.2007:
	v_cvt_i32_f32_e32 v4, v3
	s_mov_b64 s[2:3], 0
	global_store_byte v[1:2], v4, off
.LBB151_2008:
	s_andn2_b64 vcc, exec, s[2:3]
	s_cbranch_vccnz .LBB151_2010
; %bb.2009:
	v_trunc_f32_e32 v3, v3
	s_mov_b32 s2, 0x2f800000
	v_mul_f32_e64 v4, |v3|, s2
	v_floor_f32_e32 v4, v4
	s_mov_b32 s2, 0xcf800000
	v_fma_f32 v4, v4, s2, |v3|
	v_cvt_u32_f32_e32 v4, v4
	v_ashrrev_i32_e32 v3, 31, v3
	v_xor_b32_e32 v4, v4, v3
	v_sub_u32_e32 v3, v4, v3
	global_store_byte v[1:2], v3, off
.LBB151_2010:
	s_mov_b64 s[10:11], -1
.LBB151_2011:
	s_andn2_b64 vcc, exec, s[10:11]
	s_cbranch_vccnz .LBB151_2088
; %bb.2012:
	v_mov_b32_e32 v1, s5
	v_cndmask_b32_e64 v2, v1, v9, s[0:1]
	v_mov_b32_e32 v1, s9
	v_add_co_u32_e32 v0, vcc, s8, v0
	s_cmp_lt_i32 s19, 11
	v_addc_co_u32_e32 v1, vcc, 0, v1, vcc
	s_cbranch_scc1 .LBB151_2133
; %bb.2013:
	s_mov_b64 s[4:5], -1
	s_mov_b64 s[2:3], 0
	s_cmp_gt_i32 s19, 25
	s_mov_b64 s[0:1], 0
	s_cbranch_scc0 .LBB151_2046
; %bb.2014:
	s_cmp_gt_i32 s19, 28
	s_cbranch_scc0 .LBB151_2030
; %bb.2015:
	s_cmp_gt_i32 s19, 43
	;; [unrolled: 3-line block ×3, first 2 shown]
	s_cbranch_scc0 .LBB151_2020
; %bb.2017:
	s_cmp_eq_u32 s19, 46
	s_mov_b64 s[0:1], -1
	s_cbranch_scc0 .LBB151_2019
; %bb.2018:
	v_bfe_u32 v3, v2, 16, 1
	s_movk_i32 s0, 0x7fff
	v_add3_u32 v3, v2, v3, s0
	v_cmp_o_f32_e32 vcc, v2, v2
	v_mov_b32_e32 v4, 0x7fc0
	v_cndmask_b32_sdwa v3, v4, v3, vcc dst_sel:DWORD dst_unused:UNUSED_PAD src0_sel:DWORD src1_sel:WORD_1
	global_store_dword v[0:1], v3, off
	s_mov_b64 s[0:1], 0
.LBB151_2019:
	s_mov_b64 s[4:5], 0
.LBB151_2020:
	s_and_b64 vcc, exec, s[4:5]
	s_cbranch_vccz .LBB151_2025
; %bb.2021:
	s_cmp_eq_u32 s19, 44
	s_mov_b64 s[0:1], -1
	s_cbranch_scc0 .LBB151_2025
; %bb.2022:
	v_bfe_u32 v3, v2, 23, 8
	s_movk_i32 s0, 0xff
	v_cmp_ne_u32_e32 vcc, s0, v3
	v_mov_b32_e32 v4, 0xff
	s_and_saveexec_b64 s[4:5], vcc
; %bb.2023:
	s_mov_b32 s0, 0x3fffff
	v_and_b32_e32 v5, 0x400000, v2
	v_and_or_b32 v3, v2, s0, v3
	v_cmp_ne_u32_e32 vcc, 0, v5
	v_cmp_ne_u32_e64 s[0:1], 0, v3
	s_and_b64 s[0:1], vcc, s[0:1]
	v_lshrrev_b32_e32 v4, 23, v2
	v_cndmask_b32_e64 v3, 0, 1, s[0:1]
	v_add_u32_e32 v4, v4, v3
; %bb.2024:
	s_or_b64 exec, exec, s[4:5]
	s_mov_b64 s[0:1], 0
	global_store_byte v[0:1], v4, off
.LBB151_2025:
	s_mov_b64 s[4:5], 0
.LBB151_2026:
	s_and_b64 vcc, exec, s[4:5]
	s_cbranch_vccz .LBB151_2029
; %bb.2027:
	s_cmp_eq_u32 s19, 29
	s_mov_b64 s[0:1], -1
	s_cbranch_scc0 .LBB151_2029
; %bb.2028:
	v_trunc_f32_e32 v3, v2
	v_mul_f32_e32 v4, 0x2f800000, v3
	v_floor_f32_e32 v5, v4
	v_fmac_f32_e32 v3, 0xcf800000, v5
	v_cvt_u32_f32_e32 v4, v5
	v_cvt_u32_f32_e32 v3, v3
	s_mov_b64 s[0:1], 0
	global_store_dwordx2 v[0:1], v[3:4], off
.LBB151_2029:
	s_mov_b64 s[4:5], 0
.LBB151_2030:
	s_and_b64 vcc, exec, s[4:5]
	s_cbranch_vccz .LBB151_2045
; %bb.2031:
	s_cmp_lt_i32 s19, 27
	s_mov_b64 s[4:5], -1
	s_cbranch_scc1 .LBB151_2037
; %bb.2032:
	s_cmp_gt_i32 s19, 27
	s_cbranch_scc0 .LBB151_2034
; %bb.2033:
	v_cvt_u32_f32_e32 v3, v2
	s_mov_b64 s[4:5], 0
	global_store_dword v[0:1], v3, off
.LBB151_2034:
	s_andn2_b64 vcc, exec, s[4:5]
	s_cbranch_vccnz .LBB151_2036
; %bb.2035:
	v_cvt_u32_f32_e32 v3, v2
	global_store_short v[0:1], v3, off
.LBB151_2036:
	s_mov_b64 s[4:5], 0
.LBB151_2037:
	s_andn2_b64 vcc, exec, s[4:5]
	s_cbranch_vccnz .LBB151_2045
; %bb.2038:
	v_and_b32_e32 v3, 0x7fffffff, v2
	s_mov_b32 s4, 0x43800000
	v_cmp_gt_u32_e32 vcc, s4, v3
	v_mov_b32_e32 v4, 0x80
	s_and_saveexec_b64 s[4:5], vcc
	s_cbranch_execz .LBB151_2044
; %bb.2039:
	s_mov_b32 s6, 0x3bffffff
	v_cmp_lt_u32_e32 vcc, s6, v3
	s_mov_b64 s[6:7], 0
                                        ; implicit-def: $vgpr3
	s_and_saveexec_b64 s[8:9], vcc
	s_xor_b64 s[8:9], exec, s[8:9]
	s_cbranch_execz .LBB151_2150
; %bb.2040:
	v_bfe_u32 v3, v2, 20, 1
	s_mov_b32 s10, 0x487ffff
	v_add3_u32 v3, v2, v3, s10
	s_mov_b64 s[6:7], exec
	v_lshrrev_b32_e32 v3, 20, v3
	s_andn2_saveexec_b64 s[8:9], s[8:9]
	s_cbranch_execnz .LBB151_2151
.LBB151_2041:
	s_or_b64 exec, exec, s[8:9]
	v_mov_b32_e32 v4, 0
	s_and_saveexec_b64 s[8:9], s[6:7]
.LBB151_2042:
	v_lshrrev_b32_e32 v4, 24, v2
	s_movk_i32 s6, 0x80
	v_and_or_b32 v4, v4, s6, v3
.LBB151_2043:
	s_or_b64 exec, exec, s[8:9]
.LBB151_2044:
	s_or_b64 exec, exec, s[4:5]
	global_store_byte v[0:1], v4, off
.LBB151_2045:
	s_mov_b64 s[4:5], 0
.LBB151_2046:
	s_and_b64 vcc, exec, s[4:5]
	s_cbranch_vccz .LBB151_2086
; %bb.2047:
	s_cmp_gt_i32 s19, 22
	s_mov_b64 s[2:3], -1
	s_cbranch_scc0 .LBB151_2079
; %bb.2048:
	s_cmp_lt_i32 s19, 24
	s_cbranch_scc1 .LBB151_2068
; %bb.2049:
	s_cmp_gt_i32 s19, 24
	s_cbranch_scc0 .LBB151_2057
; %bb.2050:
	v_and_b32_e32 v3, 0x7fffffff, v2
	s_mov_b32 s2, 0x47800000
	v_cmp_gt_u32_e32 vcc, s2, v3
	v_mov_b32_e32 v4, 0x80
	s_and_saveexec_b64 s[2:3], vcc
	s_cbranch_execz .LBB151_2056
; %bb.2051:
	s_mov_b32 s4, 0x37ffffff
	v_cmp_lt_u32_e32 vcc, s4, v3
	s_mov_b64 s[4:5], 0
                                        ; implicit-def: $vgpr3
	s_and_saveexec_b64 s[6:7], vcc
	s_xor_b64 s[6:7], exec, s[6:7]
	s_cbranch_execz .LBB151_2153
; %bb.2052:
	v_bfe_u32 v3, v2, 21, 1
	s_mov_b32 s8, 0x88fffff
	v_add3_u32 v3, v2, v3, s8
	s_mov_b64 s[4:5], exec
	v_lshrrev_b32_e32 v3, 21, v3
	s_andn2_saveexec_b64 s[6:7], s[6:7]
	s_cbranch_execnz .LBB151_2154
.LBB151_2053:
	s_or_b64 exec, exec, s[6:7]
	v_mov_b32_e32 v4, 0
	s_and_saveexec_b64 s[6:7], s[4:5]
.LBB151_2054:
	v_lshrrev_b32_e32 v4, 24, v2
	s_movk_i32 s4, 0x80
	v_and_or_b32 v4, v4, s4, v3
.LBB151_2055:
	s_or_b64 exec, exec, s[6:7]
.LBB151_2056:
	s_or_b64 exec, exec, s[2:3]
	s_mov_b64 s[2:3], 0
	global_store_byte v[0:1], v4, off
.LBB151_2057:
	s_and_b64 vcc, exec, s[2:3]
	s_cbranch_vccz .LBB151_2067
; %bb.2058:
	v_and_b32_e32 v4, 0x7fffffff, v2
	s_mov_b32 s2, 0x43f00000
	v_cmp_gt_u32_e32 vcc, s2, v4
                                        ; implicit-def: $vgpr3
	s_and_saveexec_b64 s[2:3], vcc
	s_xor_b64 s[2:3], exec, s[2:3]
	s_cbranch_execz .LBB151_2064
; %bb.2059:
	s_mov_b32 s4, 0x3c7fffff
	v_cmp_lt_u32_e32 vcc, s4, v4
                                        ; implicit-def: $vgpr3
	s_and_saveexec_b64 s[4:5], vcc
	s_xor_b64 s[4:5], exec, s[4:5]
; %bb.2060:
	v_bfe_u32 v3, v2, 20, 1
	s_mov_b32 s6, 0x407ffff
	v_add3_u32 v3, v2, v3, s6
	v_lshrrev_b32_e32 v4, 20, v3
	v_and_b32_e32 v3, 0xff00000, v3
	s_mov_b32 s6, 0x7f00000
	v_mov_b32_e32 v5, 0x7e
	v_cmp_ne_u32_e32 vcc, s6, v3
	v_cndmask_b32_e32 v3, v5, v4, vcc
; %bb.2061:
	s_andn2_saveexec_b64 s[4:5], s[4:5]
; %bb.2062:
	s_mov_b32 s6, 0x46800000
	v_add_f32_e64 v3, |v2|, s6
; %bb.2063:
	s_or_b64 exec, exec, s[4:5]
                                        ; implicit-def: $vgpr4
.LBB151_2064:
	s_andn2_saveexec_b64 s[2:3], s[2:3]
; %bb.2065:
	s_mov_b32 s4, 0x7f800000
	v_mov_b32_e32 v3, 0x7e
	v_mov_b32_e32 v5, 0x7f
	v_cmp_lt_u32_e32 vcc, s4, v4
	v_cndmask_b32_e32 v3, v3, v5, vcc
; %bb.2066:
	s_or_b64 exec, exec, s[2:3]
	v_lshrrev_b32_e32 v4, 24, v2
	s_movk_i32 s2, 0x80
	v_and_or_b32 v3, v4, s2, v3
	global_store_byte v[0:1], v3, off
.LBB151_2067:
	s_mov_b64 s[2:3], 0
.LBB151_2068:
	s_andn2_b64 vcc, exec, s[2:3]
	s_cbranch_vccnz .LBB151_2078
; %bb.2069:
	v_and_b32_e32 v4, 0x7fffffff, v2
	s_mov_b32 s2, 0x47800000
	v_cmp_gt_u32_e32 vcc, s2, v4
                                        ; implicit-def: $vgpr3
	s_and_saveexec_b64 s[2:3], vcc
	s_xor_b64 s[2:3], exec, s[2:3]
	s_cbranch_execz .LBB151_2075
; %bb.2070:
	s_mov_b32 s4, 0x387fffff
	v_cmp_lt_u32_e32 vcc, s4, v4
                                        ; implicit-def: $vgpr3
	s_and_saveexec_b64 s[4:5], vcc
	s_xor_b64 s[4:5], exec, s[4:5]
; %bb.2071:
	v_bfe_u32 v3, v2, 21, 1
	s_mov_b32 s6, 0x80fffff
	v_add3_u32 v3, v2, v3, s6
	v_lshrrev_b32_e32 v3, 21, v3
; %bb.2072:
	s_andn2_saveexec_b64 s[4:5], s[4:5]
; %bb.2073:
	s_mov_b32 s6, 0x43000000
	v_add_f32_e64 v3, |v2|, s6
; %bb.2074:
	s_or_b64 exec, exec, s[4:5]
                                        ; implicit-def: $vgpr4
.LBB151_2075:
	s_andn2_saveexec_b64 s[2:3], s[2:3]
; %bb.2076:
	s_mov_b32 s4, 0x7f800000
	v_mov_b32_e32 v3, 0x7c
	v_mov_b32_e32 v5, 0x7f
	v_cmp_lt_u32_e32 vcc, s4, v4
	v_cndmask_b32_e32 v3, v3, v5, vcc
; %bb.2077:
	s_or_b64 exec, exec, s[2:3]
	v_lshrrev_b32_e32 v4, 24, v2
	s_movk_i32 s2, 0x80
	v_and_or_b32 v3, v4, s2, v3
	global_store_byte v[0:1], v3, off
.LBB151_2078:
	s_mov_b64 s[2:3], 0
.LBB151_2079:
	s_andn2_b64 vcc, exec, s[2:3]
	s_mov_b64 s[2:3], 0
	s_cbranch_vccnz .LBB151_2086
; %bb.2080:
	s_cmp_gt_i32 s19, 14
	s_mov_b64 s[4:5], -1
	s_cbranch_scc0 .LBB151_2084
; %bb.2081:
	s_cmp_eq_u32 s19, 15
	s_mov_b64 s[0:1], -1
	s_cbranch_scc0 .LBB151_2083
; %bb.2082:
	v_bfe_u32 v3, v2, 16, 1
	s_movk_i32 s0, 0x7fff
	v_add3_u32 v3, v2, v3, s0
	v_cmp_o_f32_e32 vcc, v2, v2
	v_mov_b32_e32 v4, 0x7fc0
	v_cndmask_b32_sdwa v3, v4, v3, vcc dst_sel:DWORD dst_unused:UNUSED_PAD src0_sel:DWORD src1_sel:WORD_1
	global_store_short v[0:1], v3, off
	s_mov_b64 s[0:1], 0
.LBB151_2083:
	s_mov_b64 s[4:5], 0
.LBB151_2084:
	s_and_b64 vcc, exec, s[4:5]
	s_cbranch_vccz .LBB151_2086
; %bb.2085:
	s_cmp_lg_u32 s19, 11
	s_mov_b64 s[2:3], -1
	s_cselect_b64 s[0:1], -1, 0
.LBB151_2086:
	s_and_b64 vcc, exec, s[0:1]
	s_cbranch_vccnz .LBB151_2152
.LBB151_2087:
	s_mov_b64 s[0:1], 0
	s_branch .LBB151_2089
.LBB151_2088:
	s_mov_b64 s[0:1], 0
	s_mov_b64 s[2:3], 0
                                        ; implicit-def: $vgpr0_vgpr1
                                        ; implicit-def: $sgpr18
                                        ; implicit-def: $vgpr2
.LBB151_2089:
	s_and_b64 s[6:7], s[2:3], exec
	s_andn2_b64 s[2:3], s[28:29], exec
	s_and_b64 s[4:5], s[12:13], exec
	s_and_b64 s[0:1], s[0:1], exec
	s_or_b64 s[28:29], s[2:3], s[4:5]
.LBB151_2090:
	s_or_b64 exec, exec, s[30:31]
	s_and_saveexec_b64 s[2:3], s[28:29]
	s_cbranch_execz .LBB151_2093
; %bb.2091:
	; divergent unreachable
	s_or_b64 exec, exec, s[2:3]
	s_and_saveexec_b64 s[2:3], s[6:7]
	s_xor_b64 s[2:3], exec, s[2:3]
	s_cbranch_execnz .LBB151_2094
.LBB151_2092:
	s_or_b64 exec, exec, s[2:3]
	s_and_saveexec_b64 s[2:3], s[0:1]
	s_cbranch_execnz .LBB151_2095
	s_branch .LBB151_2132
.LBB151_2093:
	s_or_b64 exec, exec, s[2:3]
	s_and_saveexec_b64 s[2:3], s[6:7]
	s_xor_b64 s[2:3], exec, s[2:3]
	s_cbranch_execz .LBB151_2092
.LBB151_2094:
	v_cmp_neq_f32_e32 vcc, 0, v2
	s_waitcnt vmcnt(0)
	v_cndmask_b32_e64 v3, 0, 1, vcc
	global_store_byte v[0:1], v3, off
	s_or_b64 exec, exec, s[2:3]
	s_and_saveexec_b64 s[2:3], s[0:1]
	s_cbranch_execz .LBB151_2132
.LBB151_2095:
	s_sext_i32_i16 s2, s18
	s_cmp_lt_i32 s2, 5
	s_mov_b64 s[0:1], -1
	s_cbranch_scc1 .LBB151_2116
; %bb.2096:
	s_cmp_lt_i32 s2, 8
	s_cbranch_scc1 .LBB151_2106
; %bb.2097:
	s_cmp_lt_i32 s2, 9
	s_cbranch_scc1 .LBB151_2103
; %bb.2098:
	s_cmp_gt_i32 s2, 9
	s_cbranch_scc0 .LBB151_2100
; %bb.2099:
	s_waitcnt vmcnt(0)
	v_cvt_f64_f32_e32 v[3:4], v2
	v_mov_b32_e32 v5, 0
	v_mov_b32_e32 v6, v5
	s_mov_b64 s[0:1], 0
	global_store_dwordx4 v[0:1], v[3:6], off
.LBB151_2100:
	s_andn2_b64 vcc, exec, s[0:1]
	s_cbranch_vccnz .LBB151_2102
; %bb.2101:
	s_waitcnt vmcnt(0)
	v_mov_b32_e32 v3, 0
	global_store_dwordx2 v[0:1], v[2:3], off
.LBB151_2102:
	s_mov_b64 s[0:1], 0
.LBB151_2103:
	s_andn2_b64 vcc, exec, s[0:1]
	s_cbranch_vccnz .LBB151_2105
; %bb.2104:
	s_waitcnt vmcnt(0)
	v_cvt_f16_f32_e32 v3, v2
	global_store_dword v[0:1], v3, off
.LBB151_2105:
	s_mov_b64 s[0:1], 0
.LBB151_2106:
	s_andn2_b64 vcc, exec, s[0:1]
	s_cbranch_vccnz .LBB151_2115
; %bb.2107:
	s_sext_i32_i16 s2, s18
	s_cmp_lt_i32 s2, 6
	s_mov_b64 s[0:1], -1
	s_cbranch_scc1 .LBB151_2113
; %bb.2108:
	s_cmp_gt_i32 s2, 6
	s_cbranch_scc0 .LBB151_2110
; %bb.2109:
	s_waitcnt vmcnt(0)
	v_cvt_f64_f32_e32 v[3:4], v2
	s_mov_b64 s[0:1], 0
	global_store_dwordx2 v[0:1], v[3:4], off
.LBB151_2110:
	s_andn2_b64 vcc, exec, s[0:1]
	s_cbranch_vccnz .LBB151_2112
; %bb.2111:
	s_waitcnt vmcnt(0)
	global_store_dword v[0:1], v2, off
.LBB151_2112:
	s_mov_b64 s[0:1], 0
.LBB151_2113:
	s_andn2_b64 vcc, exec, s[0:1]
	s_cbranch_vccnz .LBB151_2115
; %bb.2114:
	s_waitcnt vmcnt(0)
	v_cvt_f16_f32_e32 v3, v2
	global_store_short v[0:1], v3, off
.LBB151_2115:
	s_mov_b64 s[0:1], 0
.LBB151_2116:
	s_andn2_b64 vcc, exec, s[0:1]
	s_cbranch_vccnz .LBB151_2132
; %bb.2117:
	s_sext_i32_i16 s2, s18
	s_cmp_lt_i32 s2, 2
	s_mov_b64 s[0:1], -1
	s_cbranch_scc1 .LBB151_2127
; %bb.2118:
	s_cmp_lt_i32 s2, 3
	s_cbranch_scc1 .LBB151_2124
; %bb.2119:
	s_cmp_gt_i32 s2, 3
	s_cbranch_scc0 .LBB151_2121
; %bb.2120:
	s_waitcnt vmcnt(0)
	v_trunc_f32_e32 v3, v2
	s_mov_b32 s0, 0x2f800000
	v_mul_f32_e64 v4, |v3|, s0
	v_floor_f32_e32 v4, v4
	s_mov_b32 s0, 0xcf800000
	v_cvt_u32_f32_e32 v5, v4
	v_fma_f32 v4, v4, s0, |v3|
	v_cvt_u32_f32_e32 v4, v4
	v_ashrrev_i32_e32 v6, 31, v3
	v_xor_b32_e32 v5, v5, v6
	s_mov_b64 s[0:1], 0
	v_xor_b32_e32 v3, v4, v6
	v_sub_co_u32_e32 v3, vcc, v3, v6
	v_subb_co_u32_e32 v4, vcc, v5, v6, vcc
	global_store_dwordx2 v[0:1], v[3:4], off
.LBB151_2121:
	s_andn2_b64 vcc, exec, s[0:1]
	s_cbranch_vccnz .LBB151_2123
; %bb.2122:
	s_waitcnt vmcnt(0)
	v_cvt_i32_f32_e32 v3, v2
	global_store_dword v[0:1], v3, off
.LBB151_2123:
	s_mov_b64 s[0:1], 0
.LBB151_2124:
	s_andn2_b64 vcc, exec, s[0:1]
	s_cbranch_vccnz .LBB151_2126
; %bb.2125:
	s_waitcnt vmcnt(0)
	v_cvt_i32_f32_e32 v3, v2
	global_store_short v[0:1], v3, off
.LBB151_2126:
	s_mov_b64 s[0:1], 0
.LBB151_2127:
	s_andn2_b64 vcc, exec, s[0:1]
	s_cbranch_vccnz .LBB151_2132
; %bb.2128:
	s_sext_i32_i16 s0, s18
	s_cmp_gt_i32 s0, 0
	s_mov_b64 s[0:1], -1
	s_cbranch_scc0 .LBB151_2130
; %bb.2129:
	s_waitcnt vmcnt(0)
	v_cvt_i32_f32_e32 v3, v2
	s_mov_b64 s[0:1], 0
	global_store_byte v[0:1], v3, off
.LBB151_2130:
	s_andn2_b64 vcc, exec, s[0:1]
	s_cbranch_vccnz .LBB151_2132
; %bb.2131:
	v_trunc_f32_e32 v2, v2
	s_mov_b32 s0, 0x2f800000
	s_waitcnt vmcnt(0)
	v_mul_f32_e64 v3, |v2|, s0
	v_floor_f32_e32 v3, v3
	s_mov_b32 s0, 0xcf800000
	v_fma_f32 v3, v3, s0, |v2|
	v_cvt_u32_f32_e32 v3, v3
	v_ashrrev_i32_e32 v2, 31, v2
	v_xor_b32_e32 v3, v3, v2
	v_sub_u32_e32 v2, v3, v2
	global_store_byte v[0:1], v2, off
	s_endpgm
.LBB151_2132:
	s_endpgm
.LBB151_2133:
	s_mov_b64 s[2:3], 0
	s_mov_b64 s[0:1], -1
	s_branch .LBB151_2089
.LBB151_2134:
	s_trap 2
	s_or_b64 s[12:13], s[12:13], exec
	s_cbranch_execz .LBB151_1603
	s_branch .LBB151_1604
.LBB151_2135:
	s_andn2_saveexec_b64 s[16:17], s[16:17]
	s_cbranch_execz .LBB151_1683
.LBB151_2136:
	s_mov_b32 s19, 0x46000000
	v_add_f32_e64 v1, |v7|, s19
	v_and_b32_e32 v1, 0xff, v1
	v_cmp_ne_u32_e32 vcc, 0, v1
	s_andn2_b64 s[14:15], s[14:15], exec
	s_and_b64 s[20:21], vcc, exec
	s_or_b64 s[14:15], s[14:15], s[20:21]
	s_or_b64 exec, exec, s[16:17]
	v_mov_b32_e32 v8, 0
	s_and_saveexec_b64 s[16:17], s[14:15]
	s_cbranch_execnz .LBB151_1684
	s_branch .LBB151_1685
.LBB151_2137:
	s_trap 2
	s_or_b64 s[12:13], s[12:13], exec
	s_cbranch_execz .LBB151_1731
	s_branch .LBB151_1732
.LBB151_2138:
	s_andn2_saveexec_b64 s[14:15], s[14:15]
	s_cbranch_execz .LBB151_1696
.LBB151_2139:
	s_mov_b32 s16, 0x42800000
	v_add_f32_e64 v1, |v7|, s16
	v_and_b32_e32 v1, 0xff, v1
	v_cmp_ne_u32_e32 vcc, 0, v1
	s_andn2_b64 s[10:11], s[10:11], exec
	s_and_b64 s[16:17], vcc, exec
	s_or_b64 s[10:11], s[10:11], s[16:17]
	s_or_b64 exec, exec, s[14:15]
	v_mov_b32_e32 v8, 0
	s_and_saveexec_b64 s[14:15], s[10:11]
	s_cbranch_execnz .LBB151_1697
	s_branch .LBB151_1698
.LBB151_2140:
	s_andn2_saveexec_b64 s[16:17], s[16:17]
	s_cbranch_execz .LBB151_1802
.LBB151_2141:
	s_mov_b32 s4, 0x46000000
	v_add_f32_e64 v1, |v5|, s4
	v_and_b32_e32 v1, 0xff, v1
	v_cmp_ne_u32_e32 vcc, 0, v1
	s_andn2_b64 s[14:15], s[14:15], exec
	s_and_b64 s[20:21], vcc, exec
	s_or_b64 s[14:15], s[14:15], s[20:21]
	s_or_b64 exec, exec, s[16:17]
	v_mov_b32_e32 v6, 0
	s_and_saveexec_b64 s[16:17], s[14:15]
	s_cbranch_execnz .LBB151_1803
	s_branch .LBB151_1804
.LBB151_2142:
	s_trap 2
	s_or_b64 s[12:13], s[12:13], exec
	s_cbranch_execz .LBB151_1850
	s_branch .LBB151_1851
.LBB151_2143:
	s_andn2_saveexec_b64 s[14:15], s[14:15]
	s_cbranch_execz .LBB151_1815
.LBB151_2144:
	s_mov_b32 s4, 0x42800000
	v_add_f32_e64 v1, |v5|, s4
	v_and_b32_e32 v1, 0xff, v1
	v_cmp_ne_u32_e32 vcc, 0, v1
	s_andn2_b64 s[10:11], s[10:11], exec
	s_and_b64 s[16:17], vcc, exec
	s_or_b64 s[10:11], s[10:11], s[16:17]
	s_or_b64 exec, exec, s[14:15]
	v_mov_b32_e32 v6, 0
	s_and_saveexec_b64 s[14:15], s[10:11]
	s_cbranch_execnz .LBB151_1816
	s_branch .LBB151_1817
.LBB151_2145:
	s_andn2_saveexec_b64 s[16:17], s[16:17]
	s_cbranch_execz .LBB151_1921
.LBB151_2146:
	s_mov_b32 s4, 0x46000000
	v_add_f32_e64 v4, |v3|, s4
	v_and_b32_e32 v4, 0xff, v4
	v_cmp_ne_u32_e32 vcc, 0, v4
	s_andn2_b64 s[14:15], s[14:15], exec
	s_and_b64 s[20:21], vcc, exec
	s_or_b64 s[14:15], s[14:15], s[20:21]
	s_or_b64 exec, exec, s[16:17]
	v_mov_b32_e32 v5, 0
	s_and_saveexec_b64 s[16:17], s[14:15]
	s_cbranch_execnz .LBB151_1922
	s_branch .LBB151_1923
.LBB151_2147:
	s_trap 2
	s_or_b64 s[12:13], s[12:13], exec
	s_cbranch_execz .LBB151_1969
	s_branch .LBB151_1970
.LBB151_2148:
	s_andn2_saveexec_b64 s[14:15], s[14:15]
	s_cbranch_execz .LBB151_1934
.LBB151_2149:
	s_mov_b32 s4, 0x42800000
	v_add_f32_e64 v4, |v3|, s4
	v_and_b32_e32 v4, 0xff, v4
	v_cmp_ne_u32_e32 vcc, 0, v4
	s_andn2_b64 s[10:11], s[10:11], exec
	s_and_b64 s[16:17], vcc, exec
	s_or_b64 s[10:11], s[10:11], s[16:17]
	s_or_b64 exec, exec, s[14:15]
	v_mov_b32_e32 v5, 0
	s_and_saveexec_b64 s[14:15], s[10:11]
	s_cbranch_execnz .LBB151_1935
	s_branch .LBB151_1936
.LBB151_2150:
	s_andn2_saveexec_b64 s[8:9], s[8:9]
	s_cbranch_execz .LBB151_2041
.LBB151_2151:
	s_mov_b32 s10, 0x46000000
	v_add_f32_e64 v3, |v2|, s10
	v_and_b32_e32 v3, 0xff, v3
	v_cmp_ne_u32_e32 vcc, 0, v3
	s_andn2_b64 s[6:7], s[6:7], exec
	s_and_b64 s[10:11], vcc, exec
	s_or_b64 s[6:7], s[6:7], s[10:11]
	s_or_b64 exec, exec, s[8:9]
	v_mov_b32_e32 v4, 0
	s_and_saveexec_b64 s[8:9], s[6:7]
	s_cbranch_execnz .LBB151_2042
	s_branch .LBB151_2043
.LBB151_2152:
	s_mov_b64 s[2:3], 0
	s_or_b64 s[12:13], s[12:13], exec
	s_trap 2
	s_branch .LBB151_2087
.LBB151_2153:
	s_andn2_saveexec_b64 s[6:7], s[6:7]
	s_cbranch_execz .LBB151_2053
.LBB151_2154:
	s_mov_b32 s8, 0x42800000
	v_add_f32_e64 v3, |v2|, s8
	v_and_b32_e32 v3, 0xff, v3
	v_cmp_ne_u32_e32 vcc, 0, v3
	s_andn2_b64 s[4:5], s[4:5], exec
	s_and_b64 s[8:9], vcc, exec
	s_or_b64 s[4:5], s[4:5], s[8:9]
	s_or_b64 exec, exec, s[6:7]
	v_mov_b32_e32 v4, 0
	s_and_saveexec_b64 s[6:7], s[4:5]
	s_cbranch_execnz .LBB151_2054
	s_branch .LBB151_2055
	.section	.rodata,"a",@progbits
	.p2align	6, 0x0
	.amdhsa_kernel _ZN2at6native32elementwise_kernel_manual_unrollILi128ELi4EZNS0_15gpu_kernel_implINS0_13AUnaryFunctorIfffZNS0_12_GLOBAL__N_121threshold_kernel_implIfEEvRNS_18TensorIteratorBaseET_S8_EUlffE_EEEEvS7_RKS8_EUlibE0_EEviT1_
		.amdhsa_group_segment_fixed_size 0
		.amdhsa_private_segment_fixed_size 0
		.amdhsa_kernarg_size 368
		.amdhsa_user_sgpr_count 6
		.amdhsa_user_sgpr_private_segment_buffer 1
		.amdhsa_user_sgpr_dispatch_ptr 0
		.amdhsa_user_sgpr_queue_ptr 0
		.amdhsa_user_sgpr_kernarg_segment_ptr 1
		.amdhsa_user_sgpr_dispatch_id 0
		.amdhsa_user_sgpr_flat_scratch_init 0
		.amdhsa_user_sgpr_private_segment_size 0
		.amdhsa_uses_dynamic_stack 0
		.amdhsa_system_sgpr_private_segment_wavefront_offset 0
		.amdhsa_system_sgpr_workgroup_id_x 1
		.amdhsa_system_sgpr_workgroup_id_y 0
		.amdhsa_system_sgpr_workgroup_id_z 0
		.amdhsa_system_sgpr_workgroup_info 0
		.amdhsa_system_vgpr_workitem_id 0
		.amdhsa_next_free_vgpr 18
		.amdhsa_next_free_sgpr 81
		.amdhsa_reserve_vcc 1
		.amdhsa_reserve_flat_scratch 0
		.amdhsa_float_round_mode_32 0
		.amdhsa_float_round_mode_16_64 0
		.amdhsa_float_denorm_mode_32 3
		.amdhsa_float_denorm_mode_16_64 3
		.amdhsa_dx10_clamp 1
		.amdhsa_ieee_mode 1
		.amdhsa_fp16_overflow 0
		.amdhsa_exception_fp_ieee_invalid_op 0
		.amdhsa_exception_fp_denorm_src 0
		.amdhsa_exception_fp_ieee_div_zero 0
		.amdhsa_exception_fp_ieee_overflow 0
		.amdhsa_exception_fp_ieee_underflow 0
		.amdhsa_exception_fp_ieee_inexact 0
		.amdhsa_exception_int_div_zero 0
	.end_amdhsa_kernel
	.section	.text._ZN2at6native32elementwise_kernel_manual_unrollILi128ELi4EZNS0_15gpu_kernel_implINS0_13AUnaryFunctorIfffZNS0_12_GLOBAL__N_121threshold_kernel_implIfEEvRNS_18TensorIteratorBaseET_S8_EUlffE_EEEEvS7_RKS8_EUlibE0_EEviT1_,"axG",@progbits,_ZN2at6native32elementwise_kernel_manual_unrollILi128ELi4EZNS0_15gpu_kernel_implINS0_13AUnaryFunctorIfffZNS0_12_GLOBAL__N_121threshold_kernel_implIfEEvRNS_18TensorIteratorBaseET_S8_EUlffE_EEEEvS7_RKS8_EUlibE0_EEviT1_,comdat
.Lfunc_end151:
	.size	_ZN2at6native32elementwise_kernel_manual_unrollILi128ELi4EZNS0_15gpu_kernel_implINS0_13AUnaryFunctorIfffZNS0_12_GLOBAL__N_121threshold_kernel_implIfEEvRNS_18TensorIteratorBaseET_S8_EUlffE_EEEEvS7_RKS8_EUlibE0_EEviT1_, .Lfunc_end151-_ZN2at6native32elementwise_kernel_manual_unrollILi128ELi4EZNS0_15gpu_kernel_implINS0_13AUnaryFunctorIfffZNS0_12_GLOBAL__N_121threshold_kernel_implIfEEvRNS_18TensorIteratorBaseET_S8_EUlffE_EEEEvS7_RKS8_EUlibE0_EEviT1_
                                        ; -- End function
	.set _ZN2at6native32elementwise_kernel_manual_unrollILi128ELi4EZNS0_15gpu_kernel_implINS0_13AUnaryFunctorIfffZNS0_12_GLOBAL__N_121threshold_kernel_implIfEEvRNS_18TensorIteratorBaseET_S8_EUlffE_EEEEvS7_RKS8_EUlibE0_EEviT1_.num_vgpr, 18
	.set _ZN2at6native32elementwise_kernel_manual_unrollILi128ELi4EZNS0_15gpu_kernel_implINS0_13AUnaryFunctorIfffZNS0_12_GLOBAL__N_121threshold_kernel_implIfEEvRNS_18TensorIteratorBaseET_S8_EUlffE_EEEEvS7_RKS8_EUlibE0_EEviT1_.num_agpr, 0
	.set _ZN2at6native32elementwise_kernel_manual_unrollILi128ELi4EZNS0_15gpu_kernel_implINS0_13AUnaryFunctorIfffZNS0_12_GLOBAL__N_121threshold_kernel_implIfEEvRNS_18TensorIteratorBaseET_S8_EUlffE_EEEEvS7_RKS8_EUlibE0_EEviT1_.numbered_sgpr, 81
	.set _ZN2at6native32elementwise_kernel_manual_unrollILi128ELi4EZNS0_15gpu_kernel_implINS0_13AUnaryFunctorIfffZNS0_12_GLOBAL__N_121threshold_kernel_implIfEEvRNS_18TensorIteratorBaseET_S8_EUlffE_EEEEvS7_RKS8_EUlibE0_EEviT1_.num_named_barrier, 0
	.set _ZN2at6native32elementwise_kernel_manual_unrollILi128ELi4EZNS0_15gpu_kernel_implINS0_13AUnaryFunctorIfffZNS0_12_GLOBAL__N_121threshold_kernel_implIfEEvRNS_18TensorIteratorBaseET_S8_EUlffE_EEEEvS7_RKS8_EUlibE0_EEviT1_.private_seg_size, 0
	.set _ZN2at6native32elementwise_kernel_manual_unrollILi128ELi4EZNS0_15gpu_kernel_implINS0_13AUnaryFunctorIfffZNS0_12_GLOBAL__N_121threshold_kernel_implIfEEvRNS_18TensorIteratorBaseET_S8_EUlffE_EEEEvS7_RKS8_EUlibE0_EEviT1_.uses_vcc, 1
	.set _ZN2at6native32elementwise_kernel_manual_unrollILi128ELi4EZNS0_15gpu_kernel_implINS0_13AUnaryFunctorIfffZNS0_12_GLOBAL__N_121threshold_kernel_implIfEEvRNS_18TensorIteratorBaseET_S8_EUlffE_EEEEvS7_RKS8_EUlibE0_EEviT1_.uses_flat_scratch, 0
	.set _ZN2at6native32elementwise_kernel_manual_unrollILi128ELi4EZNS0_15gpu_kernel_implINS0_13AUnaryFunctorIfffZNS0_12_GLOBAL__N_121threshold_kernel_implIfEEvRNS_18TensorIteratorBaseET_S8_EUlffE_EEEEvS7_RKS8_EUlibE0_EEviT1_.has_dyn_sized_stack, 0
	.set _ZN2at6native32elementwise_kernel_manual_unrollILi128ELi4EZNS0_15gpu_kernel_implINS0_13AUnaryFunctorIfffZNS0_12_GLOBAL__N_121threshold_kernel_implIfEEvRNS_18TensorIteratorBaseET_S8_EUlffE_EEEEvS7_RKS8_EUlibE0_EEviT1_.has_recursion, 0
	.set _ZN2at6native32elementwise_kernel_manual_unrollILi128ELi4EZNS0_15gpu_kernel_implINS0_13AUnaryFunctorIfffZNS0_12_GLOBAL__N_121threshold_kernel_implIfEEvRNS_18TensorIteratorBaseET_S8_EUlffE_EEEEvS7_RKS8_EUlibE0_EEviT1_.has_indirect_call, 0
	.section	.AMDGPU.csdata,"",@progbits
; Kernel info:
; codeLenInByte = 37612
; TotalNumSgprs: 85
; NumVgprs: 18
; ScratchSize: 0
; MemoryBound: 1
; FloatMode: 240
; IeeeMode: 1
; LDSByteSize: 0 bytes/workgroup (compile time only)
; SGPRBlocks: 10
; VGPRBlocks: 4
; NumSGPRsForWavesPerEU: 85
; NumVGPRsForWavesPerEU: 18
; Occupancy: 9
; WaveLimiterHint : 1
; COMPUTE_PGM_RSRC2:SCRATCH_EN: 0
; COMPUTE_PGM_RSRC2:USER_SGPR: 6
; COMPUTE_PGM_RSRC2:TRAP_HANDLER: 0
; COMPUTE_PGM_RSRC2:TGID_X_EN: 1
; COMPUTE_PGM_RSRC2:TGID_Y_EN: 0
; COMPUTE_PGM_RSRC2:TGID_Z_EN: 0
; COMPUTE_PGM_RSRC2:TIDIG_COMP_CNT: 0
	.section	.text._ZN2at6native29vectorized_elementwise_kernelILi16ENS0_13BUnaryFunctorIfffZNS0_12_GLOBAL__N_121threshold_kernel_implIfEEvRNS_18TensorIteratorBaseET_S7_EUlffE_EESt5arrayIPcLm2EEEEviT0_T1_,"axG",@progbits,_ZN2at6native29vectorized_elementwise_kernelILi16ENS0_13BUnaryFunctorIfffZNS0_12_GLOBAL__N_121threshold_kernel_implIfEEvRNS_18TensorIteratorBaseET_S7_EUlffE_EESt5arrayIPcLm2EEEEviT0_T1_,comdat
	.globl	_ZN2at6native29vectorized_elementwise_kernelILi16ENS0_13BUnaryFunctorIfffZNS0_12_GLOBAL__N_121threshold_kernel_implIfEEvRNS_18TensorIteratorBaseET_S7_EUlffE_EESt5arrayIPcLm2EEEEviT0_T1_ ; -- Begin function _ZN2at6native29vectorized_elementwise_kernelILi16ENS0_13BUnaryFunctorIfffZNS0_12_GLOBAL__N_121threshold_kernel_implIfEEvRNS_18TensorIteratorBaseET_S7_EUlffE_EESt5arrayIPcLm2EEEEviT0_T1_
	.p2align	8
	.type	_ZN2at6native29vectorized_elementwise_kernelILi16ENS0_13BUnaryFunctorIfffZNS0_12_GLOBAL__N_121threshold_kernel_implIfEEvRNS_18TensorIteratorBaseET_S7_EUlffE_EESt5arrayIPcLm2EEEEviT0_T1_,@function
_ZN2at6native29vectorized_elementwise_kernelILi16ENS0_13BUnaryFunctorIfffZNS0_12_GLOBAL__N_121threshold_kernel_implIfEEvRNS_18TensorIteratorBaseET_S7_EUlffE_EESt5arrayIPcLm2EEEEviT0_T1_: ; @_ZN2at6native29vectorized_elementwise_kernelILi16ENS0_13BUnaryFunctorIfffZNS0_12_GLOBAL__N_121threshold_kernel_implIfEEvRNS_18TensorIteratorBaseET_S7_EUlffE_EESt5arrayIPcLm2EEEEviT0_T1_
; %bb.0:
	s_load_dwordx8 s[8:15], s[4:5], 0x0
	s_lshl_b32 s2, s6, 10
	s_mov_b64 s[0:1], -1
	s_waitcnt lgkmcnt(0)
	s_sub_i32 s6, s8, s2
	s_cmpk_gt_i32 s6, 0x3ff
	s_cbranch_scc0 .LBB152_2
; %bb.1:
	s_ashr_i32 s3, s2, 31
	s_lshl_b64 s[0:1], s[2:3], 2
	s_add_u32 s4, s14, s0
	s_addc_u32 s5, s15, s1
	v_lshlrev_b32_e32 v5, 4, v0
	global_load_dwordx4 v[1:4], v5, s[4:5]
	v_mov_b32_e32 v6, s10
	v_mov_b32_e32 v7, s11
	s_add_u32 s0, s12, s0
	s_addc_u32 s1, s13, s1
	s_waitcnt vmcnt(0)
	v_cmp_nge_f32_e32 vcc, s9, v1
	v_cndmask_b32_e32 v1, v6, v7, vcc
	v_cmp_nge_f32_e32 vcc, s9, v2
	v_cndmask_b32_e32 v2, v6, v7, vcc
	;; [unrolled: 2-line block ×4, first 2 shown]
	global_store_dwordx4 v5, v[1:4], s[0:1]
	s_mov_b64 s[0:1], 0
.LBB152_2:
	s_andn2_b64 vcc, exec, s[0:1]
	s_cbranch_vccnz .LBB152_16
; %bb.3:
	v_cmp_gt_i32_e32 vcc, s6, v0
	v_mov_b32_e32 v3, 0
	v_or_b32_e32 v1, s2, v0
	v_mov_b32_e32 v2, 0
	v_mov_b32_e32 v4, v0
	s_and_saveexec_b64 s[4:5], vcc
	s_cbranch_execz .LBB152_5
; %bb.4:
	v_mov_b32_e32 v2, 0
	v_lshlrev_b64 v[4:5], 2, v[1:2]
	v_mov_b32_e32 v2, s15
	v_add_co_u32_e64 v4, s[0:1], s14, v4
	v_addc_co_u32_e64 v5, s[0:1], v2, v5, s[0:1]
	global_load_dword v2, v[4:5], off
	v_or_b32_e32 v4, 0x100, v0
.LBB152_5:
	s_or_b64 exec, exec, s[4:5]
	v_cmp_gt_i32_e64 s[0:1], s6, v4
	s_and_saveexec_b64 s[4:5], s[0:1]
	s_cbranch_execz .LBB152_7
; %bb.6:
	v_add_u32_e32 v5, s2, v4
	v_mov_b32_e32 v6, 0
	v_lshlrev_b64 v[5:6], 2, v[5:6]
	v_mov_b32_e32 v3, s15
	v_add_co_u32_e64 v5, s[0:1], s14, v5
	v_addc_co_u32_e64 v6, s[0:1], v3, v6, s[0:1]
	global_load_dword v3, v[5:6], off
	v_add_u32_e32 v4, 0x100, v4
.LBB152_7:
	s_or_b64 exec, exec, s[4:5]
	v_cmp_gt_i32_e64 s[0:1], s6, v4
	v_mov_b32_e32 v5, 0
	v_mov_b32_e32 v7, 0
	s_and_saveexec_b64 s[4:5], s[0:1]
	s_cbranch_execz .LBB152_9
; %bb.8:
	v_add_u32_e32 v6, s2, v4
	v_mov_b32_e32 v7, 0
	v_lshlrev_b64 v[6:7], 2, v[6:7]
	v_mov_b32_e32 v8, s15
	v_add_co_u32_e64 v6, s[0:1], s14, v6
	v_addc_co_u32_e64 v7, s[0:1], v8, v7, s[0:1]
	global_load_dword v7, v[6:7], off
	v_add_u32_e32 v4, 0x100, v4
.LBB152_9:
	s_or_b64 exec, exec, s[4:5]
	v_cmp_gt_i32_e64 s[0:1], s6, v4
	s_and_saveexec_b64 s[4:5], s[0:1]
	s_cbranch_execz .LBB152_11
; %bb.10:
	v_add_u32_e32 v4, s2, v4
	v_mov_b32_e32 v5, 0
	v_lshlrev_b64 v[4:5], 2, v[4:5]
	v_mov_b32_e32 v6, s15
	v_add_co_u32_e64 v4, s[0:1], s14, v4
	v_addc_co_u32_e64 v5, s[0:1], v6, v5, s[0:1]
	global_load_dword v5, v[4:5], off
.LBB152_11:
	s_or_b64 exec, exec, s[4:5]
	v_mov_b32_e32 v10, s10
	v_mov_b32_e32 v11, s11
	s_waitcnt vmcnt(0)
	v_cmp_nge_f32_e64 s[0:1], s9, v2
	v_cndmask_b32_e64 v2, v10, v11, s[0:1]
	v_or_b32_e32 v8, 0x100, v0
	v_cmp_nge_f32_e64 s[0:1], s9, v3
	v_cndmask_b32_e32 v9, 0, v2, vcc
	v_cndmask_b32_e64 v2, v10, v11, s[0:1]
	v_cmp_gt_i32_e64 s[0:1], s6, v8
	v_cndmask_b32_e64 v6, 0, v2, s[0:1]
	v_or_b32_e32 v2, 0x200, v0
	v_cmp_nge_f32_e64 s[0:1], s9, v7
	v_cndmask_b32_e64 v3, v10, v11, s[0:1]
	v_cmp_gt_i32_e64 s[0:1], s6, v2
	v_cndmask_b32_e64 v4, 0, v3, s[0:1]
	v_or_b32_e32 v2, 0x300, v0
	v_cmp_nge_f32_e64 s[0:1], s9, v5
	v_cndmask_b32_e64 v3, v10, v11, s[0:1]
	v_cmp_gt_i32_e64 s[0:1], s6, v2
	v_cndmask_b32_e64 v3, 0, v3, s[0:1]
	s_and_saveexec_b64 s[0:1], vcc
	s_cbranch_execnz .LBB152_17
; %bb.12:
	s_or_b64 exec, exec, s[0:1]
	v_cmp_gt_i32_e32 vcc, s6, v0
	s_and_saveexec_b64 s[0:1], vcc
	s_cbranch_execnz .LBB152_18
.LBB152_13:
	s_or_b64 exec, exec, s[0:1]
	v_cmp_gt_i32_e32 vcc, s6, v0
	s_and_saveexec_b64 s[0:1], vcc
	s_cbranch_execnz .LBB152_19
.LBB152_14:
	s_or_b64 exec, exec, s[0:1]
	v_cmp_gt_i32_e32 vcc, s6, v0
	s_and_saveexec_b64 s[0:1], vcc
	s_cbranch_execz .LBB152_16
.LBB152_15:
	v_add_u32_e32 v0, s2, v0
	v_mov_b32_e32 v1, 0
	v_lshlrev_b64 v[0:1], 2, v[0:1]
	v_mov_b32_e32 v2, s13
	v_add_co_u32_e32 v0, vcc, s12, v0
	v_addc_co_u32_e32 v1, vcc, v2, v1, vcc
	global_store_dword v[0:1], v3, off
.LBB152_16:
	s_endpgm
.LBB152_17:
	v_mov_b32_e32 v2, 0
	v_lshlrev_b64 v[0:1], 2, v[1:2]
	v_mov_b32_e32 v2, s13
	v_add_co_u32_e32 v0, vcc, s12, v0
	v_addc_co_u32_e32 v1, vcc, v2, v1, vcc
	global_store_dword v[0:1], v9, off
	v_mov_b32_e32 v0, v8
	s_or_b64 exec, exec, s[0:1]
	v_cmp_gt_i32_e32 vcc, s6, v0
	s_and_saveexec_b64 s[0:1], vcc
	s_cbranch_execz .LBB152_13
.LBB152_18:
	v_add_u32_e32 v1, s2, v0
	v_mov_b32_e32 v2, 0
	v_lshlrev_b64 v[1:2], 2, v[1:2]
	v_mov_b32_e32 v5, s13
	v_add_co_u32_e32 v1, vcc, s12, v1
	v_addc_co_u32_e32 v2, vcc, v5, v2, vcc
	v_add_u32_e32 v0, 0x100, v0
	global_store_dword v[1:2], v6, off
	s_or_b64 exec, exec, s[0:1]
	v_cmp_gt_i32_e32 vcc, s6, v0
	s_and_saveexec_b64 s[0:1], vcc
	s_cbranch_execz .LBB152_14
.LBB152_19:
	v_add_u32_e32 v1, s2, v0
	v_mov_b32_e32 v2, 0
	v_lshlrev_b64 v[1:2], 2, v[1:2]
	v_mov_b32_e32 v5, s13
	v_add_co_u32_e32 v1, vcc, s12, v1
	v_addc_co_u32_e32 v2, vcc, v5, v2, vcc
	v_add_u32_e32 v0, 0x100, v0
	global_store_dword v[1:2], v4, off
	s_or_b64 exec, exec, s[0:1]
	v_cmp_gt_i32_e32 vcc, s6, v0
	s_and_saveexec_b64 s[0:1], vcc
	s_cbranch_execnz .LBB152_15
	s_branch .LBB152_16
	.section	.rodata,"a",@progbits
	.p2align	6, 0x0
	.amdhsa_kernel _ZN2at6native29vectorized_elementwise_kernelILi16ENS0_13BUnaryFunctorIfffZNS0_12_GLOBAL__N_121threshold_kernel_implIfEEvRNS_18TensorIteratorBaseET_S7_EUlffE_EESt5arrayIPcLm2EEEEviT0_T1_
		.amdhsa_group_segment_fixed_size 0
		.amdhsa_private_segment_fixed_size 0
		.amdhsa_kernarg_size 32
		.amdhsa_user_sgpr_count 6
		.amdhsa_user_sgpr_private_segment_buffer 1
		.amdhsa_user_sgpr_dispatch_ptr 0
		.amdhsa_user_sgpr_queue_ptr 0
		.amdhsa_user_sgpr_kernarg_segment_ptr 1
		.amdhsa_user_sgpr_dispatch_id 0
		.amdhsa_user_sgpr_flat_scratch_init 0
		.amdhsa_user_sgpr_private_segment_size 0
		.amdhsa_uses_dynamic_stack 0
		.amdhsa_system_sgpr_private_segment_wavefront_offset 0
		.amdhsa_system_sgpr_workgroup_id_x 1
		.amdhsa_system_sgpr_workgroup_id_y 0
		.amdhsa_system_sgpr_workgroup_id_z 0
		.amdhsa_system_sgpr_workgroup_info 0
		.amdhsa_system_vgpr_workitem_id 0
		.amdhsa_next_free_vgpr 12
		.amdhsa_next_free_sgpr 16
		.amdhsa_reserve_vcc 1
		.amdhsa_reserve_flat_scratch 0
		.amdhsa_float_round_mode_32 0
		.amdhsa_float_round_mode_16_64 0
		.amdhsa_float_denorm_mode_32 3
		.amdhsa_float_denorm_mode_16_64 3
		.amdhsa_dx10_clamp 1
		.amdhsa_ieee_mode 1
		.amdhsa_fp16_overflow 0
		.amdhsa_exception_fp_ieee_invalid_op 0
		.amdhsa_exception_fp_denorm_src 0
		.amdhsa_exception_fp_ieee_div_zero 0
		.amdhsa_exception_fp_ieee_overflow 0
		.amdhsa_exception_fp_ieee_underflow 0
		.amdhsa_exception_fp_ieee_inexact 0
		.amdhsa_exception_int_div_zero 0
	.end_amdhsa_kernel
	.section	.text._ZN2at6native29vectorized_elementwise_kernelILi16ENS0_13BUnaryFunctorIfffZNS0_12_GLOBAL__N_121threshold_kernel_implIfEEvRNS_18TensorIteratorBaseET_S7_EUlffE_EESt5arrayIPcLm2EEEEviT0_T1_,"axG",@progbits,_ZN2at6native29vectorized_elementwise_kernelILi16ENS0_13BUnaryFunctorIfffZNS0_12_GLOBAL__N_121threshold_kernel_implIfEEvRNS_18TensorIteratorBaseET_S7_EUlffE_EESt5arrayIPcLm2EEEEviT0_T1_,comdat
.Lfunc_end152:
	.size	_ZN2at6native29vectorized_elementwise_kernelILi16ENS0_13BUnaryFunctorIfffZNS0_12_GLOBAL__N_121threshold_kernel_implIfEEvRNS_18TensorIteratorBaseET_S7_EUlffE_EESt5arrayIPcLm2EEEEviT0_T1_, .Lfunc_end152-_ZN2at6native29vectorized_elementwise_kernelILi16ENS0_13BUnaryFunctorIfffZNS0_12_GLOBAL__N_121threshold_kernel_implIfEEvRNS_18TensorIteratorBaseET_S7_EUlffE_EESt5arrayIPcLm2EEEEviT0_T1_
                                        ; -- End function
	.set _ZN2at6native29vectorized_elementwise_kernelILi16ENS0_13BUnaryFunctorIfffZNS0_12_GLOBAL__N_121threshold_kernel_implIfEEvRNS_18TensorIteratorBaseET_S7_EUlffE_EESt5arrayIPcLm2EEEEviT0_T1_.num_vgpr, 12
	.set _ZN2at6native29vectorized_elementwise_kernelILi16ENS0_13BUnaryFunctorIfffZNS0_12_GLOBAL__N_121threshold_kernel_implIfEEvRNS_18TensorIteratorBaseET_S7_EUlffE_EESt5arrayIPcLm2EEEEviT0_T1_.num_agpr, 0
	.set _ZN2at6native29vectorized_elementwise_kernelILi16ENS0_13BUnaryFunctorIfffZNS0_12_GLOBAL__N_121threshold_kernel_implIfEEvRNS_18TensorIteratorBaseET_S7_EUlffE_EESt5arrayIPcLm2EEEEviT0_T1_.numbered_sgpr, 16
	.set _ZN2at6native29vectorized_elementwise_kernelILi16ENS0_13BUnaryFunctorIfffZNS0_12_GLOBAL__N_121threshold_kernel_implIfEEvRNS_18TensorIteratorBaseET_S7_EUlffE_EESt5arrayIPcLm2EEEEviT0_T1_.num_named_barrier, 0
	.set _ZN2at6native29vectorized_elementwise_kernelILi16ENS0_13BUnaryFunctorIfffZNS0_12_GLOBAL__N_121threshold_kernel_implIfEEvRNS_18TensorIteratorBaseET_S7_EUlffE_EESt5arrayIPcLm2EEEEviT0_T1_.private_seg_size, 0
	.set _ZN2at6native29vectorized_elementwise_kernelILi16ENS0_13BUnaryFunctorIfffZNS0_12_GLOBAL__N_121threshold_kernel_implIfEEvRNS_18TensorIteratorBaseET_S7_EUlffE_EESt5arrayIPcLm2EEEEviT0_T1_.uses_vcc, 1
	.set _ZN2at6native29vectorized_elementwise_kernelILi16ENS0_13BUnaryFunctorIfffZNS0_12_GLOBAL__N_121threshold_kernel_implIfEEvRNS_18TensorIteratorBaseET_S7_EUlffE_EESt5arrayIPcLm2EEEEviT0_T1_.uses_flat_scratch, 0
	.set _ZN2at6native29vectorized_elementwise_kernelILi16ENS0_13BUnaryFunctorIfffZNS0_12_GLOBAL__N_121threshold_kernel_implIfEEvRNS_18TensorIteratorBaseET_S7_EUlffE_EESt5arrayIPcLm2EEEEviT0_T1_.has_dyn_sized_stack, 0
	.set _ZN2at6native29vectorized_elementwise_kernelILi16ENS0_13BUnaryFunctorIfffZNS0_12_GLOBAL__N_121threshold_kernel_implIfEEvRNS_18TensorIteratorBaseET_S7_EUlffE_EESt5arrayIPcLm2EEEEviT0_T1_.has_recursion, 0
	.set _ZN2at6native29vectorized_elementwise_kernelILi16ENS0_13BUnaryFunctorIfffZNS0_12_GLOBAL__N_121threshold_kernel_implIfEEvRNS_18TensorIteratorBaseET_S7_EUlffE_EESt5arrayIPcLm2EEEEviT0_T1_.has_indirect_call, 0
	.section	.AMDGPU.csdata,"",@progbits
; Kernel info:
; codeLenInByte = 852
; TotalNumSgprs: 20
; NumVgprs: 12
; ScratchSize: 0
; MemoryBound: 0
; FloatMode: 240
; IeeeMode: 1
; LDSByteSize: 0 bytes/workgroup (compile time only)
; SGPRBlocks: 2
; VGPRBlocks: 2
; NumSGPRsForWavesPerEU: 20
; NumVGPRsForWavesPerEU: 12
; Occupancy: 10
; WaveLimiterHint : 0
; COMPUTE_PGM_RSRC2:SCRATCH_EN: 0
; COMPUTE_PGM_RSRC2:USER_SGPR: 6
; COMPUTE_PGM_RSRC2:TRAP_HANDLER: 0
; COMPUTE_PGM_RSRC2:TGID_X_EN: 1
; COMPUTE_PGM_RSRC2:TGID_Y_EN: 0
; COMPUTE_PGM_RSRC2:TGID_Z_EN: 0
; COMPUTE_PGM_RSRC2:TIDIG_COMP_CNT: 0
	.section	.text._ZN2at6native29vectorized_elementwise_kernelILi8ENS0_13BUnaryFunctorIfffZNS0_12_GLOBAL__N_121threshold_kernel_implIfEEvRNS_18TensorIteratorBaseET_S7_EUlffE_EESt5arrayIPcLm2EEEEviT0_T1_,"axG",@progbits,_ZN2at6native29vectorized_elementwise_kernelILi8ENS0_13BUnaryFunctorIfffZNS0_12_GLOBAL__N_121threshold_kernel_implIfEEvRNS_18TensorIteratorBaseET_S7_EUlffE_EESt5arrayIPcLm2EEEEviT0_T1_,comdat
	.globl	_ZN2at6native29vectorized_elementwise_kernelILi8ENS0_13BUnaryFunctorIfffZNS0_12_GLOBAL__N_121threshold_kernel_implIfEEvRNS_18TensorIteratorBaseET_S7_EUlffE_EESt5arrayIPcLm2EEEEviT0_T1_ ; -- Begin function _ZN2at6native29vectorized_elementwise_kernelILi8ENS0_13BUnaryFunctorIfffZNS0_12_GLOBAL__N_121threshold_kernel_implIfEEvRNS_18TensorIteratorBaseET_S7_EUlffE_EESt5arrayIPcLm2EEEEviT0_T1_
	.p2align	8
	.type	_ZN2at6native29vectorized_elementwise_kernelILi8ENS0_13BUnaryFunctorIfffZNS0_12_GLOBAL__N_121threshold_kernel_implIfEEvRNS_18TensorIteratorBaseET_S7_EUlffE_EESt5arrayIPcLm2EEEEviT0_T1_,@function
_ZN2at6native29vectorized_elementwise_kernelILi8ENS0_13BUnaryFunctorIfffZNS0_12_GLOBAL__N_121threshold_kernel_implIfEEvRNS_18TensorIteratorBaseET_S7_EUlffE_EESt5arrayIPcLm2EEEEviT0_T1_: ; @_ZN2at6native29vectorized_elementwise_kernelILi8ENS0_13BUnaryFunctorIfffZNS0_12_GLOBAL__N_121threshold_kernel_implIfEEvRNS_18TensorIteratorBaseET_S7_EUlffE_EESt5arrayIPcLm2EEEEviT0_T1_
; %bb.0:
	s_load_dwordx8 s[8:15], s[4:5], 0x0
	s_lshl_b32 s2, s6, 10
	s_mov_b64 s[0:1], -1
	s_waitcnt lgkmcnt(0)
	s_sub_i32 s6, s8, s2
	s_cmpk_gt_i32 s6, 0x3ff
	s_cbranch_scc0 .LBB153_2
; %bb.1:
	s_ashr_i32 s3, s2, 31
	s_lshl_b64 s[0:1], s[2:3], 2
	s_add_u32 s4, s14, s0
	s_addc_u32 s5, s15, s1
	v_lshlrev_b32_e32 v5, 4, v0
	global_load_dwordx4 v[1:4], v5, s[4:5]
	v_mov_b32_e32 v6, s10
	v_mov_b32_e32 v7, s11
	s_add_u32 s0, s12, s0
	s_addc_u32 s1, s13, s1
	s_waitcnt vmcnt(0)
	v_cmp_nge_f32_e32 vcc, s9, v1
	v_cndmask_b32_e32 v1, v6, v7, vcc
	v_cmp_nge_f32_e32 vcc, s9, v2
	v_cndmask_b32_e32 v2, v6, v7, vcc
	;; [unrolled: 2-line block ×4, first 2 shown]
	global_store_dwordx4 v5, v[1:4], s[0:1]
	s_mov_b64 s[0:1], 0
.LBB153_2:
	s_andn2_b64 vcc, exec, s[0:1]
	s_cbranch_vccnz .LBB153_16
; %bb.3:
	v_cmp_gt_i32_e32 vcc, s6, v0
	v_mov_b32_e32 v3, 0
	v_or_b32_e32 v1, s2, v0
	v_mov_b32_e32 v2, 0
	v_mov_b32_e32 v4, v0
	s_and_saveexec_b64 s[4:5], vcc
	s_cbranch_execz .LBB153_5
; %bb.4:
	v_mov_b32_e32 v2, 0
	v_lshlrev_b64 v[4:5], 2, v[1:2]
	v_mov_b32_e32 v2, s15
	v_add_co_u32_e64 v4, s[0:1], s14, v4
	v_addc_co_u32_e64 v5, s[0:1], v2, v5, s[0:1]
	global_load_dword v2, v[4:5], off
	v_or_b32_e32 v4, 0x100, v0
.LBB153_5:
	s_or_b64 exec, exec, s[4:5]
	v_cmp_gt_i32_e64 s[0:1], s6, v4
	s_and_saveexec_b64 s[4:5], s[0:1]
	s_cbranch_execz .LBB153_7
; %bb.6:
	v_add_u32_e32 v5, s2, v4
	v_mov_b32_e32 v6, 0
	v_lshlrev_b64 v[5:6], 2, v[5:6]
	v_mov_b32_e32 v3, s15
	v_add_co_u32_e64 v5, s[0:1], s14, v5
	v_addc_co_u32_e64 v6, s[0:1], v3, v6, s[0:1]
	global_load_dword v3, v[5:6], off
	v_add_u32_e32 v4, 0x100, v4
.LBB153_7:
	s_or_b64 exec, exec, s[4:5]
	v_cmp_gt_i32_e64 s[0:1], s6, v4
	v_mov_b32_e32 v5, 0
	v_mov_b32_e32 v7, 0
	s_and_saveexec_b64 s[4:5], s[0:1]
	s_cbranch_execz .LBB153_9
; %bb.8:
	v_add_u32_e32 v6, s2, v4
	v_mov_b32_e32 v7, 0
	v_lshlrev_b64 v[6:7], 2, v[6:7]
	v_mov_b32_e32 v8, s15
	v_add_co_u32_e64 v6, s[0:1], s14, v6
	v_addc_co_u32_e64 v7, s[0:1], v8, v7, s[0:1]
	global_load_dword v7, v[6:7], off
	v_add_u32_e32 v4, 0x100, v4
.LBB153_9:
	s_or_b64 exec, exec, s[4:5]
	v_cmp_gt_i32_e64 s[0:1], s6, v4
	s_and_saveexec_b64 s[4:5], s[0:1]
	s_cbranch_execz .LBB153_11
; %bb.10:
	v_add_u32_e32 v4, s2, v4
	v_mov_b32_e32 v5, 0
	v_lshlrev_b64 v[4:5], 2, v[4:5]
	v_mov_b32_e32 v6, s15
	v_add_co_u32_e64 v4, s[0:1], s14, v4
	v_addc_co_u32_e64 v5, s[0:1], v6, v5, s[0:1]
	global_load_dword v5, v[4:5], off
.LBB153_11:
	s_or_b64 exec, exec, s[4:5]
	v_mov_b32_e32 v10, s10
	v_mov_b32_e32 v11, s11
	s_waitcnt vmcnt(0)
	v_cmp_nge_f32_e64 s[0:1], s9, v2
	v_cndmask_b32_e64 v2, v10, v11, s[0:1]
	v_or_b32_e32 v8, 0x100, v0
	v_cmp_nge_f32_e64 s[0:1], s9, v3
	v_cndmask_b32_e32 v9, 0, v2, vcc
	v_cndmask_b32_e64 v2, v10, v11, s[0:1]
	v_cmp_gt_i32_e64 s[0:1], s6, v8
	v_cndmask_b32_e64 v6, 0, v2, s[0:1]
	v_or_b32_e32 v2, 0x200, v0
	v_cmp_nge_f32_e64 s[0:1], s9, v7
	v_cndmask_b32_e64 v3, v10, v11, s[0:1]
	v_cmp_gt_i32_e64 s[0:1], s6, v2
	v_cndmask_b32_e64 v4, 0, v3, s[0:1]
	v_or_b32_e32 v2, 0x300, v0
	v_cmp_nge_f32_e64 s[0:1], s9, v5
	v_cndmask_b32_e64 v3, v10, v11, s[0:1]
	v_cmp_gt_i32_e64 s[0:1], s6, v2
	v_cndmask_b32_e64 v3, 0, v3, s[0:1]
	s_and_saveexec_b64 s[0:1], vcc
	s_cbranch_execnz .LBB153_17
; %bb.12:
	s_or_b64 exec, exec, s[0:1]
	v_cmp_gt_i32_e32 vcc, s6, v0
	s_and_saveexec_b64 s[0:1], vcc
	s_cbranch_execnz .LBB153_18
.LBB153_13:
	s_or_b64 exec, exec, s[0:1]
	v_cmp_gt_i32_e32 vcc, s6, v0
	s_and_saveexec_b64 s[0:1], vcc
	s_cbranch_execnz .LBB153_19
.LBB153_14:
	s_or_b64 exec, exec, s[0:1]
	v_cmp_gt_i32_e32 vcc, s6, v0
	s_and_saveexec_b64 s[0:1], vcc
	s_cbranch_execz .LBB153_16
.LBB153_15:
	v_add_u32_e32 v0, s2, v0
	v_mov_b32_e32 v1, 0
	v_lshlrev_b64 v[0:1], 2, v[0:1]
	v_mov_b32_e32 v2, s13
	v_add_co_u32_e32 v0, vcc, s12, v0
	v_addc_co_u32_e32 v1, vcc, v2, v1, vcc
	global_store_dword v[0:1], v3, off
.LBB153_16:
	s_endpgm
.LBB153_17:
	v_mov_b32_e32 v2, 0
	v_lshlrev_b64 v[0:1], 2, v[1:2]
	v_mov_b32_e32 v2, s13
	v_add_co_u32_e32 v0, vcc, s12, v0
	v_addc_co_u32_e32 v1, vcc, v2, v1, vcc
	global_store_dword v[0:1], v9, off
	v_mov_b32_e32 v0, v8
	s_or_b64 exec, exec, s[0:1]
	v_cmp_gt_i32_e32 vcc, s6, v0
	s_and_saveexec_b64 s[0:1], vcc
	s_cbranch_execz .LBB153_13
.LBB153_18:
	v_add_u32_e32 v1, s2, v0
	v_mov_b32_e32 v2, 0
	v_lshlrev_b64 v[1:2], 2, v[1:2]
	v_mov_b32_e32 v5, s13
	v_add_co_u32_e32 v1, vcc, s12, v1
	v_addc_co_u32_e32 v2, vcc, v5, v2, vcc
	v_add_u32_e32 v0, 0x100, v0
	global_store_dword v[1:2], v6, off
	s_or_b64 exec, exec, s[0:1]
	v_cmp_gt_i32_e32 vcc, s6, v0
	s_and_saveexec_b64 s[0:1], vcc
	s_cbranch_execz .LBB153_14
.LBB153_19:
	v_add_u32_e32 v1, s2, v0
	v_mov_b32_e32 v2, 0
	v_lshlrev_b64 v[1:2], 2, v[1:2]
	v_mov_b32_e32 v5, s13
	v_add_co_u32_e32 v1, vcc, s12, v1
	v_addc_co_u32_e32 v2, vcc, v5, v2, vcc
	v_add_u32_e32 v0, 0x100, v0
	global_store_dword v[1:2], v4, off
	s_or_b64 exec, exec, s[0:1]
	v_cmp_gt_i32_e32 vcc, s6, v0
	s_and_saveexec_b64 s[0:1], vcc
	s_cbranch_execnz .LBB153_15
	s_branch .LBB153_16
	.section	.rodata,"a",@progbits
	.p2align	6, 0x0
	.amdhsa_kernel _ZN2at6native29vectorized_elementwise_kernelILi8ENS0_13BUnaryFunctorIfffZNS0_12_GLOBAL__N_121threshold_kernel_implIfEEvRNS_18TensorIteratorBaseET_S7_EUlffE_EESt5arrayIPcLm2EEEEviT0_T1_
		.amdhsa_group_segment_fixed_size 0
		.amdhsa_private_segment_fixed_size 0
		.amdhsa_kernarg_size 32
		.amdhsa_user_sgpr_count 6
		.amdhsa_user_sgpr_private_segment_buffer 1
		.amdhsa_user_sgpr_dispatch_ptr 0
		.amdhsa_user_sgpr_queue_ptr 0
		.amdhsa_user_sgpr_kernarg_segment_ptr 1
		.amdhsa_user_sgpr_dispatch_id 0
		.amdhsa_user_sgpr_flat_scratch_init 0
		.amdhsa_user_sgpr_private_segment_size 0
		.amdhsa_uses_dynamic_stack 0
		.amdhsa_system_sgpr_private_segment_wavefront_offset 0
		.amdhsa_system_sgpr_workgroup_id_x 1
		.amdhsa_system_sgpr_workgroup_id_y 0
		.amdhsa_system_sgpr_workgroup_id_z 0
		.amdhsa_system_sgpr_workgroup_info 0
		.amdhsa_system_vgpr_workitem_id 0
		.amdhsa_next_free_vgpr 12
		.amdhsa_next_free_sgpr 16
		.amdhsa_reserve_vcc 1
		.amdhsa_reserve_flat_scratch 0
		.amdhsa_float_round_mode_32 0
		.amdhsa_float_round_mode_16_64 0
		.amdhsa_float_denorm_mode_32 3
		.amdhsa_float_denorm_mode_16_64 3
		.amdhsa_dx10_clamp 1
		.amdhsa_ieee_mode 1
		.amdhsa_fp16_overflow 0
		.amdhsa_exception_fp_ieee_invalid_op 0
		.amdhsa_exception_fp_denorm_src 0
		.amdhsa_exception_fp_ieee_div_zero 0
		.amdhsa_exception_fp_ieee_overflow 0
		.amdhsa_exception_fp_ieee_underflow 0
		.amdhsa_exception_fp_ieee_inexact 0
		.amdhsa_exception_int_div_zero 0
	.end_amdhsa_kernel
	.section	.text._ZN2at6native29vectorized_elementwise_kernelILi8ENS0_13BUnaryFunctorIfffZNS0_12_GLOBAL__N_121threshold_kernel_implIfEEvRNS_18TensorIteratorBaseET_S7_EUlffE_EESt5arrayIPcLm2EEEEviT0_T1_,"axG",@progbits,_ZN2at6native29vectorized_elementwise_kernelILi8ENS0_13BUnaryFunctorIfffZNS0_12_GLOBAL__N_121threshold_kernel_implIfEEvRNS_18TensorIteratorBaseET_S7_EUlffE_EESt5arrayIPcLm2EEEEviT0_T1_,comdat
.Lfunc_end153:
	.size	_ZN2at6native29vectorized_elementwise_kernelILi8ENS0_13BUnaryFunctorIfffZNS0_12_GLOBAL__N_121threshold_kernel_implIfEEvRNS_18TensorIteratorBaseET_S7_EUlffE_EESt5arrayIPcLm2EEEEviT0_T1_, .Lfunc_end153-_ZN2at6native29vectorized_elementwise_kernelILi8ENS0_13BUnaryFunctorIfffZNS0_12_GLOBAL__N_121threshold_kernel_implIfEEvRNS_18TensorIteratorBaseET_S7_EUlffE_EESt5arrayIPcLm2EEEEviT0_T1_
                                        ; -- End function
	.set _ZN2at6native29vectorized_elementwise_kernelILi8ENS0_13BUnaryFunctorIfffZNS0_12_GLOBAL__N_121threshold_kernel_implIfEEvRNS_18TensorIteratorBaseET_S7_EUlffE_EESt5arrayIPcLm2EEEEviT0_T1_.num_vgpr, 12
	.set _ZN2at6native29vectorized_elementwise_kernelILi8ENS0_13BUnaryFunctorIfffZNS0_12_GLOBAL__N_121threshold_kernel_implIfEEvRNS_18TensorIteratorBaseET_S7_EUlffE_EESt5arrayIPcLm2EEEEviT0_T1_.num_agpr, 0
	.set _ZN2at6native29vectorized_elementwise_kernelILi8ENS0_13BUnaryFunctorIfffZNS0_12_GLOBAL__N_121threshold_kernel_implIfEEvRNS_18TensorIteratorBaseET_S7_EUlffE_EESt5arrayIPcLm2EEEEviT0_T1_.numbered_sgpr, 16
	.set _ZN2at6native29vectorized_elementwise_kernelILi8ENS0_13BUnaryFunctorIfffZNS0_12_GLOBAL__N_121threshold_kernel_implIfEEvRNS_18TensorIteratorBaseET_S7_EUlffE_EESt5arrayIPcLm2EEEEviT0_T1_.num_named_barrier, 0
	.set _ZN2at6native29vectorized_elementwise_kernelILi8ENS0_13BUnaryFunctorIfffZNS0_12_GLOBAL__N_121threshold_kernel_implIfEEvRNS_18TensorIteratorBaseET_S7_EUlffE_EESt5arrayIPcLm2EEEEviT0_T1_.private_seg_size, 0
	.set _ZN2at6native29vectorized_elementwise_kernelILi8ENS0_13BUnaryFunctorIfffZNS0_12_GLOBAL__N_121threshold_kernel_implIfEEvRNS_18TensorIteratorBaseET_S7_EUlffE_EESt5arrayIPcLm2EEEEviT0_T1_.uses_vcc, 1
	.set _ZN2at6native29vectorized_elementwise_kernelILi8ENS0_13BUnaryFunctorIfffZNS0_12_GLOBAL__N_121threshold_kernel_implIfEEvRNS_18TensorIteratorBaseET_S7_EUlffE_EESt5arrayIPcLm2EEEEviT0_T1_.uses_flat_scratch, 0
	.set _ZN2at6native29vectorized_elementwise_kernelILi8ENS0_13BUnaryFunctorIfffZNS0_12_GLOBAL__N_121threshold_kernel_implIfEEvRNS_18TensorIteratorBaseET_S7_EUlffE_EESt5arrayIPcLm2EEEEviT0_T1_.has_dyn_sized_stack, 0
	.set _ZN2at6native29vectorized_elementwise_kernelILi8ENS0_13BUnaryFunctorIfffZNS0_12_GLOBAL__N_121threshold_kernel_implIfEEvRNS_18TensorIteratorBaseET_S7_EUlffE_EESt5arrayIPcLm2EEEEviT0_T1_.has_recursion, 0
	.set _ZN2at6native29vectorized_elementwise_kernelILi8ENS0_13BUnaryFunctorIfffZNS0_12_GLOBAL__N_121threshold_kernel_implIfEEvRNS_18TensorIteratorBaseET_S7_EUlffE_EESt5arrayIPcLm2EEEEviT0_T1_.has_indirect_call, 0
	.section	.AMDGPU.csdata,"",@progbits
; Kernel info:
; codeLenInByte = 852
; TotalNumSgprs: 20
; NumVgprs: 12
; ScratchSize: 0
; MemoryBound: 0
; FloatMode: 240
; IeeeMode: 1
; LDSByteSize: 0 bytes/workgroup (compile time only)
; SGPRBlocks: 2
; VGPRBlocks: 2
; NumSGPRsForWavesPerEU: 20
; NumVGPRsForWavesPerEU: 12
; Occupancy: 10
; WaveLimiterHint : 0
; COMPUTE_PGM_RSRC2:SCRATCH_EN: 0
; COMPUTE_PGM_RSRC2:USER_SGPR: 6
; COMPUTE_PGM_RSRC2:TRAP_HANDLER: 0
; COMPUTE_PGM_RSRC2:TGID_X_EN: 1
; COMPUTE_PGM_RSRC2:TGID_Y_EN: 0
; COMPUTE_PGM_RSRC2:TGID_Z_EN: 0
; COMPUTE_PGM_RSRC2:TIDIG_COMP_CNT: 0
	.section	.text._ZN2at6native29vectorized_elementwise_kernelILi4ENS0_13BUnaryFunctorIfffZNS0_12_GLOBAL__N_121threshold_kernel_implIfEEvRNS_18TensorIteratorBaseET_S7_EUlffE_EESt5arrayIPcLm2EEEEviT0_T1_,"axG",@progbits,_ZN2at6native29vectorized_elementwise_kernelILi4ENS0_13BUnaryFunctorIfffZNS0_12_GLOBAL__N_121threshold_kernel_implIfEEvRNS_18TensorIteratorBaseET_S7_EUlffE_EESt5arrayIPcLm2EEEEviT0_T1_,comdat
	.globl	_ZN2at6native29vectorized_elementwise_kernelILi4ENS0_13BUnaryFunctorIfffZNS0_12_GLOBAL__N_121threshold_kernel_implIfEEvRNS_18TensorIteratorBaseET_S7_EUlffE_EESt5arrayIPcLm2EEEEviT0_T1_ ; -- Begin function _ZN2at6native29vectorized_elementwise_kernelILi4ENS0_13BUnaryFunctorIfffZNS0_12_GLOBAL__N_121threshold_kernel_implIfEEvRNS_18TensorIteratorBaseET_S7_EUlffE_EESt5arrayIPcLm2EEEEviT0_T1_
	.p2align	8
	.type	_ZN2at6native29vectorized_elementwise_kernelILi4ENS0_13BUnaryFunctorIfffZNS0_12_GLOBAL__N_121threshold_kernel_implIfEEvRNS_18TensorIteratorBaseET_S7_EUlffE_EESt5arrayIPcLm2EEEEviT0_T1_,@function
_ZN2at6native29vectorized_elementwise_kernelILi4ENS0_13BUnaryFunctorIfffZNS0_12_GLOBAL__N_121threshold_kernel_implIfEEvRNS_18TensorIteratorBaseET_S7_EUlffE_EESt5arrayIPcLm2EEEEviT0_T1_: ; @_ZN2at6native29vectorized_elementwise_kernelILi4ENS0_13BUnaryFunctorIfffZNS0_12_GLOBAL__N_121threshold_kernel_implIfEEvRNS_18TensorIteratorBaseET_S7_EUlffE_EESt5arrayIPcLm2EEEEviT0_T1_
; %bb.0:
	s_load_dwordx8 s[8:15], s[4:5], 0x0
	s_lshl_b32 s2, s6, 10
	s_mov_b64 s[0:1], -1
	s_waitcnt lgkmcnt(0)
	s_sub_i32 s6, s8, s2
	s_cmpk_gt_i32 s6, 0x3ff
	s_cbranch_scc0 .LBB154_2
; %bb.1:
	s_ashr_i32 s3, s2, 31
	s_lshl_b64 s[0:1], s[2:3], 2
	s_add_u32 s4, s14, s0
	s_addc_u32 s5, s15, s1
	v_lshlrev_b32_e32 v5, 4, v0
	global_load_dwordx4 v[1:4], v5, s[4:5]
	v_mov_b32_e32 v6, s10
	v_mov_b32_e32 v7, s11
	s_add_u32 s0, s12, s0
	s_addc_u32 s1, s13, s1
	s_waitcnt vmcnt(0)
	v_cmp_nge_f32_e32 vcc, s9, v1
	v_cndmask_b32_e32 v1, v6, v7, vcc
	v_cmp_nge_f32_e32 vcc, s9, v2
	v_cndmask_b32_e32 v2, v6, v7, vcc
	;; [unrolled: 2-line block ×4, first 2 shown]
	global_store_dwordx4 v5, v[1:4], s[0:1]
	s_mov_b64 s[0:1], 0
.LBB154_2:
	s_andn2_b64 vcc, exec, s[0:1]
	s_cbranch_vccnz .LBB154_16
; %bb.3:
	v_cmp_gt_i32_e32 vcc, s6, v0
	v_mov_b32_e32 v3, 0
	v_or_b32_e32 v1, s2, v0
	v_mov_b32_e32 v2, 0
	v_mov_b32_e32 v4, v0
	s_and_saveexec_b64 s[4:5], vcc
	s_cbranch_execz .LBB154_5
; %bb.4:
	v_mov_b32_e32 v2, 0
	v_lshlrev_b64 v[4:5], 2, v[1:2]
	v_mov_b32_e32 v2, s15
	v_add_co_u32_e64 v4, s[0:1], s14, v4
	v_addc_co_u32_e64 v5, s[0:1], v2, v5, s[0:1]
	global_load_dword v2, v[4:5], off
	v_or_b32_e32 v4, 0x100, v0
.LBB154_5:
	s_or_b64 exec, exec, s[4:5]
	v_cmp_gt_i32_e64 s[0:1], s6, v4
	s_and_saveexec_b64 s[4:5], s[0:1]
	s_cbranch_execz .LBB154_7
; %bb.6:
	v_add_u32_e32 v5, s2, v4
	v_mov_b32_e32 v6, 0
	v_lshlrev_b64 v[5:6], 2, v[5:6]
	v_mov_b32_e32 v3, s15
	v_add_co_u32_e64 v5, s[0:1], s14, v5
	v_addc_co_u32_e64 v6, s[0:1], v3, v6, s[0:1]
	global_load_dword v3, v[5:6], off
	v_add_u32_e32 v4, 0x100, v4
.LBB154_7:
	s_or_b64 exec, exec, s[4:5]
	v_cmp_gt_i32_e64 s[0:1], s6, v4
	v_mov_b32_e32 v5, 0
	v_mov_b32_e32 v7, 0
	s_and_saveexec_b64 s[4:5], s[0:1]
	s_cbranch_execz .LBB154_9
; %bb.8:
	v_add_u32_e32 v6, s2, v4
	v_mov_b32_e32 v7, 0
	v_lshlrev_b64 v[6:7], 2, v[6:7]
	v_mov_b32_e32 v8, s15
	v_add_co_u32_e64 v6, s[0:1], s14, v6
	v_addc_co_u32_e64 v7, s[0:1], v8, v7, s[0:1]
	global_load_dword v7, v[6:7], off
	v_add_u32_e32 v4, 0x100, v4
.LBB154_9:
	s_or_b64 exec, exec, s[4:5]
	v_cmp_gt_i32_e64 s[0:1], s6, v4
	s_and_saveexec_b64 s[4:5], s[0:1]
	s_cbranch_execz .LBB154_11
; %bb.10:
	v_add_u32_e32 v4, s2, v4
	v_mov_b32_e32 v5, 0
	v_lshlrev_b64 v[4:5], 2, v[4:5]
	v_mov_b32_e32 v6, s15
	v_add_co_u32_e64 v4, s[0:1], s14, v4
	v_addc_co_u32_e64 v5, s[0:1], v6, v5, s[0:1]
	global_load_dword v5, v[4:5], off
.LBB154_11:
	s_or_b64 exec, exec, s[4:5]
	v_mov_b32_e32 v10, s10
	v_mov_b32_e32 v11, s11
	s_waitcnt vmcnt(0)
	v_cmp_nge_f32_e64 s[0:1], s9, v2
	v_cndmask_b32_e64 v2, v10, v11, s[0:1]
	v_or_b32_e32 v8, 0x100, v0
	v_cmp_nge_f32_e64 s[0:1], s9, v3
	v_cndmask_b32_e32 v9, 0, v2, vcc
	v_cndmask_b32_e64 v2, v10, v11, s[0:1]
	v_cmp_gt_i32_e64 s[0:1], s6, v8
	v_cndmask_b32_e64 v6, 0, v2, s[0:1]
	v_or_b32_e32 v2, 0x200, v0
	v_cmp_nge_f32_e64 s[0:1], s9, v7
	v_cndmask_b32_e64 v3, v10, v11, s[0:1]
	v_cmp_gt_i32_e64 s[0:1], s6, v2
	v_cndmask_b32_e64 v4, 0, v3, s[0:1]
	v_or_b32_e32 v2, 0x300, v0
	v_cmp_nge_f32_e64 s[0:1], s9, v5
	v_cndmask_b32_e64 v3, v10, v11, s[0:1]
	v_cmp_gt_i32_e64 s[0:1], s6, v2
	v_cndmask_b32_e64 v3, 0, v3, s[0:1]
	s_and_saveexec_b64 s[0:1], vcc
	s_cbranch_execnz .LBB154_17
; %bb.12:
	s_or_b64 exec, exec, s[0:1]
	v_cmp_gt_i32_e32 vcc, s6, v0
	s_and_saveexec_b64 s[0:1], vcc
	s_cbranch_execnz .LBB154_18
.LBB154_13:
	s_or_b64 exec, exec, s[0:1]
	v_cmp_gt_i32_e32 vcc, s6, v0
	s_and_saveexec_b64 s[0:1], vcc
	s_cbranch_execnz .LBB154_19
.LBB154_14:
	s_or_b64 exec, exec, s[0:1]
	v_cmp_gt_i32_e32 vcc, s6, v0
	s_and_saveexec_b64 s[0:1], vcc
	s_cbranch_execz .LBB154_16
.LBB154_15:
	v_add_u32_e32 v0, s2, v0
	v_mov_b32_e32 v1, 0
	v_lshlrev_b64 v[0:1], 2, v[0:1]
	v_mov_b32_e32 v2, s13
	v_add_co_u32_e32 v0, vcc, s12, v0
	v_addc_co_u32_e32 v1, vcc, v2, v1, vcc
	global_store_dword v[0:1], v3, off
.LBB154_16:
	s_endpgm
.LBB154_17:
	v_mov_b32_e32 v2, 0
	v_lshlrev_b64 v[0:1], 2, v[1:2]
	v_mov_b32_e32 v2, s13
	v_add_co_u32_e32 v0, vcc, s12, v0
	v_addc_co_u32_e32 v1, vcc, v2, v1, vcc
	global_store_dword v[0:1], v9, off
	v_mov_b32_e32 v0, v8
	s_or_b64 exec, exec, s[0:1]
	v_cmp_gt_i32_e32 vcc, s6, v0
	s_and_saveexec_b64 s[0:1], vcc
	s_cbranch_execz .LBB154_13
.LBB154_18:
	v_add_u32_e32 v1, s2, v0
	v_mov_b32_e32 v2, 0
	v_lshlrev_b64 v[1:2], 2, v[1:2]
	v_mov_b32_e32 v5, s13
	v_add_co_u32_e32 v1, vcc, s12, v1
	v_addc_co_u32_e32 v2, vcc, v5, v2, vcc
	v_add_u32_e32 v0, 0x100, v0
	global_store_dword v[1:2], v6, off
	s_or_b64 exec, exec, s[0:1]
	v_cmp_gt_i32_e32 vcc, s6, v0
	s_and_saveexec_b64 s[0:1], vcc
	s_cbranch_execz .LBB154_14
.LBB154_19:
	v_add_u32_e32 v1, s2, v0
	v_mov_b32_e32 v2, 0
	v_lshlrev_b64 v[1:2], 2, v[1:2]
	v_mov_b32_e32 v5, s13
	v_add_co_u32_e32 v1, vcc, s12, v1
	v_addc_co_u32_e32 v2, vcc, v5, v2, vcc
	v_add_u32_e32 v0, 0x100, v0
	global_store_dword v[1:2], v4, off
	s_or_b64 exec, exec, s[0:1]
	v_cmp_gt_i32_e32 vcc, s6, v0
	s_and_saveexec_b64 s[0:1], vcc
	s_cbranch_execnz .LBB154_15
	s_branch .LBB154_16
	.section	.rodata,"a",@progbits
	.p2align	6, 0x0
	.amdhsa_kernel _ZN2at6native29vectorized_elementwise_kernelILi4ENS0_13BUnaryFunctorIfffZNS0_12_GLOBAL__N_121threshold_kernel_implIfEEvRNS_18TensorIteratorBaseET_S7_EUlffE_EESt5arrayIPcLm2EEEEviT0_T1_
		.amdhsa_group_segment_fixed_size 0
		.amdhsa_private_segment_fixed_size 0
		.amdhsa_kernarg_size 32
		.amdhsa_user_sgpr_count 6
		.amdhsa_user_sgpr_private_segment_buffer 1
		.amdhsa_user_sgpr_dispatch_ptr 0
		.amdhsa_user_sgpr_queue_ptr 0
		.amdhsa_user_sgpr_kernarg_segment_ptr 1
		.amdhsa_user_sgpr_dispatch_id 0
		.amdhsa_user_sgpr_flat_scratch_init 0
		.amdhsa_user_sgpr_private_segment_size 0
		.amdhsa_uses_dynamic_stack 0
		.amdhsa_system_sgpr_private_segment_wavefront_offset 0
		.amdhsa_system_sgpr_workgroup_id_x 1
		.amdhsa_system_sgpr_workgroup_id_y 0
		.amdhsa_system_sgpr_workgroup_id_z 0
		.amdhsa_system_sgpr_workgroup_info 0
		.amdhsa_system_vgpr_workitem_id 0
		.amdhsa_next_free_vgpr 12
		.amdhsa_next_free_sgpr 16
		.amdhsa_reserve_vcc 1
		.amdhsa_reserve_flat_scratch 0
		.amdhsa_float_round_mode_32 0
		.amdhsa_float_round_mode_16_64 0
		.amdhsa_float_denorm_mode_32 3
		.amdhsa_float_denorm_mode_16_64 3
		.amdhsa_dx10_clamp 1
		.amdhsa_ieee_mode 1
		.amdhsa_fp16_overflow 0
		.amdhsa_exception_fp_ieee_invalid_op 0
		.amdhsa_exception_fp_denorm_src 0
		.amdhsa_exception_fp_ieee_div_zero 0
		.amdhsa_exception_fp_ieee_overflow 0
		.amdhsa_exception_fp_ieee_underflow 0
		.amdhsa_exception_fp_ieee_inexact 0
		.amdhsa_exception_int_div_zero 0
	.end_amdhsa_kernel
	.section	.text._ZN2at6native29vectorized_elementwise_kernelILi4ENS0_13BUnaryFunctorIfffZNS0_12_GLOBAL__N_121threshold_kernel_implIfEEvRNS_18TensorIteratorBaseET_S7_EUlffE_EESt5arrayIPcLm2EEEEviT0_T1_,"axG",@progbits,_ZN2at6native29vectorized_elementwise_kernelILi4ENS0_13BUnaryFunctorIfffZNS0_12_GLOBAL__N_121threshold_kernel_implIfEEvRNS_18TensorIteratorBaseET_S7_EUlffE_EESt5arrayIPcLm2EEEEviT0_T1_,comdat
.Lfunc_end154:
	.size	_ZN2at6native29vectorized_elementwise_kernelILi4ENS0_13BUnaryFunctorIfffZNS0_12_GLOBAL__N_121threshold_kernel_implIfEEvRNS_18TensorIteratorBaseET_S7_EUlffE_EESt5arrayIPcLm2EEEEviT0_T1_, .Lfunc_end154-_ZN2at6native29vectorized_elementwise_kernelILi4ENS0_13BUnaryFunctorIfffZNS0_12_GLOBAL__N_121threshold_kernel_implIfEEvRNS_18TensorIteratorBaseET_S7_EUlffE_EESt5arrayIPcLm2EEEEviT0_T1_
                                        ; -- End function
	.set _ZN2at6native29vectorized_elementwise_kernelILi4ENS0_13BUnaryFunctorIfffZNS0_12_GLOBAL__N_121threshold_kernel_implIfEEvRNS_18TensorIteratorBaseET_S7_EUlffE_EESt5arrayIPcLm2EEEEviT0_T1_.num_vgpr, 12
	.set _ZN2at6native29vectorized_elementwise_kernelILi4ENS0_13BUnaryFunctorIfffZNS0_12_GLOBAL__N_121threshold_kernel_implIfEEvRNS_18TensorIteratorBaseET_S7_EUlffE_EESt5arrayIPcLm2EEEEviT0_T1_.num_agpr, 0
	.set _ZN2at6native29vectorized_elementwise_kernelILi4ENS0_13BUnaryFunctorIfffZNS0_12_GLOBAL__N_121threshold_kernel_implIfEEvRNS_18TensorIteratorBaseET_S7_EUlffE_EESt5arrayIPcLm2EEEEviT0_T1_.numbered_sgpr, 16
	.set _ZN2at6native29vectorized_elementwise_kernelILi4ENS0_13BUnaryFunctorIfffZNS0_12_GLOBAL__N_121threshold_kernel_implIfEEvRNS_18TensorIteratorBaseET_S7_EUlffE_EESt5arrayIPcLm2EEEEviT0_T1_.num_named_barrier, 0
	.set _ZN2at6native29vectorized_elementwise_kernelILi4ENS0_13BUnaryFunctorIfffZNS0_12_GLOBAL__N_121threshold_kernel_implIfEEvRNS_18TensorIteratorBaseET_S7_EUlffE_EESt5arrayIPcLm2EEEEviT0_T1_.private_seg_size, 0
	.set _ZN2at6native29vectorized_elementwise_kernelILi4ENS0_13BUnaryFunctorIfffZNS0_12_GLOBAL__N_121threshold_kernel_implIfEEvRNS_18TensorIteratorBaseET_S7_EUlffE_EESt5arrayIPcLm2EEEEviT0_T1_.uses_vcc, 1
	.set _ZN2at6native29vectorized_elementwise_kernelILi4ENS0_13BUnaryFunctorIfffZNS0_12_GLOBAL__N_121threshold_kernel_implIfEEvRNS_18TensorIteratorBaseET_S7_EUlffE_EESt5arrayIPcLm2EEEEviT0_T1_.uses_flat_scratch, 0
	.set _ZN2at6native29vectorized_elementwise_kernelILi4ENS0_13BUnaryFunctorIfffZNS0_12_GLOBAL__N_121threshold_kernel_implIfEEvRNS_18TensorIteratorBaseET_S7_EUlffE_EESt5arrayIPcLm2EEEEviT0_T1_.has_dyn_sized_stack, 0
	.set _ZN2at6native29vectorized_elementwise_kernelILi4ENS0_13BUnaryFunctorIfffZNS0_12_GLOBAL__N_121threshold_kernel_implIfEEvRNS_18TensorIteratorBaseET_S7_EUlffE_EESt5arrayIPcLm2EEEEviT0_T1_.has_recursion, 0
	.set _ZN2at6native29vectorized_elementwise_kernelILi4ENS0_13BUnaryFunctorIfffZNS0_12_GLOBAL__N_121threshold_kernel_implIfEEvRNS_18TensorIteratorBaseET_S7_EUlffE_EESt5arrayIPcLm2EEEEviT0_T1_.has_indirect_call, 0
	.section	.AMDGPU.csdata,"",@progbits
; Kernel info:
; codeLenInByte = 852
; TotalNumSgprs: 20
; NumVgprs: 12
; ScratchSize: 0
; MemoryBound: 0
; FloatMode: 240
; IeeeMode: 1
; LDSByteSize: 0 bytes/workgroup (compile time only)
; SGPRBlocks: 2
; VGPRBlocks: 2
; NumSGPRsForWavesPerEU: 20
; NumVGPRsForWavesPerEU: 12
; Occupancy: 10
; WaveLimiterHint : 0
; COMPUTE_PGM_RSRC2:SCRATCH_EN: 0
; COMPUTE_PGM_RSRC2:USER_SGPR: 6
; COMPUTE_PGM_RSRC2:TRAP_HANDLER: 0
; COMPUTE_PGM_RSRC2:TGID_X_EN: 1
; COMPUTE_PGM_RSRC2:TGID_Y_EN: 0
; COMPUTE_PGM_RSRC2:TGID_Z_EN: 0
; COMPUTE_PGM_RSRC2:TIDIG_COMP_CNT: 0
	.section	.text._ZN2at6native29vectorized_elementwise_kernelILi2ENS0_13BUnaryFunctorIfffZNS0_12_GLOBAL__N_121threshold_kernel_implIfEEvRNS_18TensorIteratorBaseET_S7_EUlffE_EESt5arrayIPcLm2EEEEviT0_T1_,"axG",@progbits,_ZN2at6native29vectorized_elementwise_kernelILi2ENS0_13BUnaryFunctorIfffZNS0_12_GLOBAL__N_121threshold_kernel_implIfEEvRNS_18TensorIteratorBaseET_S7_EUlffE_EESt5arrayIPcLm2EEEEviT0_T1_,comdat
	.globl	_ZN2at6native29vectorized_elementwise_kernelILi2ENS0_13BUnaryFunctorIfffZNS0_12_GLOBAL__N_121threshold_kernel_implIfEEvRNS_18TensorIteratorBaseET_S7_EUlffE_EESt5arrayIPcLm2EEEEviT0_T1_ ; -- Begin function _ZN2at6native29vectorized_elementwise_kernelILi2ENS0_13BUnaryFunctorIfffZNS0_12_GLOBAL__N_121threshold_kernel_implIfEEvRNS_18TensorIteratorBaseET_S7_EUlffE_EESt5arrayIPcLm2EEEEviT0_T1_
	.p2align	8
	.type	_ZN2at6native29vectorized_elementwise_kernelILi2ENS0_13BUnaryFunctorIfffZNS0_12_GLOBAL__N_121threshold_kernel_implIfEEvRNS_18TensorIteratorBaseET_S7_EUlffE_EESt5arrayIPcLm2EEEEviT0_T1_,@function
_ZN2at6native29vectorized_elementwise_kernelILi2ENS0_13BUnaryFunctorIfffZNS0_12_GLOBAL__N_121threshold_kernel_implIfEEvRNS_18TensorIteratorBaseET_S7_EUlffE_EESt5arrayIPcLm2EEEEviT0_T1_: ; @_ZN2at6native29vectorized_elementwise_kernelILi2ENS0_13BUnaryFunctorIfffZNS0_12_GLOBAL__N_121threshold_kernel_implIfEEvRNS_18TensorIteratorBaseET_S7_EUlffE_EESt5arrayIPcLm2EEEEviT0_T1_
; %bb.0:
	s_load_dwordx8 s[8:15], s[4:5], 0x0
	s_lshl_b32 s2, s6, 10
	s_mov_b64 s[0:1], -1
	s_waitcnt lgkmcnt(0)
	s_sub_i32 s6, s8, s2
	s_cmpk_gt_i32 s6, 0x3ff
	s_cbranch_scc0 .LBB155_2
; %bb.1:
	s_ashr_i32 s3, s2, 31
	s_lshl_b64 s[0:1], s[2:3], 2
	s_add_u32 s4, s14, s0
	s_addc_u32 s5, s15, s1
	v_lshlrev_b32_e32 v5, 3, v0
	global_load_dwordx2 v[1:2], v5, s[4:5]
	global_load_dwordx2 v[3:4], v5, s[4:5] offset:2048
	v_mov_b32_e32 v6, s10
	v_mov_b32_e32 v7, s11
	s_add_u32 s0, s12, s0
	s_addc_u32 s1, s13, s1
	s_waitcnt vmcnt(1)
	v_cmp_nge_f32_e32 vcc, s9, v1
	v_cndmask_b32_e32 v1, v6, v7, vcc
	v_cmp_nge_f32_e32 vcc, s9, v2
	v_cndmask_b32_e32 v2, v6, v7, vcc
	s_waitcnt vmcnt(0)
	v_cmp_nge_f32_e32 vcc, s9, v3
	v_cndmask_b32_e32 v3, v6, v7, vcc
	v_cmp_nge_f32_e32 vcc, s9, v4
	v_cndmask_b32_e32 v4, v6, v7, vcc
	global_store_dwordx2 v5, v[1:2], s[0:1]
	global_store_dwordx2 v5, v[3:4], s[0:1] offset:2048
	s_mov_b64 s[0:1], 0
.LBB155_2:
	s_andn2_b64 vcc, exec, s[0:1]
	s_cbranch_vccnz .LBB155_16
; %bb.3:
	v_cmp_gt_i32_e32 vcc, s6, v0
	v_mov_b32_e32 v3, 0
	v_or_b32_e32 v1, s2, v0
	v_mov_b32_e32 v2, 0
	v_mov_b32_e32 v4, v0
	s_and_saveexec_b64 s[4:5], vcc
	s_cbranch_execz .LBB155_5
; %bb.4:
	v_mov_b32_e32 v2, 0
	v_lshlrev_b64 v[4:5], 2, v[1:2]
	v_mov_b32_e32 v2, s15
	v_add_co_u32_e64 v4, s[0:1], s14, v4
	v_addc_co_u32_e64 v5, s[0:1], v2, v5, s[0:1]
	global_load_dword v2, v[4:5], off
	v_or_b32_e32 v4, 0x100, v0
.LBB155_5:
	s_or_b64 exec, exec, s[4:5]
	v_cmp_gt_i32_e64 s[0:1], s6, v4
	s_and_saveexec_b64 s[4:5], s[0:1]
	s_cbranch_execz .LBB155_7
; %bb.6:
	v_add_u32_e32 v5, s2, v4
	v_mov_b32_e32 v6, 0
	v_lshlrev_b64 v[5:6], 2, v[5:6]
	v_mov_b32_e32 v3, s15
	v_add_co_u32_e64 v5, s[0:1], s14, v5
	v_addc_co_u32_e64 v6, s[0:1], v3, v6, s[0:1]
	global_load_dword v3, v[5:6], off
	v_add_u32_e32 v4, 0x100, v4
.LBB155_7:
	s_or_b64 exec, exec, s[4:5]
	v_cmp_gt_i32_e64 s[0:1], s6, v4
	v_mov_b32_e32 v5, 0
	v_mov_b32_e32 v7, 0
	s_and_saveexec_b64 s[4:5], s[0:1]
	s_cbranch_execz .LBB155_9
; %bb.8:
	v_add_u32_e32 v6, s2, v4
	v_mov_b32_e32 v7, 0
	v_lshlrev_b64 v[6:7], 2, v[6:7]
	v_mov_b32_e32 v8, s15
	v_add_co_u32_e64 v6, s[0:1], s14, v6
	v_addc_co_u32_e64 v7, s[0:1], v8, v7, s[0:1]
	global_load_dword v7, v[6:7], off
	v_add_u32_e32 v4, 0x100, v4
.LBB155_9:
	s_or_b64 exec, exec, s[4:5]
	v_cmp_gt_i32_e64 s[0:1], s6, v4
	s_and_saveexec_b64 s[4:5], s[0:1]
	s_cbranch_execz .LBB155_11
; %bb.10:
	v_add_u32_e32 v4, s2, v4
	v_mov_b32_e32 v5, 0
	v_lshlrev_b64 v[4:5], 2, v[4:5]
	v_mov_b32_e32 v6, s15
	v_add_co_u32_e64 v4, s[0:1], s14, v4
	v_addc_co_u32_e64 v5, s[0:1], v6, v5, s[0:1]
	global_load_dword v5, v[4:5], off
.LBB155_11:
	s_or_b64 exec, exec, s[4:5]
	v_mov_b32_e32 v10, s10
	v_mov_b32_e32 v11, s11
	s_waitcnt vmcnt(0)
	v_cmp_nge_f32_e64 s[0:1], s9, v2
	v_cndmask_b32_e64 v2, v10, v11, s[0:1]
	v_or_b32_e32 v8, 0x100, v0
	v_cmp_nge_f32_e64 s[0:1], s9, v3
	v_cndmask_b32_e32 v9, 0, v2, vcc
	v_cndmask_b32_e64 v2, v10, v11, s[0:1]
	v_cmp_gt_i32_e64 s[0:1], s6, v8
	v_cndmask_b32_e64 v6, 0, v2, s[0:1]
	v_or_b32_e32 v2, 0x200, v0
	v_cmp_nge_f32_e64 s[0:1], s9, v7
	v_cndmask_b32_e64 v3, v10, v11, s[0:1]
	v_cmp_gt_i32_e64 s[0:1], s6, v2
	v_cndmask_b32_e64 v4, 0, v3, s[0:1]
	v_or_b32_e32 v2, 0x300, v0
	v_cmp_nge_f32_e64 s[0:1], s9, v5
	v_cndmask_b32_e64 v3, v10, v11, s[0:1]
	v_cmp_gt_i32_e64 s[0:1], s6, v2
	v_cndmask_b32_e64 v3, 0, v3, s[0:1]
	s_and_saveexec_b64 s[0:1], vcc
	s_cbranch_execnz .LBB155_17
; %bb.12:
	s_or_b64 exec, exec, s[0:1]
	v_cmp_gt_i32_e32 vcc, s6, v0
	s_and_saveexec_b64 s[0:1], vcc
	s_cbranch_execnz .LBB155_18
.LBB155_13:
	s_or_b64 exec, exec, s[0:1]
	v_cmp_gt_i32_e32 vcc, s6, v0
	s_and_saveexec_b64 s[0:1], vcc
	s_cbranch_execnz .LBB155_19
.LBB155_14:
	s_or_b64 exec, exec, s[0:1]
	v_cmp_gt_i32_e32 vcc, s6, v0
	s_and_saveexec_b64 s[0:1], vcc
	s_cbranch_execz .LBB155_16
.LBB155_15:
	v_add_u32_e32 v0, s2, v0
	v_mov_b32_e32 v1, 0
	v_lshlrev_b64 v[0:1], 2, v[0:1]
	v_mov_b32_e32 v2, s13
	v_add_co_u32_e32 v0, vcc, s12, v0
	v_addc_co_u32_e32 v1, vcc, v2, v1, vcc
	global_store_dword v[0:1], v3, off
.LBB155_16:
	s_endpgm
.LBB155_17:
	v_mov_b32_e32 v2, 0
	v_lshlrev_b64 v[0:1], 2, v[1:2]
	v_mov_b32_e32 v2, s13
	v_add_co_u32_e32 v0, vcc, s12, v0
	v_addc_co_u32_e32 v1, vcc, v2, v1, vcc
	global_store_dword v[0:1], v9, off
	v_mov_b32_e32 v0, v8
	s_or_b64 exec, exec, s[0:1]
	v_cmp_gt_i32_e32 vcc, s6, v0
	s_and_saveexec_b64 s[0:1], vcc
	s_cbranch_execz .LBB155_13
.LBB155_18:
	v_add_u32_e32 v1, s2, v0
	v_mov_b32_e32 v2, 0
	v_lshlrev_b64 v[1:2], 2, v[1:2]
	v_mov_b32_e32 v5, s13
	v_add_co_u32_e32 v1, vcc, s12, v1
	v_addc_co_u32_e32 v2, vcc, v5, v2, vcc
	v_add_u32_e32 v0, 0x100, v0
	global_store_dword v[1:2], v6, off
	s_or_b64 exec, exec, s[0:1]
	v_cmp_gt_i32_e32 vcc, s6, v0
	s_and_saveexec_b64 s[0:1], vcc
	s_cbranch_execz .LBB155_14
.LBB155_19:
	v_add_u32_e32 v1, s2, v0
	v_mov_b32_e32 v2, 0
	v_lshlrev_b64 v[1:2], 2, v[1:2]
	v_mov_b32_e32 v5, s13
	v_add_co_u32_e32 v1, vcc, s12, v1
	v_addc_co_u32_e32 v2, vcc, v5, v2, vcc
	v_add_u32_e32 v0, 0x100, v0
	global_store_dword v[1:2], v4, off
	s_or_b64 exec, exec, s[0:1]
	v_cmp_gt_i32_e32 vcc, s6, v0
	s_and_saveexec_b64 s[0:1], vcc
	s_cbranch_execnz .LBB155_15
	s_branch .LBB155_16
	.section	.rodata,"a",@progbits
	.p2align	6, 0x0
	.amdhsa_kernel _ZN2at6native29vectorized_elementwise_kernelILi2ENS0_13BUnaryFunctorIfffZNS0_12_GLOBAL__N_121threshold_kernel_implIfEEvRNS_18TensorIteratorBaseET_S7_EUlffE_EESt5arrayIPcLm2EEEEviT0_T1_
		.amdhsa_group_segment_fixed_size 0
		.amdhsa_private_segment_fixed_size 0
		.amdhsa_kernarg_size 32
		.amdhsa_user_sgpr_count 6
		.amdhsa_user_sgpr_private_segment_buffer 1
		.amdhsa_user_sgpr_dispatch_ptr 0
		.amdhsa_user_sgpr_queue_ptr 0
		.amdhsa_user_sgpr_kernarg_segment_ptr 1
		.amdhsa_user_sgpr_dispatch_id 0
		.amdhsa_user_sgpr_flat_scratch_init 0
		.amdhsa_user_sgpr_private_segment_size 0
		.amdhsa_uses_dynamic_stack 0
		.amdhsa_system_sgpr_private_segment_wavefront_offset 0
		.amdhsa_system_sgpr_workgroup_id_x 1
		.amdhsa_system_sgpr_workgroup_id_y 0
		.amdhsa_system_sgpr_workgroup_id_z 0
		.amdhsa_system_sgpr_workgroup_info 0
		.amdhsa_system_vgpr_workitem_id 0
		.amdhsa_next_free_vgpr 12
		.amdhsa_next_free_sgpr 16
		.amdhsa_reserve_vcc 1
		.amdhsa_reserve_flat_scratch 0
		.amdhsa_float_round_mode_32 0
		.amdhsa_float_round_mode_16_64 0
		.amdhsa_float_denorm_mode_32 3
		.amdhsa_float_denorm_mode_16_64 3
		.amdhsa_dx10_clamp 1
		.amdhsa_ieee_mode 1
		.amdhsa_fp16_overflow 0
		.amdhsa_exception_fp_ieee_invalid_op 0
		.amdhsa_exception_fp_denorm_src 0
		.amdhsa_exception_fp_ieee_div_zero 0
		.amdhsa_exception_fp_ieee_overflow 0
		.amdhsa_exception_fp_ieee_underflow 0
		.amdhsa_exception_fp_ieee_inexact 0
		.amdhsa_exception_int_div_zero 0
	.end_amdhsa_kernel
	.section	.text._ZN2at6native29vectorized_elementwise_kernelILi2ENS0_13BUnaryFunctorIfffZNS0_12_GLOBAL__N_121threshold_kernel_implIfEEvRNS_18TensorIteratorBaseET_S7_EUlffE_EESt5arrayIPcLm2EEEEviT0_T1_,"axG",@progbits,_ZN2at6native29vectorized_elementwise_kernelILi2ENS0_13BUnaryFunctorIfffZNS0_12_GLOBAL__N_121threshold_kernel_implIfEEvRNS_18TensorIteratorBaseET_S7_EUlffE_EESt5arrayIPcLm2EEEEviT0_T1_,comdat
.Lfunc_end155:
	.size	_ZN2at6native29vectorized_elementwise_kernelILi2ENS0_13BUnaryFunctorIfffZNS0_12_GLOBAL__N_121threshold_kernel_implIfEEvRNS_18TensorIteratorBaseET_S7_EUlffE_EESt5arrayIPcLm2EEEEviT0_T1_, .Lfunc_end155-_ZN2at6native29vectorized_elementwise_kernelILi2ENS0_13BUnaryFunctorIfffZNS0_12_GLOBAL__N_121threshold_kernel_implIfEEvRNS_18TensorIteratorBaseET_S7_EUlffE_EESt5arrayIPcLm2EEEEviT0_T1_
                                        ; -- End function
	.set _ZN2at6native29vectorized_elementwise_kernelILi2ENS0_13BUnaryFunctorIfffZNS0_12_GLOBAL__N_121threshold_kernel_implIfEEvRNS_18TensorIteratorBaseET_S7_EUlffE_EESt5arrayIPcLm2EEEEviT0_T1_.num_vgpr, 12
	.set _ZN2at6native29vectorized_elementwise_kernelILi2ENS0_13BUnaryFunctorIfffZNS0_12_GLOBAL__N_121threshold_kernel_implIfEEvRNS_18TensorIteratorBaseET_S7_EUlffE_EESt5arrayIPcLm2EEEEviT0_T1_.num_agpr, 0
	.set _ZN2at6native29vectorized_elementwise_kernelILi2ENS0_13BUnaryFunctorIfffZNS0_12_GLOBAL__N_121threshold_kernel_implIfEEvRNS_18TensorIteratorBaseET_S7_EUlffE_EESt5arrayIPcLm2EEEEviT0_T1_.numbered_sgpr, 16
	.set _ZN2at6native29vectorized_elementwise_kernelILi2ENS0_13BUnaryFunctorIfffZNS0_12_GLOBAL__N_121threshold_kernel_implIfEEvRNS_18TensorIteratorBaseET_S7_EUlffE_EESt5arrayIPcLm2EEEEviT0_T1_.num_named_barrier, 0
	.set _ZN2at6native29vectorized_elementwise_kernelILi2ENS0_13BUnaryFunctorIfffZNS0_12_GLOBAL__N_121threshold_kernel_implIfEEvRNS_18TensorIteratorBaseET_S7_EUlffE_EESt5arrayIPcLm2EEEEviT0_T1_.private_seg_size, 0
	.set _ZN2at6native29vectorized_elementwise_kernelILi2ENS0_13BUnaryFunctorIfffZNS0_12_GLOBAL__N_121threshold_kernel_implIfEEvRNS_18TensorIteratorBaseET_S7_EUlffE_EESt5arrayIPcLm2EEEEviT0_T1_.uses_vcc, 1
	.set _ZN2at6native29vectorized_elementwise_kernelILi2ENS0_13BUnaryFunctorIfffZNS0_12_GLOBAL__N_121threshold_kernel_implIfEEvRNS_18TensorIteratorBaseET_S7_EUlffE_EESt5arrayIPcLm2EEEEviT0_T1_.uses_flat_scratch, 0
	.set _ZN2at6native29vectorized_elementwise_kernelILi2ENS0_13BUnaryFunctorIfffZNS0_12_GLOBAL__N_121threshold_kernel_implIfEEvRNS_18TensorIteratorBaseET_S7_EUlffE_EESt5arrayIPcLm2EEEEviT0_T1_.has_dyn_sized_stack, 0
	.set _ZN2at6native29vectorized_elementwise_kernelILi2ENS0_13BUnaryFunctorIfffZNS0_12_GLOBAL__N_121threshold_kernel_implIfEEvRNS_18TensorIteratorBaseET_S7_EUlffE_EESt5arrayIPcLm2EEEEviT0_T1_.has_recursion, 0
	.set _ZN2at6native29vectorized_elementwise_kernelILi2ENS0_13BUnaryFunctorIfffZNS0_12_GLOBAL__N_121threshold_kernel_implIfEEvRNS_18TensorIteratorBaseET_S7_EUlffE_EESt5arrayIPcLm2EEEEviT0_T1_.has_indirect_call, 0
	.section	.AMDGPU.csdata,"",@progbits
; Kernel info:
; codeLenInByte = 872
; TotalNumSgprs: 20
; NumVgprs: 12
; ScratchSize: 0
; MemoryBound: 0
; FloatMode: 240
; IeeeMode: 1
; LDSByteSize: 0 bytes/workgroup (compile time only)
; SGPRBlocks: 2
; VGPRBlocks: 2
; NumSGPRsForWavesPerEU: 20
; NumVGPRsForWavesPerEU: 12
; Occupancy: 10
; WaveLimiterHint : 1
; COMPUTE_PGM_RSRC2:SCRATCH_EN: 0
; COMPUTE_PGM_RSRC2:USER_SGPR: 6
; COMPUTE_PGM_RSRC2:TRAP_HANDLER: 0
; COMPUTE_PGM_RSRC2:TGID_X_EN: 1
; COMPUTE_PGM_RSRC2:TGID_Y_EN: 0
; COMPUTE_PGM_RSRC2:TGID_Z_EN: 0
; COMPUTE_PGM_RSRC2:TIDIG_COMP_CNT: 0
	.section	.text._ZN2at6native27unrolled_elementwise_kernelINS0_13BUnaryFunctorIfffZNS0_12_GLOBAL__N_121threshold_kernel_implIfEEvRNS_18TensorIteratorBaseET_S7_EUlffE_EESt5arrayIPcLm2EELi4E23TrivialOffsetCalculatorILi1EjESE_NS0_6memory15LoadWithoutCastENSF_16StoreWithoutCastEEEviS7_T0_T2_T3_T4_T5_,"axG",@progbits,_ZN2at6native27unrolled_elementwise_kernelINS0_13BUnaryFunctorIfffZNS0_12_GLOBAL__N_121threshold_kernel_implIfEEvRNS_18TensorIteratorBaseET_S7_EUlffE_EESt5arrayIPcLm2EELi4E23TrivialOffsetCalculatorILi1EjESE_NS0_6memory15LoadWithoutCastENSF_16StoreWithoutCastEEEviS7_T0_T2_T3_T4_T5_,comdat
	.globl	_ZN2at6native27unrolled_elementwise_kernelINS0_13BUnaryFunctorIfffZNS0_12_GLOBAL__N_121threshold_kernel_implIfEEvRNS_18TensorIteratorBaseET_S7_EUlffE_EESt5arrayIPcLm2EELi4E23TrivialOffsetCalculatorILi1EjESE_NS0_6memory15LoadWithoutCastENSF_16StoreWithoutCastEEEviS7_T0_T2_T3_T4_T5_ ; -- Begin function _ZN2at6native27unrolled_elementwise_kernelINS0_13BUnaryFunctorIfffZNS0_12_GLOBAL__N_121threshold_kernel_implIfEEvRNS_18TensorIteratorBaseET_S7_EUlffE_EESt5arrayIPcLm2EELi4E23TrivialOffsetCalculatorILi1EjESE_NS0_6memory15LoadWithoutCastENSF_16StoreWithoutCastEEEviS7_T0_T2_T3_T4_T5_
	.p2align	8
	.type	_ZN2at6native27unrolled_elementwise_kernelINS0_13BUnaryFunctorIfffZNS0_12_GLOBAL__N_121threshold_kernel_implIfEEvRNS_18TensorIteratorBaseET_S7_EUlffE_EESt5arrayIPcLm2EELi4E23TrivialOffsetCalculatorILi1EjESE_NS0_6memory15LoadWithoutCastENSF_16StoreWithoutCastEEEviS7_T0_T2_T3_T4_T5_,@function
_ZN2at6native27unrolled_elementwise_kernelINS0_13BUnaryFunctorIfffZNS0_12_GLOBAL__N_121threshold_kernel_implIfEEvRNS_18TensorIteratorBaseET_S7_EUlffE_EESt5arrayIPcLm2EELi4E23TrivialOffsetCalculatorILi1EjESE_NS0_6memory15LoadWithoutCastENSF_16StoreWithoutCastEEEviS7_T0_T2_T3_T4_T5_: ; @_ZN2at6native27unrolled_elementwise_kernelINS0_13BUnaryFunctorIfffZNS0_12_GLOBAL__N_121threshold_kernel_implIfEEvRNS_18TensorIteratorBaseET_S7_EUlffE_EESt5arrayIPcLm2EELi4E23TrivialOffsetCalculatorILi1EjESE_NS0_6memory15LoadWithoutCastENSF_16StoreWithoutCastEEEviS7_T0_T2_T3_T4_T5_
; %bb.0:
	s_load_dwordx8 s[8:15], s[4:5], 0x0
	s_lshl_b32 s4, s6, 10
	v_mov_b32_e32 v3, 0
	v_or_b32_e32 v1, s4, v0
	v_mov_b32_e32 v2, 0
	s_waitcnt lgkmcnt(0)
	s_sub_i32 s5, s8, s4
	v_cmp_gt_i32_e32 vcc, s5, v0
	v_mov_b32_e32 v4, v0
	s_and_saveexec_b64 s[2:3], vcc
	s_cbranch_execz .LBB156_2
; %bb.1:
	v_mov_b32_e32 v2, 0
	v_lshlrev_b64 v[4:5], 2, v[1:2]
	v_mov_b32_e32 v2, s15
	v_add_co_u32_e64 v4, s[0:1], s14, v4
	v_addc_co_u32_e64 v5, s[0:1], v2, v5, s[0:1]
	global_load_dword v2, v[4:5], off
	v_or_b32_e32 v4, 0x100, v0
.LBB156_2:
	s_or_b64 exec, exec, s[2:3]
	v_cmp_gt_i32_e64 s[0:1], s5, v4
	s_and_saveexec_b64 s[2:3], s[0:1]
	s_cbranch_execz .LBB156_4
; %bb.3:
	v_add_u32_e32 v5, s4, v4
	v_mov_b32_e32 v6, 0
	v_lshlrev_b64 v[5:6], 2, v[5:6]
	v_mov_b32_e32 v3, s15
	v_add_co_u32_e64 v5, s[0:1], s14, v5
	v_addc_co_u32_e64 v6, s[0:1], v3, v6, s[0:1]
	global_load_dword v3, v[5:6], off
	v_add_u32_e32 v4, 0x100, v4
.LBB156_4:
	s_or_b64 exec, exec, s[2:3]
	v_cmp_gt_i32_e64 s[0:1], s5, v4
	v_mov_b32_e32 v5, 0
	v_mov_b32_e32 v7, 0
	s_and_saveexec_b64 s[2:3], s[0:1]
	s_cbranch_execz .LBB156_6
; %bb.5:
	v_add_u32_e32 v6, s4, v4
	v_mov_b32_e32 v7, 0
	v_lshlrev_b64 v[6:7], 2, v[6:7]
	v_mov_b32_e32 v8, s15
	v_add_co_u32_e64 v6, s[0:1], s14, v6
	v_addc_co_u32_e64 v7, s[0:1], v8, v7, s[0:1]
	global_load_dword v7, v[6:7], off
	v_add_u32_e32 v4, 0x100, v4
.LBB156_6:
	s_or_b64 exec, exec, s[2:3]
	v_cmp_gt_i32_e64 s[0:1], s5, v4
	s_and_saveexec_b64 s[2:3], s[0:1]
	s_cbranch_execz .LBB156_8
; %bb.7:
	v_add_u32_e32 v4, s4, v4
	v_mov_b32_e32 v5, 0
	v_lshlrev_b64 v[4:5], 2, v[4:5]
	v_mov_b32_e32 v6, s15
	v_add_co_u32_e64 v4, s[0:1], s14, v4
	v_addc_co_u32_e64 v5, s[0:1], v6, v5, s[0:1]
	global_load_dword v5, v[4:5], off
.LBB156_8:
	s_or_b64 exec, exec, s[2:3]
	v_mov_b32_e32 v10, s10
	v_mov_b32_e32 v11, s11
	s_waitcnt vmcnt(0)
	v_cmp_nge_f32_e64 s[0:1], s9, v2
	v_cndmask_b32_e64 v2, v10, v11, s[0:1]
	v_or_b32_e32 v8, 0x100, v0
	v_cmp_nge_f32_e64 s[0:1], s9, v3
	v_cndmask_b32_e32 v9, 0, v2, vcc
	v_cndmask_b32_e64 v2, v10, v11, s[0:1]
	v_cmp_gt_i32_e64 s[0:1], s5, v8
	v_cndmask_b32_e64 v6, 0, v2, s[0:1]
	v_or_b32_e32 v2, 0x200, v0
	v_cmp_nge_f32_e64 s[0:1], s9, v7
	v_cndmask_b32_e64 v3, v10, v11, s[0:1]
	v_cmp_gt_i32_e64 s[0:1], s5, v2
	v_cndmask_b32_e64 v4, 0, v3, s[0:1]
	v_or_b32_e32 v2, 0x300, v0
	v_cmp_nge_f32_e64 s[0:1], s9, v5
	v_cndmask_b32_e64 v3, v10, v11, s[0:1]
	v_cmp_gt_i32_e64 s[0:1], s5, v2
	v_cndmask_b32_e64 v3, 0, v3, s[0:1]
	s_and_saveexec_b64 s[0:1], vcc
	s_cbranch_execnz .LBB156_13
; %bb.9:
	s_or_b64 exec, exec, s[0:1]
	v_cmp_gt_i32_e32 vcc, s5, v0
	s_and_saveexec_b64 s[0:1], vcc
	s_cbranch_execnz .LBB156_14
.LBB156_10:
	s_or_b64 exec, exec, s[0:1]
	v_cmp_gt_i32_e32 vcc, s5, v0
	s_and_saveexec_b64 s[0:1], vcc
	s_cbranch_execnz .LBB156_15
.LBB156_11:
	s_or_b64 exec, exec, s[0:1]
	v_cmp_gt_i32_e32 vcc, s5, v0
	s_and_saveexec_b64 s[0:1], vcc
	s_cbranch_execnz .LBB156_16
.LBB156_12:
	s_endpgm
.LBB156_13:
	v_mov_b32_e32 v2, 0
	v_lshlrev_b64 v[0:1], 2, v[1:2]
	v_mov_b32_e32 v2, s13
	v_add_co_u32_e32 v0, vcc, s12, v0
	v_addc_co_u32_e32 v1, vcc, v2, v1, vcc
	global_store_dword v[0:1], v9, off
	v_mov_b32_e32 v0, v8
	s_or_b64 exec, exec, s[0:1]
	v_cmp_gt_i32_e32 vcc, s5, v0
	s_and_saveexec_b64 s[0:1], vcc
	s_cbranch_execz .LBB156_10
.LBB156_14:
	v_add_u32_e32 v2, 0x100, v0
	v_add_u32_e32 v0, s4, v0
	v_mov_b32_e32 v1, 0
	v_lshlrev_b64 v[0:1], 2, v[0:1]
	v_mov_b32_e32 v5, s13
	v_add_co_u32_e32 v0, vcc, s12, v0
	v_addc_co_u32_e32 v1, vcc, v5, v1, vcc
	global_store_dword v[0:1], v6, off
	v_mov_b32_e32 v0, v2
	s_or_b64 exec, exec, s[0:1]
	v_cmp_gt_i32_e32 vcc, s5, v0
	s_and_saveexec_b64 s[0:1], vcc
	s_cbranch_execz .LBB156_11
.LBB156_15:
	v_add_u32_e32 v2, 0x100, v0
	v_add_u32_e32 v0, s4, v0
	v_mov_b32_e32 v1, 0
	v_lshlrev_b64 v[0:1], 2, v[0:1]
	v_mov_b32_e32 v5, s13
	v_add_co_u32_e32 v0, vcc, s12, v0
	v_addc_co_u32_e32 v1, vcc, v5, v1, vcc
	global_store_dword v[0:1], v4, off
	v_mov_b32_e32 v0, v2
	s_or_b64 exec, exec, s[0:1]
	v_cmp_gt_i32_e32 vcc, s5, v0
	s_and_saveexec_b64 s[0:1], vcc
	s_cbranch_execz .LBB156_12
.LBB156_16:
	v_add_u32_e32 v0, s4, v0
	v_mov_b32_e32 v1, 0
	v_lshlrev_b64 v[0:1], 2, v[0:1]
	v_mov_b32_e32 v2, s13
	v_add_co_u32_e32 v0, vcc, s12, v0
	v_addc_co_u32_e32 v1, vcc, v2, v1, vcc
	global_store_dword v[0:1], v3, off
	s_endpgm
	.section	.rodata,"a",@progbits
	.p2align	6, 0x0
	.amdhsa_kernel _ZN2at6native27unrolled_elementwise_kernelINS0_13BUnaryFunctorIfffZNS0_12_GLOBAL__N_121threshold_kernel_implIfEEvRNS_18TensorIteratorBaseET_S7_EUlffE_EESt5arrayIPcLm2EELi4E23TrivialOffsetCalculatorILi1EjESE_NS0_6memory15LoadWithoutCastENSF_16StoreWithoutCastEEEviS7_T0_T2_T3_T4_T5_
		.amdhsa_group_segment_fixed_size 0
		.amdhsa_private_segment_fixed_size 0
		.amdhsa_kernarg_size 36
		.amdhsa_user_sgpr_count 6
		.amdhsa_user_sgpr_private_segment_buffer 1
		.amdhsa_user_sgpr_dispatch_ptr 0
		.amdhsa_user_sgpr_queue_ptr 0
		.amdhsa_user_sgpr_kernarg_segment_ptr 1
		.amdhsa_user_sgpr_dispatch_id 0
		.amdhsa_user_sgpr_flat_scratch_init 0
		.amdhsa_user_sgpr_private_segment_size 0
		.amdhsa_uses_dynamic_stack 0
		.amdhsa_system_sgpr_private_segment_wavefront_offset 0
		.amdhsa_system_sgpr_workgroup_id_x 1
		.amdhsa_system_sgpr_workgroup_id_y 0
		.amdhsa_system_sgpr_workgroup_id_z 0
		.amdhsa_system_sgpr_workgroup_info 0
		.amdhsa_system_vgpr_workitem_id 0
		.amdhsa_next_free_vgpr 12
		.amdhsa_next_free_sgpr 16
		.amdhsa_reserve_vcc 1
		.amdhsa_reserve_flat_scratch 0
		.amdhsa_float_round_mode_32 0
		.amdhsa_float_round_mode_16_64 0
		.amdhsa_float_denorm_mode_32 3
		.amdhsa_float_denorm_mode_16_64 3
		.amdhsa_dx10_clamp 1
		.amdhsa_ieee_mode 1
		.amdhsa_fp16_overflow 0
		.amdhsa_exception_fp_ieee_invalid_op 0
		.amdhsa_exception_fp_denorm_src 0
		.amdhsa_exception_fp_ieee_div_zero 0
		.amdhsa_exception_fp_ieee_overflow 0
		.amdhsa_exception_fp_ieee_underflow 0
		.amdhsa_exception_fp_ieee_inexact 0
		.amdhsa_exception_int_div_zero 0
	.end_amdhsa_kernel
	.section	.text._ZN2at6native27unrolled_elementwise_kernelINS0_13BUnaryFunctorIfffZNS0_12_GLOBAL__N_121threshold_kernel_implIfEEvRNS_18TensorIteratorBaseET_S7_EUlffE_EESt5arrayIPcLm2EELi4E23TrivialOffsetCalculatorILi1EjESE_NS0_6memory15LoadWithoutCastENSF_16StoreWithoutCastEEEviS7_T0_T2_T3_T4_T5_,"axG",@progbits,_ZN2at6native27unrolled_elementwise_kernelINS0_13BUnaryFunctorIfffZNS0_12_GLOBAL__N_121threshold_kernel_implIfEEvRNS_18TensorIteratorBaseET_S7_EUlffE_EESt5arrayIPcLm2EELi4E23TrivialOffsetCalculatorILi1EjESE_NS0_6memory15LoadWithoutCastENSF_16StoreWithoutCastEEEviS7_T0_T2_T3_T4_T5_,comdat
.Lfunc_end156:
	.size	_ZN2at6native27unrolled_elementwise_kernelINS0_13BUnaryFunctorIfffZNS0_12_GLOBAL__N_121threshold_kernel_implIfEEvRNS_18TensorIteratorBaseET_S7_EUlffE_EESt5arrayIPcLm2EELi4E23TrivialOffsetCalculatorILi1EjESE_NS0_6memory15LoadWithoutCastENSF_16StoreWithoutCastEEEviS7_T0_T2_T3_T4_T5_, .Lfunc_end156-_ZN2at6native27unrolled_elementwise_kernelINS0_13BUnaryFunctorIfffZNS0_12_GLOBAL__N_121threshold_kernel_implIfEEvRNS_18TensorIteratorBaseET_S7_EUlffE_EESt5arrayIPcLm2EELi4E23TrivialOffsetCalculatorILi1EjESE_NS0_6memory15LoadWithoutCastENSF_16StoreWithoutCastEEEviS7_T0_T2_T3_T4_T5_
                                        ; -- End function
	.set _ZN2at6native27unrolled_elementwise_kernelINS0_13BUnaryFunctorIfffZNS0_12_GLOBAL__N_121threshold_kernel_implIfEEvRNS_18TensorIteratorBaseET_S7_EUlffE_EESt5arrayIPcLm2EELi4E23TrivialOffsetCalculatorILi1EjESE_NS0_6memory15LoadWithoutCastENSF_16StoreWithoutCastEEEviS7_T0_T2_T3_T4_T5_.num_vgpr, 12
	.set _ZN2at6native27unrolled_elementwise_kernelINS0_13BUnaryFunctorIfffZNS0_12_GLOBAL__N_121threshold_kernel_implIfEEvRNS_18TensorIteratorBaseET_S7_EUlffE_EESt5arrayIPcLm2EELi4E23TrivialOffsetCalculatorILi1EjESE_NS0_6memory15LoadWithoutCastENSF_16StoreWithoutCastEEEviS7_T0_T2_T3_T4_T5_.num_agpr, 0
	.set _ZN2at6native27unrolled_elementwise_kernelINS0_13BUnaryFunctorIfffZNS0_12_GLOBAL__N_121threshold_kernel_implIfEEvRNS_18TensorIteratorBaseET_S7_EUlffE_EESt5arrayIPcLm2EELi4E23TrivialOffsetCalculatorILi1EjESE_NS0_6memory15LoadWithoutCastENSF_16StoreWithoutCastEEEviS7_T0_T2_T3_T4_T5_.numbered_sgpr, 16
	.set _ZN2at6native27unrolled_elementwise_kernelINS0_13BUnaryFunctorIfffZNS0_12_GLOBAL__N_121threshold_kernel_implIfEEvRNS_18TensorIteratorBaseET_S7_EUlffE_EESt5arrayIPcLm2EELi4E23TrivialOffsetCalculatorILi1EjESE_NS0_6memory15LoadWithoutCastENSF_16StoreWithoutCastEEEviS7_T0_T2_T3_T4_T5_.num_named_barrier, 0
	.set _ZN2at6native27unrolled_elementwise_kernelINS0_13BUnaryFunctorIfffZNS0_12_GLOBAL__N_121threshold_kernel_implIfEEvRNS_18TensorIteratorBaseET_S7_EUlffE_EESt5arrayIPcLm2EELi4E23TrivialOffsetCalculatorILi1EjESE_NS0_6memory15LoadWithoutCastENSF_16StoreWithoutCastEEEviS7_T0_T2_T3_T4_T5_.private_seg_size, 0
	.set _ZN2at6native27unrolled_elementwise_kernelINS0_13BUnaryFunctorIfffZNS0_12_GLOBAL__N_121threshold_kernel_implIfEEvRNS_18TensorIteratorBaseET_S7_EUlffE_EESt5arrayIPcLm2EELi4E23TrivialOffsetCalculatorILi1EjESE_NS0_6memory15LoadWithoutCastENSF_16StoreWithoutCastEEEviS7_T0_T2_T3_T4_T5_.uses_vcc, 1
	.set _ZN2at6native27unrolled_elementwise_kernelINS0_13BUnaryFunctorIfffZNS0_12_GLOBAL__N_121threshold_kernel_implIfEEvRNS_18TensorIteratorBaseET_S7_EUlffE_EESt5arrayIPcLm2EELi4E23TrivialOffsetCalculatorILi1EjESE_NS0_6memory15LoadWithoutCastENSF_16StoreWithoutCastEEEviS7_T0_T2_T3_T4_T5_.uses_flat_scratch, 0
	.set _ZN2at6native27unrolled_elementwise_kernelINS0_13BUnaryFunctorIfffZNS0_12_GLOBAL__N_121threshold_kernel_implIfEEvRNS_18TensorIteratorBaseET_S7_EUlffE_EESt5arrayIPcLm2EELi4E23TrivialOffsetCalculatorILi1EjESE_NS0_6memory15LoadWithoutCastENSF_16StoreWithoutCastEEEviS7_T0_T2_T3_T4_T5_.has_dyn_sized_stack, 0
	.set _ZN2at6native27unrolled_elementwise_kernelINS0_13BUnaryFunctorIfffZNS0_12_GLOBAL__N_121threshold_kernel_implIfEEvRNS_18TensorIteratorBaseET_S7_EUlffE_EESt5arrayIPcLm2EELi4E23TrivialOffsetCalculatorILi1EjESE_NS0_6memory15LoadWithoutCastENSF_16StoreWithoutCastEEEviS7_T0_T2_T3_T4_T5_.has_recursion, 0
	.set _ZN2at6native27unrolled_elementwise_kernelINS0_13BUnaryFunctorIfffZNS0_12_GLOBAL__N_121threshold_kernel_implIfEEvRNS_18TensorIteratorBaseET_S7_EUlffE_EESt5arrayIPcLm2EELi4E23TrivialOffsetCalculatorILi1EjESE_NS0_6memory15LoadWithoutCastENSF_16StoreWithoutCastEEEviS7_T0_T2_T3_T4_T5_.has_indirect_call, 0
	.section	.AMDGPU.csdata,"",@progbits
; Kernel info:
; codeLenInByte = 748
; TotalNumSgprs: 20
; NumVgprs: 12
; ScratchSize: 0
; MemoryBound: 0
; FloatMode: 240
; IeeeMode: 1
; LDSByteSize: 0 bytes/workgroup (compile time only)
; SGPRBlocks: 2
; VGPRBlocks: 2
; NumSGPRsForWavesPerEU: 20
; NumVGPRsForWavesPerEU: 12
; Occupancy: 10
; WaveLimiterHint : 0
; COMPUTE_PGM_RSRC2:SCRATCH_EN: 0
; COMPUTE_PGM_RSRC2:USER_SGPR: 6
; COMPUTE_PGM_RSRC2:TRAP_HANDLER: 0
; COMPUTE_PGM_RSRC2:TGID_X_EN: 1
; COMPUTE_PGM_RSRC2:TGID_Y_EN: 0
; COMPUTE_PGM_RSRC2:TGID_Z_EN: 0
; COMPUTE_PGM_RSRC2:TIDIG_COMP_CNT: 0
	.section	.text._ZN2at6native32elementwise_kernel_manual_unrollILi128ELi4EZNS0_22gpu_kernel_impl_nocastINS0_13BUnaryFunctorIfffZNS0_12_GLOBAL__N_121threshold_kernel_implIfEEvRNS_18TensorIteratorBaseET_S8_EUlffE_EEEEvS7_RKS8_EUlibE_EEviT1_,"axG",@progbits,_ZN2at6native32elementwise_kernel_manual_unrollILi128ELi4EZNS0_22gpu_kernel_impl_nocastINS0_13BUnaryFunctorIfffZNS0_12_GLOBAL__N_121threshold_kernel_implIfEEvRNS_18TensorIteratorBaseET_S8_EUlffE_EEEEvS7_RKS8_EUlibE_EEviT1_,comdat
	.globl	_ZN2at6native32elementwise_kernel_manual_unrollILi128ELi4EZNS0_22gpu_kernel_impl_nocastINS0_13BUnaryFunctorIfffZNS0_12_GLOBAL__N_121threshold_kernel_implIfEEvRNS_18TensorIteratorBaseET_S8_EUlffE_EEEEvS7_RKS8_EUlibE_EEviT1_ ; -- Begin function _ZN2at6native32elementwise_kernel_manual_unrollILi128ELi4EZNS0_22gpu_kernel_impl_nocastINS0_13BUnaryFunctorIfffZNS0_12_GLOBAL__N_121threshold_kernel_implIfEEvRNS_18TensorIteratorBaseET_S8_EUlffE_EEEEvS7_RKS8_EUlibE_EEviT1_
	.p2align	8
	.type	_ZN2at6native32elementwise_kernel_manual_unrollILi128ELi4EZNS0_22gpu_kernel_impl_nocastINS0_13BUnaryFunctorIfffZNS0_12_GLOBAL__N_121threshold_kernel_implIfEEvRNS_18TensorIteratorBaseET_S8_EUlffE_EEEEvS7_RKS8_EUlibE_EEviT1_,@function
_ZN2at6native32elementwise_kernel_manual_unrollILi128ELi4EZNS0_22gpu_kernel_impl_nocastINS0_13BUnaryFunctorIfffZNS0_12_GLOBAL__N_121threshold_kernel_implIfEEvRNS_18TensorIteratorBaseET_S8_EUlffE_EEEEvS7_RKS8_EUlibE_EEviT1_: ; @_ZN2at6native32elementwise_kernel_manual_unrollILi128ELi4EZNS0_22gpu_kernel_impl_nocastINS0_13BUnaryFunctorIfffZNS0_12_GLOBAL__N_121threshold_kernel_implIfEEvRNS_18TensorIteratorBaseET_S8_EUlffE_EEEEvS7_RKS8_EUlibE_EEviT1_
; %bb.0:
	s_load_dword s59, s[4:5], 0x0
	s_load_dword s33, s[4:5], 0x8
	s_add_u32 s34, s4, 8
	s_addc_u32 s35, s5, 0
	v_lshl_or_b32 v7, s6, 9, v0
	v_or_b32_e32 v13, 0x180, v7
	s_waitcnt lgkmcnt(0)
	s_add_i32 s58, s33, -1
	s_cmp_gt_u32 s58, 1
	v_cmp_le_i32_e32 vcc, s59, v13
	s_cselect_b64 s[40:41], -1, 0
	s_and_saveexec_b64 s[0:1], vcc
	s_xor_b64 s[42:43], exec, s[0:1]
	s_cbranch_execz .LBB157_7
; %bb.1:
	s_load_dwordx4 s[28:31], s[34:35], 0x4
	s_load_dwordx2 s[44:45], s[34:35], 0x14
	s_load_dwordx4 s[24:27], s[34:35], 0xc4
	s_load_dwordx8 s[0:7], s[34:35], 0x148
	s_cmp_lg_u32 s33, 0
	s_cselect_b64 s[50:51], -1, 0
	s_add_u32 s48, s34, 0xc4
	s_addc_u32 s49, s35, 0
	s_waitcnt lgkmcnt(0)
	s_min_u32 s7, s58, 15
	s_cmp_gt_u32 s33, 1
	s_cselect_b64 s[46:47], -1, 0
	v_cmp_gt_i32_e32 vcc, s59, v7
	s_and_saveexec_b64 s[52:53], vcc
	s_cbranch_execz .LBB157_14
; %bb.2:
	s_andn2_b64 vcc, exec, s[40:41]
	s_cbranch_vccnz .LBB157_21
; %bb.3:
	s_andn2_b64 vcc, exec, s[50:51]
	s_cbranch_vccnz .LBB157_73
; %bb.4:
	s_add_i32 s61, s7, 1
	s_cmp_eq_u32 s58, 2
	s_cbranch_scc1 .LBB157_75
; %bb.5:
	s_and_b32 s60, s61, 28
	v_mov_b32_e32 v2, 0
	s_mov_b32 s62, 0
	s_mov_b64 s[54:55], s[34:35]
	s_mov_b64 s[56:57], s[48:49]
	v_mov_b32_e32 v0, 0
	v_mov_b32_e32 v1, v7
.LBB157_6:                              ; =>This Inner Loop Header: Depth=1
	s_load_dwordx8 s[16:23], s[54:55], 0x4
	s_load_dwordx4 s[36:39], s[54:55], 0x24
	s_load_dwordx8 s[8:15], s[56:57], 0x0
	s_add_u32 s54, s54, 48
	s_addc_u32 s55, s55, 0
	s_waitcnt lgkmcnt(0)
	v_mul_hi_u32 v3, s17, v1
	s_add_i32 s62, s62, 4
	s_add_u32 s56, s56, 32
	s_addc_u32 s57, s57, 0
	v_add_u32_e32 v3, v1, v3
	v_lshrrev_b32_e32 v3, s18, v3
	v_mul_lo_u32 v4, v3, s16
	v_mul_hi_u32 v5, s20, v3
	s_cmp_lg_u32 s60, s62
	v_sub_u32_e32 v1, v1, v4
	v_add_u32_e32 v4, v3, v5
	v_mul_lo_u32 v5, v1, s8
	v_mul_lo_u32 v6, v1, s9
	v_lshrrev_b32_e32 v1, s21, v4
	v_mul_lo_u32 v4, v1, s19
	v_mul_hi_u32 v8, s23, v1
	v_sub_u32_e32 v3, v3, v4
	v_add_u32_e32 v4, v1, v8
	v_lshrrev_b32_e32 v4, s36, v4
	v_mul_hi_u32 v9, s38, v4
	v_mul_lo_u32 v10, v4, s22
	v_mul_lo_u32 v8, v3, s10
	;; [unrolled: 1-line block ×3, first 2 shown]
	v_sub_u32_e32 v10, v1, v10
	v_add_u32_e32 v1, v4, v9
	v_lshrrev_b32_e32 v1, s39, v1
	v_mul_lo_u32 v9, v1, s37
	v_mul_lo_u32 v11, v10, s12
	;; [unrolled: 1-line block ×3, first 2 shown]
	v_add3_u32 v0, v5, v0, v8
	v_sub_u32_e32 v4, v4, v9
	v_mul_lo_u32 v9, v4, s14
	v_mul_lo_u32 v4, v4, s15
	v_add3_u32 v2, v6, v2, v3
	v_add3_u32 v0, v11, v0, v9
	;; [unrolled: 1-line block ×3, first 2 shown]
	s_cbranch_scc1 .LBB157_6
	s_branch .LBB157_76
.LBB157_7:
	s_andn2_saveexec_b64 s[0:1], s[42:43]
	s_cbranch_execz .LBB157_101
.LBB157_8:
	v_cndmask_b32_e64 v0, 0, 1, s[40:41]
	v_cmp_ne_u32_e64 s[0:1], 1, v0
	s_andn2_b64 vcc, exec, s[40:41]
	s_cbranch_vccnz .LBB157_20
; %bb.9:
	s_cmp_lg_u32 s33, 0
	s_mov_b32 s26, 0
	s_cbranch_scc0 .LBB157_23
; %bb.10:
	s_min_u32 s27, s58, 15
	s_add_i32 s27, s27, 1
	s_cmp_eq_u32 s58, 2
	s_cbranch_scc1 .LBB157_24
; %bb.11:
	s_and_b32 s26, s27, 28
	s_add_u32 s2, s34, 0xc4
	s_addc_u32 s3, s35, 0
	v_mov_b32_e32 v2, 0
	s_mov_b32 s28, 0
	s_mov_b64 s[24:25], s[34:35]
	v_mov_b32_e32 v0, 0
	v_mov_b32_e32 v1, v7
.LBB157_12:                             ; =>This Inner Loop Header: Depth=1
	s_load_dwordx8 s[12:19], s[24:25], 0x4
	s_load_dwordx4 s[20:23], s[24:25], 0x24
	s_load_dwordx8 s[4:11], s[2:3], 0x0
	s_add_u32 s24, s24, 48
	s_addc_u32 s25, s25, 0
	s_waitcnt lgkmcnt(0)
	v_mul_hi_u32 v3, s13, v1
	s_add_i32 s28, s28, 4
	s_add_u32 s2, s2, 32
	s_addc_u32 s3, s3, 0
	v_add_u32_e32 v3, v1, v3
	v_lshrrev_b32_e32 v3, s14, v3
	v_mul_lo_u32 v4, v3, s12
	v_mul_hi_u32 v5, s16, v3
	s_cmp_lg_u32 s26, s28
	v_sub_u32_e32 v1, v1, v4
	v_add_u32_e32 v4, v3, v5
	v_mul_lo_u32 v5, v1, s4
	v_mul_lo_u32 v6, v1, s5
	v_lshrrev_b32_e32 v1, s17, v4
	v_mul_lo_u32 v4, v1, s15
	v_mul_hi_u32 v8, s19, v1
	v_sub_u32_e32 v3, v3, v4
	v_add_u32_e32 v4, v1, v8
	v_lshrrev_b32_e32 v4, s20, v4
	v_mul_hi_u32 v9, s22, v4
	v_mul_lo_u32 v10, v4, s18
	v_mul_lo_u32 v8, v3, s6
	;; [unrolled: 1-line block ×3, first 2 shown]
	v_sub_u32_e32 v10, v1, v10
	v_add_u32_e32 v1, v4, v9
	v_lshrrev_b32_e32 v1, s23, v1
	v_mul_lo_u32 v9, v1, s21
	v_mul_lo_u32 v11, v10, s8
	;; [unrolled: 1-line block ×3, first 2 shown]
	v_add3_u32 v0, v5, v0, v8
	v_sub_u32_e32 v4, v4, v9
	v_mul_lo_u32 v9, v4, s10
	v_mul_lo_u32 v4, v4, s11
	v_add3_u32 v2, v6, v2, v3
	v_add3_u32 v0, v11, v0, v9
	;; [unrolled: 1-line block ×3, first 2 shown]
	s_cbranch_scc1 .LBB157_12
; %bb.13:
	s_and_b32 s6, s27, 3
	s_cmp_eq_u32 s6, 0
	s_cbranch_scc0 .LBB157_25
	s_branch .LBB157_27
.LBB157_14:
	s_or_b64 exec, exec, s[52:53]
	v_cmp_gt_i32_e32 vcc, s59, v7
	s_and_saveexec_b64 s[52:53], vcc
	s_cbranch_execz .LBB157_83
.LBB157_15:
	s_andn2_b64 vcc, exec, s[40:41]
	s_cbranch_vccnz .LBB157_22
; %bb.16:
	s_andn2_b64 vcc, exec, s[50:51]
	s_cbranch_vccnz .LBB157_74
; %bb.17:
	s_add_i32 s61, s7, 1
	s_cmp_eq_u32 s58, 2
	s_cbranch_scc1 .LBB157_91
; %bb.18:
	s_and_b32 s60, s61, 28
	v_mov_b32_e32 v2, 0
	s_mov_b32 s62, 0
	s_mov_b64 s[54:55], s[34:35]
	s_mov_b64 s[56:57], s[48:49]
	v_mov_b32_e32 v0, 0
	v_mov_b32_e32 v1, v7
.LBB157_19:                             ; =>This Inner Loop Header: Depth=1
	s_load_dwordx8 s[16:23], s[54:55], 0x4
	s_load_dwordx4 s[36:39], s[54:55], 0x24
	s_load_dwordx8 s[8:15], s[56:57], 0x0
	s_add_u32 s54, s54, 48
	s_addc_u32 s55, s55, 0
	s_waitcnt lgkmcnt(0)
	v_mul_hi_u32 v3, s17, v1
	s_add_i32 s62, s62, 4
	s_add_u32 s56, s56, 32
	s_addc_u32 s57, s57, 0
	v_add_u32_e32 v3, v1, v3
	v_lshrrev_b32_e32 v3, s18, v3
	v_mul_lo_u32 v4, v3, s16
	v_mul_hi_u32 v5, s20, v3
	s_cmp_eq_u32 s60, s62
	v_sub_u32_e32 v1, v1, v4
	v_add_u32_e32 v4, v3, v5
	v_mul_lo_u32 v5, v1, s8
	v_mul_lo_u32 v6, v1, s9
	v_lshrrev_b32_e32 v1, s21, v4
	v_mul_lo_u32 v4, v1, s19
	v_mul_hi_u32 v8, s23, v1
	v_sub_u32_e32 v3, v3, v4
	v_add_u32_e32 v4, v1, v8
	v_lshrrev_b32_e32 v4, s36, v4
	v_mul_hi_u32 v9, s38, v4
	v_mul_lo_u32 v10, v4, s22
	v_mul_lo_u32 v8, v3, s10
	;; [unrolled: 1-line block ×3, first 2 shown]
	v_sub_u32_e32 v10, v1, v10
	v_add_u32_e32 v1, v4, v9
	v_lshrrev_b32_e32 v1, s39, v1
	v_mul_lo_u32 v9, v1, s37
	v_mul_lo_u32 v11, v10, s12
	;; [unrolled: 1-line block ×3, first 2 shown]
	v_add3_u32 v0, v5, v0, v8
	v_sub_u32_e32 v4, v4, v9
	v_mul_lo_u32 v9, v4, s14
	v_mul_lo_u32 v4, v4, s15
	v_add3_u32 v2, v6, v2, v3
	v_add3_u32 v0, v11, v0, v9
	;; [unrolled: 1-line block ×3, first 2 shown]
	s_cbranch_scc0 .LBB157_19
	s_branch .LBB157_92
.LBB157_20:
                                        ; implicit-def: $vgpr0
                                        ; implicit-def: $vgpr2
	s_branch .LBB157_28
.LBB157_21:
                                        ; implicit-def: $vgpr0
                                        ; implicit-def: $vgpr2
	s_branch .LBB157_80
.LBB157_22:
                                        ; implicit-def: $vgpr0
                                        ; implicit-def: $vgpr2
	s_branch .LBB157_96
.LBB157_23:
	v_mov_b32_e32 v0, 0
	v_mov_b32_e32 v2, 0
	s_branch .LBB157_27
.LBB157_24:
	v_mov_b32_e32 v0, 0
	v_mov_b32_e32 v2, 0
	;; [unrolled: 1-line block ×3, first 2 shown]
	s_and_b32 s6, s27, 3
	s_cmp_eq_u32 s6, 0
	s_cbranch_scc1 .LBB157_27
.LBB157_25:
	s_lshl_b32 s2, s26, 3
	s_add_u32 s2, s34, s2
	s_addc_u32 s3, s35, 0
	s_add_u32 s2, s2, 0xc4
	s_addc_u32 s3, s3, 0
	s_mul_i32 s4, s26, 12
	s_add_u32 s4, s34, s4
	s_addc_u32 s5, s35, 0
.LBB157_26:                             ; =>This Inner Loop Header: Depth=1
	s_load_dwordx2 s[8:9], s[4:5], 0x4
	s_load_dword s7, s[4:5], 0xc
	s_load_dwordx2 s[10:11], s[2:3], 0x0
	s_add_u32 s4, s4, 12
	s_addc_u32 s5, s5, 0
	s_waitcnt lgkmcnt(0)
	v_mul_hi_u32 v4, s9, v1
	s_add_u32 s2, s2, 8
	s_addc_u32 s3, s3, 0
	s_add_i32 s6, s6, -1
	v_add_u32_e32 v4, v1, v4
	v_lshrrev_b32_e32 v4, s7, v4
	v_mul_lo_u32 v5, v4, s8
	s_cmp_lg_u32 s6, 0
	v_sub_u32_e32 v5, v1, v5
	v_mad_u64_u32 v[0:1], s[8:9], v5, s10, v[0:1]
	v_mad_u64_u32 v[2:3], s[8:9], v5, s11, v[2:3]
	v_mov_b32_e32 v1, v4
	s_cbranch_scc1 .LBB157_26
.LBB157_27:
	s_cbranch_execnz .LBB157_30
.LBB157_28:
	s_load_dwordx4 s[4:7], s[34:35], 0x4
	s_load_dwordx2 s[2:3], s[34:35], 0xc4
	s_cmp_lt_u32 s33, 2
	s_waitcnt lgkmcnt(0)
	v_mul_hi_u32 v0, s5, v7
	v_add_u32_e32 v0, v7, v0
	v_lshrrev_b32_e32 v1, s6, v0
	v_mul_lo_u32 v0, v1, s4
	v_sub_u32_e32 v2, v7, v0
	v_mul_lo_u32 v0, v2, s2
	v_mul_lo_u32 v2, v2, s3
	s_cbranch_scc1 .LBB157_30
; %bb.29:
	s_load_dwordx4 s[4:7], s[34:35], 0x10
	s_load_dwordx2 s[2:3], s[34:35], 0xcc
	s_waitcnt lgkmcnt(0)
	v_mul_hi_u32 v3, s5, v1
	v_add_u32_e32 v3, v1, v3
	v_lshrrev_b32_e32 v3, s6, v3
	v_mul_lo_u32 v3, v3, s4
	v_sub_u32_e32 v3, v1, v3
	v_mad_u64_u32 v[0:1], s[4:5], v3, s2, v[0:1]
	v_mad_u64_u32 v[2:3], s[2:3], v3, s3, v[2:3]
.LBB157_30:
	s_and_b64 vcc, exec, s[0:1]
	v_add_u32_e32 v1, 0x80, v7
	s_cbranch_vccnz .LBB157_36
; %bb.31:
	s_cmp_lg_u32 s33, 0
	s_mov_b32 s26, 0
	s_cbranch_scc0 .LBB157_37
; %bb.32:
	s_min_u32 s27, s58, 15
	s_add_i32 s27, s27, 1
	s_cmp_eq_u32 s58, 2
	s_cbranch_scc1 .LBB157_38
; %bb.33:
	s_and_b32 s26, s27, 28
	s_add_u32 s2, s34, 0xc4
	s_addc_u32 s3, s35, 0
	v_mov_b32_e32 v5, 0
	s_mov_b32 s28, 0
	s_mov_b64 s[24:25], s[34:35]
	v_mov_b32_e32 v3, 0
	v_mov_b32_e32 v4, v1
.LBB157_34:                             ; =>This Inner Loop Header: Depth=1
	s_load_dwordx8 s[12:19], s[24:25], 0x4
	s_load_dwordx4 s[20:23], s[24:25], 0x24
	s_load_dwordx8 s[4:11], s[2:3], 0x0
	s_add_u32 s24, s24, 48
	s_addc_u32 s25, s25, 0
	s_waitcnt lgkmcnt(0)
	v_mul_hi_u32 v6, s13, v4
	s_add_i32 s28, s28, 4
	s_add_u32 s2, s2, 32
	s_addc_u32 s3, s3, 0
	v_add_u32_e32 v6, v4, v6
	v_lshrrev_b32_e32 v6, s14, v6
	v_mul_lo_u32 v8, v6, s12
	v_mul_hi_u32 v9, s16, v6
	s_cmp_lg_u32 s26, s28
	v_sub_u32_e32 v4, v4, v8
	v_add_u32_e32 v8, v6, v9
	v_mul_lo_u32 v9, v4, s4
	v_mul_lo_u32 v10, v4, s5
	v_lshrrev_b32_e32 v4, s17, v8
	v_mul_lo_u32 v8, v4, s15
	v_mul_hi_u32 v11, s19, v4
	v_sub_u32_e32 v6, v6, v8
	v_add_u32_e32 v8, v4, v11
	v_lshrrev_b32_e32 v8, s20, v8
	v_mul_hi_u32 v12, s22, v8
	v_mul_lo_u32 v14, v8, s18
	v_mul_lo_u32 v11, v6, s6
	;; [unrolled: 1-line block ×3, first 2 shown]
	v_sub_u32_e32 v14, v4, v14
	v_add_u32_e32 v4, v8, v12
	v_lshrrev_b32_e32 v4, s23, v4
	v_mul_lo_u32 v12, v4, s21
	v_mul_lo_u32 v15, v14, s8
	;; [unrolled: 1-line block ×3, first 2 shown]
	v_add3_u32 v3, v9, v3, v11
	v_sub_u32_e32 v8, v8, v12
	v_mul_lo_u32 v12, v8, s10
	v_mul_lo_u32 v8, v8, s11
	v_add3_u32 v5, v10, v5, v6
	v_add3_u32 v3, v15, v3, v12
	;; [unrolled: 1-line block ×3, first 2 shown]
	s_cbranch_scc1 .LBB157_34
; %bb.35:
	s_and_b32 s6, s27, 3
	s_cmp_eq_u32 s6, 0
	s_cbranch_scc0 .LBB157_39
	s_branch .LBB157_41
.LBB157_36:
                                        ; implicit-def: $vgpr3
                                        ; implicit-def: $vgpr5
	s_branch .LBB157_42
.LBB157_37:
	v_mov_b32_e32 v3, 0
	v_mov_b32_e32 v5, 0
	s_branch .LBB157_41
.LBB157_38:
	v_mov_b32_e32 v3, 0
	v_mov_b32_e32 v5, 0
	;; [unrolled: 1-line block ×3, first 2 shown]
	s_and_b32 s6, s27, 3
	s_cmp_eq_u32 s6, 0
	s_cbranch_scc1 .LBB157_41
.LBB157_39:
	s_lshl_b32 s2, s26, 3
	s_add_u32 s2, s34, s2
	s_addc_u32 s3, s35, 0
	s_add_u32 s2, s2, 0xc4
	s_addc_u32 s3, s3, 0
	s_mul_i32 s4, s26, 12
	s_add_u32 s4, s34, s4
	s_addc_u32 s5, s35, 0
.LBB157_40:                             ; =>This Inner Loop Header: Depth=1
	s_load_dwordx2 s[8:9], s[4:5], 0x4
	s_load_dword s7, s[4:5], 0xc
	s_load_dwordx2 s[10:11], s[2:3], 0x0
	s_add_u32 s4, s4, 12
	s_addc_u32 s5, s5, 0
	s_waitcnt lgkmcnt(0)
	v_mul_hi_u32 v8, s9, v4
	s_add_u32 s2, s2, 8
	s_addc_u32 s3, s3, 0
	s_add_i32 s6, s6, -1
	v_add_u32_e32 v8, v4, v8
	v_lshrrev_b32_e32 v8, s7, v8
	v_mul_lo_u32 v9, v8, s8
	s_cmp_lg_u32 s6, 0
	v_sub_u32_e32 v9, v4, v9
	v_mad_u64_u32 v[3:4], s[8:9], v9, s10, v[3:4]
	v_mad_u64_u32 v[5:6], s[8:9], v9, s11, v[5:6]
	v_mov_b32_e32 v4, v8
	s_cbranch_scc1 .LBB157_40
.LBB157_41:
	s_cbranch_execnz .LBB157_44
.LBB157_42:
	s_load_dwordx4 s[4:7], s[34:35], 0x4
	s_load_dwordx2 s[2:3], s[34:35], 0xc4
	s_cmp_lt_u32 s33, 2
	s_waitcnt lgkmcnt(0)
	v_mul_hi_u32 v3, s5, v1
	v_add_u32_e32 v3, v1, v3
	v_lshrrev_b32_e32 v4, s6, v3
	v_mul_lo_u32 v3, v4, s4
	v_sub_u32_e32 v1, v1, v3
	v_mul_lo_u32 v3, v1, s2
	v_mul_lo_u32 v5, v1, s3
	s_cbranch_scc1 .LBB157_44
; %bb.43:
	s_load_dwordx4 s[4:7], s[34:35], 0x10
	s_load_dwordx2 s[2:3], s[34:35], 0xcc
	s_waitcnt lgkmcnt(0)
	v_mul_hi_u32 v1, s5, v4
	v_add_u32_e32 v1, v4, v1
	v_lshrrev_b32_e32 v1, s6, v1
	v_mul_lo_u32 v1, v1, s4
	v_sub_u32_e32 v1, v4, v1
	v_mad_u64_u32 v[3:4], s[4:5], v1, s2, v[3:4]
	v_mad_u64_u32 v[5:6], s[2:3], v1, s3, v[5:6]
.LBB157_44:
	s_and_b64 vcc, exec, s[0:1]
	v_add_u32_e32 v1, 0x100, v7
	s_cbranch_vccnz .LBB157_50
; %bb.45:
	s_cmp_lg_u32 s33, 0
	s_mov_b32 s26, 0
	s_cbranch_scc0 .LBB157_51
; %bb.46:
	s_min_u32 s27, s58, 15
	s_add_i32 s27, s27, 1
	s_cmp_eq_u32 s58, 2
	s_cbranch_scc1 .LBB157_52
; %bb.47:
	s_and_b32 s26, s27, 28
	s_add_u32 s2, s34, 0xc4
	s_addc_u32 s3, s35, 0
	v_mov_b32_e32 v8, 0
	s_mov_b32 s28, 0
	s_mov_b64 s[24:25], s[34:35]
	v_mov_b32_e32 v6, 0
	v_mov_b32_e32 v4, v1
.LBB157_48:                             ; =>This Inner Loop Header: Depth=1
	s_load_dwordx8 s[12:19], s[24:25], 0x4
	s_load_dwordx4 s[20:23], s[24:25], 0x24
	s_load_dwordx8 s[4:11], s[2:3], 0x0
	s_add_u32 s24, s24, 48
	s_addc_u32 s25, s25, 0
	s_waitcnt lgkmcnt(0)
	v_mul_hi_u32 v7, s13, v4
	s_add_i32 s28, s28, 4
	s_add_u32 s2, s2, 32
	s_addc_u32 s3, s3, 0
	v_add_u32_e32 v7, v4, v7
	v_lshrrev_b32_e32 v7, s14, v7
	v_mul_lo_u32 v9, v7, s12
	v_mul_hi_u32 v10, s16, v7
	s_cmp_lg_u32 s26, s28
	v_sub_u32_e32 v4, v4, v9
	v_add_u32_e32 v9, v7, v10
	v_mul_lo_u32 v10, v4, s4
	v_mul_lo_u32 v11, v4, s5
	v_lshrrev_b32_e32 v4, s17, v9
	v_mul_lo_u32 v9, v4, s15
	v_mul_hi_u32 v12, s19, v4
	v_sub_u32_e32 v7, v7, v9
	v_add_u32_e32 v9, v4, v12
	v_lshrrev_b32_e32 v9, s20, v9
	v_mul_hi_u32 v14, s22, v9
	v_mul_lo_u32 v15, v9, s18
	v_mul_lo_u32 v12, v7, s6
	;; [unrolled: 1-line block ×3, first 2 shown]
	v_sub_u32_e32 v15, v4, v15
	v_add_u32_e32 v4, v9, v14
	v_lshrrev_b32_e32 v4, s23, v4
	v_mul_lo_u32 v14, v4, s21
	v_mul_lo_u32 v16, v15, s8
	;; [unrolled: 1-line block ×3, first 2 shown]
	v_add3_u32 v6, v10, v6, v12
	v_sub_u32_e32 v9, v9, v14
	v_mul_lo_u32 v14, v9, s10
	v_mul_lo_u32 v9, v9, s11
	v_add3_u32 v7, v11, v8, v7
	v_add3_u32 v6, v16, v6, v14
	v_add3_u32 v8, v15, v7, v9
	s_cbranch_scc1 .LBB157_48
; %bb.49:
	s_and_b32 s6, s27, 3
	s_cmp_eq_u32 s6, 0
	s_cbranch_scc0 .LBB157_53
	s_branch .LBB157_55
.LBB157_50:
                                        ; implicit-def: $vgpr6
                                        ; implicit-def: $vgpr8
	s_branch .LBB157_56
.LBB157_51:
	v_mov_b32_e32 v6, 0
	v_mov_b32_e32 v8, 0
	s_branch .LBB157_55
.LBB157_52:
	v_mov_b32_e32 v6, 0
	v_mov_b32_e32 v8, 0
	v_mov_b32_e32 v4, v1
	s_and_b32 s6, s27, 3
	s_cmp_eq_u32 s6, 0
	s_cbranch_scc1 .LBB157_55
.LBB157_53:
	s_lshl_b32 s2, s26, 3
	s_add_u32 s2, s34, s2
	s_addc_u32 s3, s35, 0
	s_add_u32 s2, s2, 0xc4
	s_addc_u32 s3, s3, 0
	s_mul_i32 s4, s26, 12
	s_add_u32 s4, s34, s4
	s_addc_u32 s5, s35, 0
.LBB157_54:                             ; =>This Inner Loop Header: Depth=1
	s_load_dwordx2 s[8:9], s[4:5], 0x4
	s_load_dword s7, s[4:5], 0xc
	s_load_dwordx2 s[10:11], s[2:3], 0x0
	s_add_u32 s4, s4, 12
	s_addc_u32 s5, s5, 0
	s_waitcnt lgkmcnt(0)
	v_mul_hi_u32 v7, s9, v4
	s_add_u32 s2, s2, 8
	s_addc_u32 s3, s3, 0
	s_add_i32 s6, s6, -1
	v_add_u32_e32 v7, v4, v7
	v_lshrrev_b32_e32 v10, s7, v7
	v_mul_lo_u32 v7, v10, s8
	s_cmp_lg_u32 s6, 0
	v_sub_u32_e32 v4, v4, v7
	v_mad_u64_u32 v[6:7], s[8:9], v4, s10, v[6:7]
	v_mad_u64_u32 v[8:9], s[8:9], v4, s11, v[8:9]
	v_mov_b32_e32 v4, v10
	s_cbranch_scc1 .LBB157_54
.LBB157_55:
	s_cbranch_execnz .LBB157_58
.LBB157_56:
	s_load_dwordx4 s[4:7], s[34:35], 0x4
	s_load_dwordx2 s[2:3], s[34:35], 0xc4
	s_cmp_lt_u32 s33, 2
	s_waitcnt lgkmcnt(0)
	v_mul_hi_u32 v4, s5, v1
	v_add_u32_e32 v4, v1, v4
	v_lshrrev_b32_e32 v4, s6, v4
	v_mul_lo_u32 v6, v4, s4
	v_sub_u32_e32 v1, v1, v6
	v_mul_lo_u32 v6, v1, s2
	v_mul_lo_u32 v8, v1, s3
	s_cbranch_scc1 .LBB157_58
; %bb.57:
	s_load_dwordx4 s[4:7], s[34:35], 0x10
	s_load_dwordx2 s[2:3], s[34:35], 0xcc
	s_waitcnt lgkmcnt(0)
	v_mul_hi_u32 v1, s5, v4
	v_add_u32_e32 v1, v4, v1
	v_lshrrev_b32_e32 v1, s6, v1
	v_mul_lo_u32 v1, v1, s4
	v_sub_u32_e32 v1, v4, v1
	v_mad_u64_u32 v[6:7], s[4:5], v1, s2, v[6:7]
	v_mad_u64_u32 v[8:9], s[2:3], v1, s3, v[8:9]
.LBB157_58:
	s_and_b64 vcc, exec, s[0:1]
	s_cbranch_vccnz .LBB157_64
; %bb.59:
	s_cmp_lg_u32 s33, 0
	s_mov_b32 s24, 0
	s_cbranch_scc0 .LBB157_65
; %bb.60:
	s_min_u32 s25, s58, 15
	s_add_i32 s25, s25, 1
	s_cmp_eq_u32 s58, 2
	s_cbranch_scc1 .LBB157_66
; %bb.61:
	s_and_b32 s24, s25, 28
	s_add_u32 s20, s34, 0xc4
	s_addc_u32 s21, s35, 0
	v_mov_b32_e32 v11, 0
	s_mov_b32 s26, 0
	s_mov_b64 s[22:23], s[34:35]
	v_mov_b32_e32 v9, 0
	v_mov_b32_e32 v1, v13
.LBB157_62:                             ; =>This Inner Loop Header: Depth=1
	s_load_dwordx8 s[8:15], s[22:23], 0x4
	s_load_dwordx4 s[16:19], s[22:23], 0x24
	s_load_dwordx8 s[0:7], s[20:21], 0x0
	s_add_u32 s22, s22, 48
	s_addc_u32 s23, s23, 0
	s_waitcnt lgkmcnt(0)
	v_mul_hi_u32 v4, s9, v1
	s_add_i32 s26, s26, 4
	s_add_u32 s20, s20, 32
	s_addc_u32 s21, s21, 0
	v_add_u32_e32 v4, v1, v4
	v_lshrrev_b32_e32 v4, s10, v4
	v_mul_lo_u32 v7, v4, s8
	v_mul_hi_u32 v10, s12, v4
	s_cmp_lg_u32 s24, s26
	v_sub_u32_e32 v1, v1, v7
	v_add_u32_e32 v7, v4, v10
	v_mul_lo_u32 v10, v1, s0
	v_mul_lo_u32 v12, v1, s1
	v_lshrrev_b32_e32 v1, s13, v7
	v_mul_lo_u32 v7, v1, s11
	v_mul_hi_u32 v14, s15, v1
	v_sub_u32_e32 v4, v4, v7
	v_add_u32_e32 v7, v1, v14
	v_lshrrev_b32_e32 v7, s16, v7
	v_mul_hi_u32 v15, s18, v7
	v_mul_lo_u32 v16, v7, s14
	v_mul_lo_u32 v14, v4, s2
	;; [unrolled: 1-line block ×3, first 2 shown]
	v_sub_u32_e32 v16, v1, v16
	v_add_u32_e32 v1, v7, v15
	v_lshrrev_b32_e32 v1, s19, v1
	v_mul_lo_u32 v15, v1, s17
	v_mul_lo_u32 v17, v16, s4
	v_mul_lo_u32 v16, v16, s5
	v_add3_u32 v9, v10, v9, v14
	v_sub_u32_e32 v7, v7, v15
	v_mul_lo_u32 v15, v7, s6
	v_mul_lo_u32 v7, v7, s7
	v_add3_u32 v4, v12, v11, v4
	v_add3_u32 v9, v17, v9, v15
	v_add3_u32 v11, v16, v4, v7
	s_cbranch_scc1 .LBB157_62
; %bb.63:
	s_and_b32 s4, s25, 3
	s_cmp_eq_u32 s4, 0
	s_cbranch_scc0 .LBB157_67
	s_branch .LBB157_69
.LBB157_64:
                                        ; implicit-def: $vgpr9
                                        ; implicit-def: $vgpr11
	s_branch .LBB157_70
.LBB157_65:
	v_mov_b32_e32 v9, 0
	v_mov_b32_e32 v11, 0
	s_branch .LBB157_69
.LBB157_66:
	v_mov_b32_e32 v9, 0
	v_mov_b32_e32 v11, 0
	;; [unrolled: 1-line block ×3, first 2 shown]
	s_and_b32 s4, s25, 3
	s_cmp_eq_u32 s4, 0
	s_cbranch_scc1 .LBB157_69
.LBB157_67:
	s_lshl_b32 s0, s24, 3
	s_add_u32 s0, s34, s0
	s_addc_u32 s1, s35, 0
	s_add_u32 s0, s0, 0xc4
	s_addc_u32 s1, s1, 0
	s_mul_i32 s2, s24, 12
	s_add_u32 s2, s34, s2
	s_addc_u32 s3, s35, 0
.LBB157_68:                             ; =>This Inner Loop Header: Depth=1
	s_load_dwordx2 s[6:7], s[2:3], 0x4
	s_load_dword s5, s[2:3], 0xc
	s_load_dwordx2 s[8:9], s[0:1], 0x0
	s_add_u32 s2, s2, 12
	s_addc_u32 s3, s3, 0
	s_waitcnt lgkmcnt(0)
	v_mul_hi_u32 v4, s7, v1
	s_add_u32 s0, s0, 8
	s_addc_u32 s1, s1, 0
	s_add_i32 s4, s4, -1
	v_add_u32_e32 v4, v1, v4
	v_lshrrev_b32_e32 v4, s5, v4
	v_mul_lo_u32 v7, v4, s6
	s_cmp_lg_u32 s4, 0
	v_sub_u32_e32 v1, v1, v7
	v_mad_u64_u32 v[9:10], s[6:7], v1, s8, v[9:10]
	v_mad_u64_u32 v[11:12], s[6:7], v1, s9, v[11:12]
	v_mov_b32_e32 v1, v4
	s_cbranch_scc1 .LBB157_68
.LBB157_69:
	s_cbranch_execnz .LBB157_72
.LBB157_70:
	s_load_dwordx4 s[0:3], s[34:35], 0x4
	s_load_dwordx2 s[4:5], s[34:35], 0xc4
	s_cmp_lt_u32 s33, 2
	s_waitcnt lgkmcnt(0)
	v_mul_hi_u32 v1, s1, v13
	v_add_u32_e32 v1, v13, v1
	v_lshrrev_b32_e32 v1, s2, v1
	v_mul_lo_u32 v4, v1, s0
	v_sub_u32_e32 v4, v13, v4
	v_mul_lo_u32 v9, v4, s4
	v_mul_lo_u32 v11, v4, s5
	s_cbranch_scc1 .LBB157_72
; %bb.71:
	s_load_dwordx4 s[0:3], s[34:35], 0x10
	s_load_dwordx2 s[4:5], s[34:35], 0xcc
	s_waitcnt lgkmcnt(0)
	v_mul_hi_u32 v4, s1, v1
	v_add_u32_e32 v4, v1, v4
	v_lshrrev_b32_e32 v4, s2, v4
	v_mul_lo_u32 v4, v4, s0
	v_sub_u32_e32 v1, v1, v4
	v_mad_u64_u32 v[9:10], s[0:1], v1, s4, v[9:10]
	v_mad_u64_u32 v[11:12], s[0:1], v1, s5, v[11:12]
.LBB157_72:
	s_load_dwordx8 s[0:7], s[34:35], 0x148
	s_waitcnt lgkmcnt(0)
	global_load_dword v1, v2, s[2:3]
	global_load_dword v4, v5, s[2:3]
	;; [unrolled: 1-line block ×4, first 2 shown]
	v_mov_b32_e32 v2, s5
	v_mov_b32_e32 v5, s6
	s_waitcnt vmcnt(3)
	v_cmp_nge_f32_e32 vcc, s4, v1
	v_cndmask_b32_e32 v1, v2, v5, vcc
	s_waitcnt vmcnt(2)
	v_cmp_nge_f32_e32 vcc, s4, v4
	v_cndmask_b32_e32 v4, v2, v5, vcc
	;; [unrolled: 3-line block ×4, first 2 shown]
	global_store_dword v0, v1, s[0:1]
	global_store_dword v3, v4, s[0:1]
	;; [unrolled: 1-line block ×4, first 2 shown]
	s_endpgm
.LBB157_73:
	v_mov_b32_e32 v0, 0
	v_mov_b32_e32 v2, 0
	s_branch .LBB157_79
.LBB157_74:
	v_mov_b32_e32 v0, 0
	v_mov_b32_e32 v2, 0
	s_branch .LBB157_95
.LBB157_75:
	s_mov_b32 s60, 0
	v_mov_b32_e32 v0, 0
	v_mov_b32_e32 v2, 0
	;; [unrolled: 1-line block ×3, first 2 shown]
.LBB157_76:
	s_and_b32 s12, s61, 3
	s_cmp_eq_u32 s12, 0
	s_cbranch_scc1 .LBB157_79
; %bb.77:
	s_lshl_b32 s8, s60, 3
	s_add_u32 s8, s34, s8
	s_addc_u32 s9, s35, 0
	s_add_u32 s8, s8, 0xc4
	s_addc_u32 s9, s9, 0
	s_mul_i32 s10, s60, 12
	s_add_u32 s10, s34, s10
	s_addc_u32 s11, s35, 0
.LBB157_78:                             ; =>This Inner Loop Header: Depth=1
	s_load_dwordx2 s[14:15], s[10:11], 0x4
	s_load_dword s13, s[10:11], 0xc
	s_load_dwordx2 s[16:17], s[8:9], 0x0
	s_add_u32 s10, s10, 12
	s_addc_u32 s11, s11, 0
	s_waitcnt lgkmcnt(0)
	v_mul_hi_u32 v3, s15, v1
	s_add_u32 s8, s8, 8
	s_addc_u32 s9, s9, 0
	s_add_i32 s12, s12, -1
	v_add_u32_e32 v3, v1, v3
	v_lshrrev_b32_e32 v4, s13, v3
	v_mul_lo_u32 v3, v4, s14
	s_cmp_lg_u32 s12, 0
	v_sub_u32_e32 v3, v1, v3
	v_mad_u64_u32 v[0:1], s[14:15], v3, s16, v[0:1]
	v_mad_u64_u32 v[2:3], s[14:15], v3, s17, v[2:3]
	v_mov_b32_e32 v1, v4
	s_cbranch_scc1 .LBB157_78
.LBB157_79:
	s_cbranch_execnz .LBB157_82
.LBB157_80:
	v_mul_hi_u32 v0, s29, v7
	s_andn2_b64 vcc, exec, s[46:47]
	v_add_u32_e32 v0, v7, v0
	v_lshrrev_b32_e32 v1, s30, v0
	v_mul_lo_u32 v0, v1, s28
	v_sub_u32_e32 v2, v7, v0
	v_mul_lo_u32 v0, v2, s24
	v_mul_lo_u32 v2, v2, s25
	s_cbranch_vccnz .LBB157_82
; %bb.81:
	v_mul_hi_u32 v3, s44, v1
	v_add_u32_e32 v3, v1, v3
	v_lshrrev_b32_e32 v3, s45, v3
	v_mul_lo_u32 v3, v3, s31
	v_sub_u32_e32 v3, v1, v3
	v_mad_u64_u32 v[0:1], s[8:9], v3, s26, v[0:1]
	v_mad_u64_u32 v[2:3], s[8:9], v3, s27, v[2:3]
.LBB157_82:
	global_load_dword v1, v2, s[2:3]
	v_mov_b32_e32 v2, s5
	v_mov_b32_e32 v3, s6
	v_add_u32_e32 v7, 0x80, v7
	s_waitcnt vmcnt(0)
	v_cmp_nge_f32_e32 vcc, s4, v1
	v_cndmask_b32_e32 v1, v2, v3, vcc
	global_store_dword v0, v1, s[0:1]
	s_or_b64 exec, exec, s[52:53]
	v_cmp_gt_i32_e32 vcc, s59, v7
	s_and_saveexec_b64 s[52:53], vcc
	s_cbranch_execnz .LBB157_15
.LBB157_83:
	s_or_b64 exec, exec, s[52:53]
	v_cmp_gt_i32_e32 vcc, s59, v7
	s_and_saveexec_b64 s[52:53], vcc
	s_cbranch_execz .LBB157_99
.LBB157_84:
	s_andn2_b64 vcc, exec, s[40:41]
	s_cbranch_vccnz .LBB157_89
; %bb.85:
	s_andn2_b64 vcc, exec, s[50:51]
	s_cbranch_vccnz .LBB157_90
; %bb.86:
	s_add_i32 s61, s7, 1
	s_cmp_eq_u32 s58, 2
	s_cbranch_scc1 .LBB157_102
; %bb.87:
	s_and_b32 s60, s61, 28
	v_mov_b32_e32 v2, 0
	s_mov_b32 s62, 0
	s_mov_b64 s[54:55], s[34:35]
	s_mov_b64 s[56:57], s[48:49]
	v_mov_b32_e32 v0, 0
	v_mov_b32_e32 v1, v7
.LBB157_88:                             ; =>This Inner Loop Header: Depth=1
	s_load_dwordx8 s[16:23], s[54:55], 0x4
	s_load_dwordx4 s[36:39], s[54:55], 0x24
	s_load_dwordx8 s[8:15], s[56:57], 0x0
	s_add_u32 s54, s54, 48
	s_addc_u32 s55, s55, 0
	s_waitcnt lgkmcnt(0)
	v_mul_hi_u32 v3, s17, v1
	s_add_i32 s62, s62, 4
	s_add_u32 s56, s56, 32
	s_addc_u32 s57, s57, 0
	v_add_u32_e32 v3, v1, v3
	v_lshrrev_b32_e32 v3, s18, v3
	v_mul_lo_u32 v4, v3, s16
	v_mul_hi_u32 v5, s20, v3
	s_cmp_eq_u32 s60, s62
	v_sub_u32_e32 v1, v1, v4
	v_add_u32_e32 v4, v3, v5
	v_mul_lo_u32 v5, v1, s8
	v_mul_lo_u32 v6, v1, s9
	v_lshrrev_b32_e32 v1, s21, v4
	v_mul_lo_u32 v4, v1, s19
	v_mul_hi_u32 v8, s23, v1
	v_sub_u32_e32 v3, v3, v4
	v_add_u32_e32 v4, v1, v8
	v_lshrrev_b32_e32 v4, s36, v4
	v_mul_hi_u32 v9, s38, v4
	v_mul_lo_u32 v10, v4, s22
	v_mul_lo_u32 v8, v3, s10
	;; [unrolled: 1-line block ×3, first 2 shown]
	v_sub_u32_e32 v10, v1, v10
	v_add_u32_e32 v1, v4, v9
	v_lshrrev_b32_e32 v1, s39, v1
	v_mul_lo_u32 v9, v1, s37
	v_mul_lo_u32 v11, v10, s12
	;; [unrolled: 1-line block ×3, first 2 shown]
	v_add3_u32 v0, v5, v0, v8
	v_sub_u32_e32 v4, v4, v9
	v_mul_lo_u32 v9, v4, s14
	v_mul_lo_u32 v4, v4, s15
	v_add3_u32 v2, v6, v2, v3
	v_add3_u32 v0, v11, v0, v9
	;; [unrolled: 1-line block ×3, first 2 shown]
	s_cbranch_scc0 .LBB157_88
	s_branch .LBB157_103
.LBB157_89:
                                        ; implicit-def: $vgpr0
                                        ; implicit-def: $vgpr2
	s_branch .LBB157_107
.LBB157_90:
	v_mov_b32_e32 v0, 0
	v_mov_b32_e32 v2, 0
	s_branch .LBB157_106
.LBB157_91:
	s_mov_b32 s60, 0
	v_mov_b32_e32 v0, 0
	v_mov_b32_e32 v2, 0
	;; [unrolled: 1-line block ×3, first 2 shown]
.LBB157_92:
	s_and_b32 s12, s61, 3
	s_cmp_eq_u32 s12, 0
	s_cbranch_scc1 .LBB157_95
; %bb.93:
	s_lshl_b32 s8, s60, 3
	s_add_u32 s8, s34, s8
	s_addc_u32 s9, s35, 0
	s_add_u32 s8, s8, 0xc4
	s_addc_u32 s9, s9, 0
	s_mul_i32 s10, s60, 12
	s_add_u32 s10, s34, s10
	s_addc_u32 s11, s35, 0
.LBB157_94:                             ; =>This Inner Loop Header: Depth=1
	s_load_dwordx2 s[14:15], s[10:11], 0x4
	s_load_dword s13, s[10:11], 0xc
	s_load_dwordx2 s[16:17], s[8:9], 0x0
	s_add_u32 s10, s10, 12
	s_addc_u32 s11, s11, 0
	s_waitcnt lgkmcnt(0)
	v_mul_hi_u32 v3, s15, v1
	s_add_u32 s8, s8, 8
	s_addc_u32 s9, s9, 0
	s_add_i32 s12, s12, -1
	v_add_u32_e32 v3, v1, v3
	v_lshrrev_b32_e32 v4, s13, v3
	v_mul_lo_u32 v3, v4, s14
	s_cmp_lg_u32 s12, 0
	v_sub_u32_e32 v3, v1, v3
	v_mad_u64_u32 v[0:1], s[14:15], v3, s16, v[0:1]
	v_mad_u64_u32 v[2:3], s[14:15], v3, s17, v[2:3]
	v_mov_b32_e32 v1, v4
	s_cbranch_scc1 .LBB157_94
.LBB157_95:
	s_cbranch_execnz .LBB157_98
.LBB157_96:
	v_mul_hi_u32 v0, s29, v7
	s_andn2_b64 vcc, exec, s[46:47]
	v_add_u32_e32 v0, v7, v0
	v_lshrrev_b32_e32 v1, s30, v0
	v_mul_lo_u32 v0, v1, s28
	v_sub_u32_e32 v2, v7, v0
	v_mul_lo_u32 v0, v2, s24
	v_mul_lo_u32 v2, v2, s25
	s_cbranch_vccnz .LBB157_98
; %bb.97:
	v_mul_hi_u32 v3, s44, v1
	v_add_u32_e32 v3, v1, v3
	v_lshrrev_b32_e32 v3, s45, v3
	v_mul_lo_u32 v3, v3, s31
	v_sub_u32_e32 v3, v1, v3
	v_mad_u64_u32 v[0:1], s[8:9], v3, s26, v[0:1]
	v_mad_u64_u32 v[2:3], s[8:9], v3, s27, v[2:3]
.LBB157_98:
	global_load_dword v1, v2, s[2:3]
	v_mov_b32_e32 v2, s5
	v_mov_b32_e32 v3, s6
	v_add_u32_e32 v7, 0x80, v7
	s_waitcnt vmcnt(0)
	v_cmp_nge_f32_e32 vcc, s4, v1
	v_cndmask_b32_e32 v1, v2, v3, vcc
	global_store_dword v0, v1, s[0:1]
	s_or_b64 exec, exec, s[52:53]
	v_cmp_gt_i32_e32 vcc, s59, v7
	s_and_saveexec_b64 s[52:53], vcc
	s_cbranch_execnz .LBB157_84
.LBB157_99:
	s_or_b64 exec, exec, s[52:53]
	v_cmp_gt_i32_e32 vcc, s59, v7
	s_and_saveexec_b64 s[52:53], vcc
	s_cbranch_execnz .LBB157_110
.LBB157_100:
	s_or_b64 exec, exec, s[52:53]
                                        ; implicit-def: $vgpr13
                                        ; implicit-def: $vgpr7
	s_andn2_saveexec_b64 s[0:1], s[42:43]
	s_cbranch_execnz .LBB157_8
.LBB157_101:
	s_endpgm
.LBB157_102:
	s_mov_b32 s60, 0
	v_mov_b32_e32 v0, 0
	v_mov_b32_e32 v2, 0
	;; [unrolled: 1-line block ×3, first 2 shown]
.LBB157_103:
	s_and_b32 s12, s61, 3
	s_cmp_eq_u32 s12, 0
	s_cbranch_scc1 .LBB157_106
; %bb.104:
	s_lshl_b32 s8, s60, 3
	s_add_u32 s8, s34, s8
	s_addc_u32 s9, s35, 0
	s_add_u32 s8, s8, 0xc4
	s_addc_u32 s9, s9, 0
	s_mul_i32 s10, s60, 12
	s_add_u32 s10, s34, s10
	s_addc_u32 s11, s35, 0
.LBB157_105:                            ; =>This Inner Loop Header: Depth=1
	s_load_dwordx2 s[14:15], s[10:11], 0x4
	s_load_dword s13, s[10:11], 0xc
	s_load_dwordx2 s[16:17], s[8:9], 0x0
	s_add_u32 s10, s10, 12
	s_addc_u32 s11, s11, 0
	s_waitcnt lgkmcnt(0)
	v_mul_hi_u32 v3, s15, v1
	s_add_u32 s8, s8, 8
	s_addc_u32 s9, s9, 0
	s_add_i32 s12, s12, -1
	v_add_u32_e32 v3, v1, v3
	v_lshrrev_b32_e32 v4, s13, v3
	v_mul_lo_u32 v3, v4, s14
	s_cmp_lg_u32 s12, 0
	v_sub_u32_e32 v3, v1, v3
	v_mad_u64_u32 v[0:1], s[14:15], v3, s16, v[0:1]
	v_mad_u64_u32 v[2:3], s[14:15], v3, s17, v[2:3]
	v_mov_b32_e32 v1, v4
	s_cbranch_scc1 .LBB157_105
.LBB157_106:
	s_cbranch_execnz .LBB157_109
.LBB157_107:
	v_mul_hi_u32 v0, s29, v7
	s_andn2_b64 vcc, exec, s[46:47]
	v_add_u32_e32 v0, v7, v0
	v_lshrrev_b32_e32 v1, s30, v0
	v_mul_lo_u32 v0, v1, s28
	v_sub_u32_e32 v2, v7, v0
	v_mul_lo_u32 v0, v2, s24
	v_mul_lo_u32 v2, v2, s25
	s_cbranch_vccnz .LBB157_109
; %bb.108:
	v_mul_hi_u32 v3, s44, v1
	v_add_u32_e32 v3, v1, v3
	v_lshrrev_b32_e32 v3, s45, v3
	v_mul_lo_u32 v3, v3, s31
	v_sub_u32_e32 v3, v1, v3
	v_mad_u64_u32 v[0:1], s[8:9], v3, s26, v[0:1]
	v_mad_u64_u32 v[2:3], s[8:9], v3, s27, v[2:3]
.LBB157_109:
	global_load_dword v1, v2, s[2:3]
	v_mov_b32_e32 v2, s5
	v_mov_b32_e32 v3, s6
	v_add_u32_e32 v7, 0x80, v7
	s_waitcnt vmcnt(0)
	v_cmp_nge_f32_e32 vcc, s4, v1
	v_cndmask_b32_e32 v1, v2, v3, vcc
	global_store_dword v0, v1, s[0:1]
	s_or_b64 exec, exec, s[52:53]
	v_cmp_gt_i32_e32 vcc, s59, v7
	s_and_saveexec_b64 s[52:53], vcc
	s_cbranch_execz .LBB157_100
.LBB157_110:
	s_andn2_b64 vcc, exec, s[40:41]
	s_cbranch_vccnz .LBB157_115
; %bb.111:
	s_andn2_b64 vcc, exec, s[50:51]
	s_cbranch_vccnz .LBB157_116
; %bb.112:
	s_add_i32 s54, s7, 1
	s_cmp_eq_u32 s58, 2
	s_cbranch_scc1 .LBB157_117
; %bb.113:
	s_and_b32 s7, s54, 28
	v_mov_b32_e32 v2, 0
	s_mov_b32 s55, 0
	s_mov_b64 s[50:51], s[34:35]
	v_mov_b32_e32 v0, 0
	v_mov_b32_e32 v1, v7
.LBB157_114:                            ; =>This Inner Loop Header: Depth=1
	s_load_dwordx8 s[16:23], s[50:51], 0x4
	s_load_dwordx4 s[36:39], s[50:51], 0x24
	s_load_dwordx8 s[8:15], s[48:49], 0x0
	s_add_u32 s50, s50, 48
	s_addc_u32 s51, s51, 0
	s_waitcnt lgkmcnt(0)
	v_mul_hi_u32 v3, s17, v1
	s_add_i32 s55, s55, 4
	s_add_u32 s48, s48, 32
	s_addc_u32 s49, s49, 0
	v_add_u32_e32 v3, v1, v3
	v_lshrrev_b32_e32 v3, s18, v3
	v_mul_lo_u32 v4, v3, s16
	v_mul_hi_u32 v5, s20, v3
	s_cmp_eq_u32 s7, s55
	v_sub_u32_e32 v1, v1, v4
	v_add_u32_e32 v4, v3, v5
	v_mul_lo_u32 v5, v1, s8
	v_mul_lo_u32 v6, v1, s9
	v_lshrrev_b32_e32 v1, s21, v4
	v_mul_lo_u32 v4, v1, s19
	v_mul_hi_u32 v8, s23, v1
	v_sub_u32_e32 v3, v3, v4
	v_add_u32_e32 v4, v1, v8
	v_lshrrev_b32_e32 v4, s36, v4
	v_mul_hi_u32 v9, s38, v4
	v_mul_lo_u32 v10, v4, s22
	v_mul_lo_u32 v8, v3, s10
	;; [unrolled: 1-line block ×3, first 2 shown]
	v_sub_u32_e32 v10, v1, v10
	v_add_u32_e32 v1, v4, v9
	v_lshrrev_b32_e32 v1, s39, v1
	v_mul_lo_u32 v9, v1, s37
	v_mul_lo_u32 v11, v10, s12
	;; [unrolled: 1-line block ×3, first 2 shown]
	v_add3_u32 v0, v5, v0, v8
	v_sub_u32_e32 v4, v4, v9
	v_mul_lo_u32 v9, v4, s14
	v_mul_lo_u32 v4, v4, s15
	v_add3_u32 v2, v6, v2, v3
	v_add3_u32 v0, v11, v0, v9
	;; [unrolled: 1-line block ×3, first 2 shown]
	s_cbranch_scc0 .LBB157_114
	s_branch .LBB157_118
.LBB157_115:
                                        ; implicit-def: $vgpr0
                                        ; implicit-def: $vgpr2
	s_branch .LBB157_122
.LBB157_116:
	v_mov_b32_e32 v0, 0
	v_mov_b32_e32 v2, 0
	s_branch .LBB157_121
.LBB157_117:
	s_mov_b32 s7, 0
	v_mov_b32_e32 v0, 0
	v_mov_b32_e32 v2, 0
	;; [unrolled: 1-line block ×3, first 2 shown]
.LBB157_118:
	s_and_b32 s12, s54, 3
	s_cmp_eq_u32 s12, 0
	s_cbranch_scc1 .LBB157_121
; %bb.119:
	s_lshl_b32 s8, s7, 3
	s_add_u32 s8, s34, s8
	s_addc_u32 s9, s35, 0
	s_add_u32 s8, s8, 0xc4
	s_addc_u32 s9, s9, 0
	s_mul_i32 s7, s7, 12
	s_add_u32 s10, s34, s7
	s_addc_u32 s11, s35, 0
.LBB157_120:                            ; =>This Inner Loop Header: Depth=1
	s_load_dwordx2 s[14:15], s[10:11], 0x4
	s_load_dword s7, s[10:11], 0xc
	s_load_dwordx2 s[16:17], s[8:9], 0x0
	s_add_u32 s10, s10, 12
	s_addc_u32 s11, s11, 0
	s_waitcnt lgkmcnt(0)
	v_mul_hi_u32 v3, s15, v1
	s_add_u32 s8, s8, 8
	s_addc_u32 s9, s9, 0
	s_add_i32 s12, s12, -1
	v_add_u32_e32 v3, v1, v3
	v_lshrrev_b32_e32 v4, s7, v3
	v_mul_lo_u32 v3, v4, s14
	s_cmp_lg_u32 s12, 0
	v_sub_u32_e32 v3, v1, v3
	v_mad_u64_u32 v[0:1], s[14:15], v3, s16, v[0:1]
	v_mad_u64_u32 v[2:3], s[14:15], v3, s17, v[2:3]
	v_mov_b32_e32 v1, v4
	s_cbranch_scc1 .LBB157_120
.LBB157_121:
	s_cbranch_execnz .LBB157_124
.LBB157_122:
	v_mul_hi_u32 v0, s29, v7
	s_andn2_b64 vcc, exec, s[46:47]
	v_add_u32_e32 v0, v7, v0
	v_lshrrev_b32_e32 v1, s30, v0
	v_mul_lo_u32 v0, v1, s28
	v_sub_u32_e32 v2, v7, v0
	v_mul_lo_u32 v0, v2, s24
	v_mul_lo_u32 v2, v2, s25
	s_cbranch_vccnz .LBB157_124
; %bb.123:
	v_mul_hi_u32 v3, s44, v1
	v_add_u32_e32 v3, v1, v3
	v_lshrrev_b32_e32 v3, s45, v3
	v_mul_lo_u32 v3, v3, s31
	v_sub_u32_e32 v3, v1, v3
	v_mad_u64_u32 v[0:1], s[8:9], v3, s26, v[0:1]
	v_mad_u64_u32 v[2:3], s[8:9], v3, s27, v[2:3]
.LBB157_124:
	global_load_dword v1, v2, s[2:3]
	v_mov_b32_e32 v2, s5
	v_mov_b32_e32 v3, s6
	s_waitcnt vmcnt(0)
	v_cmp_nge_f32_e32 vcc, s4, v1
	v_cndmask_b32_e32 v1, v2, v3, vcc
	global_store_dword v0, v1, s[0:1]
	s_or_b64 exec, exec, s[52:53]
                                        ; implicit-def: $vgpr13
                                        ; implicit-def: $vgpr7
	s_andn2_saveexec_b64 s[0:1], s[42:43]
	s_cbranch_execz .LBB157_101
	s_branch .LBB157_8
	.section	.rodata,"a",@progbits
	.p2align	6, 0x0
	.amdhsa_kernel _ZN2at6native32elementwise_kernel_manual_unrollILi128ELi4EZNS0_22gpu_kernel_impl_nocastINS0_13BUnaryFunctorIfffZNS0_12_GLOBAL__N_121threshold_kernel_implIfEEvRNS_18TensorIteratorBaseET_S8_EUlffE_EEEEvS7_RKS8_EUlibE_EEviT1_
		.amdhsa_group_segment_fixed_size 0
		.amdhsa_private_segment_fixed_size 0
		.amdhsa_kernarg_size 368
		.amdhsa_user_sgpr_count 6
		.amdhsa_user_sgpr_private_segment_buffer 1
		.amdhsa_user_sgpr_dispatch_ptr 0
		.amdhsa_user_sgpr_queue_ptr 0
		.amdhsa_user_sgpr_kernarg_segment_ptr 1
		.amdhsa_user_sgpr_dispatch_id 0
		.amdhsa_user_sgpr_flat_scratch_init 0
		.amdhsa_user_sgpr_private_segment_size 0
		.amdhsa_uses_dynamic_stack 0
		.amdhsa_system_sgpr_private_segment_wavefront_offset 0
		.amdhsa_system_sgpr_workgroup_id_x 1
		.amdhsa_system_sgpr_workgroup_id_y 0
		.amdhsa_system_sgpr_workgroup_id_z 0
		.amdhsa_system_sgpr_workgroup_info 0
		.amdhsa_system_vgpr_workitem_id 0
		.amdhsa_next_free_vgpr 18
		.amdhsa_next_free_sgpr 63
		.amdhsa_reserve_vcc 1
		.amdhsa_reserve_flat_scratch 0
		.amdhsa_float_round_mode_32 0
		.amdhsa_float_round_mode_16_64 0
		.amdhsa_float_denorm_mode_32 3
		.amdhsa_float_denorm_mode_16_64 3
		.amdhsa_dx10_clamp 1
		.amdhsa_ieee_mode 1
		.amdhsa_fp16_overflow 0
		.amdhsa_exception_fp_ieee_invalid_op 0
		.amdhsa_exception_fp_denorm_src 0
		.amdhsa_exception_fp_ieee_div_zero 0
		.amdhsa_exception_fp_ieee_overflow 0
		.amdhsa_exception_fp_ieee_underflow 0
		.amdhsa_exception_fp_ieee_inexact 0
		.amdhsa_exception_int_div_zero 0
	.end_amdhsa_kernel
	.section	.text._ZN2at6native32elementwise_kernel_manual_unrollILi128ELi4EZNS0_22gpu_kernel_impl_nocastINS0_13BUnaryFunctorIfffZNS0_12_GLOBAL__N_121threshold_kernel_implIfEEvRNS_18TensorIteratorBaseET_S8_EUlffE_EEEEvS7_RKS8_EUlibE_EEviT1_,"axG",@progbits,_ZN2at6native32elementwise_kernel_manual_unrollILi128ELi4EZNS0_22gpu_kernel_impl_nocastINS0_13BUnaryFunctorIfffZNS0_12_GLOBAL__N_121threshold_kernel_implIfEEvRNS_18TensorIteratorBaseET_S8_EUlffE_EEEEvS7_RKS8_EUlibE_EEviT1_,comdat
.Lfunc_end157:
	.size	_ZN2at6native32elementwise_kernel_manual_unrollILi128ELi4EZNS0_22gpu_kernel_impl_nocastINS0_13BUnaryFunctorIfffZNS0_12_GLOBAL__N_121threshold_kernel_implIfEEvRNS_18TensorIteratorBaseET_S8_EUlffE_EEEEvS7_RKS8_EUlibE_EEviT1_, .Lfunc_end157-_ZN2at6native32elementwise_kernel_manual_unrollILi128ELi4EZNS0_22gpu_kernel_impl_nocastINS0_13BUnaryFunctorIfffZNS0_12_GLOBAL__N_121threshold_kernel_implIfEEvRNS_18TensorIteratorBaseET_S8_EUlffE_EEEEvS7_RKS8_EUlibE_EEviT1_
                                        ; -- End function
	.set _ZN2at6native32elementwise_kernel_manual_unrollILi128ELi4EZNS0_22gpu_kernel_impl_nocastINS0_13BUnaryFunctorIfffZNS0_12_GLOBAL__N_121threshold_kernel_implIfEEvRNS_18TensorIteratorBaseET_S8_EUlffE_EEEEvS7_RKS8_EUlibE_EEviT1_.num_vgpr, 18
	.set _ZN2at6native32elementwise_kernel_manual_unrollILi128ELi4EZNS0_22gpu_kernel_impl_nocastINS0_13BUnaryFunctorIfffZNS0_12_GLOBAL__N_121threshold_kernel_implIfEEvRNS_18TensorIteratorBaseET_S8_EUlffE_EEEEvS7_RKS8_EUlibE_EEviT1_.num_agpr, 0
	.set _ZN2at6native32elementwise_kernel_manual_unrollILi128ELi4EZNS0_22gpu_kernel_impl_nocastINS0_13BUnaryFunctorIfffZNS0_12_GLOBAL__N_121threshold_kernel_implIfEEvRNS_18TensorIteratorBaseET_S8_EUlffE_EEEEvS7_RKS8_EUlibE_EEviT1_.numbered_sgpr, 63
	.set _ZN2at6native32elementwise_kernel_manual_unrollILi128ELi4EZNS0_22gpu_kernel_impl_nocastINS0_13BUnaryFunctorIfffZNS0_12_GLOBAL__N_121threshold_kernel_implIfEEvRNS_18TensorIteratorBaseET_S8_EUlffE_EEEEvS7_RKS8_EUlibE_EEviT1_.num_named_barrier, 0
	.set _ZN2at6native32elementwise_kernel_manual_unrollILi128ELi4EZNS0_22gpu_kernel_impl_nocastINS0_13BUnaryFunctorIfffZNS0_12_GLOBAL__N_121threshold_kernel_implIfEEvRNS_18TensorIteratorBaseET_S8_EUlffE_EEEEvS7_RKS8_EUlibE_EEviT1_.private_seg_size, 0
	.set _ZN2at6native32elementwise_kernel_manual_unrollILi128ELi4EZNS0_22gpu_kernel_impl_nocastINS0_13BUnaryFunctorIfffZNS0_12_GLOBAL__N_121threshold_kernel_implIfEEvRNS_18TensorIteratorBaseET_S8_EUlffE_EEEEvS7_RKS8_EUlibE_EEviT1_.uses_vcc, 1
	.set _ZN2at6native32elementwise_kernel_manual_unrollILi128ELi4EZNS0_22gpu_kernel_impl_nocastINS0_13BUnaryFunctorIfffZNS0_12_GLOBAL__N_121threshold_kernel_implIfEEvRNS_18TensorIteratorBaseET_S8_EUlffE_EEEEvS7_RKS8_EUlibE_EEviT1_.uses_flat_scratch, 0
	.set _ZN2at6native32elementwise_kernel_manual_unrollILi128ELi4EZNS0_22gpu_kernel_impl_nocastINS0_13BUnaryFunctorIfffZNS0_12_GLOBAL__N_121threshold_kernel_implIfEEvRNS_18TensorIteratorBaseET_S8_EUlffE_EEEEvS7_RKS8_EUlibE_EEviT1_.has_dyn_sized_stack, 0
	.set _ZN2at6native32elementwise_kernel_manual_unrollILi128ELi4EZNS0_22gpu_kernel_impl_nocastINS0_13BUnaryFunctorIfffZNS0_12_GLOBAL__N_121threshold_kernel_implIfEEvRNS_18TensorIteratorBaseET_S8_EUlffE_EEEEvS7_RKS8_EUlibE_EEviT1_.has_recursion, 0
	.set _ZN2at6native32elementwise_kernel_manual_unrollILi128ELi4EZNS0_22gpu_kernel_impl_nocastINS0_13BUnaryFunctorIfffZNS0_12_GLOBAL__N_121threshold_kernel_implIfEEvRNS_18TensorIteratorBaseET_S8_EUlffE_EEEEvS7_RKS8_EUlibE_EEviT1_.has_indirect_call, 0
	.section	.AMDGPU.csdata,"",@progbits
; Kernel info:
; codeLenInByte = 5740
; TotalNumSgprs: 67
; NumVgprs: 18
; ScratchSize: 0
; MemoryBound: 0
; FloatMode: 240
; IeeeMode: 1
; LDSByteSize: 0 bytes/workgroup (compile time only)
; SGPRBlocks: 8
; VGPRBlocks: 4
; NumSGPRsForWavesPerEU: 67
; NumVGPRsForWavesPerEU: 18
; Occupancy: 10
; WaveLimiterHint : 1
; COMPUTE_PGM_RSRC2:SCRATCH_EN: 0
; COMPUTE_PGM_RSRC2:USER_SGPR: 6
; COMPUTE_PGM_RSRC2:TRAP_HANDLER: 0
; COMPUTE_PGM_RSRC2:TGID_X_EN: 1
; COMPUTE_PGM_RSRC2:TGID_Y_EN: 0
; COMPUTE_PGM_RSRC2:TGID_Z_EN: 0
; COMPUTE_PGM_RSRC2:TIDIG_COMP_CNT: 0
	.section	.text._ZN2at6native32elementwise_kernel_manual_unrollILi128ELi4EZNS0_15gpu_kernel_implINS0_13BUnaryFunctorIfffZNS0_12_GLOBAL__N_121threshold_kernel_implIfEEvRNS_18TensorIteratorBaseET_S8_EUlffE_EEEEvS7_RKS8_EUlibE_EEviT1_,"axG",@progbits,_ZN2at6native32elementwise_kernel_manual_unrollILi128ELi4EZNS0_15gpu_kernel_implINS0_13BUnaryFunctorIfffZNS0_12_GLOBAL__N_121threshold_kernel_implIfEEvRNS_18TensorIteratorBaseET_S8_EUlffE_EEEEvS7_RKS8_EUlibE_EEviT1_,comdat
	.globl	_ZN2at6native32elementwise_kernel_manual_unrollILi128ELi4EZNS0_15gpu_kernel_implINS0_13BUnaryFunctorIfffZNS0_12_GLOBAL__N_121threshold_kernel_implIfEEvRNS_18TensorIteratorBaseET_S8_EUlffE_EEEEvS7_RKS8_EUlibE_EEviT1_ ; -- Begin function _ZN2at6native32elementwise_kernel_manual_unrollILi128ELi4EZNS0_15gpu_kernel_implINS0_13BUnaryFunctorIfffZNS0_12_GLOBAL__N_121threshold_kernel_implIfEEvRNS_18TensorIteratorBaseET_S8_EUlffE_EEEEvS7_RKS8_EUlibE_EEviT1_
	.p2align	8
	.type	_ZN2at6native32elementwise_kernel_manual_unrollILi128ELi4EZNS0_15gpu_kernel_implINS0_13BUnaryFunctorIfffZNS0_12_GLOBAL__N_121threshold_kernel_implIfEEvRNS_18TensorIteratorBaseET_S8_EUlffE_EEEEvS7_RKS8_EUlibE_EEviT1_,@function
_ZN2at6native32elementwise_kernel_manual_unrollILi128ELi4EZNS0_15gpu_kernel_implINS0_13BUnaryFunctorIfffZNS0_12_GLOBAL__N_121threshold_kernel_implIfEEvRNS_18TensorIteratorBaseET_S8_EUlffE_EEEEvS7_RKS8_EUlibE_EEviT1_: ; @_ZN2at6native32elementwise_kernel_manual_unrollILi128ELi4EZNS0_15gpu_kernel_implINS0_13BUnaryFunctorIfffZNS0_12_GLOBAL__N_121threshold_kernel_implIfEEvRNS_18TensorIteratorBaseET_S8_EUlffE_EEEEvS7_RKS8_EUlibE_EEviT1_
; %bb.0:
	s_load_dwordx2 s[2:3], s[4:5], 0x28
	s_load_dword s42, s[4:5], 0x0
	s_load_dwordx8 s[8:15], s[4:5], 0x8
	v_lshl_or_b32 v4, s6, 9, v0
	v_or_b32_e32 v0, 0x180, v4
	s_waitcnt lgkmcnt(0)
	s_bfe_u32 s33, s3, 0x80008
	v_cmp_le_i32_e32 vcc, s42, v0
	s_mov_b64 s[4:5], 0
	s_mov_b64 s[16:17], 0
	s_and_saveexec_b64 s[0:1], vcc
	s_xor_b64 s[6:7], exec, s[0:1]
	s_cbranch_execz .LBB158_1027
; %bb.1:
	v_cmp_gt_i32_e32 vcc, s42, v4
	s_mov_b64 s[22:23], -1
	s_mov_b64 s[24:25], 0
	s_mov_b64 s[18:19], 0
	s_and_saveexec_b64 s[20:21], vcc
	s_cbranch_execz .LBB158_252
; %bb.2:
	v_mul_lo_u32 v0, v4, s13
	v_mov_b32_e32 v1, s11
	s_and_b32 s26, 0xffff, s33
	s_cmp_lt_i32 s26, 11
	v_ashrrev_i32_e32 v2, 31, v0
	v_add_co_u32_e32 v0, vcc, s10, v0
	v_addc_co_u32_e32 v1, vcc, v1, v2, vcc
	s_cbranch_scc1 .LBB158_9
; %bb.3:
	s_cmp_gt_i32 s26, 25
	s_cbranch_scc0 .LBB158_18
; %bb.4:
	s_cmp_gt_i32 s26, 28
	s_cbranch_scc0 .LBB158_22
	;; [unrolled: 3-line block ×4, first 2 shown]
; %bb.7:
	s_cmp_eq_u32 s26, 46
	s_cbranch_scc0 .LBB158_28
; %bb.8:
	global_load_dword v2, v[0:1], off
	s_mov_b64 s[0:1], -1
	s_waitcnt vmcnt(0)
	v_lshlrev_b32_e32 v2, 16, v2
	s_branch .LBB158_30
.LBB158_9:
                                        ; implicit-def: $vgpr2
	s_mov_b64 s[0:1], 0
	s_cbranch_execnz .LBB158_203
.LBB158_10:
	s_andn2_b64 vcc, exec, s[0:1]
	s_cbranch_vccnz .LBB158_250
.LBB158_11:
	v_mul_lo_u32 v1, v4, s12
	v_mov_b32_e32 v0, s15
	v_mov_b32_e32 v3, s2
	s_waitcnt vmcnt(0)
	v_cmp_nge_f32_e32 vcc, s14, v2
	v_cndmask_b32_e32 v2, v0, v3, vcc
	v_ashrrev_i32_e32 v3, 31, v1
	v_mov_b32_e32 v5, s9
	s_and_b32 s28, s3, 0xff
	v_add_co_u32_e32 v0, vcc, s8, v1
	s_cmp_lt_i32 s28, 11
	v_addc_co_u32_e32 v1, vcc, v5, v3, vcc
	s_cbranch_scc1 .LBB158_19
; %bb.12:
	s_and_b32 s29, 0xffff, s28
	s_cmp_gt_i32 s29, 25
	s_cbranch_scc0 .LBB158_23
; %bb.13:
	s_cmp_gt_i32 s29, 28
	s_cbranch_scc0 .LBB158_25
; %bb.14:
	;; [unrolled: 3-line block ×4, first 2 shown]
	s_mov_b64 s[22:23], 0
	s_mov_b64 s[0:1], -1
	s_cmp_eq_u32 s29, 46
	s_mov_b64 s[16:17], 0
	s_cbranch_scc0 .LBB158_34
; %bb.17:
	v_bfe_u32 v3, v2, 16, 1
	s_movk_i32 s0, 0x7fff
	v_add3_u32 v3, v2, v3, s0
	v_cmp_o_f32_e32 vcc, v2, v2
	v_mov_b32_e32 v5, 0x7fc0
	v_cndmask_b32_sdwa v3, v5, v3, vcc dst_sel:DWORD dst_unused:UNUSED_PAD src0_sel:DWORD src1_sel:WORD_1
	global_store_dword v[0:1], v3, off
	s_mov_b64 s[16:17], -1
	s_mov_b64 s[0:1], 0
	s_branch .LBB158_34
.LBB158_18:
	s_mov_b64 s[0:1], 0
                                        ; implicit-def: $vgpr2
	s_cbranch_execnz .LBB158_168
	s_branch .LBB158_202
.LBB158_19:
	s_mov_b64 s[0:1], 0
	s_mov_b64 s[16:17], 0
	s_cbranch_execnz .LBB158_103
.LBB158_20:
	s_andn2_b64 vcc, exec, s[16:17]
	s_cbranch_vccnz .LBB158_141
.LBB158_21:
	v_add_u32_e32 v4, 0x80, v4
	s_mov_b64 s[22:23], -1
	s_branch .LBB158_251
.LBB158_22:
	s_mov_b64 s[16:17], -1
	s_mov_b64 s[0:1], 0
                                        ; implicit-def: $vgpr2
	s_branch .LBB158_149
.LBB158_23:
	s_mov_b64 s[22:23], -1
	s_mov_b64 s[0:1], 0
	s_mov_b64 s[16:17], 0
	s_branch .LBB158_61
.LBB158_24:
	s_mov_b64 s[16:17], -1
	s_mov_b64 s[0:1], 0
                                        ; implicit-def: $vgpr2
	s_branch .LBB158_144
.LBB158_25:
	s_mov_b64 s[22:23], -1
	s_mov_b64 s[0:1], 0
	s_mov_b64 s[16:17], 0
	s_branch .LBB158_44
.LBB158_26:
	s_mov_b64 s[16:17], -1
	s_branch .LBB158_29
.LBB158_27:
	s_mov_b64 s[22:23], -1
	s_mov_b64 s[0:1], 0
	s_mov_b64 s[16:17], 0
	s_branch .LBB158_40
.LBB158_28:
	s_mov_b64 s[18:19], -1
.LBB158_29:
	s_mov_b64 s[0:1], 0
                                        ; implicit-def: $vgpr2
.LBB158_30:
	s_and_b64 vcc, exec, s[16:17]
	s_cbranch_vccz .LBB158_143
; %bb.31:
	s_cmp_eq_u32 s26, 44
	s_cbranch_scc0 .LBB158_142
; %bb.32:
	global_load_ubyte v2, v[0:1], off
	s_movk_i32 s16, 0xff
	v_mov_b32_e32 v3, 0x7f800001
	v_mov_b32_e32 v5, 0x400000
	s_mov_b64 s[0:1], -1
	s_mov_b64 s[18:19], 0
	s_waitcnt vmcnt(0)
	v_lshlrev_b32_e32 v6, 23, v2
	v_cmp_ne_u32_e32 vcc, s16, v2
	v_cndmask_b32_e32 v3, v3, v6, vcc
	v_cmp_ne_u32_e32 vcc, 0, v2
	v_cndmask_b32_e32 v2, v5, v3, vcc
	s_branch .LBB158_143
.LBB158_33:
	s_mov_b64 s[22:23], -1
	s_mov_b64 s[0:1], 0
	s_mov_b64 s[16:17], 0
.LBB158_34:
	s_and_b64 vcc, exec, s[22:23]
	s_cbranch_vccz .LBB158_39
; %bb.35:
	s_cmp_eq_u32 s29, 44
	s_mov_b64 s[0:1], -1
	s_cbranch_scc0 .LBB158_39
; %bb.36:
	v_bfe_u32 v3, v2, 23, 8
	s_movk_i32 s0, 0xff
	v_cmp_ne_u32_e32 vcc, s0, v3
	v_mov_b32_e32 v5, 0xff
	s_and_saveexec_b64 s[16:17], vcc
; %bb.37:
	s_mov_b32 s0, 0x3fffff
	v_and_b32_e32 v6, 0x400000, v2
	v_and_or_b32 v3, v2, s0, v3
	v_cmp_ne_u32_e32 vcc, 0, v6
	v_cmp_ne_u32_e64 s[0:1], 0, v3
	s_and_b64 s[0:1], vcc, s[0:1]
	v_lshrrev_b32_e32 v5, 23, v2
	v_cndmask_b32_e64 v3, 0, 1, s[0:1]
	v_add_u32_e32 v5, v5, v3
; %bb.38:
	s_or_b64 exec, exec, s[16:17]
	s_mov_b64 s[16:17], -1
	s_mov_b64 s[0:1], 0
	global_store_byte v[0:1], v5, off
.LBB158_39:
	s_mov_b64 s[22:23], 0
.LBB158_40:
	s_and_b64 vcc, exec, s[22:23]
	s_cbranch_vccz .LBB158_43
; %bb.41:
	s_cmp_eq_u32 s29, 29
	s_mov_b64 s[0:1], -1
	s_cbranch_scc0 .LBB158_43
; %bb.42:
	v_trunc_f32_e32 v3, v2
	v_mul_f32_e32 v5, 0x2f800000, v3
	v_floor_f32_e32 v5, v5
	v_fmac_f32_e32 v3, 0xcf800000, v5
	v_cvt_u32_f32_e32 v6, v5
	v_cvt_u32_f32_e32 v5, v3
	s_mov_b64 s[16:17], -1
	s_mov_b64 s[0:1], 0
	s_mov_b64 s[22:23], 0
	global_store_dwordx2 v[0:1], v[5:6], off
	s_branch .LBB158_44
.LBB158_43:
	s_mov_b64 s[22:23], 0
.LBB158_44:
	s_and_b64 vcc, exec, s[22:23]
	s_cbranch_vccz .LBB158_60
; %bb.45:
	s_cmp_lt_i32 s29, 27
	s_mov_b64 s[16:17], -1
	s_cbranch_scc1 .LBB158_51
; %bb.46:
	v_cvt_u32_f32_e32 v3, v2
	s_cmp_gt_i32 s29, 27
	s_cbranch_scc0 .LBB158_48
; %bb.47:
	s_mov_b64 s[16:17], 0
	global_store_dword v[0:1], v3, off
.LBB158_48:
	s_andn2_b64 vcc, exec, s[16:17]
	s_cbranch_vccnz .LBB158_50
; %bb.49:
	global_store_short v[0:1], v3, off
.LBB158_50:
	s_mov_b64 s[16:17], 0
.LBB158_51:
	s_andn2_b64 vcc, exec, s[16:17]
	s_cbranch_vccnz .LBB158_59
; %bb.52:
	v_and_b32_e32 v3, 0x7fffffff, v2
	s_mov_b32 s16, 0x43800000
	v_cmp_gt_u32_e32 vcc, s16, v3
	v_mov_b32_e32 v5, 0x80
	s_and_saveexec_b64 s[16:17], vcc
	s_cbranch_execz .LBB158_58
; %bb.53:
	s_mov_b32 s22, 0x3bffffff
	v_cmp_lt_u32_e32 vcc, s22, v3
	s_mov_b64 s[22:23], 0
                                        ; implicit-def: $vgpr3
	s_and_saveexec_b64 s[26:27], vcc
	s_xor_b64 s[26:27], exec, s[26:27]
	s_cbranch_execz .LBB158_279
; %bb.54:
	v_bfe_u32 v3, v2, 20, 1
	s_mov_b32 s30, 0x487ffff
	v_add3_u32 v3, v2, v3, s30
	s_mov_b64 s[22:23], exec
	v_lshrrev_b32_e32 v3, 20, v3
	s_andn2_saveexec_b64 s[26:27], s[26:27]
	s_cbranch_execnz .LBB158_280
.LBB158_55:
	s_or_b64 exec, exec, s[26:27]
	v_mov_b32_e32 v5, 0
	s_and_saveexec_b64 s[26:27], s[22:23]
.LBB158_56:
	v_lshrrev_b32_e32 v5, 24, v2
	s_movk_i32 s22, 0x80
	v_and_or_b32 v5, v5, s22, v3
.LBB158_57:
	s_or_b64 exec, exec, s[26:27]
.LBB158_58:
	s_or_b64 exec, exec, s[16:17]
	global_store_byte v[0:1], v5, off
.LBB158_59:
	s_mov_b64 s[16:17], -1
.LBB158_60:
	s_mov_b64 s[22:23], 0
.LBB158_61:
	s_and_b64 vcc, exec, s[22:23]
	s_cbranch_vccz .LBB158_102
; %bb.62:
	s_cmp_gt_i32 s29, 22
	s_mov_b64 s[22:23], -1
	s_cbranch_scc0 .LBB158_94
; %bb.63:
	s_cmp_lt_i32 s29, 24
	s_mov_b64 s[16:17], -1
	s_cbranch_scc1 .LBB158_83
; %bb.64:
	s_cmp_gt_i32 s29, 24
	s_cbranch_scc0 .LBB158_72
; %bb.65:
	v_and_b32_e32 v3, 0x7fffffff, v2
	s_mov_b32 s16, 0x47800000
	v_cmp_gt_u32_e32 vcc, s16, v3
	v_mov_b32_e32 v5, 0x80
	s_and_saveexec_b64 s[16:17], vcc
	s_cbranch_execz .LBB158_71
; %bb.66:
	s_mov_b32 s22, 0x37ffffff
	v_cmp_lt_u32_e32 vcc, s22, v3
	s_mov_b64 s[22:23], 0
                                        ; implicit-def: $vgpr3
	s_and_saveexec_b64 s[26:27], vcc
	s_xor_b64 s[26:27], exec, s[26:27]
	s_cbranch_execz .LBB158_283
; %bb.67:
	v_bfe_u32 v3, v2, 21, 1
	s_mov_b32 s30, 0x88fffff
	v_add3_u32 v3, v2, v3, s30
	s_mov_b64 s[22:23], exec
	v_lshrrev_b32_e32 v3, 21, v3
	s_andn2_saveexec_b64 s[26:27], s[26:27]
	s_cbranch_execnz .LBB158_284
.LBB158_68:
	s_or_b64 exec, exec, s[26:27]
	v_mov_b32_e32 v5, 0
	s_and_saveexec_b64 s[26:27], s[22:23]
.LBB158_69:
	v_lshrrev_b32_e32 v5, 24, v2
	s_movk_i32 s22, 0x80
	v_and_or_b32 v5, v5, s22, v3
.LBB158_70:
	s_or_b64 exec, exec, s[26:27]
.LBB158_71:
	s_or_b64 exec, exec, s[16:17]
	s_mov_b64 s[16:17], 0
	global_store_byte v[0:1], v5, off
.LBB158_72:
	s_and_b64 vcc, exec, s[16:17]
	s_cbranch_vccz .LBB158_82
; %bb.73:
	v_and_b32_e32 v5, 0x7fffffff, v2
	s_mov_b32 s16, 0x43f00000
	v_cmp_gt_u32_e32 vcc, s16, v5
                                        ; implicit-def: $vgpr3
	s_and_saveexec_b64 s[16:17], vcc
	s_xor_b64 s[16:17], exec, s[16:17]
	s_cbranch_execz .LBB158_79
; %bb.74:
	s_mov_b32 s22, 0x3c7fffff
	v_cmp_lt_u32_e32 vcc, s22, v5
                                        ; implicit-def: $vgpr3
	s_and_saveexec_b64 s[22:23], vcc
	s_xor_b64 s[22:23], exec, s[22:23]
; %bb.75:
	v_bfe_u32 v3, v2, 20, 1
	s_mov_b32 s26, 0x407ffff
	v_add3_u32 v3, v2, v3, s26
	v_lshrrev_b32_e32 v5, 20, v3
	v_and_b32_e32 v3, 0xff00000, v3
	s_mov_b32 s26, 0x7f00000
	v_mov_b32_e32 v6, 0x7e
	v_cmp_ne_u32_e32 vcc, s26, v3
	v_cndmask_b32_e32 v3, v6, v5, vcc
; %bb.76:
	s_andn2_saveexec_b64 s[22:23], s[22:23]
; %bb.77:
	s_mov_b32 s26, 0x46800000
	v_add_f32_e64 v3, |v2|, s26
; %bb.78:
	s_or_b64 exec, exec, s[22:23]
                                        ; implicit-def: $vgpr5
.LBB158_79:
	s_andn2_saveexec_b64 s[16:17], s[16:17]
; %bb.80:
	s_mov_b32 s22, 0x7f800000
	v_mov_b32_e32 v3, 0x7e
	v_mov_b32_e32 v6, 0x7f
	v_cmp_lt_u32_e32 vcc, s22, v5
	v_cndmask_b32_e32 v3, v3, v6, vcc
; %bb.81:
	s_or_b64 exec, exec, s[16:17]
	v_lshrrev_b32_e32 v5, 24, v2
	s_movk_i32 s16, 0x80
	v_and_or_b32 v3, v5, s16, v3
	global_store_byte v[0:1], v3, off
.LBB158_82:
	s_mov_b64 s[16:17], 0
.LBB158_83:
	s_andn2_b64 vcc, exec, s[16:17]
	s_cbranch_vccnz .LBB158_93
; %bb.84:
	v_and_b32_e32 v5, 0x7fffffff, v2
	s_mov_b32 s16, 0x47800000
	v_cmp_gt_u32_e32 vcc, s16, v5
                                        ; implicit-def: $vgpr3
	s_and_saveexec_b64 s[16:17], vcc
	s_xor_b64 s[16:17], exec, s[16:17]
	s_cbranch_execz .LBB158_90
; %bb.85:
	s_mov_b32 s22, 0x387fffff
	v_cmp_lt_u32_e32 vcc, s22, v5
                                        ; implicit-def: $vgpr3
	s_and_saveexec_b64 s[22:23], vcc
	s_xor_b64 s[22:23], exec, s[22:23]
; %bb.86:
	v_bfe_u32 v3, v2, 21, 1
	s_mov_b32 s26, 0x80fffff
	v_add3_u32 v3, v2, v3, s26
	v_lshrrev_b32_e32 v3, 21, v3
; %bb.87:
	s_andn2_saveexec_b64 s[22:23], s[22:23]
; %bb.88:
	s_mov_b32 s26, 0x43000000
	v_add_f32_e64 v3, |v2|, s26
; %bb.89:
	s_or_b64 exec, exec, s[22:23]
                                        ; implicit-def: $vgpr5
.LBB158_90:
	s_andn2_saveexec_b64 s[16:17], s[16:17]
; %bb.91:
	s_mov_b32 s22, 0x7f800000
	v_mov_b32_e32 v3, 0x7c
	v_mov_b32_e32 v6, 0x7f
	v_cmp_lt_u32_e32 vcc, s22, v5
	v_cndmask_b32_e32 v3, v3, v6, vcc
; %bb.92:
	s_or_b64 exec, exec, s[16:17]
	v_lshrrev_b32_e32 v5, 24, v2
	s_movk_i32 s16, 0x80
	v_and_or_b32 v3, v5, s16, v3
	global_store_byte v[0:1], v3, off
.LBB158_93:
	s_mov_b64 s[22:23], 0
	s_mov_b64 s[16:17], -1
.LBB158_94:
	s_andn2_b64 vcc, exec, s[22:23]
	s_cbranch_vccnz .LBB158_102
; %bb.95:
	s_cmp_gt_i32 s29, 14
	s_mov_b64 s[22:23], -1
	s_cbranch_scc0 .LBB158_99
; %bb.96:
	s_cmp_eq_u32 s29, 15
	s_mov_b64 s[0:1], -1
	s_cbranch_scc0 .LBB158_98
; %bb.97:
	v_bfe_u32 v3, v2, 16, 1
	s_movk_i32 s0, 0x7fff
	v_add3_u32 v3, v2, v3, s0
	v_cmp_o_f32_e32 vcc, v2, v2
	v_mov_b32_e32 v5, 0x7fc0
	v_cndmask_b32_sdwa v3, v5, v3, vcc dst_sel:DWORD dst_unused:UNUSED_PAD src0_sel:DWORD src1_sel:WORD_1
	global_store_short v[0:1], v3, off
	s_mov_b64 s[16:17], -1
	s_mov_b64 s[0:1], 0
.LBB158_98:
	s_mov_b64 s[22:23], 0
.LBB158_99:
	s_and_b64 vcc, exec, s[22:23]
	s_cbranch_vccz .LBB158_102
; %bb.100:
	s_cmp_eq_u32 s29, 11
	s_mov_b64 s[0:1], -1
	s_cbranch_scc0 .LBB158_102
; %bb.101:
	v_cmp_neq_f32_e32 vcc, 0, v2
	v_cndmask_b32_e64 v3, 0, 1, vcc
	s_mov_b64 s[16:17], -1
	s_mov_b64 s[0:1], 0
	global_store_byte v[0:1], v3, off
.LBB158_102:
	s_branch .LBB158_20
.LBB158_103:
	s_and_b32 s22, 0xffff, s28
	s_cmp_lt_i32 s22, 5
	s_mov_b64 s[16:17], -1
	s_cbranch_scc1 .LBB158_124
; %bb.104:
	s_cmp_lt_i32 s22, 8
	s_cbranch_scc1 .LBB158_114
; %bb.105:
	s_cmp_lt_i32 s22, 9
	s_cbranch_scc1 .LBB158_111
; %bb.106:
	s_cmp_gt_i32 s22, 9
	s_cbranch_scc0 .LBB158_108
; %bb.107:
	v_cvt_f64_f32_e32 v[5:6], v2
	v_mov_b32_e32 v7, 0
	v_mov_b32_e32 v8, v7
	s_mov_b64 s[16:17], 0
	global_store_dwordx4 v[0:1], v[5:8], off
.LBB158_108:
	s_andn2_b64 vcc, exec, s[16:17]
	s_cbranch_vccnz .LBB158_110
; %bb.109:
	v_mov_b32_e32 v3, 0
	global_store_dwordx2 v[0:1], v[2:3], off
.LBB158_110:
	s_mov_b64 s[16:17], 0
.LBB158_111:
	s_andn2_b64 vcc, exec, s[16:17]
	s_cbranch_vccnz .LBB158_113
; %bb.112:
	v_cvt_f16_f32_e32 v3, v2
	global_store_dword v[0:1], v3, off
.LBB158_113:
	s_mov_b64 s[16:17], 0
.LBB158_114:
	s_andn2_b64 vcc, exec, s[16:17]
	s_cbranch_vccnz .LBB158_123
; %bb.115:
	s_cmp_lt_i32 s22, 6
	s_mov_b64 s[16:17], -1
	s_cbranch_scc1 .LBB158_121
; %bb.116:
	s_cmp_gt_i32 s22, 6
	s_cbranch_scc0 .LBB158_118
; %bb.117:
	v_cvt_f64_f32_e32 v[5:6], v2
	s_mov_b64 s[16:17], 0
	global_store_dwordx2 v[0:1], v[5:6], off
.LBB158_118:
	s_andn2_b64 vcc, exec, s[16:17]
	s_cbranch_vccnz .LBB158_120
; %bb.119:
	global_store_dword v[0:1], v2, off
.LBB158_120:
	s_mov_b64 s[16:17], 0
.LBB158_121:
	s_andn2_b64 vcc, exec, s[16:17]
	s_cbranch_vccnz .LBB158_123
; %bb.122:
	v_cvt_f16_f32_e32 v3, v2
	global_store_short v[0:1], v3, off
.LBB158_123:
	s_mov_b64 s[16:17], 0
.LBB158_124:
	s_andn2_b64 vcc, exec, s[16:17]
	s_cbranch_vccnz .LBB158_140
; %bb.125:
	s_cmp_lt_i32 s22, 2
	s_mov_b64 s[16:17], -1
	s_cbranch_scc1 .LBB158_135
; %bb.126:
	s_cmp_lt_i32 s22, 3
	s_cbranch_scc1 .LBB158_132
; %bb.127:
	s_cmp_gt_i32 s22, 3
	s_cbranch_scc0 .LBB158_129
; %bb.128:
	v_trunc_f32_e32 v3, v2
	s_mov_b32 s16, 0x2f800000
	v_mul_f32_e64 v5, |v3|, s16
	v_floor_f32_e32 v5, v5
	s_mov_b32 s16, 0xcf800000
	v_cvt_u32_f32_e32 v6, v5
	v_fma_f32 v5, v5, s16, |v3|
	v_cvt_u32_f32_e32 v5, v5
	v_ashrrev_i32_e32 v3, 31, v3
	v_xor_b32_e32 v6, v6, v3
	s_mov_b64 s[16:17], 0
	v_xor_b32_e32 v5, v5, v3
	v_sub_co_u32_e32 v5, vcc, v5, v3
	v_subb_co_u32_e32 v6, vcc, v6, v3, vcc
	global_store_dwordx2 v[0:1], v[5:6], off
.LBB158_129:
	s_andn2_b64 vcc, exec, s[16:17]
	s_cbranch_vccnz .LBB158_131
; %bb.130:
	v_cvt_i32_f32_e32 v3, v2
	global_store_dword v[0:1], v3, off
.LBB158_131:
	s_mov_b64 s[16:17], 0
.LBB158_132:
	s_andn2_b64 vcc, exec, s[16:17]
	s_cbranch_vccnz .LBB158_134
; %bb.133:
	v_cvt_i32_f32_e32 v3, v2
	global_store_short v[0:1], v3, off
.LBB158_134:
	s_mov_b64 s[16:17], 0
.LBB158_135:
	s_andn2_b64 vcc, exec, s[16:17]
	s_cbranch_vccnz .LBB158_140
; %bb.136:
	s_cmp_gt_i32 s22, 0
	s_mov_b64 s[16:17], -1
	s_cbranch_scc0 .LBB158_138
; %bb.137:
	v_cvt_i32_f32_e32 v3, v2
	s_mov_b64 s[16:17], 0
	global_store_byte v[0:1], v3, off
.LBB158_138:
	s_andn2_b64 vcc, exec, s[16:17]
	s_cbranch_vccnz .LBB158_140
; %bb.139:
	v_trunc_f32_e32 v2, v2
	s_mov_b32 s16, 0x2f800000
	v_mul_f32_e64 v3, |v2|, s16
	v_floor_f32_e32 v3, v3
	s_mov_b32 s16, 0xcf800000
	v_fma_f32 v3, v3, s16, |v2|
	v_cvt_u32_f32_e32 v3, v3
	v_ashrrev_i32_e32 v2, 31, v2
	v_xor_b32_e32 v3, v3, v2
	v_sub_u32_e32 v2, v3, v2
	global_store_byte v[0:1], v2, off
.LBB158_140:
	s_branch .LBB158_21
.LBB158_141:
	s_mov_b64 s[22:23], 0
                                        ; implicit-def: $vgpr4
	s_branch .LBB158_251
.LBB158_142:
	s_mov_b64 s[18:19], -1
                                        ; implicit-def: $vgpr2
.LBB158_143:
	s_mov_b64 s[16:17], 0
.LBB158_144:
	s_and_b64 vcc, exec, s[16:17]
	s_cbranch_vccz .LBB158_148
; %bb.145:
	s_cmp_eq_u32 s26, 29
	s_cbranch_scc0 .LBB158_147
; %bb.146:
	global_load_dwordx2 v[2:3], v[0:1], off
	s_mov_b64 s[0:1], -1
	s_mov_b64 s[18:19], 0
	s_mov_b64 s[16:17], 0
	s_waitcnt vmcnt(0)
	v_ffbh_u32_e32 v5, v3
	v_min_u32_e32 v5, 32, v5
	v_lshlrev_b64 v[2:3], v5, v[2:3]
	v_min_u32_e32 v2, 1, v2
	v_or_b32_e32 v2, v3, v2
	v_cvt_f32_u32_e32 v2, v2
	v_sub_u32_e32 v3, 32, v5
	v_ldexp_f32 v2, v2, v3
	s_branch .LBB158_149
.LBB158_147:
	s_mov_b64 s[18:19], -1
                                        ; implicit-def: $vgpr2
.LBB158_148:
	s_mov_b64 s[16:17], 0
.LBB158_149:
	s_and_b64 vcc, exec, s[16:17]
	s_cbranch_vccz .LBB158_167
; %bb.150:
	s_cmp_lt_i32 s26, 27
	s_cbranch_scc1 .LBB158_153
; %bb.151:
	s_cmp_gt_i32 s26, 27
	s_cbranch_scc0 .LBB158_154
; %bb.152:
	global_load_dword v2, v[0:1], off
	s_mov_b64 s[0:1], 0
	s_waitcnt vmcnt(0)
	v_cvt_f32_u32_e32 v2, v2
	s_branch .LBB158_155
.LBB158_153:
	s_mov_b64 s[0:1], -1
                                        ; implicit-def: $vgpr2
	s_branch .LBB158_158
.LBB158_154:
	s_mov_b64 s[0:1], -1
                                        ; implicit-def: $vgpr2
.LBB158_155:
	s_andn2_b64 vcc, exec, s[0:1]
	s_cbranch_vccnz .LBB158_157
; %bb.156:
	global_load_ushort v2, v[0:1], off
	s_waitcnt vmcnt(0)
	v_cvt_f32_u32_e32 v2, v2
.LBB158_157:
	s_mov_b64 s[0:1], 0
.LBB158_158:
	s_andn2_b64 vcc, exec, s[0:1]
	s_cbranch_vccnz .LBB158_166
; %bb.159:
	global_load_ubyte v3, v[0:1], off
	s_movk_i32 s0, 0x7f
	s_waitcnt vmcnt(0)
	v_cmp_lt_i16_e32 vcc, s0, v3
	s_mov_b64 s[0:1], 0
	s_and_saveexec_b64 s[16:17], vcc
	s_xor_b64 s[16:17], exec, s[16:17]
	s_cbranch_execz .LBB158_179
; %bb.160:
	s_movk_i32 s0, 0x80
	v_cmp_eq_u16_e32 vcc, s0, v3
	s_mov_b64 s[0:1], -1
	s_and_saveexec_b64 s[22:23], vcc
; %bb.161:
	s_xor_b64 s[0:1], exec, -1
; %bb.162:
	s_or_b64 exec, exec, s[22:23]
	s_and_b64 s[0:1], s[0:1], exec
	s_or_saveexec_b64 s[16:17], s[16:17]
	v_mov_b32_e32 v2, 0x7f800001
	s_xor_b64 exec, exec, s[16:17]
	s_cbranch_execnz .LBB158_180
.LBB158_163:
	s_or_b64 exec, exec, s[16:17]
	s_and_saveexec_b64 s[16:17], s[0:1]
	s_cbranch_execz .LBB158_165
.LBB158_164:
	v_lshlrev_b32_e32 v2, 24, v3
	v_and_b32_e32 v3, 0xffff, v3
	v_and_b32_e32 v5, 7, v3
	v_ffbh_u32_e32 v7, v5
	v_min_u32_e32 v7, 32, v7
	v_subrev_u32_e32 v8, 28, v7
	v_bfe_u32 v6, v3, 3, 4
	v_lshlrev_b32_e32 v3, v8, v3
	v_sub_u32_e32 v7, 29, v7
	v_and_b32_e32 v3, 7, v3
	v_cmp_eq_u32_e32 vcc, 0, v6
	v_cndmask_b32_e32 v6, v6, v7, vcc
	v_cndmask_b32_e32 v3, v5, v3, vcc
	v_mov_b32_e32 v5, 0x3b800000
	v_lshlrev_b32_e32 v3, 20, v3
	v_and_b32_e32 v2, 0x80000000, v2
	v_lshl_add_u32 v5, v6, 23, v5
	v_or3_b32 v2, v2, v5, v3
.LBB158_165:
	s_or_b64 exec, exec, s[16:17]
.LBB158_166:
	s_mov_b64 s[0:1], -1
.LBB158_167:
	s_branch .LBB158_202
.LBB158_168:
	s_cmp_gt_i32 s26, 22
	s_cbranch_scc0 .LBB158_178
; %bb.169:
	s_cmp_lt_i32 s26, 24
	s_cbranch_scc1 .LBB158_181
; %bb.170:
	s_cmp_gt_i32 s26, 24
	s_cbranch_scc0 .LBB158_182
; %bb.171:
	global_load_ubyte v3, v[0:1], off
	s_movk_i32 s0, 0x7f
	s_waitcnt vmcnt(0)
	v_cmp_lt_i16_e32 vcc, s0, v3
	s_mov_b64 s[0:1], 0
	s_and_saveexec_b64 s[16:17], vcc
	s_xor_b64 s[16:17], exec, s[16:17]
	s_cbranch_execz .LBB158_194
; %bb.172:
	s_movk_i32 s0, 0x80
	v_cmp_eq_u16_e32 vcc, s0, v3
	s_mov_b64 s[0:1], -1
	s_and_saveexec_b64 s[22:23], vcc
; %bb.173:
	s_xor_b64 s[0:1], exec, -1
; %bb.174:
	s_or_b64 exec, exec, s[22:23]
	s_and_b64 s[0:1], s[0:1], exec
	s_or_saveexec_b64 s[16:17], s[16:17]
	v_mov_b32_e32 v2, 0x7f800001
	s_xor_b64 exec, exec, s[16:17]
	s_cbranch_execnz .LBB158_195
.LBB158_175:
	s_or_b64 exec, exec, s[16:17]
	s_and_saveexec_b64 s[16:17], s[0:1]
	s_cbranch_execz .LBB158_177
.LBB158_176:
	v_lshlrev_b32_e32 v2, 24, v3
	v_and_b32_e32 v3, 0xffff, v3
	v_and_b32_e32 v5, 3, v3
	v_ffbh_u32_e32 v7, v5
	v_min_u32_e32 v7, 32, v7
	v_subrev_u32_e32 v8, 29, v7
	v_bfe_u32 v6, v3, 2, 5
	v_lshlrev_b32_e32 v3, v8, v3
	v_sub_u32_e32 v7, 30, v7
	v_and_b32_e32 v3, 3, v3
	v_cmp_eq_u32_e32 vcc, 0, v6
	v_cndmask_b32_e32 v6, v6, v7, vcc
	v_cndmask_b32_e32 v3, v5, v3, vcc
	v_mov_b32_e32 v5, 0x37800000
	v_lshlrev_b32_e32 v3, 21, v3
	v_and_b32_e32 v2, 0x80000000, v2
	v_lshl_add_u32 v5, v6, 23, v5
	v_or3_b32 v2, v2, v5, v3
.LBB158_177:
	s_or_b64 exec, exec, s[16:17]
	s_mov_b64 s[0:1], 0
	s_branch .LBB158_183
.LBB158_178:
	s_mov_b64 s[16:17], -1
                                        ; implicit-def: $vgpr2
	s_branch .LBB158_189
.LBB158_179:
	s_or_saveexec_b64 s[16:17], s[16:17]
	v_mov_b32_e32 v2, 0x7f800001
	s_xor_b64 exec, exec, s[16:17]
	s_cbranch_execz .LBB158_163
.LBB158_180:
	v_cmp_ne_u16_e32 vcc, 0, v3
	s_andn2_b64 s[0:1], s[0:1], exec
	s_and_b64 s[22:23], vcc, exec
	v_mov_b32_e32 v2, 0
	s_or_b64 s[0:1], s[0:1], s[22:23]
	s_or_b64 exec, exec, s[16:17]
	s_and_saveexec_b64 s[16:17], s[0:1]
	s_cbranch_execnz .LBB158_164
	s_branch .LBB158_165
.LBB158_181:
	s_mov_b64 s[0:1], -1
                                        ; implicit-def: $vgpr2
	s_branch .LBB158_186
.LBB158_182:
	s_mov_b64 s[0:1], -1
                                        ; implicit-def: $vgpr2
.LBB158_183:
	s_and_b64 vcc, exec, s[0:1]
	s_cbranch_vccz .LBB158_185
; %bb.184:
	global_load_ubyte v2, v[0:1], off
	s_mov_b32 s0, 0x7f800000
	s_waitcnt vmcnt(0)
	v_lshlrev_b32_e32 v2, 24, v2
	v_and_b32_e32 v3, 0x7f000000, v2
	v_ffbh_u32_e32 v5, v3
	v_min_u32_e32 v5, 32, v5
	v_sub_u32_e64 v5, v5, 4 clamp
	v_lshlrev_b32_e32 v7, v5, v3
	v_lshlrev_b32_e32 v5, 23, v5
	v_lshrrev_b32_e32 v7, 4, v7
	v_add_u32_e32 v6, 0x1000000, v3
	v_sub_u32_e32 v5, v7, v5
	v_ashrrev_i32_e32 v6, 8, v6
	v_add_u32_e32 v5, 0x3c000000, v5
	v_and_or_b32 v5, v6, s0, v5
	v_cmp_ne_u32_e32 vcc, 0, v3
	v_cndmask_b32_e32 v3, 0, v5, vcc
	s_brev_b32 s0, 1
	v_and_or_b32 v2, v2, s0, v3
.LBB158_185:
	s_mov_b64 s[0:1], 0
.LBB158_186:
	s_andn2_b64 vcc, exec, s[0:1]
	s_cbranch_vccnz .LBB158_188
; %bb.187:
	global_load_ubyte v2, v[0:1], off
	s_movk_i32 s0, 0x7f00
	s_brev_b32 s1, 16
	s_waitcnt vmcnt(0)
	v_lshlrev_b16_e32 v3, 8, v2
	v_lshlrev_b32_e32 v2, 25, v2
	v_lshrrev_b32_e32 v5, 4, v2
	v_and_or_b32 v6, v3, s0, 0.5
	v_or_b32_e32 v5, 0x70000000, v5
	v_add_f32_e32 v6, -0.5, v6
	v_mul_f32_e32 v5, 0x7800000, v5
	v_cmp_gt_u32_e32 vcc, s1, v2
	v_bfe_i32 v3, v3, 0, 16
	v_cndmask_b32_e32 v2, v5, v6, vcc
	s_brev_b32 s0, 1
	v_and_or_b32 v2, v3, s0, v2
.LBB158_188:
	s_mov_b64 s[16:17], 0
	s_mov_b64 s[0:1], -1
.LBB158_189:
	s_andn2_b64 vcc, exec, s[16:17]
	s_cbranch_vccnz .LBB158_202
; %bb.190:
	s_cmp_gt_i32 s26, 14
	s_cbranch_scc0 .LBB158_193
; %bb.191:
	s_cmp_eq_u32 s26, 15
	s_cbranch_scc0 .LBB158_196
; %bb.192:
	global_load_ushort v2, v[0:1], off
	s_mov_b64 s[0:1], -1
	s_mov_b64 s[18:19], 0
	s_waitcnt vmcnt(0)
	v_lshlrev_b32_e32 v2, 16, v2
	s_branch .LBB158_197
.LBB158_193:
	s_mov_b64 s[16:17], -1
                                        ; implicit-def: $vgpr2
	s_branch .LBB158_198
.LBB158_194:
	s_or_saveexec_b64 s[16:17], s[16:17]
	v_mov_b32_e32 v2, 0x7f800001
	s_xor_b64 exec, exec, s[16:17]
	s_cbranch_execz .LBB158_175
.LBB158_195:
	v_cmp_ne_u16_e32 vcc, 0, v3
	s_andn2_b64 s[0:1], s[0:1], exec
	s_and_b64 s[22:23], vcc, exec
	v_mov_b32_e32 v2, 0
	s_or_b64 s[0:1], s[0:1], s[22:23]
	s_or_b64 exec, exec, s[16:17]
	s_and_saveexec_b64 s[16:17], s[0:1]
	s_cbranch_execnz .LBB158_176
	s_branch .LBB158_177
.LBB158_196:
	s_mov_b64 s[18:19], -1
                                        ; implicit-def: $vgpr2
.LBB158_197:
	s_mov_b64 s[16:17], 0
.LBB158_198:
	s_and_b64 vcc, exec, s[16:17]
	s_cbranch_vccz .LBB158_202
; %bb.199:
	s_cmp_eq_u32 s26, 11
	s_cbranch_scc0 .LBB158_201
; %bb.200:
	global_load_ubyte v2, v[0:1], off
	s_mov_b64 s[0:1], -1
	s_mov_b64 s[18:19], 0
	s_waitcnt vmcnt(0)
	v_cmp_ne_u16_e32 vcc, 0, v2
	v_cndmask_b32_e64 v2, 0, 1.0, vcc
	s_branch .LBB158_202
.LBB158_201:
	s_mov_b64 s[18:19], -1
                                        ; implicit-def: $vgpr2
.LBB158_202:
	s_branch .LBB158_10
.LBB158_203:
	s_cmp_lt_i32 s26, 5
	s_cbranch_scc1 .LBB158_208
; %bb.204:
	s_cmp_lt_i32 s26, 8
	s_cbranch_scc1 .LBB158_209
; %bb.205:
	;; [unrolled: 3-line block ×3, first 2 shown]
	s_cmp_gt_i32 s26, 9
	s_cbranch_scc0 .LBB158_211
; %bb.207:
	global_load_dwordx2 v[2:3], v[0:1], off
	s_mov_b64 s[0:1], 0
	s_waitcnt vmcnt(0)
	v_cvt_f32_f64_e32 v2, v[2:3]
	s_branch .LBB158_212
.LBB158_208:
                                        ; implicit-def: $vgpr2
	s_branch .LBB158_230
.LBB158_209:
	s_mov_b64 s[0:1], -1
                                        ; implicit-def: $vgpr2
	s_branch .LBB158_218
.LBB158_210:
	s_mov_b64 s[0:1], -1
                                        ; implicit-def: $vgpr2
	s_branch .LBB158_215
.LBB158_211:
	s_mov_b64 s[0:1], -1
                                        ; implicit-def: $vgpr2
.LBB158_212:
	s_andn2_b64 vcc, exec, s[0:1]
	s_cbranch_vccnz .LBB158_214
; %bb.213:
	global_load_dword v2, v[0:1], off
.LBB158_214:
	s_mov_b64 s[0:1], 0
.LBB158_215:
	s_andn2_b64 vcc, exec, s[0:1]
	s_cbranch_vccnz .LBB158_217
; %bb.216:
	global_load_dword v2, v[0:1], off
	s_waitcnt vmcnt(0)
	v_cvt_f32_f16_e32 v2, v2
.LBB158_217:
	s_mov_b64 s[0:1], 0
.LBB158_218:
	s_andn2_b64 vcc, exec, s[0:1]
	s_cbranch_vccnz .LBB158_229
; %bb.219:
	s_cmp_lt_i32 s26, 6
	s_cbranch_scc1 .LBB158_222
; %bb.220:
	s_cmp_gt_i32 s26, 6
	s_cbranch_scc0 .LBB158_223
; %bb.221:
	global_load_dwordx2 v[2:3], v[0:1], off
	s_mov_b64 s[0:1], 0
	s_waitcnt vmcnt(0)
	v_cvt_f32_f64_e32 v2, v[2:3]
	s_branch .LBB158_224
.LBB158_222:
	s_mov_b64 s[0:1], -1
                                        ; implicit-def: $vgpr2
	s_branch .LBB158_227
.LBB158_223:
	s_mov_b64 s[0:1], -1
                                        ; implicit-def: $vgpr2
.LBB158_224:
	s_andn2_b64 vcc, exec, s[0:1]
	s_cbranch_vccnz .LBB158_226
; %bb.225:
	global_load_dword v2, v[0:1], off
.LBB158_226:
	s_mov_b64 s[0:1], 0
.LBB158_227:
	s_andn2_b64 vcc, exec, s[0:1]
	s_cbranch_vccnz .LBB158_229
; %bb.228:
	global_load_ushort v2, v[0:1], off
	s_waitcnt vmcnt(0)
	v_cvt_f32_f16_e32 v2, v2
.LBB158_229:
	s_cbranch_execnz .LBB158_249
.LBB158_230:
	s_cmp_lt_i32 s26, 2
	s_cbranch_scc1 .LBB158_234
; %bb.231:
	s_cmp_lt_i32 s26, 3
	s_cbranch_scc1 .LBB158_235
; %bb.232:
	s_cmp_gt_i32 s26, 3
	s_cbranch_scc0 .LBB158_236
; %bb.233:
	global_load_dwordx2 v[2:3], v[0:1], off
	s_mov_b64 s[0:1], 0
	s_waitcnt vmcnt(0)
	v_xor_b32_e32 v6, v2, v3
	v_ffbh_i32_e32 v5, v3
	v_ashrrev_i32_e32 v6, 31, v6
	v_add_u32_e32 v5, -1, v5
	v_add_u32_e32 v6, 32, v6
	v_min_u32_e32 v5, v5, v6
	v_lshlrev_b64 v[2:3], v5, v[2:3]
	v_min_u32_e32 v2, 1, v2
	v_or_b32_e32 v2, v3, v2
	v_cvt_f32_i32_e32 v2, v2
	v_sub_u32_e32 v3, 32, v5
	v_ldexp_f32 v2, v2, v3
	s_branch .LBB158_237
.LBB158_234:
	s_mov_b64 s[0:1], -1
                                        ; implicit-def: $vgpr2
	s_branch .LBB158_243
.LBB158_235:
	s_mov_b64 s[0:1], -1
                                        ; implicit-def: $vgpr2
	s_branch .LBB158_240
.LBB158_236:
	s_mov_b64 s[0:1], -1
                                        ; implicit-def: $vgpr2
.LBB158_237:
	s_andn2_b64 vcc, exec, s[0:1]
	s_cbranch_vccnz .LBB158_239
; %bb.238:
	global_load_dword v2, v[0:1], off
	s_waitcnt vmcnt(0)
	v_cvt_f32_i32_e32 v2, v2
.LBB158_239:
	s_mov_b64 s[0:1], 0
.LBB158_240:
	s_andn2_b64 vcc, exec, s[0:1]
	s_cbranch_vccnz .LBB158_242
; %bb.241:
	global_load_sshort v2, v[0:1], off
	s_waitcnt vmcnt(0)
	v_cvt_f32_i32_e32 v2, v2
.LBB158_242:
	s_mov_b64 s[0:1], 0
.LBB158_243:
	s_andn2_b64 vcc, exec, s[0:1]
	s_cbranch_vccnz .LBB158_249
; %bb.244:
	s_cmp_gt_i32 s26, 0
	s_cbranch_scc0 .LBB158_246
; %bb.245:
	global_load_sbyte v2, v[0:1], off
	s_mov_b64 s[0:1], 0
	s_waitcnt vmcnt(0)
	v_cvt_f32_i32_e32 v2, v2
	s_branch .LBB158_247
.LBB158_246:
	s_mov_b64 s[0:1], -1
                                        ; implicit-def: $vgpr2
.LBB158_247:
	s_andn2_b64 vcc, exec, s[0:1]
	s_cbranch_vccnz .LBB158_249
; %bb.248:
	global_load_ubyte v0, v[0:1], off
	s_waitcnt vmcnt(0)
	v_cvt_f32_ubyte0_e32 v2, v0
.LBB158_249:
	s_branch .LBB158_11
.LBB158_250:
	s_mov_b64 s[0:1], 0
                                        ; implicit-def: $vgpr4
	s_mov_b64 s[22:23], 0
.LBB158_251:
	s_and_b64 s[16:17], s[0:1], exec
	s_and_b64 s[18:19], s[18:19], exec
	s_orn2_b64 s[22:23], s[22:23], exec
.LBB158_252:
	s_or_b64 exec, exec, s[20:21]
	s_mov_b64 s[26:27], 0
	s_mov_b64 s[0:1], 0
                                        ; implicit-def: $vgpr0_vgpr1
                                        ; implicit-def: $vgpr3
	s_and_saveexec_b64 s[20:21], s[22:23]
	s_cbranch_execz .LBB158_261
; %bb.253:
	v_cmp_gt_i32_e32 vcc, s42, v4
	s_mov_b64 s[0:1], -1
	s_mov_b64 s[22:23], s[18:19]
	s_mov_b64 s[24:25], s[16:17]
	s_and_saveexec_b64 s[26:27], vcc
	s_cbranch_execz .LBB158_513
; %bb.254:
	v_mul_lo_u32 v0, v4, s13
	v_mov_b32_e32 v1, s11
	s_and_b32 s30, 0xffff, s33
	s_cmp_lt_i32 s30, 11
	s_waitcnt vmcnt(0)
	v_ashrrev_i32_e32 v2, 31, v0
	v_add_co_u32_e32 v0, vcc, s10, v0
	v_addc_co_u32_e32 v1, vcc, v1, v2, vcc
	s_cbranch_scc1 .LBB158_264
; %bb.255:
	s_cmp_gt_i32 s30, 25
	s_cbranch_scc0 .LBB158_273
; %bb.256:
	s_cmp_gt_i32 s30, 28
	s_cbranch_scc0 .LBB158_275
	;; [unrolled: 3-line block ×4, first 2 shown]
; %bb.259:
	s_cmp_eq_u32 s30, 46
	s_mov_b64 s[24:25], 0
	s_cbranch_scc0 .LBB158_285
; %bb.260:
	global_load_dword v2, v[0:1], off
	s_mov_b64 s[22:23], 0
	s_waitcnt vmcnt(0)
	v_lshlrev_b32_e32 v2, 16, v2
	s_branch .LBB158_286
.LBB158_261:
	s_or_b64 exec, exec, s[20:21]
	s_mov_b64 s[20:21], 0
	s_and_saveexec_b64 s[22:23], s[18:19]
	s_cbranch_execnz .LBB158_859
.LBB158_262:
	s_or_b64 exec, exec, s[22:23]
	s_and_saveexec_b64 s[18:19], s[24:25]
	s_xor_b64 s[18:19], exec, s[18:19]
	s_cbranch_execz .LBB158_860
.LBB158_263:
	global_load_ubyte v2, v[0:1], off
	s_or_b64 s[0:1], s[0:1], exec
	s_waitcnt vmcnt(0)
	v_cmp_ne_u16_e32 vcc, 0, v2
	v_cndmask_b32_e64 v3, 0, 1.0, vcc
	s_or_b64 exec, exec, s[18:19]
	s_and_saveexec_b64 s[18:19], s[26:27]
	s_cbranch_execz .LBB158_906
	s_branch .LBB158_861
.LBB158_264:
	s_mov_b64 s[0:1], 0
                                        ; implicit-def: $vgpr2
	s_mov_b64 s[22:23], s[18:19]
	s_cbranch_execnz .LBB158_463
.LBB158_265:
	s_andn2_b64 vcc, exec, s[0:1]
	s_cbranch_vccnz .LBB158_511
.LBB158_266:
	v_mul_lo_u32 v1, v4, s12
	v_mov_b32_e32 v0, s15
	v_mov_b32_e32 v3, s2
	s_waitcnt vmcnt(0)
	v_cmp_nge_f32_e32 vcc, s14, v2
	v_cndmask_b32_e32 v2, v0, v3, vcc
	v_ashrrev_i32_e32 v3, 31, v1
	v_mov_b32_e32 v5, s9
	s_and_b32 s34, s3, 0xff
	v_add_co_u32_e32 v0, vcc, s8, v1
	s_cmp_lt_i32 s34, 11
	v_addc_co_u32_e32 v1, vcc, v5, v3, vcc
	s_cbranch_scc1 .LBB158_274
; %bb.267:
	s_and_b32 s35, 0xffff, s34
	s_cmp_gt_i32 s35, 25
	s_cbranch_scc0 .LBB158_276
; %bb.268:
	s_cmp_gt_i32 s35, 28
	s_cbranch_scc0 .LBB158_278
; %bb.269:
	;; [unrolled: 3-line block ×4, first 2 shown]
	s_mov_b64 s[28:29], 0
	s_mov_b64 s[0:1], -1
	s_cmp_eq_u32 s35, 46
	s_mov_b64 s[24:25], 0
	s_cbranch_scc0 .LBB158_290
; %bb.272:
	v_bfe_u32 v3, v2, 16, 1
	s_movk_i32 s0, 0x7fff
	v_add3_u32 v3, v2, v3, s0
	v_cmp_o_f32_e32 vcc, v2, v2
	v_mov_b32_e32 v5, 0x7fc0
	v_cndmask_b32_sdwa v3, v5, v3, vcc dst_sel:DWORD dst_unused:UNUSED_PAD src0_sel:DWORD src1_sel:WORD_1
	global_store_dword v[0:1], v3, off
	s_mov_b64 s[24:25], -1
	s_mov_b64 s[0:1], 0
	s_branch .LBB158_290
.LBB158_273:
	s_mov_b64 s[24:25], -1
	s_mov_b64 s[0:1], 0
	s_mov_b64 s[22:23], s[18:19]
                                        ; implicit-def: $vgpr2
	s_branch .LBB158_427
.LBB158_274:
	s_mov_b64 s[28:29], -1
	s_mov_b64 s[24:25], 0
	s_mov_b64 s[0:1], s[16:17]
	s_branch .LBB158_359
.LBB158_275:
	s_mov_b64 s[24:25], -1
	s_mov_b64 s[0:1], 0
	s_mov_b64 s[22:23], s[18:19]
                                        ; implicit-def: $vgpr2
	s_branch .LBB158_408
.LBB158_276:
	s_mov_b64 s[28:29], -1
	s_mov_b64 s[24:25], 0
	s_mov_b64 s[0:1], s[16:17]
	s_branch .LBB158_317
.LBB158_277:
	s_mov_b64 s[24:25], -1
	s_mov_b64 s[0:1], 0
	s_mov_b64 s[22:23], s[18:19]
                                        ; implicit-def: $vgpr2
	s_branch .LBB158_403
.LBB158_278:
	s_mov_b64 s[28:29], -1
	s_mov_b64 s[24:25], 0
	s_mov_b64 s[0:1], s[16:17]
	s_branch .LBB158_300
.LBB158_279:
	s_andn2_saveexec_b64 s[26:27], s[26:27]
	s_cbranch_execz .LBB158_55
.LBB158_280:
	s_mov_b32 s30, 0x46000000
	v_add_f32_e64 v3, |v2|, s30
	v_and_b32_e32 v3, 0xff, v3
	v_cmp_ne_u32_e32 vcc, 0, v3
	s_andn2_b64 s[22:23], s[22:23], exec
	s_and_b64 s[30:31], vcc, exec
	s_or_b64 s[22:23], s[22:23], s[30:31]
	s_or_b64 exec, exec, s[26:27]
	v_mov_b32_e32 v5, 0
	s_and_saveexec_b64 s[26:27], s[22:23]
	s_cbranch_execnz .LBB158_56
	s_branch .LBB158_57
.LBB158_281:
	s_mov_b64 s[24:25], -1
	s_mov_b64 s[0:1], 0
	s_mov_b64 s[22:23], s[18:19]
                                        ; implicit-def: $vgpr2
	s_branch .LBB158_286
.LBB158_282:
	s_mov_b64 s[28:29], -1
	s_mov_b64 s[24:25], 0
	s_mov_b64 s[0:1], s[16:17]
	s_branch .LBB158_296
.LBB158_283:
	s_andn2_saveexec_b64 s[26:27], s[26:27]
	s_cbranch_execz .LBB158_68
.LBB158_284:
	s_mov_b32 s30, 0x42800000
	v_add_f32_e64 v3, |v2|, s30
	v_and_b32_e32 v3, 0xff, v3
	v_cmp_ne_u32_e32 vcc, 0, v3
	s_andn2_b64 s[22:23], s[22:23], exec
	s_and_b64 s[30:31], vcc, exec
	s_or_b64 s[22:23], s[22:23], s[30:31]
	s_or_b64 exec, exec, s[26:27]
	v_mov_b32_e32 v5, 0
	s_and_saveexec_b64 s[26:27], s[22:23]
	s_cbranch_execnz .LBB158_69
	s_branch .LBB158_70
.LBB158_285:
	s_mov_b64 s[22:23], -1
                                        ; implicit-def: $vgpr2
	s_mov_b64 s[0:1], 0
.LBB158_286:
	s_and_b64 vcc, exec, s[24:25]
	s_cbranch_vccz .LBB158_402
; %bb.287:
	s_cmp_eq_u32 s30, 44
	s_cbranch_scc0 .LBB158_401
; %bb.288:
	global_load_ubyte v2, v[0:1], off
	s_movk_i32 s22, 0xff
	v_mov_b32_e32 v3, 0x7f800001
	v_mov_b32_e32 v5, 0x400000
	s_mov_b64 s[0:1], -1
	s_waitcnt vmcnt(0)
	v_lshlrev_b32_e32 v6, 23, v2
	v_cmp_ne_u32_e32 vcc, s22, v2
	v_cndmask_b32_e32 v3, v3, v6, vcc
	v_cmp_ne_u32_e32 vcc, 0, v2
	v_cndmask_b32_e32 v2, v5, v3, vcc
	s_mov_b64 s[22:23], 0
	s_branch .LBB158_402
.LBB158_289:
	s_mov_b64 s[28:29], -1
	s_mov_b64 s[24:25], 0
	s_mov_b64 s[0:1], s[16:17]
.LBB158_290:
	s_and_b64 vcc, exec, s[28:29]
	s_cbranch_vccz .LBB158_295
; %bb.291:
	s_cmp_eq_u32 s35, 44
	s_mov_b64 s[0:1], -1
	s_cbranch_scc0 .LBB158_295
; %bb.292:
	v_bfe_u32 v3, v2, 23, 8
	s_movk_i32 s0, 0xff
	v_cmp_ne_u32_e32 vcc, s0, v3
	v_mov_b32_e32 v5, 0xff
	s_and_saveexec_b64 s[24:25], vcc
; %bb.293:
	s_mov_b32 s0, 0x3fffff
	v_and_b32_e32 v6, 0x400000, v2
	v_and_or_b32 v3, v2, s0, v3
	v_cmp_ne_u32_e32 vcc, 0, v6
	v_cmp_ne_u32_e64 s[0:1], 0, v3
	s_and_b64 s[0:1], vcc, s[0:1]
	v_lshrrev_b32_e32 v5, 23, v2
	v_cndmask_b32_e64 v3, 0, 1, s[0:1]
	v_add_u32_e32 v5, v5, v3
; %bb.294:
	s_or_b64 exec, exec, s[24:25]
	s_mov_b64 s[24:25], -1
	s_mov_b64 s[0:1], 0
	global_store_byte v[0:1], v5, off
.LBB158_295:
	s_mov_b64 s[28:29], 0
.LBB158_296:
	s_and_b64 vcc, exec, s[28:29]
	s_cbranch_vccz .LBB158_299
; %bb.297:
	s_cmp_eq_u32 s35, 29
	s_mov_b64 s[0:1], -1
	s_cbranch_scc0 .LBB158_299
; %bb.298:
	v_trunc_f32_e32 v3, v2
	v_mul_f32_e32 v5, 0x2f800000, v3
	v_floor_f32_e32 v5, v5
	v_fmac_f32_e32 v3, 0xcf800000, v5
	v_cvt_u32_f32_e32 v6, v5
	v_cvt_u32_f32_e32 v5, v3
	s_mov_b64 s[24:25], -1
	s_mov_b64 s[0:1], 0
	s_mov_b64 s[28:29], 0
	global_store_dwordx2 v[0:1], v[5:6], off
	s_branch .LBB158_300
.LBB158_299:
	s_mov_b64 s[28:29], 0
.LBB158_300:
	s_and_b64 vcc, exec, s[28:29]
	s_cbranch_vccz .LBB158_316
; %bb.301:
	s_cmp_lt_i32 s35, 27
	s_mov_b64 s[24:25], -1
	s_cbranch_scc1 .LBB158_307
; %bb.302:
	v_cvt_u32_f32_e32 v3, v2
	s_cmp_gt_i32 s35, 27
	s_cbranch_scc0 .LBB158_304
; %bb.303:
	s_mov_b64 s[24:25], 0
	global_store_dword v[0:1], v3, off
.LBB158_304:
	s_andn2_b64 vcc, exec, s[24:25]
	s_cbranch_vccnz .LBB158_306
; %bb.305:
	global_store_short v[0:1], v3, off
.LBB158_306:
	s_mov_b64 s[24:25], 0
.LBB158_307:
	s_andn2_b64 vcc, exec, s[24:25]
	s_cbranch_vccnz .LBB158_315
; %bb.308:
	v_and_b32_e32 v3, 0x7fffffff, v2
	s_mov_b32 s24, 0x43800000
	v_cmp_gt_u32_e32 vcc, s24, v3
	v_mov_b32_e32 v5, 0x80
	s_and_saveexec_b64 s[24:25], vcc
	s_cbranch_execz .LBB158_314
; %bb.309:
	s_mov_b32 s28, 0x3bffffff
	v_cmp_lt_u32_e32 vcc, s28, v3
	s_mov_b64 s[28:29], 0
                                        ; implicit-def: $vgpr3
	s_and_saveexec_b64 s[30:31], vcc
	s_xor_b64 s[30:31], exec, s[30:31]
	s_cbranch_execz .LBB158_526
; %bb.310:
	v_bfe_u32 v3, v2, 20, 1
	s_mov_b32 s36, 0x487ffff
	v_add3_u32 v3, v2, v3, s36
	s_mov_b64 s[28:29], exec
	v_lshrrev_b32_e32 v3, 20, v3
	s_andn2_saveexec_b64 s[30:31], s[30:31]
	s_cbranch_execnz .LBB158_527
.LBB158_311:
	s_or_b64 exec, exec, s[30:31]
	v_mov_b32_e32 v5, 0
	s_and_saveexec_b64 s[30:31], s[28:29]
.LBB158_312:
	v_lshrrev_b32_e32 v5, 24, v2
	s_movk_i32 s28, 0x80
	v_and_or_b32 v5, v5, s28, v3
.LBB158_313:
	s_or_b64 exec, exec, s[30:31]
.LBB158_314:
	s_or_b64 exec, exec, s[24:25]
	global_store_byte v[0:1], v5, off
.LBB158_315:
	s_mov_b64 s[24:25], -1
.LBB158_316:
	s_mov_b64 s[28:29], 0
.LBB158_317:
	s_and_b64 vcc, exec, s[28:29]
	s_cbranch_vccz .LBB158_358
; %bb.318:
	s_cmp_gt_i32 s35, 22
	s_mov_b64 s[28:29], -1
	s_cbranch_scc0 .LBB158_350
; %bb.319:
	s_cmp_lt_i32 s35, 24
	s_mov_b64 s[24:25], -1
	s_cbranch_scc1 .LBB158_339
; %bb.320:
	s_cmp_gt_i32 s35, 24
	s_cbranch_scc0 .LBB158_328
; %bb.321:
	v_and_b32_e32 v3, 0x7fffffff, v2
	s_mov_b32 s24, 0x47800000
	v_cmp_gt_u32_e32 vcc, s24, v3
	v_mov_b32_e32 v5, 0x80
	s_and_saveexec_b64 s[24:25], vcc
	s_cbranch_execz .LBB158_327
; %bb.322:
	s_mov_b32 s28, 0x37ffffff
	v_cmp_lt_u32_e32 vcc, s28, v3
	s_mov_b64 s[28:29], 0
                                        ; implicit-def: $vgpr3
	s_and_saveexec_b64 s[30:31], vcc
	s_xor_b64 s[30:31], exec, s[30:31]
	s_cbranch_execz .LBB158_529
; %bb.323:
	v_bfe_u32 v3, v2, 21, 1
	s_mov_b32 s36, 0x88fffff
	v_add3_u32 v3, v2, v3, s36
	s_mov_b64 s[28:29], exec
	v_lshrrev_b32_e32 v3, 21, v3
	s_andn2_saveexec_b64 s[30:31], s[30:31]
	s_cbranch_execnz .LBB158_530
.LBB158_324:
	s_or_b64 exec, exec, s[30:31]
	v_mov_b32_e32 v5, 0
	s_and_saveexec_b64 s[30:31], s[28:29]
.LBB158_325:
	v_lshrrev_b32_e32 v5, 24, v2
	s_movk_i32 s28, 0x80
	v_and_or_b32 v5, v5, s28, v3
.LBB158_326:
	s_or_b64 exec, exec, s[30:31]
.LBB158_327:
	s_or_b64 exec, exec, s[24:25]
	s_mov_b64 s[24:25], 0
	global_store_byte v[0:1], v5, off
.LBB158_328:
	s_and_b64 vcc, exec, s[24:25]
	s_cbranch_vccz .LBB158_338
; %bb.329:
	v_and_b32_e32 v5, 0x7fffffff, v2
	s_mov_b32 s24, 0x43f00000
	v_cmp_gt_u32_e32 vcc, s24, v5
                                        ; implicit-def: $vgpr3
	s_and_saveexec_b64 s[24:25], vcc
	s_xor_b64 s[24:25], exec, s[24:25]
	s_cbranch_execz .LBB158_335
; %bb.330:
	s_mov_b32 s28, 0x3c7fffff
	v_cmp_lt_u32_e32 vcc, s28, v5
                                        ; implicit-def: $vgpr3
	s_and_saveexec_b64 s[28:29], vcc
	s_xor_b64 s[28:29], exec, s[28:29]
; %bb.331:
	v_bfe_u32 v3, v2, 20, 1
	s_mov_b32 s30, 0x407ffff
	v_add3_u32 v3, v2, v3, s30
	v_lshrrev_b32_e32 v5, 20, v3
	v_and_b32_e32 v3, 0xff00000, v3
	s_mov_b32 s30, 0x7f00000
	v_mov_b32_e32 v6, 0x7e
	v_cmp_ne_u32_e32 vcc, s30, v3
	v_cndmask_b32_e32 v3, v6, v5, vcc
; %bb.332:
	s_andn2_saveexec_b64 s[28:29], s[28:29]
; %bb.333:
	s_mov_b32 s30, 0x46800000
	v_add_f32_e64 v3, |v2|, s30
; %bb.334:
	s_or_b64 exec, exec, s[28:29]
                                        ; implicit-def: $vgpr5
.LBB158_335:
	s_andn2_saveexec_b64 s[24:25], s[24:25]
; %bb.336:
	s_mov_b32 s28, 0x7f800000
	v_mov_b32_e32 v3, 0x7e
	v_mov_b32_e32 v6, 0x7f
	v_cmp_lt_u32_e32 vcc, s28, v5
	v_cndmask_b32_e32 v3, v3, v6, vcc
; %bb.337:
	s_or_b64 exec, exec, s[24:25]
	v_lshrrev_b32_e32 v5, 24, v2
	s_movk_i32 s24, 0x80
	v_and_or_b32 v3, v5, s24, v3
	global_store_byte v[0:1], v3, off
.LBB158_338:
	s_mov_b64 s[24:25], 0
.LBB158_339:
	s_andn2_b64 vcc, exec, s[24:25]
	s_cbranch_vccnz .LBB158_349
; %bb.340:
	v_and_b32_e32 v5, 0x7fffffff, v2
	s_mov_b32 s24, 0x47800000
	v_cmp_gt_u32_e32 vcc, s24, v5
                                        ; implicit-def: $vgpr3
	s_and_saveexec_b64 s[24:25], vcc
	s_xor_b64 s[24:25], exec, s[24:25]
	s_cbranch_execz .LBB158_346
; %bb.341:
	s_mov_b32 s28, 0x387fffff
	v_cmp_lt_u32_e32 vcc, s28, v5
                                        ; implicit-def: $vgpr3
	s_and_saveexec_b64 s[28:29], vcc
	s_xor_b64 s[28:29], exec, s[28:29]
; %bb.342:
	v_bfe_u32 v3, v2, 21, 1
	s_mov_b32 s30, 0x80fffff
	v_add3_u32 v3, v2, v3, s30
	v_lshrrev_b32_e32 v3, 21, v3
; %bb.343:
	s_andn2_saveexec_b64 s[28:29], s[28:29]
; %bb.344:
	s_mov_b32 s30, 0x43000000
	v_add_f32_e64 v3, |v2|, s30
; %bb.345:
	s_or_b64 exec, exec, s[28:29]
                                        ; implicit-def: $vgpr5
.LBB158_346:
	s_andn2_saveexec_b64 s[24:25], s[24:25]
; %bb.347:
	s_mov_b32 s28, 0x7f800000
	v_mov_b32_e32 v3, 0x7c
	v_mov_b32_e32 v6, 0x7f
	v_cmp_lt_u32_e32 vcc, s28, v5
	v_cndmask_b32_e32 v3, v3, v6, vcc
; %bb.348:
	s_or_b64 exec, exec, s[24:25]
	v_lshrrev_b32_e32 v5, 24, v2
	s_movk_i32 s24, 0x80
	v_and_or_b32 v3, v5, s24, v3
	global_store_byte v[0:1], v3, off
.LBB158_349:
	s_mov_b64 s[28:29], 0
	s_mov_b64 s[24:25], -1
.LBB158_350:
	s_andn2_b64 vcc, exec, s[28:29]
	s_cbranch_vccnz .LBB158_358
; %bb.351:
	s_cmp_gt_i32 s35, 14
	s_mov_b64 s[28:29], -1
	s_cbranch_scc0 .LBB158_355
; %bb.352:
	s_cmp_eq_u32 s35, 15
	s_mov_b64 s[0:1], -1
	s_cbranch_scc0 .LBB158_354
; %bb.353:
	v_bfe_u32 v3, v2, 16, 1
	s_movk_i32 s0, 0x7fff
	v_add3_u32 v3, v2, v3, s0
	v_cmp_o_f32_e32 vcc, v2, v2
	v_mov_b32_e32 v5, 0x7fc0
	v_cndmask_b32_sdwa v3, v5, v3, vcc dst_sel:DWORD dst_unused:UNUSED_PAD src0_sel:DWORD src1_sel:WORD_1
	global_store_short v[0:1], v3, off
	s_mov_b64 s[24:25], -1
	s_mov_b64 s[0:1], 0
.LBB158_354:
	s_mov_b64 s[28:29], 0
.LBB158_355:
	s_and_b64 vcc, exec, s[28:29]
	s_cbranch_vccz .LBB158_358
; %bb.356:
	s_cmp_eq_u32 s35, 11
	s_mov_b64 s[0:1], -1
	s_cbranch_scc0 .LBB158_358
; %bb.357:
	v_cmp_neq_f32_e32 vcc, 0, v2
	v_cndmask_b32_e64 v3, 0, 1, vcc
	s_mov_b64 s[24:25], -1
	s_mov_b64 s[0:1], 0
	global_store_byte v[0:1], v3, off
.LBB158_358:
	s_mov_b64 s[28:29], 0
.LBB158_359:
	s_and_b64 vcc, exec, s[28:29]
	s_cbranch_vccz .LBB158_398
; %bb.360:
	s_and_b32 s28, 0xffff, s34
	s_cmp_lt_i32 s28, 5
	s_mov_b64 s[24:25], -1
	s_cbranch_scc1 .LBB158_381
; %bb.361:
	s_cmp_lt_i32 s28, 8
	s_cbranch_scc1 .LBB158_371
; %bb.362:
	s_cmp_lt_i32 s28, 9
	s_cbranch_scc1 .LBB158_368
; %bb.363:
	s_cmp_gt_i32 s28, 9
	s_cbranch_scc0 .LBB158_365
; %bb.364:
	v_cvt_f64_f32_e32 v[5:6], v2
	v_mov_b32_e32 v7, 0
	v_mov_b32_e32 v8, v7
	s_mov_b64 s[24:25], 0
	global_store_dwordx4 v[0:1], v[5:8], off
.LBB158_365:
	s_andn2_b64 vcc, exec, s[24:25]
	s_cbranch_vccnz .LBB158_367
; %bb.366:
	v_mov_b32_e32 v3, 0
	global_store_dwordx2 v[0:1], v[2:3], off
.LBB158_367:
	s_mov_b64 s[24:25], 0
.LBB158_368:
	s_andn2_b64 vcc, exec, s[24:25]
	s_cbranch_vccnz .LBB158_370
; %bb.369:
	v_cvt_f16_f32_e32 v3, v2
	global_store_dword v[0:1], v3, off
.LBB158_370:
	s_mov_b64 s[24:25], 0
.LBB158_371:
	s_andn2_b64 vcc, exec, s[24:25]
	s_cbranch_vccnz .LBB158_380
; %bb.372:
	s_cmp_lt_i32 s28, 6
	s_mov_b64 s[24:25], -1
	s_cbranch_scc1 .LBB158_378
; %bb.373:
	s_cmp_gt_i32 s28, 6
	s_cbranch_scc0 .LBB158_375
; %bb.374:
	v_cvt_f64_f32_e32 v[5:6], v2
	s_mov_b64 s[24:25], 0
	global_store_dwordx2 v[0:1], v[5:6], off
.LBB158_375:
	s_andn2_b64 vcc, exec, s[24:25]
	s_cbranch_vccnz .LBB158_377
; %bb.376:
	global_store_dword v[0:1], v2, off
.LBB158_377:
	s_mov_b64 s[24:25], 0
.LBB158_378:
	s_andn2_b64 vcc, exec, s[24:25]
	s_cbranch_vccnz .LBB158_380
; %bb.379:
	v_cvt_f16_f32_e32 v3, v2
	global_store_short v[0:1], v3, off
.LBB158_380:
	s_mov_b64 s[24:25], 0
.LBB158_381:
	s_andn2_b64 vcc, exec, s[24:25]
	s_cbranch_vccnz .LBB158_397
; %bb.382:
	s_cmp_lt_i32 s28, 2
	s_mov_b64 s[24:25], -1
	s_cbranch_scc1 .LBB158_392
; %bb.383:
	s_cmp_lt_i32 s28, 3
	s_cbranch_scc1 .LBB158_389
; %bb.384:
	s_cmp_gt_i32 s28, 3
	s_cbranch_scc0 .LBB158_386
; %bb.385:
	v_trunc_f32_e32 v3, v2
	s_mov_b32 s24, 0x2f800000
	v_mul_f32_e64 v5, |v3|, s24
	v_floor_f32_e32 v5, v5
	s_mov_b32 s24, 0xcf800000
	v_cvt_u32_f32_e32 v6, v5
	v_fma_f32 v5, v5, s24, |v3|
	v_cvt_u32_f32_e32 v5, v5
	v_ashrrev_i32_e32 v3, 31, v3
	v_xor_b32_e32 v6, v6, v3
	s_mov_b64 s[24:25], 0
	v_xor_b32_e32 v5, v5, v3
	v_sub_co_u32_e32 v5, vcc, v5, v3
	v_subb_co_u32_e32 v6, vcc, v6, v3, vcc
	global_store_dwordx2 v[0:1], v[5:6], off
.LBB158_386:
	s_andn2_b64 vcc, exec, s[24:25]
	s_cbranch_vccnz .LBB158_388
; %bb.387:
	v_cvt_i32_f32_e32 v3, v2
	global_store_dword v[0:1], v3, off
.LBB158_388:
	s_mov_b64 s[24:25], 0
.LBB158_389:
	s_andn2_b64 vcc, exec, s[24:25]
	s_cbranch_vccnz .LBB158_391
; %bb.390:
	v_cvt_i32_f32_e32 v3, v2
	global_store_short v[0:1], v3, off
.LBB158_391:
	s_mov_b64 s[24:25], 0
.LBB158_392:
	s_andn2_b64 vcc, exec, s[24:25]
	s_cbranch_vccnz .LBB158_397
; %bb.393:
	s_cmp_gt_i32 s28, 0
	s_mov_b64 s[24:25], -1
	s_cbranch_scc0 .LBB158_395
; %bb.394:
	v_cvt_i32_f32_e32 v3, v2
	s_mov_b64 s[24:25], 0
	global_store_byte v[0:1], v3, off
.LBB158_395:
	s_andn2_b64 vcc, exec, s[24:25]
	s_cbranch_vccnz .LBB158_397
; %bb.396:
	v_trunc_f32_e32 v2, v2
	s_mov_b32 s24, 0x2f800000
	v_mul_f32_e64 v3, |v2|, s24
	v_floor_f32_e32 v3, v3
	s_mov_b32 s24, 0xcf800000
	v_fma_f32 v3, v3, s24, |v2|
	v_cvt_u32_f32_e32 v3, v3
	v_ashrrev_i32_e32 v2, 31, v2
	v_xor_b32_e32 v3, v3, v2
	v_sub_u32_e32 v2, v3, v2
	global_store_byte v[0:1], v2, off
.LBB158_397:
	s_mov_b64 s[24:25], -1
.LBB158_398:
	s_andn2_b64 vcc, exec, s[24:25]
	s_cbranch_vccnz .LBB158_400
; %bb.399:
	v_add_u32_e32 v4, 0x80, v4
	s_mov_b64 s[28:29], -1
	s_branch .LBB158_512
.LBB158_400:
	s_mov_b64 s[28:29], 0
                                        ; implicit-def: $vgpr4
	s_branch .LBB158_512
.LBB158_401:
	s_mov_b64 s[22:23], -1
                                        ; implicit-def: $vgpr2
.LBB158_402:
	s_mov_b64 s[24:25], 0
.LBB158_403:
	s_and_b64 vcc, exec, s[24:25]
	s_cbranch_vccz .LBB158_407
; %bb.404:
	s_cmp_eq_u32 s30, 29
	s_cbranch_scc0 .LBB158_406
; %bb.405:
	global_load_dwordx2 v[2:3], v[0:1], off
	s_mov_b64 s[0:1], -1
	s_mov_b64 s[22:23], 0
	s_mov_b64 s[24:25], 0
	s_waitcnt vmcnt(0)
	v_ffbh_u32_e32 v5, v3
	v_min_u32_e32 v5, 32, v5
	v_lshlrev_b64 v[2:3], v5, v[2:3]
	v_min_u32_e32 v2, 1, v2
	v_or_b32_e32 v2, v3, v2
	v_cvt_f32_u32_e32 v2, v2
	v_sub_u32_e32 v3, 32, v5
	v_ldexp_f32 v2, v2, v3
	s_branch .LBB158_408
.LBB158_406:
	s_mov_b64 s[22:23], -1
                                        ; implicit-def: $vgpr2
.LBB158_407:
	s_mov_b64 s[24:25], 0
.LBB158_408:
	s_and_b64 vcc, exec, s[24:25]
	s_cbranch_vccz .LBB158_426
; %bb.409:
	s_cmp_lt_i32 s30, 27
	s_cbranch_scc1 .LBB158_412
; %bb.410:
	s_cmp_gt_i32 s30, 27
	s_cbranch_scc0 .LBB158_413
; %bb.411:
	global_load_dword v2, v[0:1], off
	s_mov_b64 s[0:1], 0
	s_waitcnt vmcnt(0)
	v_cvt_f32_u32_e32 v2, v2
	s_branch .LBB158_414
.LBB158_412:
	s_mov_b64 s[0:1], -1
                                        ; implicit-def: $vgpr2
	s_branch .LBB158_417
.LBB158_413:
	s_mov_b64 s[0:1], -1
                                        ; implicit-def: $vgpr2
.LBB158_414:
	s_andn2_b64 vcc, exec, s[0:1]
	s_cbranch_vccnz .LBB158_416
; %bb.415:
	global_load_ushort v2, v[0:1], off
	s_waitcnt vmcnt(0)
	v_cvt_f32_u32_e32 v2, v2
.LBB158_416:
	s_mov_b64 s[0:1], 0
.LBB158_417:
	s_andn2_b64 vcc, exec, s[0:1]
	s_cbranch_vccnz .LBB158_425
; %bb.418:
	global_load_ubyte v3, v[0:1], off
	s_movk_i32 s0, 0x7f
	s_waitcnt vmcnt(0)
	v_cmp_lt_i16_e32 vcc, s0, v3
	s_mov_b64 s[0:1], 0
	s_and_saveexec_b64 s[24:25], vcc
	s_xor_b64 s[24:25], exec, s[24:25]
	s_cbranch_execz .LBB158_439
; %bb.419:
	s_movk_i32 s0, 0x80
	v_cmp_eq_u16_e32 vcc, s0, v3
	s_mov_b64 s[0:1], -1
	s_and_saveexec_b64 s[28:29], vcc
; %bb.420:
	s_xor_b64 s[0:1], exec, -1
; %bb.421:
	s_or_b64 exec, exec, s[28:29]
	s_and_b64 s[0:1], s[0:1], exec
	s_or_saveexec_b64 s[24:25], s[24:25]
	v_mov_b32_e32 v2, 0x7f800001
	s_xor_b64 exec, exec, s[24:25]
	s_cbranch_execnz .LBB158_440
.LBB158_422:
	s_or_b64 exec, exec, s[24:25]
	s_and_saveexec_b64 s[24:25], s[0:1]
	s_cbranch_execz .LBB158_424
.LBB158_423:
	v_lshlrev_b32_e32 v2, 24, v3
	v_and_b32_e32 v3, 0xffff, v3
	v_and_b32_e32 v5, 7, v3
	v_ffbh_u32_e32 v7, v5
	v_min_u32_e32 v7, 32, v7
	v_subrev_u32_e32 v8, 28, v7
	v_bfe_u32 v6, v3, 3, 4
	v_lshlrev_b32_e32 v3, v8, v3
	v_sub_u32_e32 v7, 29, v7
	v_and_b32_e32 v3, 7, v3
	v_cmp_eq_u32_e32 vcc, 0, v6
	v_cndmask_b32_e32 v6, v6, v7, vcc
	v_cndmask_b32_e32 v3, v5, v3, vcc
	v_mov_b32_e32 v5, 0x3b800000
	v_lshlrev_b32_e32 v3, 20, v3
	v_and_b32_e32 v2, 0x80000000, v2
	v_lshl_add_u32 v5, v6, 23, v5
	v_or3_b32 v2, v2, v5, v3
.LBB158_424:
	s_or_b64 exec, exec, s[24:25]
.LBB158_425:
	s_mov_b64 s[0:1], -1
.LBB158_426:
	s_mov_b64 s[24:25], 0
.LBB158_427:
	s_and_b64 vcc, exec, s[24:25]
	s_cbranch_vccz .LBB158_462
; %bb.428:
	s_cmp_gt_i32 s30, 22
	s_cbranch_scc0 .LBB158_438
; %bb.429:
	s_cmp_lt_i32 s30, 24
	s_cbranch_scc1 .LBB158_441
; %bb.430:
	s_cmp_gt_i32 s30, 24
	s_cbranch_scc0 .LBB158_442
; %bb.431:
	global_load_ubyte v3, v[0:1], off
	s_movk_i32 s0, 0x7f
	s_waitcnt vmcnt(0)
	v_cmp_lt_i16_e32 vcc, s0, v3
	s_mov_b64 s[0:1], 0
	s_and_saveexec_b64 s[24:25], vcc
	s_xor_b64 s[24:25], exec, s[24:25]
	s_cbranch_execz .LBB158_454
; %bb.432:
	s_movk_i32 s0, 0x80
	v_cmp_eq_u16_e32 vcc, s0, v3
	s_mov_b64 s[0:1], -1
	s_and_saveexec_b64 s[28:29], vcc
; %bb.433:
	s_xor_b64 s[0:1], exec, -1
; %bb.434:
	s_or_b64 exec, exec, s[28:29]
	s_and_b64 s[0:1], s[0:1], exec
	s_or_saveexec_b64 s[24:25], s[24:25]
	v_mov_b32_e32 v2, 0x7f800001
	s_xor_b64 exec, exec, s[24:25]
	s_cbranch_execnz .LBB158_455
.LBB158_435:
	s_or_b64 exec, exec, s[24:25]
	s_and_saveexec_b64 s[24:25], s[0:1]
	s_cbranch_execz .LBB158_437
.LBB158_436:
	v_lshlrev_b32_e32 v2, 24, v3
	v_and_b32_e32 v3, 0xffff, v3
	v_and_b32_e32 v5, 3, v3
	v_ffbh_u32_e32 v7, v5
	v_min_u32_e32 v7, 32, v7
	v_subrev_u32_e32 v8, 29, v7
	v_bfe_u32 v6, v3, 2, 5
	v_lshlrev_b32_e32 v3, v8, v3
	v_sub_u32_e32 v7, 30, v7
	v_and_b32_e32 v3, 3, v3
	v_cmp_eq_u32_e32 vcc, 0, v6
	v_cndmask_b32_e32 v6, v6, v7, vcc
	v_cndmask_b32_e32 v3, v5, v3, vcc
	v_mov_b32_e32 v5, 0x37800000
	v_lshlrev_b32_e32 v3, 21, v3
	v_and_b32_e32 v2, 0x80000000, v2
	v_lshl_add_u32 v5, v6, 23, v5
	v_or3_b32 v2, v2, v5, v3
.LBB158_437:
	s_or_b64 exec, exec, s[24:25]
	s_mov_b64 s[0:1], 0
	s_branch .LBB158_443
.LBB158_438:
	s_mov_b64 s[24:25], -1
                                        ; implicit-def: $vgpr2
	s_branch .LBB158_449
.LBB158_439:
	s_or_saveexec_b64 s[24:25], s[24:25]
	v_mov_b32_e32 v2, 0x7f800001
	s_xor_b64 exec, exec, s[24:25]
	s_cbranch_execz .LBB158_422
.LBB158_440:
	v_cmp_ne_u16_e32 vcc, 0, v3
	s_andn2_b64 s[0:1], s[0:1], exec
	s_and_b64 s[28:29], vcc, exec
	v_mov_b32_e32 v2, 0
	s_or_b64 s[0:1], s[0:1], s[28:29]
	s_or_b64 exec, exec, s[24:25]
	s_and_saveexec_b64 s[24:25], s[0:1]
	s_cbranch_execnz .LBB158_423
	s_branch .LBB158_424
.LBB158_441:
	s_mov_b64 s[0:1], -1
                                        ; implicit-def: $vgpr2
	s_branch .LBB158_446
.LBB158_442:
	s_mov_b64 s[0:1], -1
                                        ; implicit-def: $vgpr2
.LBB158_443:
	s_and_b64 vcc, exec, s[0:1]
	s_cbranch_vccz .LBB158_445
; %bb.444:
	global_load_ubyte v2, v[0:1], off
	s_mov_b32 s0, 0x7f800000
	s_waitcnt vmcnt(0)
	v_lshlrev_b32_e32 v2, 24, v2
	v_and_b32_e32 v3, 0x7f000000, v2
	v_ffbh_u32_e32 v5, v3
	v_min_u32_e32 v5, 32, v5
	v_sub_u32_e64 v5, v5, 4 clamp
	v_lshlrev_b32_e32 v7, v5, v3
	v_lshlrev_b32_e32 v5, 23, v5
	v_lshrrev_b32_e32 v7, 4, v7
	v_add_u32_e32 v6, 0x1000000, v3
	v_sub_u32_e32 v5, v7, v5
	v_ashrrev_i32_e32 v6, 8, v6
	v_add_u32_e32 v5, 0x3c000000, v5
	v_and_or_b32 v5, v6, s0, v5
	v_cmp_ne_u32_e32 vcc, 0, v3
	v_cndmask_b32_e32 v3, 0, v5, vcc
	s_brev_b32 s0, 1
	v_and_or_b32 v2, v2, s0, v3
.LBB158_445:
	s_mov_b64 s[0:1], 0
.LBB158_446:
	s_andn2_b64 vcc, exec, s[0:1]
	s_cbranch_vccnz .LBB158_448
; %bb.447:
	global_load_ubyte v2, v[0:1], off
	s_movk_i32 s0, 0x7f00
	s_brev_b32 s1, 16
	s_waitcnt vmcnt(0)
	v_lshlrev_b16_e32 v3, 8, v2
	v_lshlrev_b32_e32 v2, 25, v2
	v_lshrrev_b32_e32 v5, 4, v2
	v_and_or_b32 v6, v3, s0, 0.5
	v_or_b32_e32 v5, 0x70000000, v5
	v_add_f32_e32 v6, -0.5, v6
	v_mul_f32_e32 v5, 0x7800000, v5
	v_cmp_gt_u32_e32 vcc, s1, v2
	v_bfe_i32 v3, v3, 0, 16
	v_cndmask_b32_e32 v2, v5, v6, vcc
	s_brev_b32 s0, 1
	v_and_or_b32 v2, v3, s0, v2
.LBB158_448:
	s_mov_b64 s[24:25], 0
	s_mov_b64 s[0:1], -1
.LBB158_449:
	s_andn2_b64 vcc, exec, s[24:25]
	s_cbranch_vccnz .LBB158_462
; %bb.450:
	s_cmp_gt_i32 s30, 14
	s_cbranch_scc0 .LBB158_453
; %bb.451:
	s_cmp_eq_u32 s30, 15
	s_cbranch_scc0 .LBB158_456
; %bb.452:
	global_load_ushort v2, v[0:1], off
	s_mov_b64 s[0:1], -1
	s_mov_b64 s[22:23], 0
	s_waitcnt vmcnt(0)
	v_lshlrev_b32_e32 v2, 16, v2
	s_branch .LBB158_457
.LBB158_453:
	s_mov_b64 s[24:25], -1
                                        ; implicit-def: $vgpr2
	s_branch .LBB158_458
.LBB158_454:
	s_or_saveexec_b64 s[24:25], s[24:25]
	v_mov_b32_e32 v2, 0x7f800001
	s_xor_b64 exec, exec, s[24:25]
	s_cbranch_execz .LBB158_435
.LBB158_455:
	v_cmp_ne_u16_e32 vcc, 0, v3
	s_andn2_b64 s[0:1], s[0:1], exec
	s_and_b64 s[28:29], vcc, exec
	v_mov_b32_e32 v2, 0
	s_or_b64 s[0:1], s[0:1], s[28:29]
	s_or_b64 exec, exec, s[24:25]
	s_and_saveexec_b64 s[24:25], s[0:1]
	s_cbranch_execnz .LBB158_436
	s_branch .LBB158_437
.LBB158_456:
	s_mov_b64 s[22:23], -1
                                        ; implicit-def: $vgpr2
.LBB158_457:
	s_mov_b64 s[24:25], 0
.LBB158_458:
	s_and_b64 vcc, exec, s[24:25]
	s_cbranch_vccz .LBB158_462
; %bb.459:
	s_cmp_eq_u32 s30, 11
	s_cbranch_scc0 .LBB158_461
; %bb.460:
	global_load_ubyte v2, v[0:1], off
	s_mov_b64 s[0:1], -1
	s_mov_b64 s[22:23], 0
	s_waitcnt vmcnt(0)
	v_cmp_ne_u16_e32 vcc, 0, v2
	v_cndmask_b32_e64 v2, 0, 1.0, vcc
	s_branch .LBB158_462
.LBB158_461:
	s_mov_b64 s[22:23], -1
                                        ; implicit-def: $vgpr2
.LBB158_462:
	s_branch .LBB158_265
.LBB158_463:
	s_cmp_lt_i32 s30, 5
	s_cbranch_scc1 .LBB158_468
; %bb.464:
	s_cmp_lt_i32 s30, 8
	s_cbranch_scc1 .LBB158_469
; %bb.465:
	;; [unrolled: 3-line block ×3, first 2 shown]
	s_cmp_gt_i32 s30, 9
	s_cbranch_scc0 .LBB158_471
; %bb.467:
	global_load_dwordx2 v[2:3], v[0:1], off
	s_mov_b64 s[0:1], 0
	s_waitcnt vmcnt(0)
	v_cvt_f32_f64_e32 v2, v[2:3]
	s_branch .LBB158_472
.LBB158_468:
	s_mov_b64 s[0:1], -1
                                        ; implicit-def: $vgpr2
	s_branch .LBB158_490
.LBB158_469:
	s_mov_b64 s[0:1], -1
                                        ; implicit-def: $vgpr2
	s_branch .LBB158_478
.LBB158_470:
	s_mov_b64 s[0:1], -1
                                        ; implicit-def: $vgpr2
	s_branch .LBB158_475
.LBB158_471:
	s_mov_b64 s[0:1], -1
                                        ; implicit-def: $vgpr2
.LBB158_472:
	s_andn2_b64 vcc, exec, s[0:1]
	s_cbranch_vccnz .LBB158_474
; %bb.473:
	global_load_dword v2, v[0:1], off
.LBB158_474:
	s_mov_b64 s[0:1], 0
.LBB158_475:
	s_andn2_b64 vcc, exec, s[0:1]
	s_cbranch_vccnz .LBB158_477
; %bb.476:
	global_load_dword v2, v[0:1], off
	s_waitcnt vmcnt(0)
	v_cvt_f32_f16_e32 v2, v2
.LBB158_477:
	s_mov_b64 s[0:1], 0
.LBB158_478:
	s_andn2_b64 vcc, exec, s[0:1]
	s_cbranch_vccnz .LBB158_489
; %bb.479:
	s_cmp_lt_i32 s30, 6
	s_cbranch_scc1 .LBB158_482
; %bb.480:
	s_cmp_gt_i32 s30, 6
	s_cbranch_scc0 .LBB158_483
; %bb.481:
	global_load_dwordx2 v[2:3], v[0:1], off
	s_mov_b64 s[0:1], 0
	s_waitcnt vmcnt(0)
	v_cvt_f32_f64_e32 v2, v[2:3]
	s_branch .LBB158_484
.LBB158_482:
	s_mov_b64 s[0:1], -1
                                        ; implicit-def: $vgpr2
	s_branch .LBB158_487
.LBB158_483:
	s_mov_b64 s[0:1], -1
                                        ; implicit-def: $vgpr2
.LBB158_484:
	s_andn2_b64 vcc, exec, s[0:1]
	s_cbranch_vccnz .LBB158_486
; %bb.485:
	global_load_dword v2, v[0:1], off
.LBB158_486:
	s_mov_b64 s[0:1], 0
.LBB158_487:
	s_andn2_b64 vcc, exec, s[0:1]
	s_cbranch_vccnz .LBB158_489
; %bb.488:
	global_load_ushort v2, v[0:1], off
	s_waitcnt vmcnt(0)
	v_cvt_f32_f16_e32 v2, v2
.LBB158_489:
	s_mov_b64 s[0:1], 0
.LBB158_490:
	s_andn2_b64 vcc, exec, s[0:1]
	s_cbranch_vccnz .LBB158_510
; %bb.491:
	s_cmp_lt_i32 s30, 2
	s_cbranch_scc1 .LBB158_495
; %bb.492:
	s_cmp_lt_i32 s30, 3
	s_cbranch_scc1 .LBB158_496
; %bb.493:
	s_cmp_gt_i32 s30, 3
	s_cbranch_scc0 .LBB158_497
; %bb.494:
	global_load_dwordx2 v[2:3], v[0:1], off
	s_mov_b64 s[0:1], 0
	s_waitcnt vmcnt(0)
	v_xor_b32_e32 v6, v2, v3
	v_ffbh_i32_e32 v5, v3
	v_ashrrev_i32_e32 v6, 31, v6
	v_add_u32_e32 v5, -1, v5
	v_add_u32_e32 v6, 32, v6
	v_min_u32_e32 v5, v5, v6
	v_lshlrev_b64 v[2:3], v5, v[2:3]
	v_min_u32_e32 v2, 1, v2
	v_or_b32_e32 v2, v3, v2
	v_cvt_f32_i32_e32 v2, v2
	v_sub_u32_e32 v3, 32, v5
	v_ldexp_f32 v2, v2, v3
	s_branch .LBB158_498
.LBB158_495:
	s_mov_b64 s[0:1], -1
                                        ; implicit-def: $vgpr2
	s_branch .LBB158_504
.LBB158_496:
	s_mov_b64 s[0:1], -1
                                        ; implicit-def: $vgpr2
	s_branch .LBB158_501
.LBB158_497:
	s_mov_b64 s[0:1], -1
                                        ; implicit-def: $vgpr2
.LBB158_498:
	s_andn2_b64 vcc, exec, s[0:1]
	s_cbranch_vccnz .LBB158_500
; %bb.499:
	global_load_dword v2, v[0:1], off
	s_waitcnt vmcnt(0)
	v_cvt_f32_i32_e32 v2, v2
.LBB158_500:
	s_mov_b64 s[0:1], 0
.LBB158_501:
	s_andn2_b64 vcc, exec, s[0:1]
	s_cbranch_vccnz .LBB158_503
; %bb.502:
	global_load_sshort v2, v[0:1], off
	s_waitcnt vmcnt(0)
	v_cvt_f32_i32_e32 v2, v2
.LBB158_503:
	s_mov_b64 s[0:1], 0
.LBB158_504:
	s_andn2_b64 vcc, exec, s[0:1]
	s_cbranch_vccnz .LBB158_510
; %bb.505:
	s_cmp_gt_i32 s30, 0
	s_cbranch_scc0 .LBB158_507
; %bb.506:
	global_load_sbyte v2, v[0:1], off
	s_mov_b64 s[0:1], 0
	s_waitcnt vmcnt(0)
	v_cvt_f32_i32_e32 v2, v2
	s_branch .LBB158_508
.LBB158_507:
	s_mov_b64 s[0:1], -1
                                        ; implicit-def: $vgpr2
.LBB158_508:
	s_andn2_b64 vcc, exec, s[0:1]
	s_cbranch_vccnz .LBB158_510
; %bb.509:
	global_load_ubyte v0, v[0:1], off
	s_waitcnt vmcnt(0)
	v_cvt_f32_ubyte0_e32 v2, v0
.LBB158_510:
	s_branch .LBB158_266
.LBB158_511:
	s_mov_b64 s[28:29], 0
                                        ; implicit-def: $vgpr4
	s_mov_b64 s[0:1], s[16:17]
.LBB158_512:
	s_andn2_b64 s[24:25], s[16:17], exec
	s_and_b64 s[0:1], s[0:1], exec
	s_or_b64 s[24:25], s[24:25], s[0:1]
	s_andn2_b64 s[0:1], s[18:19], exec
	s_and_b64 s[22:23], s[22:23], exec
	s_or_b64 s[22:23], s[0:1], s[22:23]
	s_orn2_b64 s[0:1], s[28:29], exec
.LBB158_513:
	s_or_b64 exec, exec, s[26:27]
	s_mov_b64 s[28:29], 0
	s_mov_b64 s[30:31], 0
	;; [unrolled: 1-line block ×3, first 2 shown]
                                        ; implicit-def: $vgpr0_vgpr1
                                        ; implicit-def: $vgpr3
	s_and_saveexec_b64 s[26:27], s[0:1]
	s_cbranch_execz .LBB158_858
; %bb.514:
	v_cmp_gt_i32_e32 vcc, s42, v4
	s_mov_b64 s[38:39], -1
	s_mov_b64 s[0:1], s[22:23]
	s_mov_b64 s[34:35], s[24:25]
	s_and_saveexec_b64 s[28:29], vcc
	s_cbranch_execz .LBB158_772
; %bb.515:
	v_mul_lo_u32 v0, v4, s13
	v_mov_b32_e32 v1, s11
	s_and_b32 s38, 0xffff, s33
	s_cmp_lt_i32 s38, 11
	s_waitcnt vmcnt(0)
	v_ashrrev_i32_e32 v2, 31, v0
	v_add_co_u32_e32 v0, vcc, s10, v0
	v_addc_co_u32_e32 v1, vcc, v1, v2, vcc
	s_cbranch_scc1 .LBB158_522
; %bb.516:
	s_cmp_gt_i32 s38, 25
	s_cbranch_scc0 .LBB158_523
; %bb.517:
	s_cmp_gt_i32 s38, 28
	s_cbranch_scc0 .LBB158_524
	;; [unrolled: 3-line block ×4, first 2 shown]
; %bb.520:
	s_cmp_eq_u32 s38, 46
	s_mov_b64 s[34:35], 0
	s_cbranch_scc0 .LBB158_531
; %bb.521:
	global_load_dword v2, v[0:1], off
	s_mov_b64 s[0:1], -1
	s_waitcnt vmcnt(0)
	v_lshlrev_b32_e32 v2, 16, v2
	s_branch .LBB158_532
.LBB158_522:
	s_mov_b64 s[34:35], -1
	s_mov_b64 s[0:1], 0
                                        ; implicit-def: $vgpr2
	s_mov_b64 s[30:31], s[22:23]
	s_branch .LBB158_597
.LBB158_523:
	s_mov_b64 s[34:35], -1
	s_mov_b64 s[0:1], 0
	s_mov_b64 s[30:31], s[22:23]
                                        ; implicit-def: $vgpr2
	s_branch .LBB158_561
.LBB158_524:
	s_mov_b64 s[34:35], -1
	s_mov_b64 s[0:1], 0
	s_mov_b64 s[30:31], s[22:23]
                                        ; implicit-def: $vgpr2
	s_branch .LBB158_542
.LBB158_525:
	s_mov_b64 s[34:35], -1
	s_mov_b64 s[0:1], 0
	s_mov_b64 s[30:31], s[22:23]
                                        ; implicit-def: $vgpr2
	s_branch .LBB158_537
.LBB158_526:
	s_andn2_saveexec_b64 s[30:31], s[30:31]
	s_cbranch_execz .LBB158_311
.LBB158_527:
	s_mov_b32 s36, 0x46000000
	v_add_f32_e64 v3, |v2|, s36
	v_and_b32_e32 v3, 0xff, v3
	v_cmp_ne_u32_e32 vcc, 0, v3
	s_andn2_b64 s[28:29], s[28:29], exec
	s_and_b64 s[36:37], vcc, exec
	s_or_b64 s[28:29], s[28:29], s[36:37]
	s_or_b64 exec, exec, s[30:31]
	v_mov_b32_e32 v5, 0
	s_and_saveexec_b64 s[30:31], s[28:29]
	s_cbranch_execnz .LBB158_312
	s_branch .LBB158_313
.LBB158_528:
	s_mov_b64 s[34:35], -1
	s_mov_b64 s[0:1], 0
	s_mov_b64 s[30:31], s[22:23]
                                        ; implicit-def: $vgpr2
	s_branch .LBB158_532
.LBB158_529:
	s_andn2_saveexec_b64 s[30:31], s[30:31]
	s_cbranch_execz .LBB158_324
.LBB158_530:
	s_mov_b32 s36, 0x42800000
	v_add_f32_e64 v3, |v2|, s36
	v_and_b32_e32 v3, 0xff, v3
	v_cmp_ne_u32_e32 vcc, 0, v3
	s_andn2_b64 s[28:29], s[28:29], exec
	s_and_b64 s[36:37], vcc, exec
	s_or_b64 s[28:29], s[28:29], s[36:37]
	s_or_b64 exec, exec, s[30:31]
	v_mov_b32_e32 v5, 0
	s_and_saveexec_b64 s[30:31], s[28:29]
	s_cbranch_execnz .LBB158_325
	s_branch .LBB158_326
.LBB158_531:
	s_mov_b64 s[30:31], -1
                                        ; implicit-def: $vgpr2
	s_mov_b64 s[0:1], 0
.LBB158_532:
	s_and_b64 vcc, exec, s[34:35]
	s_cbranch_vccz .LBB158_536
; %bb.533:
	s_cmp_eq_u32 s38, 44
	s_cbranch_scc0 .LBB158_535
; %bb.534:
	global_load_ubyte v2, v[0:1], off
	s_movk_i32 s30, 0xff
	v_mov_b32_e32 v3, 0x7f800001
	v_mov_b32_e32 v5, 0x400000
	s_mov_b64 s[0:1], -1
	s_waitcnt vmcnt(0)
	v_lshlrev_b32_e32 v6, 23, v2
	v_cmp_ne_u32_e32 vcc, s30, v2
	v_cndmask_b32_e32 v3, v3, v6, vcc
	v_cmp_ne_u32_e32 vcc, 0, v2
	v_cndmask_b32_e32 v2, v5, v3, vcc
	s_mov_b64 s[30:31], 0
	s_branch .LBB158_536
.LBB158_535:
	s_mov_b64 s[30:31], -1
                                        ; implicit-def: $vgpr2
.LBB158_536:
	s_mov_b64 s[34:35], 0
.LBB158_537:
	s_and_b64 vcc, exec, s[34:35]
	s_cbranch_vccz .LBB158_541
; %bb.538:
	s_cmp_eq_u32 s38, 29
	s_cbranch_scc0 .LBB158_540
; %bb.539:
	global_load_dwordx2 v[2:3], v[0:1], off
	s_mov_b64 s[0:1], -1
	s_mov_b64 s[30:31], 0
	s_mov_b64 s[34:35], 0
	s_waitcnt vmcnt(0)
	v_ffbh_u32_e32 v5, v3
	v_min_u32_e32 v5, 32, v5
	v_lshlrev_b64 v[2:3], v5, v[2:3]
	v_min_u32_e32 v2, 1, v2
	v_or_b32_e32 v2, v3, v2
	v_cvt_f32_u32_e32 v2, v2
	v_sub_u32_e32 v3, 32, v5
	v_ldexp_f32 v2, v2, v3
	s_branch .LBB158_542
.LBB158_540:
	s_mov_b64 s[30:31], -1
                                        ; implicit-def: $vgpr2
.LBB158_541:
	s_mov_b64 s[34:35], 0
.LBB158_542:
	s_and_b64 vcc, exec, s[34:35]
	s_cbranch_vccz .LBB158_560
; %bb.543:
	s_cmp_lt_i32 s38, 27
	s_cbranch_scc1 .LBB158_546
; %bb.544:
	s_cmp_gt_i32 s38, 27
	s_cbranch_scc0 .LBB158_547
; %bb.545:
	global_load_dword v2, v[0:1], off
	s_mov_b64 s[0:1], 0
	s_waitcnt vmcnt(0)
	v_cvt_f32_u32_e32 v2, v2
	s_branch .LBB158_548
.LBB158_546:
	s_mov_b64 s[0:1], -1
                                        ; implicit-def: $vgpr2
	s_branch .LBB158_551
.LBB158_547:
	s_mov_b64 s[0:1], -1
                                        ; implicit-def: $vgpr2
.LBB158_548:
	s_andn2_b64 vcc, exec, s[0:1]
	s_cbranch_vccnz .LBB158_550
; %bb.549:
	global_load_ushort v2, v[0:1], off
	s_waitcnt vmcnt(0)
	v_cvt_f32_u32_e32 v2, v2
.LBB158_550:
	s_mov_b64 s[0:1], 0
.LBB158_551:
	s_andn2_b64 vcc, exec, s[0:1]
	s_cbranch_vccnz .LBB158_559
; %bb.552:
	global_load_ubyte v3, v[0:1], off
	s_movk_i32 s0, 0x7f
	s_waitcnt vmcnt(0)
	v_cmp_lt_i16_e32 vcc, s0, v3
	s_mov_b64 s[0:1], 0
	s_and_saveexec_b64 s[34:35], vcc
	s_xor_b64 s[34:35], exec, s[34:35]
	s_cbranch_execz .LBB158_573
; %bb.553:
	s_movk_i32 s0, 0x80
	v_cmp_eq_u16_e32 vcc, s0, v3
	s_mov_b64 s[0:1], -1
	s_and_saveexec_b64 s[36:37], vcc
; %bb.554:
	s_xor_b64 s[0:1], exec, -1
; %bb.555:
	s_or_b64 exec, exec, s[36:37]
	s_and_b64 s[0:1], s[0:1], exec
	s_or_saveexec_b64 s[34:35], s[34:35]
	v_mov_b32_e32 v2, 0x7f800001
	s_xor_b64 exec, exec, s[34:35]
	s_cbranch_execnz .LBB158_574
.LBB158_556:
	s_or_b64 exec, exec, s[34:35]
	s_and_saveexec_b64 s[34:35], s[0:1]
	s_cbranch_execz .LBB158_558
.LBB158_557:
	v_lshlrev_b32_e32 v2, 24, v3
	v_and_b32_e32 v3, 0xffff, v3
	v_and_b32_e32 v5, 7, v3
	v_ffbh_u32_e32 v7, v5
	v_min_u32_e32 v7, 32, v7
	v_subrev_u32_e32 v8, 28, v7
	v_bfe_u32 v6, v3, 3, 4
	v_lshlrev_b32_e32 v3, v8, v3
	v_sub_u32_e32 v7, 29, v7
	v_and_b32_e32 v3, 7, v3
	v_cmp_eq_u32_e32 vcc, 0, v6
	v_cndmask_b32_e32 v6, v6, v7, vcc
	v_cndmask_b32_e32 v3, v5, v3, vcc
	v_mov_b32_e32 v5, 0x3b800000
	v_lshlrev_b32_e32 v3, 20, v3
	v_and_b32_e32 v2, 0x80000000, v2
	v_lshl_add_u32 v5, v6, 23, v5
	v_or3_b32 v2, v2, v5, v3
.LBB158_558:
	s_or_b64 exec, exec, s[34:35]
.LBB158_559:
	s_mov_b64 s[0:1], -1
.LBB158_560:
	s_mov_b64 s[34:35], 0
.LBB158_561:
	s_and_b64 vcc, exec, s[34:35]
	s_cbranch_vccz .LBB158_596
; %bb.562:
	s_cmp_gt_i32 s38, 22
	s_cbranch_scc0 .LBB158_572
; %bb.563:
	s_cmp_lt_i32 s38, 24
	s_cbranch_scc1 .LBB158_575
; %bb.564:
	s_cmp_gt_i32 s38, 24
	s_cbranch_scc0 .LBB158_576
; %bb.565:
	global_load_ubyte v3, v[0:1], off
	s_movk_i32 s0, 0x7f
	s_waitcnt vmcnt(0)
	v_cmp_lt_i16_e32 vcc, s0, v3
	s_mov_b64 s[0:1], 0
	s_and_saveexec_b64 s[34:35], vcc
	s_xor_b64 s[34:35], exec, s[34:35]
	s_cbranch_execz .LBB158_588
; %bb.566:
	s_movk_i32 s0, 0x80
	v_cmp_eq_u16_e32 vcc, s0, v3
	s_mov_b64 s[0:1], -1
	s_and_saveexec_b64 s[36:37], vcc
; %bb.567:
	s_xor_b64 s[0:1], exec, -1
; %bb.568:
	s_or_b64 exec, exec, s[36:37]
	s_and_b64 s[0:1], s[0:1], exec
	s_or_saveexec_b64 s[34:35], s[34:35]
	v_mov_b32_e32 v2, 0x7f800001
	s_xor_b64 exec, exec, s[34:35]
	s_cbranch_execnz .LBB158_589
.LBB158_569:
	s_or_b64 exec, exec, s[34:35]
	s_and_saveexec_b64 s[34:35], s[0:1]
	s_cbranch_execz .LBB158_571
.LBB158_570:
	v_lshlrev_b32_e32 v2, 24, v3
	v_and_b32_e32 v3, 0xffff, v3
	v_and_b32_e32 v5, 3, v3
	v_ffbh_u32_e32 v7, v5
	v_min_u32_e32 v7, 32, v7
	v_subrev_u32_e32 v8, 29, v7
	v_bfe_u32 v6, v3, 2, 5
	v_lshlrev_b32_e32 v3, v8, v3
	v_sub_u32_e32 v7, 30, v7
	v_and_b32_e32 v3, 3, v3
	v_cmp_eq_u32_e32 vcc, 0, v6
	v_cndmask_b32_e32 v6, v6, v7, vcc
	v_cndmask_b32_e32 v3, v5, v3, vcc
	v_mov_b32_e32 v5, 0x37800000
	v_lshlrev_b32_e32 v3, 21, v3
	v_and_b32_e32 v2, 0x80000000, v2
	v_lshl_add_u32 v5, v6, 23, v5
	v_or3_b32 v2, v2, v5, v3
.LBB158_571:
	s_or_b64 exec, exec, s[34:35]
	s_mov_b64 s[0:1], 0
	s_branch .LBB158_577
.LBB158_572:
	s_mov_b64 s[34:35], -1
                                        ; implicit-def: $vgpr2
	s_branch .LBB158_583
.LBB158_573:
	s_or_saveexec_b64 s[34:35], s[34:35]
	v_mov_b32_e32 v2, 0x7f800001
	s_xor_b64 exec, exec, s[34:35]
	s_cbranch_execz .LBB158_556
.LBB158_574:
	v_cmp_ne_u16_e32 vcc, 0, v3
	s_andn2_b64 s[0:1], s[0:1], exec
	s_and_b64 s[36:37], vcc, exec
	v_mov_b32_e32 v2, 0
	s_or_b64 s[0:1], s[0:1], s[36:37]
	s_or_b64 exec, exec, s[34:35]
	s_and_saveexec_b64 s[34:35], s[0:1]
	s_cbranch_execnz .LBB158_557
	s_branch .LBB158_558
.LBB158_575:
	s_mov_b64 s[0:1], -1
                                        ; implicit-def: $vgpr2
	s_branch .LBB158_580
.LBB158_576:
	s_mov_b64 s[0:1], -1
                                        ; implicit-def: $vgpr2
.LBB158_577:
	s_and_b64 vcc, exec, s[0:1]
	s_cbranch_vccz .LBB158_579
; %bb.578:
	global_load_ubyte v2, v[0:1], off
	s_mov_b32 s0, 0x7f800000
	s_waitcnt vmcnt(0)
	v_lshlrev_b32_e32 v2, 24, v2
	v_and_b32_e32 v3, 0x7f000000, v2
	v_ffbh_u32_e32 v5, v3
	v_min_u32_e32 v5, 32, v5
	v_sub_u32_e64 v5, v5, 4 clamp
	v_lshlrev_b32_e32 v7, v5, v3
	v_lshlrev_b32_e32 v5, 23, v5
	v_lshrrev_b32_e32 v7, 4, v7
	v_add_u32_e32 v6, 0x1000000, v3
	v_sub_u32_e32 v5, v7, v5
	v_ashrrev_i32_e32 v6, 8, v6
	v_add_u32_e32 v5, 0x3c000000, v5
	v_and_or_b32 v5, v6, s0, v5
	v_cmp_ne_u32_e32 vcc, 0, v3
	v_cndmask_b32_e32 v3, 0, v5, vcc
	s_brev_b32 s0, 1
	v_and_or_b32 v2, v2, s0, v3
.LBB158_579:
	s_mov_b64 s[0:1], 0
.LBB158_580:
	s_andn2_b64 vcc, exec, s[0:1]
	s_cbranch_vccnz .LBB158_582
; %bb.581:
	global_load_ubyte v2, v[0:1], off
	s_movk_i32 s0, 0x7f00
	s_brev_b32 s1, 16
	s_waitcnt vmcnt(0)
	v_lshlrev_b16_e32 v3, 8, v2
	v_lshlrev_b32_e32 v2, 25, v2
	v_lshrrev_b32_e32 v5, 4, v2
	v_and_or_b32 v6, v3, s0, 0.5
	v_or_b32_e32 v5, 0x70000000, v5
	v_add_f32_e32 v6, -0.5, v6
	v_mul_f32_e32 v5, 0x7800000, v5
	v_cmp_gt_u32_e32 vcc, s1, v2
	v_bfe_i32 v3, v3, 0, 16
	v_cndmask_b32_e32 v2, v5, v6, vcc
	s_brev_b32 s0, 1
	v_and_or_b32 v2, v3, s0, v2
.LBB158_582:
	s_mov_b64 s[34:35], 0
	s_mov_b64 s[0:1], -1
.LBB158_583:
	s_andn2_b64 vcc, exec, s[34:35]
	s_cbranch_vccnz .LBB158_596
; %bb.584:
	s_cmp_gt_i32 s38, 14
	s_cbranch_scc0 .LBB158_587
; %bb.585:
	s_cmp_eq_u32 s38, 15
	s_cbranch_scc0 .LBB158_590
; %bb.586:
	global_load_ushort v2, v[0:1], off
	s_mov_b64 s[0:1], -1
	s_mov_b64 s[30:31], 0
	s_waitcnt vmcnt(0)
	v_lshlrev_b32_e32 v2, 16, v2
	s_branch .LBB158_591
.LBB158_587:
	s_mov_b64 s[34:35], -1
                                        ; implicit-def: $vgpr2
	s_branch .LBB158_592
.LBB158_588:
	s_or_saveexec_b64 s[34:35], s[34:35]
	v_mov_b32_e32 v2, 0x7f800001
	s_xor_b64 exec, exec, s[34:35]
	s_cbranch_execz .LBB158_569
.LBB158_589:
	v_cmp_ne_u16_e32 vcc, 0, v3
	s_andn2_b64 s[0:1], s[0:1], exec
	s_and_b64 s[36:37], vcc, exec
	v_mov_b32_e32 v2, 0
	s_or_b64 s[0:1], s[0:1], s[36:37]
	s_or_b64 exec, exec, s[34:35]
	s_and_saveexec_b64 s[34:35], s[0:1]
	s_cbranch_execnz .LBB158_570
	s_branch .LBB158_571
.LBB158_590:
	s_mov_b64 s[30:31], -1
                                        ; implicit-def: $vgpr2
.LBB158_591:
	s_mov_b64 s[34:35], 0
.LBB158_592:
	s_and_b64 vcc, exec, s[34:35]
	s_cbranch_vccz .LBB158_596
; %bb.593:
	s_cmp_eq_u32 s38, 11
	s_cbranch_scc0 .LBB158_595
; %bb.594:
	global_load_ubyte v2, v[0:1], off
	s_mov_b64 s[0:1], -1
	s_mov_b64 s[30:31], 0
	s_waitcnt vmcnt(0)
	v_cmp_ne_u16_e32 vcc, 0, v2
	v_cndmask_b32_e64 v2, 0, 1.0, vcc
	s_branch .LBB158_596
.LBB158_595:
	s_mov_b64 s[30:31], -1
                                        ; implicit-def: $vgpr2
.LBB158_596:
	s_mov_b64 s[34:35], 0
.LBB158_597:
	s_and_b64 vcc, exec, s[34:35]
	s_cbranch_vccz .LBB158_646
; %bb.598:
	s_cmp_lt_i32 s38, 5
	s_cbranch_scc1 .LBB158_603
; %bb.599:
	s_cmp_lt_i32 s38, 8
	s_cbranch_scc1 .LBB158_604
	;; [unrolled: 3-line block ×3, first 2 shown]
; %bb.601:
	s_cmp_gt_i32 s38, 9
	s_cbranch_scc0 .LBB158_606
; %bb.602:
	global_load_dwordx2 v[2:3], v[0:1], off
	s_mov_b64 s[0:1], 0
	s_waitcnt vmcnt(0)
	v_cvt_f32_f64_e32 v2, v[2:3]
	s_branch .LBB158_607
.LBB158_603:
	s_mov_b64 s[0:1], -1
                                        ; implicit-def: $vgpr2
	s_branch .LBB158_625
.LBB158_604:
	s_mov_b64 s[0:1], -1
                                        ; implicit-def: $vgpr2
	s_branch .LBB158_613
.LBB158_605:
	s_mov_b64 s[0:1], -1
                                        ; implicit-def: $vgpr2
	s_branch .LBB158_610
.LBB158_606:
	s_mov_b64 s[0:1], -1
                                        ; implicit-def: $vgpr2
.LBB158_607:
	s_andn2_b64 vcc, exec, s[0:1]
	s_cbranch_vccnz .LBB158_609
; %bb.608:
	global_load_dword v2, v[0:1], off
.LBB158_609:
	s_mov_b64 s[0:1], 0
.LBB158_610:
	s_andn2_b64 vcc, exec, s[0:1]
	s_cbranch_vccnz .LBB158_612
; %bb.611:
	global_load_dword v2, v[0:1], off
	s_waitcnt vmcnt(0)
	v_cvt_f32_f16_e32 v2, v2
.LBB158_612:
	s_mov_b64 s[0:1], 0
.LBB158_613:
	s_andn2_b64 vcc, exec, s[0:1]
	s_cbranch_vccnz .LBB158_624
; %bb.614:
	s_cmp_lt_i32 s38, 6
	s_cbranch_scc1 .LBB158_617
; %bb.615:
	s_cmp_gt_i32 s38, 6
	s_cbranch_scc0 .LBB158_618
; %bb.616:
	global_load_dwordx2 v[2:3], v[0:1], off
	s_mov_b64 s[0:1], 0
	s_waitcnt vmcnt(0)
	v_cvt_f32_f64_e32 v2, v[2:3]
	s_branch .LBB158_619
.LBB158_617:
	s_mov_b64 s[0:1], -1
                                        ; implicit-def: $vgpr2
	s_branch .LBB158_622
.LBB158_618:
	s_mov_b64 s[0:1], -1
                                        ; implicit-def: $vgpr2
.LBB158_619:
	s_andn2_b64 vcc, exec, s[0:1]
	s_cbranch_vccnz .LBB158_621
; %bb.620:
	global_load_dword v2, v[0:1], off
.LBB158_621:
	s_mov_b64 s[0:1], 0
.LBB158_622:
	s_andn2_b64 vcc, exec, s[0:1]
	s_cbranch_vccnz .LBB158_624
; %bb.623:
	global_load_ushort v2, v[0:1], off
	s_waitcnt vmcnt(0)
	v_cvt_f32_f16_e32 v2, v2
.LBB158_624:
	s_mov_b64 s[0:1], 0
.LBB158_625:
	s_andn2_b64 vcc, exec, s[0:1]
	s_cbranch_vccnz .LBB158_645
; %bb.626:
	s_cmp_lt_i32 s38, 2
	s_cbranch_scc1 .LBB158_630
; %bb.627:
	s_cmp_lt_i32 s38, 3
	s_cbranch_scc1 .LBB158_631
; %bb.628:
	s_cmp_gt_i32 s38, 3
	s_cbranch_scc0 .LBB158_632
; %bb.629:
	global_load_dwordx2 v[2:3], v[0:1], off
	s_mov_b64 s[0:1], 0
	s_waitcnt vmcnt(0)
	v_xor_b32_e32 v6, v2, v3
	v_ffbh_i32_e32 v5, v3
	v_ashrrev_i32_e32 v6, 31, v6
	v_add_u32_e32 v5, -1, v5
	v_add_u32_e32 v6, 32, v6
	v_min_u32_e32 v5, v5, v6
	v_lshlrev_b64 v[2:3], v5, v[2:3]
	v_min_u32_e32 v2, 1, v2
	v_or_b32_e32 v2, v3, v2
	v_cvt_f32_i32_e32 v2, v2
	v_sub_u32_e32 v3, 32, v5
	v_ldexp_f32 v2, v2, v3
	s_branch .LBB158_633
.LBB158_630:
	s_mov_b64 s[0:1], -1
                                        ; implicit-def: $vgpr2
	s_branch .LBB158_639
.LBB158_631:
	s_mov_b64 s[0:1], -1
                                        ; implicit-def: $vgpr2
	s_branch .LBB158_636
.LBB158_632:
	s_mov_b64 s[0:1], -1
                                        ; implicit-def: $vgpr2
.LBB158_633:
	s_andn2_b64 vcc, exec, s[0:1]
	s_cbranch_vccnz .LBB158_635
; %bb.634:
	global_load_dword v2, v[0:1], off
	s_waitcnt vmcnt(0)
	v_cvt_f32_i32_e32 v2, v2
.LBB158_635:
	s_mov_b64 s[0:1], 0
.LBB158_636:
	s_andn2_b64 vcc, exec, s[0:1]
	s_cbranch_vccnz .LBB158_638
; %bb.637:
	global_load_sshort v2, v[0:1], off
	s_waitcnt vmcnt(0)
	v_cvt_f32_i32_e32 v2, v2
.LBB158_638:
	s_mov_b64 s[0:1], 0
.LBB158_639:
	s_andn2_b64 vcc, exec, s[0:1]
	s_cbranch_vccnz .LBB158_645
; %bb.640:
	s_cmp_gt_i32 s38, 0
	s_cbranch_scc0 .LBB158_642
; %bb.641:
	global_load_sbyte v2, v[0:1], off
	s_mov_b64 s[0:1], 0
	s_waitcnt vmcnt(0)
	v_cvt_f32_i32_e32 v2, v2
	s_branch .LBB158_643
.LBB158_642:
	s_mov_b64 s[0:1], -1
                                        ; implicit-def: $vgpr2
.LBB158_643:
	s_andn2_b64 vcc, exec, s[0:1]
	s_cbranch_vccnz .LBB158_645
; %bb.644:
	global_load_ubyte v0, v[0:1], off
	s_waitcnt vmcnt(0)
	v_cvt_f32_ubyte0_e32 v2, v0
.LBB158_645:
	s_mov_b64 s[0:1], -1
.LBB158_646:
	s_andn2_b64 vcc, exec, s[0:1]
	s_cbranch_vccnz .LBB158_654
; %bb.647:
	v_mul_lo_u32 v1, v4, s12
	v_mov_b32_e32 v0, s15
	v_mov_b32_e32 v3, s2
	s_waitcnt vmcnt(0)
	v_cmp_nge_f32_e32 vcc, s14, v2
	v_cndmask_b32_e32 v2, v0, v3, vcc
	v_ashrrev_i32_e32 v3, 31, v1
	v_mov_b32_e32 v5, s9
	s_and_b32 s40, s3, 0xff
	v_add_co_u32_e32 v0, vcc, s8, v1
	s_cmp_lt_i32 s40, 11
	v_addc_co_u32_e32 v1, vcc, v5, v3, vcc
	s_cbranch_scc1 .LBB158_655
; %bb.648:
	s_and_b32 s41, 0xffff, s40
	s_cmp_gt_i32 s41, 25
	s_cbranch_scc0 .LBB158_656
; %bb.649:
	s_cmp_gt_i32 s41, 28
	s_cbranch_scc0 .LBB158_657
; %bb.650:
	;; [unrolled: 3-line block ×4, first 2 shown]
	s_mov_b64 s[36:37], 0
	s_mov_b64 s[0:1], -1
	s_cmp_eq_u32 s41, 46
	s_mov_b64 s[34:35], 0
	s_cbranch_scc0 .LBB158_660
; %bb.653:
	v_bfe_u32 v3, v2, 16, 1
	s_movk_i32 s0, 0x7fff
	v_add3_u32 v3, v2, v3, s0
	v_cmp_o_f32_e32 vcc, v2, v2
	v_mov_b32_e32 v5, 0x7fc0
	v_cndmask_b32_sdwa v3, v5, v3, vcc dst_sel:DWORD dst_unused:UNUSED_PAD src0_sel:DWORD src1_sel:WORD_1
	global_store_dword v[0:1], v3, off
	s_mov_b64 s[34:35], -1
	s_mov_b64 s[0:1], 0
	s_branch .LBB158_660
.LBB158_654:
	s_mov_b64 s[36:37], 0
                                        ; implicit-def: $vgpr4
	s_mov_b64 s[0:1], s[24:25]
	s_branch .LBB158_771
.LBB158_655:
	s_mov_b64 s[36:37], -1
	s_mov_b64 s[34:35], 0
	s_mov_b64 s[0:1], s[24:25]
	s_branch .LBB158_729
.LBB158_656:
	s_mov_b64 s[36:37], -1
	s_mov_b64 s[34:35], 0
	s_mov_b64 s[0:1], s[24:25]
	s_branch .LBB158_687
.LBB158_657:
	s_mov_b64 s[36:37], -1
	s_mov_b64 s[34:35], 0
	s_mov_b64 s[0:1], s[24:25]
	s_branch .LBB158_670
.LBB158_658:
	s_mov_b64 s[36:37], -1
	s_mov_b64 s[34:35], 0
	s_mov_b64 s[0:1], s[24:25]
	s_branch .LBB158_666
.LBB158_659:
	s_mov_b64 s[36:37], -1
	s_mov_b64 s[34:35], 0
	s_mov_b64 s[0:1], s[24:25]
.LBB158_660:
	s_and_b64 vcc, exec, s[36:37]
	s_cbranch_vccz .LBB158_665
; %bb.661:
	s_cmp_eq_u32 s41, 44
	s_mov_b64 s[0:1], -1
	s_cbranch_scc0 .LBB158_665
; %bb.662:
	v_bfe_u32 v3, v2, 23, 8
	s_movk_i32 s0, 0xff
	v_cmp_ne_u32_e32 vcc, s0, v3
	v_mov_b32_e32 v5, 0xff
	s_and_saveexec_b64 s[34:35], vcc
; %bb.663:
	s_mov_b32 s0, 0x3fffff
	v_and_b32_e32 v6, 0x400000, v2
	v_and_or_b32 v3, v2, s0, v3
	v_cmp_ne_u32_e32 vcc, 0, v6
	v_cmp_ne_u32_e64 s[0:1], 0, v3
	s_and_b64 s[0:1], vcc, s[0:1]
	v_lshrrev_b32_e32 v5, 23, v2
	v_cndmask_b32_e64 v3, 0, 1, s[0:1]
	v_add_u32_e32 v5, v5, v3
; %bb.664:
	s_or_b64 exec, exec, s[34:35]
	s_mov_b64 s[34:35], -1
	s_mov_b64 s[0:1], 0
	global_store_byte v[0:1], v5, off
.LBB158_665:
	s_mov_b64 s[36:37], 0
.LBB158_666:
	s_and_b64 vcc, exec, s[36:37]
	s_cbranch_vccz .LBB158_669
; %bb.667:
	s_cmp_eq_u32 s41, 29
	s_mov_b64 s[0:1], -1
	s_cbranch_scc0 .LBB158_669
; %bb.668:
	v_trunc_f32_e32 v3, v2
	v_mul_f32_e32 v5, 0x2f800000, v3
	v_floor_f32_e32 v5, v5
	v_fmac_f32_e32 v3, 0xcf800000, v5
	v_cvt_u32_f32_e32 v6, v5
	v_cvt_u32_f32_e32 v5, v3
	s_mov_b64 s[34:35], -1
	s_mov_b64 s[0:1], 0
	s_mov_b64 s[36:37], 0
	global_store_dwordx2 v[0:1], v[5:6], off
	s_branch .LBB158_670
.LBB158_669:
	s_mov_b64 s[36:37], 0
.LBB158_670:
	s_and_b64 vcc, exec, s[36:37]
	s_cbranch_vccz .LBB158_686
; %bb.671:
	s_cmp_lt_i32 s41, 27
	s_mov_b64 s[34:35], -1
	s_cbranch_scc1 .LBB158_677
; %bb.672:
	v_cvt_u32_f32_e32 v3, v2
	s_cmp_gt_i32 s41, 27
	s_cbranch_scc0 .LBB158_674
; %bb.673:
	s_mov_b64 s[34:35], 0
	global_store_dword v[0:1], v3, off
.LBB158_674:
	s_andn2_b64 vcc, exec, s[34:35]
	s_cbranch_vccnz .LBB158_676
; %bb.675:
	global_store_short v[0:1], v3, off
.LBB158_676:
	s_mov_b64 s[34:35], 0
.LBB158_677:
	s_andn2_b64 vcc, exec, s[34:35]
	s_cbranch_vccnz .LBB158_685
; %bb.678:
	v_and_b32_e32 v3, 0x7fffffff, v2
	s_mov_b32 s34, 0x43800000
	v_cmp_gt_u32_e32 vcc, s34, v3
	v_mov_b32_e32 v5, 0x80
	s_and_saveexec_b64 s[34:35], vcc
	s_cbranch_execz .LBB158_684
; %bb.679:
	s_mov_b32 s36, 0x3bffffff
	v_cmp_lt_u32_e32 vcc, s36, v3
	s_mov_b64 s[36:37], 0
                                        ; implicit-def: $vgpr3
	s_and_saveexec_b64 s[38:39], vcc
	s_xor_b64 s[38:39], exec, s[38:39]
	s_cbranch_execz .LBB158_785
; %bb.680:
	v_bfe_u32 v3, v2, 20, 1
	s_mov_b32 s43, 0x487ffff
	v_add3_u32 v3, v2, v3, s43
	s_mov_b64 s[36:37], exec
	v_lshrrev_b32_e32 v3, 20, v3
	s_andn2_saveexec_b64 s[38:39], s[38:39]
	s_cbranch_execnz .LBB158_786
.LBB158_681:
	s_or_b64 exec, exec, s[38:39]
	v_mov_b32_e32 v5, 0
	s_and_saveexec_b64 s[38:39], s[36:37]
.LBB158_682:
	v_lshrrev_b32_e32 v5, 24, v2
	s_movk_i32 s36, 0x80
	v_and_or_b32 v5, v5, s36, v3
.LBB158_683:
	s_or_b64 exec, exec, s[38:39]
.LBB158_684:
	s_or_b64 exec, exec, s[34:35]
	global_store_byte v[0:1], v5, off
.LBB158_685:
	s_mov_b64 s[34:35], -1
.LBB158_686:
	s_mov_b64 s[36:37], 0
.LBB158_687:
	s_and_b64 vcc, exec, s[36:37]
	s_cbranch_vccz .LBB158_728
; %bb.688:
	s_cmp_gt_i32 s41, 22
	s_mov_b64 s[36:37], -1
	s_cbranch_scc0 .LBB158_720
; %bb.689:
	s_cmp_lt_i32 s41, 24
	s_mov_b64 s[34:35], -1
	s_cbranch_scc1 .LBB158_709
; %bb.690:
	s_cmp_gt_i32 s41, 24
	s_cbranch_scc0 .LBB158_698
; %bb.691:
	v_and_b32_e32 v3, 0x7fffffff, v2
	s_mov_b32 s34, 0x47800000
	v_cmp_gt_u32_e32 vcc, s34, v3
	v_mov_b32_e32 v5, 0x80
	s_and_saveexec_b64 s[34:35], vcc
	s_cbranch_execz .LBB158_697
; %bb.692:
	s_mov_b32 s36, 0x37ffffff
	v_cmp_lt_u32_e32 vcc, s36, v3
	s_mov_b64 s[36:37], 0
                                        ; implicit-def: $vgpr3
	s_and_saveexec_b64 s[38:39], vcc
	s_xor_b64 s[38:39], exec, s[38:39]
	s_cbranch_execz .LBB158_788
; %bb.693:
	v_bfe_u32 v3, v2, 21, 1
	s_mov_b32 s43, 0x88fffff
	v_add3_u32 v3, v2, v3, s43
	s_mov_b64 s[36:37], exec
	v_lshrrev_b32_e32 v3, 21, v3
	s_andn2_saveexec_b64 s[38:39], s[38:39]
	s_cbranch_execnz .LBB158_789
.LBB158_694:
	s_or_b64 exec, exec, s[38:39]
	v_mov_b32_e32 v5, 0
	s_and_saveexec_b64 s[38:39], s[36:37]
.LBB158_695:
	v_lshrrev_b32_e32 v5, 24, v2
	s_movk_i32 s36, 0x80
	v_and_or_b32 v5, v5, s36, v3
.LBB158_696:
	s_or_b64 exec, exec, s[38:39]
.LBB158_697:
	s_or_b64 exec, exec, s[34:35]
	s_mov_b64 s[34:35], 0
	global_store_byte v[0:1], v5, off
.LBB158_698:
	s_and_b64 vcc, exec, s[34:35]
	s_cbranch_vccz .LBB158_708
; %bb.699:
	v_and_b32_e32 v5, 0x7fffffff, v2
	s_mov_b32 s34, 0x43f00000
	v_cmp_gt_u32_e32 vcc, s34, v5
                                        ; implicit-def: $vgpr3
	s_and_saveexec_b64 s[34:35], vcc
	s_xor_b64 s[34:35], exec, s[34:35]
	s_cbranch_execz .LBB158_705
; %bb.700:
	s_mov_b32 s36, 0x3c7fffff
	v_cmp_lt_u32_e32 vcc, s36, v5
                                        ; implicit-def: $vgpr3
	s_and_saveexec_b64 s[36:37], vcc
	s_xor_b64 s[36:37], exec, s[36:37]
; %bb.701:
	v_bfe_u32 v3, v2, 20, 1
	s_mov_b32 s38, 0x407ffff
	v_add3_u32 v3, v2, v3, s38
	v_lshrrev_b32_e32 v5, 20, v3
	v_and_b32_e32 v3, 0xff00000, v3
	s_mov_b32 s38, 0x7f00000
	v_mov_b32_e32 v6, 0x7e
	v_cmp_ne_u32_e32 vcc, s38, v3
	v_cndmask_b32_e32 v3, v6, v5, vcc
; %bb.702:
	s_andn2_saveexec_b64 s[36:37], s[36:37]
; %bb.703:
	s_mov_b32 s38, 0x46800000
	v_add_f32_e64 v3, |v2|, s38
; %bb.704:
	s_or_b64 exec, exec, s[36:37]
                                        ; implicit-def: $vgpr5
.LBB158_705:
	s_andn2_saveexec_b64 s[34:35], s[34:35]
; %bb.706:
	s_mov_b32 s36, 0x7f800000
	v_mov_b32_e32 v3, 0x7e
	v_mov_b32_e32 v6, 0x7f
	v_cmp_lt_u32_e32 vcc, s36, v5
	v_cndmask_b32_e32 v3, v3, v6, vcc
; %bb.707:
	s_or_b64 exec, exec, s[34:35]
	v_lshrrev_b32_e32 v5, 24, v2
	s_movk_i32 s34, 0x80
	v_and_or_b32 v3, v5, s34, v3
	global_store_byte v[0:1], v3, off
.LBB158_708:
	s_mov_b64 s[34:35], 0
.LBB158_709:
	s_andn2_b64 vcc, exec, s[34:35]
	s_cbranch_vccnz .LBB158_719
; %bb.710:
	v_and_b32_e32 v5, 0x7fffffff, v2
	s_mov_b32 s34, 0x47800000
	v_cmp_gt_u32_e32 vcc, s34, v5
                                        ; implicit-def: $vgpr3
	s_and_saveexec_b64 s[34:35], vcc
	s_xor_b64 s[34:35], exec, s[34:35]
	s_cbranch_execz .LBB158_716
; %bb.711:
	s_mov_b32 s36, 0x387fffff
	v_cmp_lt_u32_e32 vcc, s36, v5
                                        ; implicit-def: $vgpr3
	s_and_saveexec_b64 s[36:37], vcc
	s_xor_b64 s[36:37], exec, s[36:37]
; %bb.712:
	v_bfe_u32 v3, v2, 21, 1
	s_mov_b32 s38, 0x80fffff
	v_add3_u32 v3, v2, v3, s38
	v_lshrrev_b32_e32 v3, 21, v3
; %bb.713:
	s_andn2_saveexec_b64 s[36:37], s[36:37]
; %bb.714:
	s_mov_b32 s38, 0x43000000
	v_add_f32_e64 v3, |v2|, s38
; %bb.715:
	s_or_b64 exec, exec, s[36:37]
                                        ; implicit-def: $vgpr5
.LBB158_716:
	s_andn2_saveexec_b64 s[34:35], s[34:35]
; %bb.717:
	s_mov_b32 s36, 0x7f800000
	v_mov_b32_e32 v3, 0x7c
	v_mov_b32_e32 v6, 0x7f
	v_cmp_lt_u32_e32 vcc, s36, v5
	v_cndmask_b32_e32 v3, v3, v6, vcc
; %bb.718:
	s_or_b64 exec, exec, s[34:35]
	v_lshrrev_b32_e32 v5, 24, v2
	s_movk_i32 s34, 0x80
	v_and_or_b32 v3, v5, s34, v3
	global_store_byte v[0:1], v3, off
.LBB158_719:
	s_mov_b64 s[36:37], 0
	s_mov_b64 s[34:35], -1
.LBB158_720:
	s_andn2_b64 vcc, exec, s[36:37]
	s_cbranch_vccnz .LBB158_728
; %bb.721:
	s_cmp_gt_i32 s41, 14
	s_mov_b64 s[36:37], -1
	s_cbranch_scc0 .LBB158_725
; %bb.722:
	s_cmp_eq_u32 s41, 15
	s_mov_b64 s[0:1], -1
	s_cbranch_scc0 .LBB158_724
; %bb.723:
	v_bfe_u32 v3, v2, 16, 1
	s_movk_i32 s0, 0x7fff
	v_add3_u32 v3, v2, v3, s0
	v_cmp_o_f32_e32 vcc, v2, v2
	v_mov_b32_e32 v5, 0x7fc0
	v_cndmask_b32_sdwa v3, v5, v3, vcc dst_sel:DWORD dst_unused:UNUSED_PAD src0_sel:DWORD src1_sel:WORD_1
	global_store_short v[0:1], v3, off
	s_mov_b64 s[34:35], -1
	s_mov_b64 s[0:1], 0
.LBB158_724:
	s_mov_b64 s[36:37], 0
.LBB158_725:
	s_and_b64 vcc, exec, s[36:37]
	s_cbranch_vccz .LBB158_728
; %bb.726:
	s_cmp_eq_u32 s41, 11
	s_mov_b64 s[0:1], -1
	s_cbranch_scc0 .LBB158_728
; %bb.727:
	v_cmp_neq_f32_e32 vcc, 0, v2
	v_cndmask_b32_e64 v3, 0, 1, vcc
	s_mov_b64 s[34:35], -1
	s_mov_b64 s[0:1], 0
	global_store_byte v[0:1], v3, off
.LBB158_728:
	s_mov_b64 s[36:37], 0
.LBB158_729:
	s_and_b64 vcc, exec, s[36:37]
	s_cbranch_vccz .LBB158_768
; %bb.730:
	s_and_b32 s36, 0xffff, s40
	s_cmp_lt_i32 s36, 5
	s_mov_b64 s[34:35], -1
	s_cbranch_scc1 .LBB158_751
; %bb.731:
	s_cmp_lt_i32 s36, 8
	s_cbranch_scc1 .LBB158_741
; %bb.732:
	s_cmp_lt_i32 s36, 9
	s_cbranch_scc1 .LBB158_738
; %bb.733:
	s_cmp_gt_i32 s36, 9
	s_cbranch_scc0 .LBB158_735
; %bb.734:
	v_cvt_f64_f32_e32 v[5:6], v2
	v_mov_b32_e32 v7, 0
	v_mov_b32_e32 v8, v7
	s_mov_b64 s[34:35], 0
	global_store_dwordx4 v[0:1], v[5:8], off
.LBB158_735:
	s_andn2_b64 vcc, exec, s[34:35]
	s_cbranch_vccnz .LBB158_737
; %bb.736:
	v_mov_b32_e32 v3, 0
	global_store_dwordx2 v[0:1], v[2:3], off
.LBB158_737:
	s_mov_b64 s[34:35], 0
.LBB158_738:
	s_andn2_b64 vcc, exec, s[34:35]
	s_cbranch_vccnz .LBB158_740
; %bb.739:
	v_cvt_f16_f32_e32 v3, v2
	global_store_dword v[0:1], v3, off
.LBB158_740:
	s_mov_b64 s[34:35], 0
.LBB158_741:
	s_andn2_b64 vcc, exec, s[34:35]
	s_cbranch_vccnz .LBB158_750
; %bb.742:
	s_cmp_lt_i32 s36, 6
	s_mov_b64 s[34:35], -1
	s_cbranch_scc1 .LBB158_748
; %bb.743:
	s_cmp_gt_i32 s36, 6
	s_cbranch_scc0 .LBB158_745
; %bb.744:
	v_cvt_f64_f32_e32 v[5:6], v2
	s_mov_b64 s[34:35], 0
	global_store_dwordx2 v[0:1], v[5:6], off
.LBB158_745:
	s_andn2_b64 vcc, exec, s[34:35]
	s_cbranch_vccnz .LBB158_747
; %bb.746:
	global_store_dword v[0:1], v2, off
.LBB158_747:
	s_mov_b64 s[34:35], 0
.LBB158_748:
	s_andn2_b64 vcc, exec, s[34:35]
	s_cbranch_vccnz .LBB158_750
; %bb.749:
	v_cvt_f16_f32_e32 v3, v2
	global_store_short v[0:1], v3, off
.LBB158_750:
	s_mov_b64 s[34:35], 0
.LBB158_751:
	s_andn2_b64 vcc, exec, s[34:35]
	s_cbranch_vccnz .LBB158_767
; %bb.752:
	s_cmp_lt_i32 s36, 2
	s_mov_b64 s[34:35], -1
	s_cbranch_scc1 .LBB158_762
; %bb.753:
	s_cmp_lt_i32 s36, 3
	s_cbranch_scc1 .LBB158_759
; %bb.754:
	s_cmp_gt_i32 s36, 3
	s_cbranch_scc0 .LBB158_756
; %bb.755:
	v_trunc_f32_e32 v3, v2
	s_mov_b32 s34, 0x2f800000
	v_mul_f32_e64 v5, |v3|, s34
	v_floor_f32_e32 v5, v5
	s_mov_b32 s34, 0xcf800000
	v_cvt_u32_f32_e32 v6, v5
	v_fma_f32 v5, v5, s34, |v3|
	v_cvt_u32_f32_e32 v5, v5
	v_ashrrev_i32_e32 v3, 31, v3
	v_xor_b32_e32 v6, v6, v3
	s_mov_b64 s[34:35], 0
	v_xor_b32_e32 v5, v5, v3
	v_sub_co_u32_e32 v5, vcc, v5, v3
	v_subb_co_u32_e32 v6, vcc, v6, v3, vcc
	global_store_dwordx2 v[0:1], v[5:6], off
.LBB158_756:
	s_andn2_b64 vcc, exec, s[34:35]
	s_cbranch_vccnz .LBB158_758
; %bb.757:
	v_cvt_i32_f32_e32 v3, v2
	global_store_dword v[0:1], v3, off
.LBB158_758:
	s_mov_b64 s[34:35], 0
.LBB158_759:
	s_andn2_b64 vcc, exec, s[34:35]
	s_cbranch_vccnz .LBB158_761
; %bb.760:
	v_cvt_i32_f32_e32 v3, v2
	global_store_short v[0:1], v3, off
.LBB158_761:
	s_mov_b64 s[34:35], 0
.LBB158_762:
	s_andn2_b64 vcc, exec, s[34:35]
	s_cbranch_vccnz .LBB158_767
; %bb.763:
	s_cmp_gt_i32 s36, 0
	s_mov_b64 s[34:35], -1
	s_cbranch_scc0 .LBB158_765
; %bb.764:
	v_cvt_i32_f32_e32 v3, v2
	s_mov_b64 s[34:35], 0
	global_store_byte v[0:1], v3, off
.LBB158_765:
	s_andn2_b64 vcc, exec, s[34:35]
	s_cbranch_vccnz .LBB158_767
; %bb.766:
	v_trunc_f32_e32 v2, v2
	s_mov_b32 s34, 0x2f800000
	v_mul_f32_e64 v3, |v2|, s34
	v_floor_f32_e32 v3, v3
	s_mov_b32 s34, 0xcf800000
	v_fma_f32 v3, v3, s34, |v2|
	v_cvt_u32_f32_e32 v3, v3
	v_ashrrev_i32_e32 v2, 31, v2
	v_xor_b32_e32 v3, v3, v2
	v_sub_u32_e32 v2, v3, v2
	global_store_byte v[0:1], v2, off
.LBB158_767:
	s_mov_b64 s[34:35], -1
.LBB158_768:
	s_andn2_b64 vcc, exec, s[34:35]
	s_cbranch_vccnz .LBB158_770
; %bb.769:
	v_add_u32_e32 v4, 0x80, v4
	s_mov_b64 s[36:37], -1
	s_branch .LBB158_771
.LBB158_770:
	s_mov_b64 s[36:37], 0
                                        ; implicit-def: $vgpr4
.LBB158_771:
	s_andn2_b64 s[34:35], s[24:25], exec
	s_and_b64 s[0:1], s[0:1], exec
	s_or_b64 s[34:35], s[34:35], s[0:1]
	s_andn2_b64 s[0:1], s[22:23], exec
	s_and_b64 s[30:31], s[30:31], exec
	s_or_b64 s[0:1], s[0:1], s[30:31]
	s_orn2_b64 s[38:39], s[36:37], exec
.LBB158_772:
	s_or_b64 exec, exec, s[28:29]
	s_mov_b64 s[36:37], 0
	s_mov_b64 s[30:31], 0
	;; [unrolled: 1-line block ×3, first 2 shown]
                                        ; implicit-def: $vgpr0_vgpr1
                                        ; implicit-def: $vgpr3
	s_and_saveexec_b64 s[28:29], s[38:39]
	s_cbranch_execz .LBB158_857
; %bb.773:
	v_cmp_gt_i32_e32 vcc, s42, v4
	s_mov_b64 s[38:39], 0
	s_mov_b64 s[42:43], s[0:1]
	;; [unrolled: 1-line block ×3, first 2 shown]
                                        ; implicit-def: $vgpr0_vgpr1
                                        ; implicit-def: $vgpr3
	s_and_saveexec_b64 s[30:31], vcc
	s_cbranch_execz .LBB158_856
; %bb.774:
	v_mul_lo_u32 v0, v4, s13
	v_mov_b32_e32 v1, s11
	s_and_b32 s46, 0xffff, s33
	s_cmp_lt_i32 s46, 11
	s_waitcnt vmcnt(0)
	v_ashrrev_i32_e32 v2, 31, v0
	v_add_co_u32_e32 v0, vcc, s10, v0
	v_addc_co_u32_e32 v1, vcc, v1, v2, vcc
	s_cbranch_scc1 .LBB158_781
; %bb.775:
	s_cmp_gt_i32 s46, 25
	s_cbranch_scc0 .LBB158_782
; %bb.776:
	s_cmp_gt_i32 s46, 28
	s_cbranch_scc0 .LBB158_783
	;; [unrolled: 3-line block ×4, first 2 shown]
; %bb.779:
	s_cmp_eq_u32 s46, 46
	s_mov_b64 s[42:43], 0
	s_cbranch_scc0 .LBB158_790
; %bb.780:
	global_load_dword v2, v[0:1], off
	s_mov_b64 s[40:41], -1
	s_waitcnt vmcnt(0)
	v_lshlrev_b32_e32 v3, 16, v2
	s_branch .LBB158_792
.LBB158_781:
	s_mov_b64 s[42:43], -1
                                        ; implicit-def: $vgpr3
	s_mov_b64 s[36:37], s[0:1]
	s_branch .LBB158_855
.LBB158_782:
	s_mov_b64 s[42:43], -1
	s_mov_b64 s[36:37], s[0:1]
                                        ; implicit-def: $vgpr3
	s_branch .LBB158_821
.LBB158_783:
	s_mov_b64 s[42:43], -1
	s_mov_b64 s[36:37], s[0:1]
                                        ; implicit-def: $vgpr3
	s_branch .LBB158_802
.LBB158_784:
	s_mov_b64 s[42:43], -1
	s_mov_b64 s[36:37], s[0:1]
                                        ; implicit-def: $vgpr3
	s_branch .LBB158_797
.LBB158_785:
	s_andn2_saveexec_b64 s[38:39], s[38:39]
	s_cbranch_execz .LBB158_681
.LBB158_786:
	s_mov_b32 s43, 0x46000000
	v_add_f32_e64 v3, |v2|, s43
	v_and_b32_e32 v3, 0xff, v3
	v_cmp_ne_u32_e32 vcc, 0, v3
	s_andn2_b64 s[36:37], s[36:37], exec
	s_and_b64 s[44:45], vcc, exec
	s_or_b64 s[36:37], s[36:37], s[44:45]
	s_or_b64 exec, exec, s[38:39]
	v_mov_b32_e32 v5, 0
	s_and_saveexec_b64 s[38:39], s[36:37]
	s_cbranch_execnz .LBB158_682
	s_branch .LBB158_683
.LBB158_787:
	s_mov_b64 s[42:43], -1
	s_mov_b64 s[36:37], s[0:1]
	s_branch .LBB158_791
.LBB158_788:
	s_andn2_saveexec_b64 s[38:39], s[38:39]
	s_cbranch_execz .LBB158_694
.LBB158_789:
	s_mov_b32 s43, 0x42800000
	v_add_f32_e64 v3, |v2|, s43
	v_and_b32_e32 v3, 0xff, v3
	v_cmp_ne_u32_e32 vcc, 0, v3
	s_andn2_b64 s[36:37], s[36:37], exec
	s_and_b64 s[44:45], vcc, exec
	s_or_b64 s[36:37], s[36:37], s[44:45]
	s_or_b64 exec, exec, s[38:39]
	v_mov_b32_e32 v5, 0
	s_and_saveexec_b64 s[38:39], s[36:37]
	s_cbranch_execnz .LBB158_695
	s_branch .LBB158_696
.LBB158_790:
	s_mov_b64 s[36:37], -1
.LBB158_791:
                                        ; implicit-def: $vgpr3
.LBB158_792:
	s_and_b64 vcc, exec, s[42:43]
	s_cbranch_vccz .LBB158_796
; %bb.793:
	s_cmp_eq_u32 s46, 44
	s_cbranch_scc0 .LBB158_795
; %bb.794:
	global_load_ubyte v2, v[0:1], off
	s_movk_i32 s40, 0xff
	v_mov_b32_e32 v3, 0x7f800001
	v_mov_b32_e32 v5, 0x400000
	s_mov_b64 s[36:37], 0
	s_waitcnt vmcnt(0)
	v_lshlrev_b32_e32 v6, 23, v2
	v_cmp_ne_u32_e32 vcc, s40, v2
	v_cndmask_b32_e32 v3, v3, v6, vcc
	v_cmp_ne_u32_e32 vcc, 0, v2
	v_cndmask_b32_e32 v3, v5, v3, vcc
	s_mov_b64 s[40:41], -1
	s_branch .LBB158_796
.LBB158_795:
	s_mov_b64 s[36:37], -1
                                        ; implicit-def: $vgpr3
.LBB158_796:
	s_mov_b64 s[42:43], 0
.LBB158_797:
	s_and_b64 vcc, exec, s[42:43]
	s_cbranch_vccz .LBB158_801
; %bb.798:
	s_cmp_eq_u32 s46, 29
	s_cbranch_scc0 .LBB158_800
; %bb.799:
	global_load_dwordx2 v[2:3], v[0:1], off
	s_mov_b64 s[36:37], 0
	s_mov_b64 s[40:41], -1
	s_mov_b64 s[42:43], 0
	s_waitcnt vmcnt(0)
	v_ffbh_u32_e32 v5, v3
	v_min_u32_e32 v5, 32, v5
	v_lshlrev_b64 v[2:3], v5, v[2:3]
	v_min_u32_e32 v2, 1, v2
	v_or_b32_e32 v2, v3, v2
	v_cvt_f32_u32_e32 v2, v2
	v_sub_u32_e32 v3, 32, v5
	v_ldexp_f32 v3, v2, v3
	s_branch .LBB158_802
.LBB158_800:
	s_mov_b64 s[36:37], -1
                                        ; implicit-def: $vgpr3
.LBB158_801:
	s_mov_b64 s[42:43], 0
.LBB158_802:
	s_and_b64 vcc, exec, s[42:43]
	s_cbranch_vccz .LBB158_820
; %bb.803:
	s_cmp_lt_i32 s46, 27
	s_cbranch_scc1 .LBB158_806
; %bb.804:
	s_cmp_gt_i32 s46, 27
	s_cbranch_scc0 .LBB158_807
; %bb.805:
	global_load_dword v2, v[0:1], off
	s_mov_b64 s[40:41], 0
	s_waitcnt vmcnt(0)
	v_cvt_f32_u32_e32 v3, v2
	s_branch .LBB158_808
.LBB158_806:
	s_mov_b64 s[40:41], -1
                                        ; implicit-def: $vgpr3
	s_branch .LBB158_811
.LBB158_807:
	s_mov_b64 s[40:41], -1
                                        ; implicit-def: $vgpr3
.LBB158_808:
	s_andn2_b64 vcc, exec, s[40:41]
	s_cbranch_vccnz .LBB158_810
; %bb.809:
	global_load_ushort v2, v[0:1], off
	s_waitcnt vmcnt(0)
	v_cvt_f32_u32_e32 v3, v2
.LBB158_810:
	s_mov_b64 s[40:41], 0
.LBB158_811:
	s_andn2_b64 vcc, exec, s[40:41]
	s_cbranch_vccnz .LBB158_819
; %bb.812:
	global_load_ubyte v2, v[0:1], off
	s_movk_i32 s40, 0x7f
	s_waitcnt vmcnt(0)
	v_cmp_lt_i16_e32 vcc, s40, v2
	s_mov_b64 s[40:41], 0
	s_and_saveexec_b64 s[42:43], vcc
	s_xor_b64 s[42:43], exec, s[42:43]
	s_cbranch_execz .LBB158_833
; %bb.813:
	s_movk_i32 s40, 0x80
	v_cmp_eq_u16_e32 vcc, s40, v2
	s_mov_b64 s[40:41], -1
	s_and_saveexec_b64 s[44:45], vcc
; %bb.814:
	s_xor_b64 s[40:41], exec, -1
; %bb.815:
	s_or_b64 exec, exec, s[44:45]
	s_and_b64 s[40:41], s[40:41], exec
	s_or_saveexec_b64 s[42:43], s[42:43]
	v_mov_b32_e32 v3, 0x7f800001
	s_xor_b64 exec, exec, s[42:43]
	s_cbranch_execnz .LBB158_834
.LBB158_816:
	s_or_b64 exec, exec, s[42:43]
	s_and_saveexec_b64 s[42:43], s[40:41]
	s_cbranch_execz .LBB158_818
.LBB158_817:
	v_lshlrev_b32_e32 v3, 24, v2
	v_and_b32_e32 v2, 0xffff, v2
	v_and_b32_e32 v5, 7, v2
	v_ffbh_u32_e32 v7, v5
	v_min_u32_e32 v7, 32, v7
	v_subrev_u32_e32 v8, 28, v7
	v_bfe_u32 v6, v2, 3, 4
	v_lshlrev_b32_e32 v2, v8, v2
	v_sub_u32_e32 v7, 29, v7
	v_and_b32_e32 v2, 7, v2
	v_cmp_eq_u32_e32 vcc, 0, v6
	v_cndmask_b32_e32 v6, v6, v7, vcc
	v_cndmask_b32_e32 v2, v5, v2, vcc
	v_mov_b32_e32 v5, 0x3b800000
	v_lshlrev_b32_e32 v2, 20, v2
	v_and_b32_e32 v3, 0x80000000, v3
	v_lshl_add_u32 v5, v6, 23, v5
	v_or3_b32 v3, v3, v5, v2
.LBB158_818:
	s_or_b64 exec, exec, s[42:43]
.LBB158_819:
	s_mov_b64 s[40:41], -1
.LBB158_820:
	s_mov_b64 s[42:43], 0
.LBB158_821:
	s_and_b64 vcc, exec, s[42:43]
	s_cbranch_vccz .LBB158_854
; %bb.822:
	s_cmp_gt_i32 s46, 22
	s_cbranch_scc0 .LBB158_832
; %bb.823:
	s_cmp_lt_i32 s46, 24
	s_cbranch_scc1 .LBB158_835
; %bb.824:
	s_cmp_gt_i32 s46, 24
	s_cbranch_scc0 .LBB158_836
; %bb.825:
	global_load_ubyte v2, v[0:1], off
	s_movk_i32 s38, 0x7f
	s_waitcnt vmcnt(0)
	v_cmp_lt_i16_e32 vcc, s38, v2
	s_mov_b64 s[38:39], 0
	s_and_saveexec_b64 s[40:41], vcc
	s_xor_b64 s[40:41], exec, s[40:41]
	s_cbranch_execz .LBB158_848
; %bb.826:
	s_movk_i32 s38, 0x80
	v_cmp_eq_u16_e32 vcc, s38, v2
	s_mov_b64 s[38:39], -1
	s_and_saveexec_b64 s[42:43], vcc
; %bb.827:
	s_xor_b64 s[38:39], exec, -1
; %bb.828:
	s_or_b64 exec, exec, s[42:43]
	s_and_b64 s[38:39], s[38:39], exec
	s_or_saveexec_b64 s[40:41], s[40:41]
	v_mov_b32_e32 v3, 0x7f800001
	s_xor_b64 exec, exec, s[40:41]
	s_cbranch_execnz .LBB158_849
.LBB158_829:
	s_or_b64 exec, exec, s[40:41]
	s_and_saveexec_b64 s[40:41], s[38:39]
	s_cbranch_execz .LBB158_831
.LBB158_830:
	v_lshlrev_b32_e32 v3, 24, v2
	v_and_b32_e32 v2, 0xffff, v2
	v_and_b32_e32 v5, 3, v2
	v_ffbh_u32_e32 v7, v5
	v_min_u32_e32 v7, 32, v7
	v_subrev_u32_e32 v8, 29, v7
	v_bfe_u32 v6, v2, 2, 5
	v_lshlrev_b32_e32 v2, v8, v2
	v_sub_u32_e32 v7, 30, v7
	v_and_b32_e32 v2, 3, v2
	v_cmp_eq_u32_e32 vcc, 0, v6
	v_cndmask_b32_e32 v6, v6, v7, vcc
	v_cndmask_b32_e32 v2, v5, v2, vcc
	v_mov_b32_e32 v5, 0x37800000
	v_lshlrev_b32_e32 v2, 21, v2
	v_and_b32_e32 v3, 0x80000000, v3
	v_lshl_add_u32 v5, v6, 23, v5
	v_or3_b32 v3, v3, v5, v2
.LBB158_831:
	s_or_b64 exec, exec, s[40:41]
	s_mov_b64 s[38:39], 0
	s_branch .LBB158_837
.LBB158_832:
	s_mov_b64 s[38:39], -1
                                        ; implicit-def: $vgpr3
	s_branch .LBB158_843
.LBB158_833:
	s_or_saveexec_b64 s[42:43], s[42:43]
	v_mov_b32_e32 v3, 0x7f800001
	s_xor_b64 exec, exec, s[42:43]
	s_cbranch_execz .LBB158_816
.LBB158_834:
	v_cmp_ne_u16_e32 vcc, 0, v2
	s_andn2_b64 s[40:41], s[40:41], exec
	s_and_b64 s[44:45], vcc, exec
	v_mov_b32_e32 v3, 0
	s_or_b64 s[40:41], s[40:41], s[44:45]
	s_or_b64 exec, exec, s[42:43]
	s_and_saveexec_b64 s[42:43], s[40:41]
	s_cbranch_execnz .LBB158_817
	s_branch .LBB158_818
.LBB158_835:
	s_mov_b64 s[38:39], -1
                                        ; implicit-def: $vgpr3
	s_branch .LBB158_840
.LBB158_836:
	s_mov_b64 s[38:39], -1
                                        ; implicit-def: $vgpr3
.LBB158_837:
	s_and_b64 vcc, exec, s[38:39]
	s_cbranch_vccz .LBB158_839
; %bb.838:
	global_load_ubyte v2, v[0:1], off
	s_mov_b32 s38, 0x7f800000
	s_waitcnt vmcnt(0)
	v_lshlrev_b32_e32 v2, 24, v2
	v_and_b32_e32 v3, 0x7f000000, v2
	v_ffbh_u32_e32 v5, v3
	v_min_u32_e32 v5, 32, v5
	v_sub_u32_e64 v5, v5, 4 clamp
	v_lshlrev_b32_e32 v7, v5, v3
	v_lshlrev_b32_e32 v5, 23, v5
	v_lshrrev_b32_e32 v7, 4, v7
	v_add_u32_e32 v6, 0x1000000, v3
	v_sub_u32_e32 v5, v7, v5
	v_ashrrev_i32_e32 v6, 8, v6
	v_add_u32_e32 v5, 0x3c000000, v5
	v_and_or_b32 v5, v6, s38, v5
	v_cmp_ne_u32_e32 vcc, 0, v3
	v_cndmask_b32_e32 v3, 0, v5, vcc
	s_brev_b32 s38, 1
	v_and_or_b32 v3, v2, s38, v3
.LBB158_839:
	s_mov_b64 s[38:39], 0
.LBB158_840:
	s_andn2_b64 vcc, exec, s[38:39]
	s_cbranch_vccnz .LBB158_842
; %bb.841:
	global_load_ubyte v2, v[0:1], off
	s_movk_i32 s38, 0x7f00
	s_brev_b32 s39, 16
	s_waitcnt vmcnt(0)
	v_lshlrev_b16_e32 v3, 8, v2
	v_lshlrev_b32_e32 v2, 25, v2
	v_lshrrev_b32_e32 v5, 4, v2
	v_and_or_b32 v6, v3, s38, 0.5
	v_or_b32_e32 v5, 0x70000000, v5
	v_add_f32_e32 v6, -0.5, v6
	v_mul_f32_e32 v5, 0x7800000, v5
	v_cmp_gt_u32_e32 vcc, s39, v2
	v_bfe_i32 v3, v3, 0, 16
	v_cndmask_b32_e32 v2, v5, v6, vcc
	s_brev_b32 s38, 1
	v_and_or_b32 v3, v3, s38, v2
.LBB158_842:
	s_mov_b64 s[38:39], 0
	s_mov_b64 s[40:41], -1
.LBB158_843:
	s_andn2_b64 vcc, exec, s[38:39]
	s_mov_b64 s[38:39], 0
	s_cbranch_vccnz .LBB158_854
; %bb.844:
	s_cmp_gt_i32 s46, 14
	s_cbranch_scc0 .LBB158_847
; %bb.845:
	s_cmp_eq_u32 s46, 15
	s_cbranch_scc0 .LBB158_850
; %bb.846:
	global_load_ushort v2, v[0:1], off
	s_mov_b64 s[36:37], 0
	s_mov_b64 s[40:41], -1
	s_waitcnt vmcnt(0)
	v_lshlrev_b32_e32 v3, 16, v2
	s_branch .LBB158_851
.LBB158_847:
	s_mov_b64 s[42:43], -1
                                        ; implicit-def: $vgpr3
	s_branch .LBB158_852
.LBB158_848:
	s_or_saveexec_b64 s[40:41], s[40:41]
	v_mov_b32_e32 v3, 0x7f800001
	s_xor_b64 exec, exec, s[40:41]
	s_cbranch_execz .LBB158_829
.LBB158_849:
	v_cmp_ne_u16_e32 vcc, 0, v2
	s_andn2_b64 s[38:39], s[38:39], exec
	s_and_b64 s[42:43], vcc, exec
	v_mov_b32_e32 v3, 0
	s_or_b64 s[38:39], s[38:39], s[42:43]
	s_or_b64 exec, exec, s[40:41]
	s_and_saveexec_b64 s[40:41], s[38:39]
	s_cbranch_execnz .LBB158_830
	s_branch .LBB158_831
.LBB158_850:
	s_mov_b64 s[36:37], -1
                                        ; implicit-def: $vgpr3
.LBB158_851:
	s_mov_b64 s[42:43], 0
.LBB158_852:
	s_and_b64 vcc, exec, s[42:43]
	s_cbranch_vccz .LBB158_854
; %bb.853:
	s_cmp_lg_u32 s46, 11
	s_cselect_b64 s[42:43], -1, 0
	s_andn2_b64 s[36:37], s[36:37], exec
	s_and_b64 s[42:43], s[42:43], exec
	s_mov_b64 s[38:39], -1
	s_or_b64 s[36:37], s[36:37], s[42:43]
.LBB158_854:
	s_mov_b64 s[42:43], 0
.LBB158_855:
	s_and_b64 s[44:45], s[42:43], exec
	s_andn2_b64 s[42:43], s[0:1], exec
	s_and_b64 s[36:37], s[36:37], exec
	s_and_b64 s[40:41], s[40:41], exec
	;; [unrolled: 1-line block ×3, first 2 shown]
	s_or_b64 s[42:43], s[42:43], s[36:37]
.LBB158_856:
	s_or_b64 exec, exec, s[30:31]
	s_and_b64 s[36:37], s[38:39], exec
	s_andn2_b64 s[0:1], s[0:1], exec
	s_and_b64 s[38:39], s[42:43], exec
	s_and_b64 s[40:41], s[40:41], exec
	;; [unrolled: 1-line block ×3, first 2 shown]
	s_or_b64 s[0:1], s[0:1], s[38:39]
.LBB158_857:
	s_or_b64 exec, exec, s[28:29]
	s_andn2_b64 s[24:25], s[24:25], exec
	s_and_b64 s[28:29], s[34:35], exec
	s_andn2_b64 s[22:23], s[22:23], exec
	s_and_b64 s[0:1], s[0:1], exec
	s_or_b64 s[24:25], s[24:25], s[28:29]
	s_and_b64 s[34:35], s[40:41], exec
	s_and_b64 s[30:31], s[30:31], exec
	;; [unrolled: 1-line block ×3, first 2 shown]
	s_or_b64 s[22:23], s[22:23], s[0:1]
.LBB158_858:
	s_or_b64 exec, exec, s[26:27]
	s_andn2_b64 s[0:1], s[16:17], exec
	s_and_b64 s[16:17], s[24:25], exec
	s_andn2_b64 s[18:19], s[18:19], exec
	s_and_b64 s[22:23], s[22:23], exec
	s_or_b64 s[16:17], s[0:1], s[16:17]
	s_and_b64 s[0:1], s[34:35], exec
	s_and_b64 s[26:27], s[30:31], exec
	;; [unrolled: 1-line block ×3, first 2 shown]
	s_or_b64 s[18:19], s[18:19], s[22:23]
	s_or_b64 exec, exec, s[20:21]
	s_mov_b64 s[20:21], 0
	s_and_saveexec_b64 s[22:23], s[18:19]
	s_cbranch_execz .LBB158_262
.LBB158_859:
	s_mov_b64 s[20:21], exec
	s_andn2_b64 s[24:25], s[24:25], exec
	s_trap 2
	s_or_b64 exec, exec, s[22:23]
	s_and_saveexec_b64 s[18:19], s[24:25]
	s_xor_b64 s[18:19], exec, s[18:19]
	s_cbranch_execnz .LBB158_263
.LBB158_860:
	s_or_b64 exec, exec, s[18:19]
	s_and_saveexec_b64 s[18:19], s[26:27]
	s_cbranch_execz .LBB158_906
.LBB158_861:
	s_sext_i32_i16 s22, s33
	s_cmp_lt_i32 s22, 5
	s_cbranch_scc1 .LBB158_866
; %bb.862:
	s_cmp_lt_i32 s22, 8
	s_cbranch_scc1 .LBB158_867
; %bb.863:
	;; [unrolled: 3-line block ×3, first 2 shown]
	s_cmp_gt_i32 s22, 9
	s_cbranch_scc0 .LBB158_869
; %bb.865:
	global_load_dwordx2 v[2:3], v[0:1], off
	s_mov_b64 s[22:23], 0
	s_waitcnt vmcnt(0)
	v_cvt_f32_f64_e32 v3, v[2:3]
	s_branch .LBB158_870
.LBB158_866:
                                        ; implicit-def: $vgpr3
	s_branch .LBB158_887
.LBB158_867:
                                        ; implicit-def: $vgpr3
	s_branch .LBB158_876
.LBB158_868:
	s_mov_b64 s[22:23], -1
                                        ; implicit-def: $vgpr3
	s_branch .LBB158_873
.LBB158_869:
	s_mov_b64 s[22:23], -1
                                        ; implicit-def: $vgpr3
.LBB158_870:
	s_andn2_b64 vcc, exec, s[22:23]
	s_cbranch_vccnz .LBB158_872
; %bb.871:
	global_load_dword v3, v[0:1], off
.LBB158_872:
	s_mov_b64 s[22:23], 0
.LBB158_873:
	s_andn2_b64 vcc, exec, s[22:23]
	s_cbranch_vccnz .LBB158_875
; %bb.874:
	global_load_dword v2, v[0:1], off
	s_waitcnt vmcnt(0)
	v_cvt_f32_f16_e32 v3, v2
.LBB158_875:
	s_cbranch_execnz .LBB158_886
.LBB158_876:
	s_sext_i32_i16 s22, s33
	s_cmp_lt_i32 s22, 6
	s_cbranch_scc1 .LBB158_879
; %bb.877:
	s_cmp_gt_i32 s22, 6
	s_cbranch_scc0 .LBB158_880
; %bb.878:
	global_load_dwordx2 v[2:3], v[0:1], off
	s_mov_b64 s[22:23], 0
	s_waitcnt vmcnt(0)
	v_cvt_f32_f64_e32 v3, v[2:3]
	s_branch .LBB158_881
.LBB158_879:
	s_mov_b64 s[22:23], -1
                                        ; implicit-def: $vgpr3
	s_branch .LBB158_884
.LBB158_880:
	s_mov_b64 s[22:23], -1
                                        ; implicit-def: $vgpr3
.LBB158_881:
	s_andn2_b64 vcc, exec, s[22:23]
	s_cbranch_vccnz .LBB158_883
; %bb.882:
	global_load_dword v3, v[0:1], off
.LBB158_883:
	s_mov_b64 s[22:23], 0
.LBB158_884:
	s_andn2_b64 vcc, exec, s[22:23]
	s_cbranch_vccnz .LBB158_886
; %bb.885:
	global_load_ushort v2, v[0:1], off
	s_waitcnt vmcnt(0)
	v_cvt_f32_f16_e32 v3, v2
.LBB158_886:
	s_cbranch_execnz .LBB158_905
.LBB158_887:
	s_sext_i32_i16 s22, s33
	s_cmp_lt_i32 s22, 2
	s_cbranch_scc1 .LBB158_891
; %bb.888:
	s_cmp_lt_i32 s22, 3
	s_cbranch_scc1 .LBB158_892
; %bb.889:
	s_cmp_gt_i32 s22, 3
	s_cbranch_scc0 .LBB158_893
; %bb.890:
	global_load_dwordx2 v[2:3], v[0:1], off
	s_mov_b64 s[22:23], 0
	s_waitcnt vmcnt(0)
	v_xor_b32_e32 v6, v2, v3
	v_ffbh_i32_e32 v5, v3
	v_ashrrev_i32_e32 v6, 31, v6
	v_add_u32_e32 v5, -1, v5
	v_add_u32_e32 v6, 32, v6
	v_min_u32_e32 v5, v5, v6
	v_lshlrev_b64 v[2:3], v5, v[2:3]
	v_min_u32_e32 v2, 1, v2
	v_or_b32_e32 v2, v3, v2
	v_cvt_f32_i32_e32 v2, v2
	v_sub_u32_e32 v3, 32, v5
	v_ldexp_f32 v3, v2, v3
	s_branch .LBB158_894
.LBB158_891:
                                        ; implicit-def: $vgpr3
	s_branch .LBB158_900
.LBB158_892:
	s_mov_b64 s[22:23], -1
                                        ; implicit-def: $vgpr3
	s_branch .LBB158_897
.LBB158_893:
	s_mov_b64 s[22:23], -1
                                        ; implicit-def: $vgpr3
.LBB158_894:
	s_andn2_b64 vcc, exec, s[22:23]
	s_cbranch_vccnz .LBB158_896
; %bb.895:
	global_load_dword v2, v[0:1], off
	s_waitcnt vmcnt(0)
	v_cvt_f32_i32_e32 v3, v2
.LBB158_896:
	s_mov_b64 s[22:23], 0
.LBB158_897:
	s_andn2_b64 vcc, exec, s[22:23]
	s_cbranch_vccnz .LBB158_899
; %bb.898:
	global_load_sshort v2, v[0:1], off
	s_waitcnt vmcnt(0)
	v_cvt_f32_i32_e32 v3, v2
.LBB158_899:
	s_cbranch_execnz .LBB158_905
.LBB158_900:
	s_sext_i32_i16 s22, s33
	s_cmp_gt_i32 s22, 0
	s_cbranch_scc0 .LBB158_902
; %bb.901:
	global_load_sbyte v2, v[0:1], off
	s_mov_b64 s[22:23], 0
	s_waitcnt vmcnt(0)
	v_cvt_f32_i32_e32 v3, v2
	s_branch .LBB158_903
.LBB158_902:
	s_mov_b64 s[22:23], -1
                                        ; implicit-def: $vgpr3
.LBB158_903:
	s_andn2_b64 vcc, exec, s[22:23]
	s_cbranch_vccnz .LBB158_905
; %bb.904:
	global_load_ubyte v0, v[0:1], off
	s_waitcnt vmcnt(0)
	v_cvt_f32_ubyte0_e32 v3, v0
.LBB158_905:
	s_or_b64 s[0:1], s[0:1], exec
.LBB158_906:
	s_or_b64 exec, exec, s[18:19]
	s_mov_b64 s[24:25], 0
	s_mov_b64 s[22:23], 0
                                        ; implicit-def: $sgpr30
                                        ; implicit-def: $vgpr0_vgpr1
                                        ; implicit-def: $vgpr2
	s_and_saveexec_b64 s[18:19], s[0:1]
	s_cbranch_execz .LBB158_924
; %bb.907:
	v_mul_lo_u32 v1, v4, s12
	v_mov_b32_e32 v0, s15
	s_waitcnt vmcnt(0)
	v_mov_b32_e32 v2, s2
	v_cmp_nge_f32_e32 vcc, s14, v3
	v_cndmask_b32_e32 v2, v0, v2, vcc
	v_ashrrev_i32_e32 v3, 31, v1
	v_mov_b32_e32 v4, s9
	s_and_b32 s30, s3, 0xff
	v_add_co_u32_e32 v0, vcc, s8, v1
	s_cmp_lt_i32 s30, 11
	v_addc_co_u32_e32 v1, vcc, v4, v3, vcc
	s_cbranch_scc1 .LBB158_927
; %bb.908:
	s_and_b32 s31, 0xffff, s30
	s_mov_b64 s[24:25], -1
	s_cmp_gt_i32 s31, 25
	s_mov_b64 s[0:1], s[16:17]
	s_cbranch_scc0 .LBB158_945
; %bb.909:
	s_mov_b64 s[22:23], -1
	s_cmp_gt_i32 s31, 28
	s_mov_b64 s[0:1], s[16:17]
	s_cbranch_scc0 .LBB158_929
; %bb.910:
	s_cmp_gt_i32 s31, 43
	s_mov_b64 s[0:1], s[16:17]
	s_cbranch_scc0 .LBB158_921
; %bb.911:
	;; [unrolled: 4-line block ×3, first 2 shown]
	s_cmp_eq_u32 s31, 46
	s_mov_b64 s[0:1], -1
	s_cbranch_scc0 .LBB158_914
; %bb.913:
	v_bfe_u32 v3, v2, 16, 1
	s_movk_i32 s0, 0x7fff
	v_add3_u32 v3, v2, v3, s0
	v_cmp_o_f32_e32 vcc, v2, v2
	v_mov_b32_e32 v4, 0x7fc0
	v_cndmask_b32_sdwa v3, v4, v3, vcc dst_sel:DWORD dst_unused:UNUSED_PAD src0_sel:DWORD src1_sel:WORD_1
	global_store_dword v[0:1], v3, off
	s_mov_b64 s[0:1], 0
.LBB158_914:
	s_mov_b64 s[22:23], 0
.LBB158_915:
	s_and_b64 vcc, exec, s[22:23]
	s_cbranch_vccz .LBB158_920
; %bb.916:
	s_cmp_eq_u32 s31, 44
	s_mov_b64 s[0:1], -1
	s_cbranch_scc0 .LBB158_920
; %bb.917:
	v_bfe_u32 v3, v2, 23, 8
	s_movk_i32 s0, 0xff
	v_cmp_ne_u32_e32 vcc, s0, v3
	v_mov_b32_e32 v4, 0xff
	s_and_saveexec_b64 s[22:23], vcc
; %bb.918:
	s_mov_b32 s0, 0x3fffff
	v_and_b32_e32 v5, 0x400000, v2
	v_and_or_b32 v3, v2, s0, v3
	v_cmp_ne_u32_e32 vcc, 0, v5
	v_cmp_ne_u32_e64 s[0:1], 0, v3
	s_and_b64 s[0:1], vcc, s[0:1]
	v_lshrrev_b32_e32 v4, 23, v2
	v_cndmask_b32_e64 v3, 0, 1, s[0:1]
	v_add_u32_e32 v4, v4, v3
; %bb.919:
	s_or_b64 exec, exec, s[22:23]
	s_mov_b64 s[0:1], 0
	global_store_byte v[0:1], v4, off
.LBB158_920:
	s_mov_b64 s[22:23], 0
.LBB158_921:
	s_and_b64 vcc, exec, s[22:23]
	s_cbranch_vccz .LBB158_928
; %bb.922:
	s_cmp_eq_u32 s31, 29
	s_mov_b64 s[0:1], -1
	s_cbranch_scc0 .LBB158_928
; %bb.923:
	v_trunc_f32_e32 v3, v2
	v_mul_f32_e32 v4, 0x2f800000, v3
	v_floor_f32_e32 v5, v4
	v_fmac_f32_e32 v3, 0xcf800000, v5
	v_cvt_u32_f32_e32 v4, v5
	v_cvt_u32_f32_e32 v3, v3
	s_mov_b64 s[0:1], 0
	s_mov_b64 s[22:23], 0
	global_store_dwordx2 v[0:1], v[3:4], off
	s_branch .LBB158_929
.LBB158_924:
	s_or_b64 exec, exec, s[18:19]
	s_and_saveexec_b64 s[0:1], s[16:17]
	s_cbranch_execnz .LBB158_987
.LBB158_925:
	s_or_b64 exec, exec, s[0:1]
	s_and_saveexec_b64 s[0:1], s[24:25]
	s_xor_b64 s[0:1], exec, s[0:1]
	s_cbranch_execz .LBB158_988
.LBB158_926:
	s_waitcnt vmcnt(0)
	v_cmp_neq_f32_e32 vcc, 0, v2
	v_cndmask_b32_e64 v3, 0, 1, vcc
	global_store_byte v[0:1], v3, off
	s_or_b64 exec, exec, s[0:1]
	s_and_saveexec_b64 s[0:1], s[22:23]
	s_xor_b64 s[0:1], exec, s[0:1]
	s_cbranch_execz .LBB158_1026
	s_branch .LBB158_989
.LBB158_927:
	s_mov_b64 s[22:23], -1
	s_mov_b64 s[0:1], s[16:17]
	s_branch .LBB158_986
.LBB158_928:
	s_mov_b64 s[22:23], 0
.LBB158_929:
	s_and_b64 vcc, exec, s[22:23]
	s_cbranch_vccz .LBB158_944
; %bb.930:
	s_cmp_lt_i32 s31, 27
	s_mov_b64 s[22:23], -1
	s_cbranch_scc1 .LBB158_936
; %bb.931:
	v_cvt_u32_f32_e32 v3, v2
	s_cmp_gt_i32 s31, 27
	s_cbranch_scc0 .LBB158_933
; %bb.932:
	s_mov_b64 s[22:23], 0
	global_store_dword v[0:1], v3, off
.LBB158_933:
	s_andn2_b64 vcc, exec, s[22:23]
	s_cbranch_vccnz .LBB158_935
; %bb.934:
	global_store_short v[0:1], v3, off
.LBB158_935:
	s_mov_b64 s[22:23], 0
.LBB158_936:
	s_andn2_b64 vcc, exec, s[22:23]
	s_cbranch_vccnz .LBB158_944
; %bb.937:
	v_and_b32_e32 v3, 0x7fffffff, v2
	s_mov_b32 s22, 0x43800000
	v_cmp_gt_u32_e32 vcc, s22, v3
	v_mov_b32_e32 v4, 0x80
	s_and_saveexec_b64 s[22:23], vcc
	s_cbranch_execz .LBB158_943
; %bb.938:
	s_mov_b32 s24, 0x3bffffff
	v_cmp_lt_u32_e32 vcc, s24, v3
	s_mov_b64 s[24:25], 0
                                        ; implicit-def: $vgpr3
	s_and_saveexec_b64 s[26:27], vcc
	s_xor_b64 s[26:27], exec, s[26:27]
	s_cbranch_execz .LBB158_1041
; %bb.939:
	v_bfe_u32 v3, v2, 20, 1
	s_mov_b32 s28, 0x487ffff
	v_add3_u32 v3, v2, v3, s28
	s_mov_b64 s[24:25], exec
	v_lshrrev_b32_e32 v3, 20, v3
	s_andn2_saveexec_b64 s[26:27], s[26:27]
	s_cbranch_execnz .LBB158_1042
.LBB158_940:
	s_or_b64 exec, exec, s[26:27]
	v_mov_b32_e32 v4, 0
	s_and_saveexec_b64 s[26:27], s[24:25]
.LBB158_941:
	v_lshrrev_b32_e32 v4, 24, v2
	s_movk_i32 s24, 0x80
	v_and_or_b32 v4, v4, s24, v3
.LBB158_942:
	s_or_b64 exec, exec, s[26:27]
.LBB158_943:
	s_or_b64 exec, exec, s[22:23]
	global_store_byte v[0:1], v4, off
.LBB158_944:
	s_mov_b64 s[24:25], 0
.LBB158_945:
	s_mov_b64 s[22:23], 0
	s_and_b64 vcc, exec, s[24:25]
	s_cbranch_vccz .LBB158_985
; %bb.946:
	s_cmp_gt_i32 s31, 22
	s_mov_b64 s[24:25], -1
	s_cbranch_scc0 .LBB158_978
; %bb.947:
	s_cmp_lt_i32 s31, 24
	s_cbranch_scc1 .LBB158_967
; %bb.948:
	s_cmp_gt_i32 s31, 24
	s_cbranch_scc0 .LBB158_956
; %bb.949:
	v_and_b32_e32 v3, 0x7fffffff, v2
	s_mov_b32 s24, 0x47800000
	v_cmp_gt_u32_e32 vcc, s24, v3
	v_mov_b32_e32 v4, 0x80
	s_and_saveexec_b64 s[24:25], vcc
	s_cbranch_execz .LBB158_955
; %bb.950:
	s_mov_b32 s26, 0x37ffffff
	v_cmp_lt_u32_e32 vcc, s26, v3
	s_mov_b64 s[26:27], 0
                                        ; implicit-def: $vgpr3
	s_and_saveexec_b64 s[28:29], vcc
	s_xor_b64 s[28:29], exec, s[28:29]
	s_cbranch_execz .LBB158_1166
; %bb.951:
	v_bfe_u32 v3, v2, 21, 1
	s_mov_b32 s34, 0x88fffff
	v_add3_u32 v3, v2, v3, s34
	s_mov_b64 s[26:27], exec
	v_lshrrev_b32_e32 v3, 21, v3
	s_andn2_saveexec_b64 s[28:29], s[28:29]
	s_cbranch_execnz .LBB158_1167
.LBB158_952:
	s_or_b64 exec, exec, s[28:29]
	v_mov_b32_e32 v4, 0
	s_and_saveexec_b64 s[28:29], s[26:27]
.LBB158_953:
	v_lshrrev_b32_e32 v4, 24, v2
	s_movk_i32 s26, 0x80
	v_and_or_b32 v4, v4, s26, v3
.LBB158_954:
	s_or_b64 exec, exec, s[28:29]
.LBB158_955:
	s_or_b64 exec, exec, s[24:25]
	s_mov_b64 s[24:25], 0
	global_store_byte v[0:1], v4, off
.LBB158_956:
	s_and_b64 vcc, exec, s[24:25]
	s_cbranch_vccz .LBB158_966
; %bb.957:
	v_and_b32_e32 v4, 0x7fffffff, v2
	s_mov_b32 s24, 0x43f00000
	v_cmp_gt_u32_e32 vcc, s24, v4
                                        ; implicit-def: $vgpr3
	s_and_saveexec_b64 s[24:25], vcc
	s_xor_b64 s[24:25], exec, s[24:25]
	s_cbranch_execz .LBB158_963
; %bb.958:
	s_mov_b32 s26, 0x3c7fffff
	v_cmp_lt_u32_e32 vcc, s26, v4
                                        ; implicit-def: $vgpr3
	s_and_saveexec_b64 s[26:27], vcc
	s_xor_b64 s[26:27], exec, s[26:27]
; %bb.959:
	v_bfe_u32 v3, v2, 20, 1
	s_mov_b32 s28, 0x407ffff
	v_add3_u32 v3, v2, v3, s28
	v_lshrrev_b32_e32 v4, 20, v3
	v_and_b32_e32 v3, 0xff00000, v3
	s_mov_b32 s28, 0x7f00000
	v_mov_b32_e32 v5, 0x7e
	v_cmp_ne_u32_e32 vcc, s28, v3
	v_cndmask_b32_e32 v3, v5, v4, vcc
; %bb.960:
	s_andn2_saveexec_b64 s[26:27], s[26:27]
; %bb.961:
	s_mov_b32 s28, 0x46800000
	v_add_f32_e64 v3, |v2|, s28
; %bb.962:
	s_or_b64 exec, exec, s[26:27]
                                        ; implicit-def: $vgpr4
.LBB158_963:
	s_andn2_saveexec_b64 s[24:25], s[24:25]
; %bb.964:
	s_mov_b32 s26, 0x7f800000
	v_mov_b32_e32 v3, 0x7e
	v_mov_b32_e32 v5, 0x7f
	v_cmp_lt_u32_e32 vcc, s26, v4
	v_cndmask_b32_e32 v3, v3, v5, vcc
; %bb.965:
	s_or_b64 exec, exec, s[24:25]
	v_lshrrev_b32_e32 v4, 24, v2
	s_movk_i32 s24, 0x80
	v_and_or_b32 v3, v4, s24, v3
	global_store_byte v[0:1], v3, off
.LBB158_966:
	s_mov_b64 s[24:25], 0
.LBB158_967:
	s_andn2_b64 vcc, exec, s[24:25]
	s_cbranch_vccnz .LBB158_977
; %bb.968:
	v_and_b32_e32 v4, 0x7fffffff, v2
	s_mov_b32 s24, 0x47800000
	v_cmp_gt_u32_e32 vcc, s24, v4
                                        ; implicit-def: $vgpr3
	s_and_saveexec_b64 s[24:25], vcc
	s_xor_b64 s[24:25], exec, s[24:25]
	s_cbranch_execz .LBB158_974
; %bb.969:
	s_mov_b32 s26, 0x387fffff
	v_cmp_lt_u32_e32 vcc, s26, v4
                                        ; implicit-def: $vgpr3
	s_and_saveexec_b64 s[26:27], vcc
	s_xor_b64 s[26:27], exec, s[26:27]
; %bb.970:
	v_bfe_u32 v3, v2, 21, 1
	s_mov_b32 s28, 0x80fffff
	v_add3_u32 v3, v2, v3, s28
	v_lshrrev_b32_e32 v3, 21, v3
; %bb.971:
	s_andn2_saveexec_b64 s[26:27], s[26:27]
; %bb.972:
	s_mov_b32 s28, 0x43000000
	v_add_f32_e64 v3, |v2|, s28
; %bb.973:
	s_or_b64 exec, exec, s[26:27]
                                        ; implicit-def: $vgpr4
.LBB158_974:
	s_andn2_saveexec_b64 s[24:25], s[24:25]
; %bb.975:
	s_mov_b32 s26, 0x7f800000
	v_mov_b32_e32 v3, 0x7c
	v_mov_b32_e32 v5, 0x7f
	v_cmp_lt_u32_e32 vcc, s26, v4
	v_cndmask_b32_e32 v3, v3, v5, vcc
; %bb.976:
	s_or_b64 exec, exec, s[24:25]
	v_lshrrev_b32_e32 v4, 24, v2
	s_movk_i32 s24, 0x80
	v_and_or_b32 v3, v4, s24, v3
	global_store_byte v[0:1], v3, off
.LBB158_977:
	s_mov_b64 s[24:25], 0
.LBB158_978:
	s_andn2_b64 vcc, exec, s[24:25]
	s_mov_b64 s[24:25], 0
	s_cbranch_vccnz .LBB158_986
; %bb.979:
	s_cmp_gt_i32 s31, 14
	s_mov_b64 s[26:27], -1
	s_cbranch_scc0 .LBB158_983
; %bb.980:
	s_cmp_eq_u32 s31, 15
	s_mov_b64 s[0:1], -1
	s_cbranch_scc0 .LBB158_982
; %bb.981:
	v_bfe_u32 v3, v2, 16, 1
	s_movk_i32 s0, 0x7fff
	v_add3_u32 v3, v2, v3, s0
	v_cmp_o_f32_e32 vcc, v2, v2
	v_mov_b32_e32 v4, 0x7fc0
	v_cndmask_b32_sdwa v3, v4, v3, vcc dst_sel:DWORD dst_unused:UNUSED_PAD src0_sel:DWORD src1_sel:WORD_1
	global_store_short v[0:1], v3, off
	s_mov_b64 s[0:1], 0
.LBB158_982:
	s_mov_b64 s[26:27], 0
.LBB158_983:
	s_and_b64 vcc, exec, s[26:27]
	s_cbranch_vccz .LBB158_986
; %bb.984:
	s_cmp_lg_u32 s31, 11
	s_cselect_b64 s[26:27], -1, 0
	s_andn2_b64 s[0:1], s[0:1], exec
	s_and_b64 s[26:27], s[26:27], exec
	s_mov_b64 s[24:25], -1
	s_or_b64 s[0:1], s[0:1], s[26:27]
	s_branch .LBB158_986
.LBB158_985:
	s_mov_b64 s[24:25], 0
.LBB158_986:
	s_andn2_b64 s[16:17], s[16:17], exec
	s_and_b64 s[0:1], s[0:1], exec
	s_and_b64 s[22:23], s[22:23], exec
	;; [unrolled: 1-line block ×3, first 2 shown]
	s_or_b64 s[16:17], s[16:17], s[0:1]
	s_or_b64 exec, exec, s[18:19]
	s_and_saveexec_b64 s[0:1], s[16:17]
	s_cbranch_execz .LBB158_925
.LBB158_987:
	s_or_b64 s[20:21], s[20:21], exec
	s_andn2_b64 s[24:25], s[24:25], exec
	s_trap 2
	s_or_b64 exec, exec, s[0:1]
	s_and_saveexec_b64 s[0:1], s[24:25]
	s_xor_b64 s[0:1], exec, s[0:1]
	s_cbranch_execnz .LBB158_926
.LBB158_988:
	s_or_b64 exec, exec, s[0:1]
	s_and_saveexec_b64 s[0:1], s[22:23]
	s_xor_b64 s[0:1], exec, s[0:1]
	s_cbranch_execz .LBB158_1026
.LBB158_989:
	s_sext_i32_i16 s18, s30
	s_cmp_lt_i32 s18, 5
	s_mov_b64 s[16:17], -1
	s_cbranch_scc1 .LBB158_1010
; %bb.990:
	s_cmp_lt_i32 s18, 8
	s_cbranch_scc1 .LBB158_1000
; %bb.991:
	s_cmp_lt_i32 s18, 9
	s_cbranch_scc1 .LBB158_997
; %bb.992:
	s_cmp_gt_i32 s18, 9
	s_cbranch_scc0 .LBB158_994
; %bb.993:
	s_waitcnt vmcnt(0)
	v_cvt_f64_f32_e32 v[3:4], v2
	v_mov_b32_e32 v5, 0
	v_mov_b32_e32 v6, v5
	s_mov_b64 s[16:17], 0
	global_store_dwordx4 v[0:1], v[3:6], off
.LBB158_994:
	s_andn2_b64 vcc, exec, s[16:17]
	s_cbranch_vccnz .LBB158_996
; %bb.995:
	s_waitcnt vmcnt(0)
	v_mov_b32_e32 v3, 0
	global_store_dwordx2 v[0:1], v[2:3], off
.LBB158_996:
	s_mov_b64 s[16:17], 0
.LBB158_997:
	s_andn2_b64 vcc, exec, s[16:17]
	s_cbranch_vccnz .LBB158_999
; %bb.998:
	s_waitcnt vmcnt(0)
	v_cvt_f16_f32_e32 v3, v2
	global_store_dword v[0:1], v3, off
.LBB158_999:
	s_mov_b64 s[16:17], 0
.LBB158_1000:
	s_andn2_b64 vcc, exec, s[16:17]
	s_cbranch_vccnz .LBB158_1009
; %bb.1001:
	s_sext_i32_i16 s18, s30
	s_cmp_lt_i32 s18, 6
	s_mov_b64 s[16:17], -1
	s_cbranch_scc1 .LBB158_1007
; %bb.1002:
	s_cmp_gt_i32 s18, 6
	s_cbranch_scc0 .LBB158_1004
; %bb.1003:
	s_waitcnt vmcnt(0)
	v_cvt_f64_f32_e32 v[3:4], v2
	s_mov_b64 s[16:17], 0
	global_store_dwordx2 v[0:1], v[3:4], off
.LBB158_1004:
	s_andn2_b64 vcc, exec, s[16:17]
	s_cbranch_vccnz .LBB158_1006
; %bb.1005:
	s_waitcnt vmcnt(0)
	global_store_dword v[0:1], v2, off
.LBB158_1006:
	s_mov_b64 s[16:17], 0
.LBB158_1007:
	s_andn2_b64 vcc, exec, s[16:17]
	s_cbranch_vccnz .LBB158_1009
; %bb.1008:
	s_waitcnt vmcnt(0)
	v_cvt_f16_f32_e32 v3, v2
	global_store_short v[0:1], v3, off
.LBB158_1009:
	s_mov_b64 s[16:17], 0
.LBB158_1010:
	s_andn2_b64 vcc, exec, s[16:17]
	s_cbranch_vccnz .LBB158_1026
; %bb.1011:
	s_sext_i32_i16 s18, s30
	s_cmp_lt_i32 s18, 2
	s_mov_b64 s[16:17], -1
	s_cbranch_scc1 .LBB158_1021
; %bb.1012:
	s_cmp_lt_i32 s18, 3
	s_cbranch_scc1 .LBB158_1018
; %bb.1013:
	s_cmp_gt_i32 s18, 3
	s_cbranch_scc0 .LBB158_1015
; %bb.1014:
	s_waitcnt vmcnt(0)
	v_trunc_f32_e32 v3, v2
	s_mov_b32 s16, 0x2f800000
	v_mul_f32_e64 v4, |v3|, s16
	v_floor_f32_e32 v4, v4
	s_mov_b32 s16, 0xcf800000
	v_cvt_u32_f32_e32 v5, v4
	v_fma_f32 v4, v4, s16, |v3|
	v_cvt_u32_f32_e32 v4, v4
	v_ashrrev_i32_e32 v6, 31, v3
	v_xor_b32_e32 v5, v5, v6
	s_mov_b64 s[16:17], 0
	v_xor_b32_e32 v3, v4, v6
	v_sub_co_u32_e32 v3, vcc, v3, v6
	v_subb_co_u32_e32 v4, vcc, v5, v6, vcc
	global_store_dwordx2 v[0:1], v[3:4], off
.LBB158_1015:
	s_andn2_b64 vcc, exec, s[16:17]
	s_cbranch_vccnz .LBB158_1017
; %bb.1016:
	s_waitcnt vmcnt(0)
	v_cvt_i32_f32_e32 v3, v2
	global_store_dword v[0:1], v3, off
.LBB158_1017:
	s_mov_b64 s[16:17], 0
.LBB158_1018:
	s_andn2_b64 vcc, exec, s[16:17]
	s_cbranch_vccnz .LBB158_1020
; %bb.1019:
	s_waitcnt vmcnt(0)
	v_cvt_i32_f32_e32 v3, v2
	global_store_short v[0:1], v3, off
.LBB158_1020:
	s_mov_b64 s[16:17], 0
.LBB158_1021:
	s_andn2_b64 vcc, exec, s[16:17]
	s_cbranch_vccnz .LBB158_1026
; %bb.1022:
	s_sext_i32_i16 s16, s30
	s_cmp_gt_i32 s16, 0
	s_mov_b64 s[16:17], -1
	s_cbranch_scc0 .LBB158_1024
; %bb.1023:
	s_waitcnt vmcnt(0)
	v_cvt_i32_f32_e32 v3, v2
	s_mov_b64 s[16:17], 0
	global_store_byte v[0:1], v3, off
.LBB158_1024:
	s_andn2_b64 vcc, exec, s[16:17]
	s_cbranch_vccnz .LBB158_1026
; %bb.1025:
	s_waitcnt vmcnt(0)
	v_trunc_f32_e32 v2, v2
	s_mov_b32 s16, 0x2f800000
	v_mul_f32_e64 v3, |v2|, s16
	v_floor_f32_e32 v3, v3
	s_mov_b32 s16, 0xcf800000
	v_fma_f32 v3, v3, s16, |v2|
	v_cvt_u32_f32_e32 v3, v3
	v_ashrrev_i32_e32 v2, 31, v2
	v_xor_b32_e32 v3, v3, v2
	v_sub_u32_e32 v2, v3, v2
	global_store_byte v[0:1], v2, off
.LBB158_1026:
	s_or_b64 exec, exec, s[0:1]
	s_and_b64 s[16:17], s[20:21], exec
                                        ; implicit-def: $vgpr4
.LBB158_1027:
	s_or_saveexec_b64 s[6:7], s[6:7]
	s_mov_b64 s[0:1], 0
                                        ; implicit-def: $sgpr24
                                        ; implicit-def: $vgpr0_vgpr1
                                        ; implicit-def: $vgpr2
	s_xor_b64 exec, exec, s[6:7]
	s_cbranch_execz .LBB158_1975
; %bb.1028:
	s_waitcnt vmcnt(0)
	v_mul_lo_u32 v3, s13, v4
	v_mov_b32_e32 v1, s11
	s_and_b32 s26, 0xffff, s33
	s_cmp_lt_i32 s26, 11
	v_ashrrev_i32_e32 v2, 31, v3
	v_add_co_u32_e32 v0, vcc, s10, v3
	v_addc_co_u32_e32 v1, vcc, v1, v2, vcc
	s_cbranch_scc1 .LBB158_1035
; %bb.1029:
	s_cmp_gt_i32 s26, 25
	s_cbranch_scc0 .LBB158_1037
; %bb.1030:
	s_cmp_gt_i32 s26, 28
	s_cbranch_scc0 .LBB158_1038
	;; [unrolled: 3-line block ×4, first 2 shown]
; %bb.1033:
	s_cmp_eq_u32 s26, 46
	s_mov_b64 s[18:19], 0
	s_cbranch_scc0 .LBB158_1043
; %bb.1034:
	global_load_dword v2, v[0:1], off
	s_mov_b64 s[20:21], -1
	s_waitcnt vmcnt(0)
	v_lshlrev_b32_e32 v2, 16, v2
	s_branch .LBB158_1044
.LBB158_1035:
	s_mov_b64 s[20:21], 0
                                        ; implicit-def: $vgpr2
	s_mov_b64 s[18:19], s[16:17]
	s_cbranch_execnz .LBB158_1107
.LBB158_1036:
	s_andn2_b64 vcc, exec, s[20:21]
	s_cbranch_vccz .LBB158_1152
	s_branch .LBB158_1973
.LBB158_1037:
	s_mov_b64 s[20:21], 0
                                        ; implicit-def: $vgpr2
	s_cbranch_execnz .LBB158_1072
	s_branch .LBB158_1103
.LBB158_1038:
	s_mov_b64 s[18:19], -1
	s_mov_b64 s[20:21], 0
                                        ; implicit-def: $vgpr2
	s_branch .LBB158_1053
.LBB158_1039:
	s_mov_b64 s[20:21], 0
                                        ; implicit-def: $vgpr2
	s_cbranch_execnz .LBB158_1049
	s_branch .LBB158_1052
.LBB158_1040:
	s_mov_b64 s[18:19], -1
	s_mov_b64 s[20:21], 0
                                        ; implicit-def: $vgpr2
	s_branch .LBB158_1044
.LBB158_1041:
	s_andn2_saveexec_b64 s[26:27], s[26:27]
	s_cbranch_execz .LBB158_940
.LBB158_1042:
	s_mov_b32 s28, 0x46000000
	v_add_f32_e64 v3, |v2|, s28
	v_and_b32_e32 v3, 0xff, v3
	v_cmp_ne_u32_e32 vcc, 0, v3
	s_andn2_b64 s[24:25], s[24:25], exec
	s_and_b64 s[28:29], vcc, exec
	s_or_b64 s[24:25], s[24:25], s[28:29]
	s_or_b64 exec, exec, s[26:27]
	v_mov_b32_e32 v4, 0
	s_and_saveexec_b64 s[26:27], s[24:25]
	s_cbranch_execnz .LBB158_941
	s_branch .LBB158_942
.LBB158_1043:
	s_mov_b64 s[0:1], -1
                                        ; implicit-def: $vgpr2
	s_mov_b64 s[20:21], 0
.LBB158_1044:
	s_and_b64 vcc, exec, s[18:19]
	s_cbranch_vccz .LBB158_1047
; %bb.1045:
	s_cmp_eq_u32 s26, 44
	s_cbranch_scc0 .LBB158_1048
; %bb.1046:
	global_load_ubyte v2, v[0:1], off
	s_movk_i32 s18, 0xff
	v_mov_b32_e32 v5, 0x7f800001
	v_mov_b32_e32 v6, 0x400000
	s_mov_b64 s[0:1], 0
	s_mov_b64 s[20:21], -1
	s_waitcnt vmcnt(0)
	v_lshlrev_b32_e32 v7, 23, v2
	v_cmp_ne_u32_e32 vcc, s18, v2
	v_cndmask_b32_e32 v5, v5, v7, vcc
	v_cmp_ne_u32_e32 vcc, 0, v2
	v_cndmask_b32_e32 v2, v6, v5, vcc
.LBB158_1047:
	s_branch .LBB158_1052
.LBB158_1048:
	s_mov_b64 s[0:1], -1
                                        ; implicit-def: $vgpr2
	s_branch .LBB158_1052
.LBB158_1049:
	s_cmp_eq_u32 s26, 29
	s_cbranch_scc0 .LBB158_1051
; %bb.1050:
	global_load_dwordx2 v[5:6], v[0:1], off
	s_mov_b64 s[0:1], 0
	s_mov_b64 s[20:21], -1
	s_mov_b64 s[18:19], 0
	s_waitcnt vmcnt(0)
	v_ffbh_u32_e32 v2, v6
	v_min_u32_e32 v2, 32, v2
	v_lshlrev_b64 v[5:6], v2, v[5:6]
	v_sub_u32_e32 v2, 32, v2
	v_min_u32_e32 v5, 1, v5
	v_or_b32_e32 v5, v6, v5
	v_cvt_f32_u32_e32 v5, v5
	v_ldexp_f32 v2, v5, v2
	s_branch .LBB158_1053
.LBB158_1051:
	s_mov_b64 s[0:1], -1
                                        ; implicit-def: $vgpr2
.LBB158_1052:
	s_mov_b64 s[18:19], 0
.LBB158_1053:
	s_and_b64 vcc, exec, s[18:19]
	s_cbranch_vccz .LBB158_1071
; %bb.1054:
	s_cmp_lt_i32 s26, 27
	s_cbranch_scc1 .LBB158_1057
; %bb.1055:
	s_cmp_gt_i32 s26, 27
	s_cbranch_scc0 .LBB158_1058
; %bb.1056:
	global_load_dword v2, v[0:1], off
	s_mov_b64 s[18:19], 0
	s_waitcnt vmcnt(0)
	v_cvt_f32_u32_e32 v2, v2
	s_branch .LBB158_1059
.LBB158_1057:
	s_mov_b64 s[18:19], -1
                                        ; implicit-def: $vgpr2
	s_branch .LBB158_1062
.LBB158_1058:
	s_mov_b64 s[18:19], -1
                                        ; implicit-def: $vgpr2
.LBB158_1059:
	s_andn2_b64 vcc, exec, s[18:19]
	s_cbranch_vccnz .LBB158_1061
; %bb.1060:
	global_load_ushort v2, v[0:1], off
	s_waitcnt vmcnt(0)
	v_cvt_f32_u32_e32 v2, v2
.LBB158_1061:
	s_mov_b64 s[18:19], 0
.LBB158_1062:
	s_andn2_b64 vcc, exec, s[18:19]
	s_cbranch_vccnz .LBB158_1070
; %bb.1063:
	global_load_ubyte v5, v[0:1], off
	s_movk_i32 s18, 0x7f
	s_waitcnt vmcnt(0)
	v_cmp_lt_i16_e32 vcc, s18, v5
	s_mov_b64 s[18:19], 0
	s_and_saveexec_b64 s[20:21], vcc
	s_xor_b64 s[20:21], exec, s[20:21]
	s_cbranch_execz .LBB158_1083
; %bb.1064:
	s_movk_i32 s18, 0x80
	v_cmp_eq_u16_e32 vcc, s18, v5
	s_mov_b64 s[18:19], -1
	s_and_saveexec_b64 s[22:23], vcc
; %bb.1065:
	s_xor_b64 s[18:19], exec, -1
; %bb.1066:
	s_or_b64 exec, exec, s[22:23]
	s_and_b64 s[18:19], s[18:19], exec
	s_or_saveexec_b64 s[20:21], s[20:21]
	v_mov_b32_e32 v2, 0x7f800001
	s_xor_b64 exec, exec, s[20:21]
	s_cbranch_execnz .LBB158_1084
.LBB158_1067:
	s_or_b64 exec, exec, s[20:21]
	s_and_saveexec_b64 s[20:21], s[18:19]
	s_cbranch_execz .LBB158_1069
.LBB158_1068:
	v_lshlrev_b32_e32 v2, 24, v5
	v_and_b32_e32 v5, 0xffff, v5
	v_and_b32_e32 v6, 7, v5
	v_ffbh_u32_e32 v8, v6
	v_min_u32_e32 v8, 32, v8
	v_subrev_u32_e32 v9, 28, v8
	v_bfe_u32 v7, v5, 3, 4
	v_lshlrev_b32_e32 v5, v9, v5
	v_sub_u32_e32 v8, 29, v8
	v_and_b32_e32 v5, 7, v5
	v_cmp_eq_u32_e32 vcc, 0, v7
	v_cndmask_b32_e32 v7, v7, v8, vcc
	v_cndmask_b32_e32 v5, v6, v5, vcc
	v_mov_b32_e32 v6, 0x3b800000
	v_lshlrev_b32_e32 v5, 20, v5
	v_and_b32_e32 v2, 0x80000000, v2
	v_lshl_add_u32 v6, v7, 23, v6
	v_or3_b32 v2, v2, v6, v5
.LBB158_1069:
	s_or_b64 exec, exec, s[20:21]
.LBB158_1070:
	s_mov_b64 s[20:21], -1
.LBB158_1071:
	s_branch .LBB158_1103
.LBB158_1072:
	s_cmp_gt_i32 s26, 22
	s_cbranch_scc0 .LBB158_1082
; %bb.1073:
	s_cmp_lt_i32 s26, 24
	s_cbranch_scc1 .LBB158_1085
; %bb.1074:
	s_cmp_gt_i32 s26, 24
	s_cbranch_scc0 .LBB158_1086
; %bb.1075:
	global_load_ubyte v5, v[0:1], off
	s_movk_i32 s4, 0x7f
	s_waitcnt vmcnt(0)
	v_cmp_lt_i16_e32 vcc, s4, v5
	s_mov_b64 s[4:5], 0
	s_and_saveexec_b64 s[18:19], vcc
	s_xor_b64 s[18:19], exec, s[18:19]
	s_cbranch_execz .LBB158_1097
; %bb.1076:
	s_movk_i32 s4, 0x80
	v_cmp_eq_u16_e32 vcc, s4, v5
	s_mov_b64 s[4:5], -1
	s_and_saveexec_b64 s[20:21], vcc
; %bb.1077:
	s_xor_b64 s[4:5], exec, -1
; %bb.1078:
	s_or_b64 exec, exec, s[20:21]
	s_and_b64 s[4:5], s[4:5], exec
	s_or_saveexec_b64 s[18:19], s[18:19]
	v_mov_b32_e32 v2, 0x7f800001
	s_xor_b64 exec, exec, s[18:19]
	s_cbranch_execnz .LBB158_1098
.LBB158_1079:
	s_or_b64 exec, exec, s[18:19]
	s_and_saveexec_b64 s[18:19], s[4:5]
	s_cbranch_execz .LBB158_1081
.LBB158_1080:
	v_lshlrev_b32_e32 v2, 24, v5
	v_and_b32_e32 v5, 0xffff, v5
	v_and_b32_e32 v6, 3, v5
	v_ffbh_u32_e32 v8, v6
	v_min_u32_e32 v8, 32, v8
	v_subrev_u32_e32 v9, 29, v8
	v_bfe_u32 v7, v5, 2, 5
	v_lshlrev_b32_e32 v5, v9, v5
	v_sub_u32_e32 v8, 30, v8
	v_and_b32_e32 v5, 3, v5
	v_cmp_eq_u32_e32 vcc, 0, v7
	v_cndmask_b32_e32 v7, v7, v8, vcc
	v_cndmask_b32_e32 v5, v6, v5, vcc
	v_mov_b32_e32 v6, 0x37800000
	v_lshlrev_b32_e32 v5, 21, v5
	v_and_b32_e32 v2, 0x80000000, v2
	v_lshl_add_u32 v6, v7, 23, v6
	v_or3_b32 v2, v2, v6, v5
.LBB158_1081:
	s_or_b64 exec, exec, s[18:19]
	s_mov_b64 s[4:5], 0
	s_branch .LBB158_1087
.LBB158_1082:
                                        ; implicit-def: $vgpr2
	s_mov_b64 s[4:5], 0
	s_branch .LBB158_1093
.LBB158_1083:
	s_or_saveexec_b64 s[20:21], s[20:21]
	v_mov_b32_e32 v2, 0x7f800001
	s_xor_b64 exec, exec, s[20:21]
	s_cbranch_execz .LBB158_1067
.LBB158_1084:
	v_cmp_ne_u16_e32 vcc, 0, v5
	s_andn2_b64 s[18:19], s[18:19], exec
	s_and_b64 s[22:23], vcc, exec
	v_mov_b32_e32 v2, 0
	s_or_b64 s[18:19], s[18:19], s[22:23]
	s_or_b64 exec, exec, s[20:21]
	s_and_saveexec_b64 s[20:21], s[18:19]
	s_cbranch_execnz .LBB158_1068
	s_branch .LBB158_1069
.LBB158_1085:
	s_mov_b64 s[4:5], -1
                                        ; implicit-def: $vgpr2
	s_branch .LBB158_1090
.LBB158_1086:
	s_mov_b64 s[4:5], -1
                                        ; implicit-def: $vgpr2
.LBB158_1087:
	s_and_b64 vcc, exec, s[4:5]
	s_cbranch_vccz .LBB158_1089
; %bb.1088:
	global_load_ubyte v2, v[0:1], off
	s_mov_b32 s4, 0x7f800000
	s_waitcnt vmcnt(0)
	v_lshlrev_b32_e32 v2, 24, v2
	v_and_b32_e32 v5, 0x7f000000, v2
	v_ffbh_u32_e32 v6, v5
	v_min_u32_e32 v6, 32, v6
	v_sub_u32_e64 v6, v6, 4 clamp
	v_lshlrev_b32_e32 v8, v6, v5
	v_lshlrev_b32_e32 v6, 23, v6
	v_lshrrev_b32_e32 v8, 4, v8
	v_add_u32_e32 v7, 0x1000000, v5
	v_sub_u32_e32 v6, v8, v6
	v_ashrrev_i32_e32 v7, 8, v7
	v_add_u32_e32 v6, 0x3c000000, v6
	v_and_or_b32 v6, v7, s4, v6
	v_cmp_ne_u32_e32 vcc, 0, v5
	v_cndmask_b32_e32 v5, 0, v6, vcc
	s_brev_b32 s4, 1
	v_and_or_b32 v2, v2, s4, v5
.LBB158_1089:
	s_mov_b64 s[4:5], 0
.LBB158_1090:
	s_andn2_b64 vcc, exec, s[4:5]
	s_cbranch_vccnz .LBB158_1092
; %bb.1091:
	global_load_ubyte v2, v[0:1], off
	s_movk_i32 s4, 0x7f00
	s_brev_b32 s5, 16
	s_waitcnt vmcnt(0)
	v_lshlrev_b16_e32 v5, 8, v2
	v_lshlrev_b32_e32 v2, 25, v2
	v_lshrrev_b32_e32 v6, 4, v2
	v_and_or_b32 v7, v5, s4, 0.5
	v_or_b32_e32 v6, 0x70000000, v6
	v_add_f32_e32 v7, -0.5, v7
	v_mul_f32_e32 v6, 0x7800000, v6
	v_cmp_gt_u32_e32 vcc, s5, v2
	v_bfe_i32 v5, v5, 0, 16
	v_cndmask_b32_e32 v2, v6, v7, vcc
	s_brev_b32 s4, 1
	v_and_or_b32 v2, v5, s4, v2
.LBB158_1092:
	s_mov_b64 s[20:21], -1
	s_mov_b64 s[4:5], 0
	s_cbranch_execnz .LBB158_1103
.LBB158_1093:
	s_cmp_gt_i32 s26, 14
	s_cbranch_scc0 .LBB158_1096
; %bb.1094:
	s_cmp_eq_u32 s26, 15
	s_cbranch_scc0 .LBB158_1099
; %bb.1095:
	global_load_ushort v2, v[0:1], off
	s_mov_b64 s[0:1], 0
	s_mov_b64 s[20:21], -1
	s_waitcnt vmcnt(0)
	v_lshlrev_b32_e32 v2, 16, v2
	s_branch .LBB158_1100
.LBB158_1096:
	s_mov_b64 s[18:19], -1
                                        ; implicit-def: $vgpr2
	s_branch .LBB158_1101
.LBB158_1097:
	s_or_saveexec_b64 s[18:19], s[18:19]
	v_mov_b32_e32 v2, 0x7f800001
	s_xor_b64 exec, exec, s[18:19]
	s_cbranch_execz .LBB158_1079
.LBB158_1098:
	v_cmp_ne_u16_e32 vcc, 0, v5
	s_andn2_b64 s[4:5], s[4:5], exec
	s_and_b64 s[20:21], vcc, exec
	v_mov_b32_e32 v2, 0
	s_or_b64 s[4:5], s[4:5], s[20:21]
	s_or_b64 exec, exec, s[18:19]
	s_and_saveexec_b64 s[18:19], s[4:5]
	s_cbranch_execnz .LBB158_1080
	s_branch .LBB158_1081
.LBB158_1099:
	s_mov_b64 s[0:1], -1
                                        ; implicit-def: $vgpr2
.LBB158_1100:
	s_mov_b64 s[18:19], 0
.LBB158_1101:
	s_and_b64 vcc, exec, s[18:19]
	s_cbranch_vccz .LBB158_1103
; %bb.1102:
	s_cmp_lg_u32 s26, 11
	s_mov_b64 s[4:5], -1
	s_cselect_b64 s[0:1], -1, 0
.LBB158_1103:
	s_and_b64 vcc, exec, s[0:1]
	s_mov_b64 s[18:19], s[16:17]
	s_cbranch_vccnz .LBB158_1164
; %bb.1104:
	s_andn2_b64 vcc, exec, s[4:5]
	s_cbranch_vccnz .LBB158_1106
.LBB158_1105:
	global_load_ubyte v2, v[0:1], off
	s_mov_b64 s[20:21], -1
	s_waitcnt vmcnt(0)
	v_cmp_ne_u16_e32 vcc, 0, v2
	v_cndmask_b32_e64 v2, 0, 1.0, vcc
.LBB158_1106:
	s_branch .LBB158_1036
.LBB158_1107:
	s_cmp_lt_i32 s26, 5
	s_cbranch_scc1 .LBB158_1112
; %bb.1108:
	s_cmp_lt_i32 s26, 8
	s_cbranch_scc1 .LBB158_1113
; %bb.1109:
	;; [unrolled: 3-line block ×3, first 2 shown]
	s_cmp_gt_i32 s26, 9
	s_cbranch_scc0 .LBB158_1115
; %bb.1111:
	global_load_dwordx2 v[5:6], v[0:1], off
	s_mov_b64 s[0:1], 0
	s_waitcnt vmcnt(0)
	v_cvt_f32_f64_e32 v2, v[5:6]
	s_branch .LBB158_1116
.LBB158_1112:
                                        ; implicit-def: $vgpr2
	s_branch .LBB158_1133
.LBB158_1113:
                                        ; implicit-def: $vgpr2
	s_branch .LBB158_1122
.LBB158_1114:
	s_mov_b64 s[0:1], -1
                                        ; implicit-def: $vgpr2
	s_branch .LBB158_1119
.LBB158_1115:
	s_mov_b64 s[0:1], -1
                                        ; implicit-def: $vgpr2
.LBB158_1116:
	s_andn2_b64 vcc, exec, s[0:1]
	s_cbranch_vccnz .LBB158_1118
; %bb.1117:
	global_load_dword v2, v[0:1], off
.LBB158_1118:
	s_mov_b64 s[0:1], 0
.LBB158_1119:
	s_andn2_b64 vcc, exec, s[0:1]
	s_cbranch_vccnz .LBB158_1121
; %bb.1120:
	global_load_dword v2, v[0:1], off
	s_waitcnt vmcnt(0)
	v_cvt_f32_f16_e32 v2, v2
.LBB158_1121:
	s_cbranch_execnz .LBB158_1132
.LBB158_1122:
	s_cmp_lt_i32 s26, 6
	s_cbranch_scc1 .LBB158_1125
; %bb.1123:
	s_cmp_gt_i32 s26, 6
	s_cbranch_scc0 .LBB158_1126
; %bb.1124:
	global_load_dwordx2 v[5:6], v[0:1], off
	s_mov_b64 s[0:1], 0
	s_waitcnt vmcnt(0)
	v_cvt_f32_f64_e32 v2, v[5:6]
	s_branch .LBB158_1127
.LBB158_1125:
	s_mov_b64 s[0:1], -1
                                        ; implicit-def: $vgpr2
	s_branch .LBB158_1130
.LBB158_1126:
	s_mov_b64 s[0:1], -1
                                        ; implicit-def: $vgpr2
.LBB158_1127:
	s_andn2_b64 vcc, exec, s[0:1]
	s_cbranch_vccnz .LBB158_1129
; %bb.1128:
	global_load_dword v2, v[0:1], off
.LBB158_1129:
	s_mov_b64 s[0:1], 0
.LBB158_1130:
	s_andn2_b64 vcc, exec, s[0:1]
	s_cbranch_vccnz .LBB158_1132
; %bb.1131:
	global_load_ushort v2, v[0:1], off
	s_waitcnt vmcnt(0)
	v_cvt_f32_f16_e32 v2, v2
.LBB158_1132:
	s_cbranch_execnz .LBB158_1151
.LBB158_1133:
	s_cmp_lt_i32 s26, 2
	s_cbranch_scc1 .LBB158_1137
; %bb.1134:
	s_cmp_lt_i32 s26, 3
	s_cbranch_scc1 .LBB158_1138
; %bb.1135:
	s_cmp_gt_i32 s26, 3
	s_cbranch_scc0 .LBB158_1139
; %bb.1136:
	global_load_dwordx2 v[5:6], v[0:1], off
	s_mov_b64 s[0:1], 0
	s_waitcnt vmcnt(0)
	v_xor_b32_e32 v7, v5, v6
	v_ffbh_i32_e32 v2, v6
	v_ashrrev_i32_e32 v7, 31, v7
	v_add_u32_e32 v2, -1, v2
	v_add_u32_e32 v7, 32, v7
	v_min_u32_e32 v2, v2, v7
	v_lshlrev_b64 v[5:6], v2, v[5:6]
	v_sub_u32_e32 v2, 32, v2
	v_min_u32_e32 v5, 1, v5
	v_or_b32_e32 v5, v6, v5
	v_cvt_f32_i32_e32 v5, v5
	v_ldexp_f32 v2, v5, v2
	s_branch .LBB158_1140
.LBB158_1137:
                                        ; implicit-def: $vgpr2
	s_branch .LBB158_1146
.LBB158_1138:
	s_mov_b64 s[0:1], -1
                                        ; implicit-def: $vgpr2
	s_branch .LBB158_1143
.LBB158_1139:
	s_mov_b64 s[0:1], -1
                                        ; implicit-def: $vgpr2
.LBB158_1140:
	s_andn2_b64 vcc, exec, s[0:1]
	s_cbranch_vccnz .LBB158_1142
; %bb.1141:
	global_load_dword v2, v[0:1], off
	s_waitcnt vmcnt(0)
	v_cvt_f32_i32_e32 v2, v2
.LBB158_1142:
	s_mov_b64 s[0:1], 0
.LBB158_1143:
	s_andn2_b64 vcc, exec, s[0:1]
	s_cbranch_vccnz .LBB158_1145
; %bb.1144:
	global_load_sshort v2, v[0:1], off
	s_waitcnt vmcnt(0)
	v_cvt_f32_i32_e32 v2, v2
.LBB158_1145:
	s_cbranch_execnz .LBB158_1151
.LBB158_1146:
	s_cmp_gt_i32 s26, 0
	s_cbranch_scc0 .LBB158_1148
; %bb.1147:
	global_load_sbyte v2, v[0:1], off
	s_mov_b64 s[0:1], 0
	s_waitcnt vmcnt(0)
	v_cvt_f32_i32_e32 v2, v2
	s_branch .LBB158_1149
.LBB158_1148:
	s_mov_b64 s[0:1], -1
                                        ; implicit-def: $vgpr2
.LBB158_1149:
	s_andn2_b64 vcc, exec, s[0:1]
	s_cbranch_vccnz .LBB158_1151
; %bb.1150:
	global_load_ubyte v0, v[0:1], off
	s_waitcnt vmcnt(0)
	v_cvt_f32_ubyte0_e32 v2, v0
.LBB158_1151:
.LBB158_1152:
	s_lshl_b32 s13, s13, 7
	v_add_u32_e32 v3, s13, v3
	v_ashrrev_i32_e32 v1, 31, v3
	v_mov_b32_e32 v5, s11
	v_add_co_u32_e32 v0, vcc, s10, v3
	s_cmp_lt_i32 s26, 11
	v_addc_co_u32_e32 v1, vcc, v5, v1, vcc
	s_cbranch_scc1 .LBB158_1159
; %bb.1153:
	s_cmp_gt_i32 s26, 25
	s_mov_b64 s[4:5], 0
	s_cbranch_scc0 .LBB158_1161
; %bb.1154:
	s_cmp_gt_i32 s26, 28
	s_cbranch_scc0 .LBB158_1162
; %bb.1155:
	s_cmp_gt_i32 s26, 43
	;; [unrolled: 3-line block ×3, first 2 shown]
	s_cbranch_scc0 .LBB158_1165
; %bb.1157:
	s_cmp_eq_u32 s26, 46
	s_mov_b64 s[22:23], 0
	s_cbranch_scc0 .LBB158_1168
; %bb.1158:
	global_load_dword v5, v[0:1], off
	s_mov_b64 s[0:1], 0
	s_mov_b64 s[20:21], -1
	s_waitcnt vmcnt(0)
	v_lshlrev_b32_e32 v5, 16, v5
	s_branch .LBB158_1169
.LBB158_1159:
	s_mov_b64 s[20:21], 0
                                        ; implicit-def: $vgpr5
	s_cbranch_execnz .LBB158_1234
.LBB158_1160:
	s_andn2_b64 vcc, exec, s[20:21]
	s_cbranch_vccnz .LBB158_1973
	s_branch .LBB158_1281
.LBB158_1161:
	s_mov_b64 s[20:21], 0
	s_mov_b64 s[0:1], 0
                                        ; implicit-def: $vgpr5
	s_cbranch_execnz .LBB158_1198
	s_branch .LBB158_1230
.LBB158_1162:
	s_mov_b64 s[22:23], -1
	s_mov_b64 s[20:21], 0
	s_mov_b64 s[0:1], 0
                                        ; implicit-def: $vgpr5
	s_branch .LBB158_1179
.LBB158_1163:
	s_mov_b64 s[22:23], -1
	s_mov_b64 s[20:21], 0
	s_mov_b64 s[0:1], 0
                                        ; implicit-def: $vgpr5
	s_branch .LBB158_1174
.LBB158_1164:
	s_or_b64 s[18:19], s[16:17], exec
	s_trap 2
	s_cbranch_execz .LBB158_1105
	s_branch .LBB158_1106
.LBB158_1165:
	s_mov_b64 s[22:23], -1
	s_mov_b64 s[20:21], 0
	s_mov_b64 s[0:1], 0
                                        ; implicit-def: $vgpr5
	s_branch .LBB158_1169
.LBB158_1166:
	s_andn2_saveexec_b64 s[28:29], s[28:29]
	s_cbranch_execz .LBB158_952
.LBB158_1167:
	s_mov_b32 s34, 0x42800000
	v_add_f32_e64 v3, |v2|, s34
	v_and_b32_e32 v3, 0xff, v3
	v_cmp_ne_u32_e32 vcc, 0, v3
	s_andn2_b64 s[26:27], s[26:27], exec
	s_and_b64 s[34:35], vcc, exec
	s_or_b64 s[26:27], s[26:27], s[34:35]
	s_or_b64 exec, exec, s[28:29]
	v_mov_b32_e32 v4, 0
	s_and_saveexec_b64 s[28:29], s[26:27]
	s_cbranch_execnz .LBB158_953
	s_branch .LBB158_954
.LBB158_1168:
	s_mov_b64 s[0:1], -1
                                        ; implicit-def: $vgpr5
	s_mov_b64 s[20:21], 0
.LBB158_1169:
	s_and_b64 vcc, exec, s[22:23]
	s_cbranch_vccz .LBB158_1173
; %bb.1170:
	s_cmp_eq_u32 s26, 44
	s_cbranch_scc0 .LBB158_1172
; %bb.1171:
	global_load_ubyte v5, v[0:1], off
	s_movk_i32 s20, 0xff
	v_mov_b32_e32 v6, 0x7f800001
	v_mov_b32_e32 v7, 0x400000
	s_mov_b64 s[0:1], 0
	s_waitcnt vmcnt(0)
	v_lshlrev_b32_e32 v8, 23, v5
	v_cmp_ne_u32_e32 vcc, s20, v5
	v_cndmask_b32_e32 v6, v6, v8, vcc
	v_cmp_ne_u32_e32 vcc, 0, v5
	v_cndmask_b32_e32 v5, v7, v6, vcc
	s_mov_b64 s[20:21], -1
	s_branch .LBB158_1173
.LBB158_1172:
	s_mov_b64 s[0:1], -1
                                        ; implicit-def: $vgpr5
.LBB158_1173:
	s_mov_b64 s[22:23], 0
.LBB158_1174:
	s_and_b64 vcc, exec, s[22:23]
	s_cbranch_vccz .LBB158_1178
; %bb.1175:
	s_cmp_eq_u32 s26, 29
	s_cbranch_scc0 .LBB158_1177
; %bb.1176:
	global_load_dwordx2 v[5:6], v[0:1], off
	s_mov_b64 s[0:1], 0
	s_mov_b64 s[20:21], -1
	s_mov_b64 s[22:23], 0
	s_waitcnt vmcnt(0)
	v_ffbh_u32_e32 v7, v6
	v_min_u32_e32 v7, 32, v7
	v_lshlrev_b64 v[5:6], v7, v[5:6]
	v_min_u32_e32 v5, 1, v5
	v_or_b32_e32 v5, v6, v5
	v_cvt_f32_u32_e32 v5, v5
	v_sub_u32_e32 v6, 32, v7
	v_ldexp_f32 v5, v5, v6
	s_branch .LBB158_1179
.LBB158_1177:
	s_mov_b64 s[0:1], -1
                                        ; implicit-def: $vgpr5
.LBB158_1178:
	s_mov_b64 s[22:23], 0
.LBB158_1179:
	s_and_b64 vcc, exec, s[22:23]
	s_cbranch_vccz .LBB158_1197
; %bb.1180:
	s_cmp_lt_i32 s26, 27
	s_cbranch_scc1 .LBB158_1183
; %bb.1181:
	s_cmp_gt_i32 s26, 27
	s_cbranch_scc0 .LBB158_1184
; %bb.1182:
	global_load_dword v5, v[0:1], off
	s_mov_b64 s[20:21], 0
	s_waitcnt vmcnt(0)
	v_cvt_f32_u32_e32 v5, v5
	s_branch .LBB158_1185
.LBB158_1183:
	s_mov_b64 s[20:21], -1
                                        ; implicit-def: $vgpr5
	s_branch .LBB158_1188
.LBB158_1184:
	s_mov_b64 s[20:21], -1
                                        ; implicit-def: $vgpr5
.LBB158_1185:
	s_andn2_b64 vcc, exec, s[20:21]
	s_cbranch_vccnz .LBB158_1187
; %bb.1186:
	global_load_ushort v5, v[0:1], off
	s_waitcnt vmcnt(0)
	v_cvt_f32_u32_e32 v5, v5
.LBB158_1187:
	s_mov_b64 s[20:21], 0
.LBB158_1188:
	s_andn2_b64 vcc, exec, s[20:21]
	s_cbranch_vccnz .LBB158_1196
; %bb.1189:
	global_load_ubyte v6, v[0:1], off
	s_movk_i32 s20, 0x7f
	s_waitcnt vmcnt(0)
	v_cmp_lt_i16_e32 vcc, s20, v6
	s_mov_b64 s[20:21], 0
	s_and_saveexec_b64 s[22:23], vcc
	s_xor_b64 s[22:23], exec, s[22:23]
	s_cbranch_execz .LBB158_1209
; %bb.1190:
	s_movk_i32 s20, 0x80
	v_cmp_eq_u16_e32 vcc, s20, v6
	s_mov_b64 s[20:21], -1
	s_and_saveexec_b64 s[24:25], vcc
; %bb.1191:
	s_xor_b64 s[20:21], exec, -1
; %bb.1192:
	s_or_b64 exec, exec, s[24:25]
	s_and_b64 s[20:21], s[20:21], exec
	s_or_saveexec_b64 s[22:23], s[22:23]
	v_mov_b32_e32 v5, 0x7f800001
	s_xor_b64 exec, exec, s[22:23]
	s_cbranch_execnz .LBB158_1210
.LBB158_1193:
	s_or_b64 exec, exec, s[22:23]
	s_and_saveexec_b64 s[22:23], s[20:21]
	s_cbranch_execz .LBB158_1195
.LBB158_1194:
	v_lshlrev_b32_e32 v5, 24, v6
	v_and_b32_e32 v6, 0xffff, v6
	v_and_b32_e32 v7, 7, v6
	v_ffbh_u32_e32 v9, v7
	v_min_u32_e32 v9, 32, v9
	v_subrev_u32_e32 v10, 28, v9
	v_bfe_u32 v8, v6, 3, 4
	v_lshlrev_b32_e32 v6, v10, v6
	v_sub_u32_e32 v9, 29, v9
	v_and_b32_e32 v6, 7, v6
	v_cmp_eq_u32_e32 vcc, 0, v8
	v_cndmask_b32_e32 v8, v8, v9, vcc
	v_cndmask_b32_e32 v6, v7, v6, vcc
	v_mov_b32_e32 v7, 0x3b800000
	v_lshlrev_b32_e32 v6, 20, v6
	v_and_b32_e32 v5, 0x80000000, v5
	v_lshl_add_u32 v7, v8, 23, v7
	v_or3_b32 v5, v5, v7, v6
.LBB158_1195:
	s_or_b64 exec, exec, s[22:23]
.LBB158_1196:
	s_mov_b64 s[20:21], -1
.LBB158_1197:
	s_branch .LBB158_1230
.LBB158_1198:
	s_cmp_gt_i32 s26, 22
	s_cbranch_scc0 .LBB158_1208
; %bb.1199:
	s_cmp_lt_i32 s26, 24
	s_cbranch_scc1 .LBB158_1211
; %bb.1200:
	s_cmp_gt_i32 s26, 24
	s_cbranch_scc0 .LBB158_1212
; %bb.1201:
	global_load_ubyte v6, v[0:1], off
	s_movk_i32 s4, 0x7f
	s_waitcnt vmcnt(0)
	v_cmp_lt_i16_e32 vcc, s4, v6
	s_mov_b64 s[4:5], 0
	s_and_saveexec_b64 s[20:21], vcc
	s_xor_b64 s[20:21], exec, s[20:21]
	s_cbranch_execz .LBB158_1224
; %bb.1202:
	s_movk_i32 s4, 0x80
	v_cmp_eq_u16_e32 vcc, s4, v6
	s_mov_b64 s[4:5], -1
	s_and_saveexec_b64 s[22:23], vcc
; %bb.1203:
	s_xor_b64 s[4:5], exec, -1
; %bb.1204:
	s_or_b64 exec, exec, s[22:23]
	s_and_b64 s[4:5], s[4:5], exec
	s_or_saveexec_b64 s[20:21], s[20:21]
	v_mov_b32_e32 v5, 0x7f800001
	s_xor_b64 exec, exec, s[20:21]
	s_cbranch_execnz .LBB158_1225
.LBB158_1205:
	s_or_b64 exec, exec, s[20:21]
	s_and_saveexec_b64 s[20:21], s[4:5]
	s_cbranch_execz .LBB158_1207
.LBB158_1206:
	v_lshlrev_b32_e32 v5, 24, v6
	v_and_b32_e32 v6, 0xffff, v6
	v_and_b32_e32 v7, 3, v6
	v_ffbh_u32_e32 v9, v7
	v_min_u32_e32 v9, 32, v9
	v_subrev_u32_e32 v10, 29, v9
	v_bfe_u32 v8, v6, 2, 5
	v_lshlrev_b32_e32 v6, v10, v6
	v_sub_u32_e32 v9, 30, v9
	v_and_b32_e32 v6, 3, v6
	v_cmp_eq_u32_e32 vcc, 0, v8
	v_cndmask_b32_e32 v8, v8, v9, vcc
	v_cndmask_b32_e32 v6, v7, v6, vcc
	v_mov_b32_e32 v7, 0x37800000
	v_lshlrev_b32_e32 v6, 21, v6
	v_and_b32_e32 v5, 0x80000000, v5
	v_lshl_add_u32 v7, v8, 23, v7
	v_or3_b32 v5, v5, v7, v6
.LBB158_1207:
	s_or_b64 exec, exec, s[20:21]
	s_mov_b64 s[4:5], 0
	s_branch .LBB158_1213
.LBB158_1208:
	s_mov_b64 s[4:5], -1
                                        ; implicit-def: $vgpr5
	s_branch .LBB158_1219
.LBB158_1209:
	s_or_saveexec_b64 s[22:23], s[22:23]
	v_mov_b32_e32 v5, 0x7f800001
	s_xor_b64 exec, exec, s[22:23]
	s_cbranch_execz .LBB158_1193
.LBB158_1210:
	v_cmp_ne_u16_e32 vcc, 0, v6
	s_andn2_b64 s[20:21], s[20:21], exec
	s_and_b64 s[24:25], vcc, exec
	v_mov_b32_e32 v5, 0
	s_or_b64 s[20:21], s[20:21], s[24:25]
	s_or_b64 exec, exec, s[22:23]
	s_and_saveexec_b64 s[22:23], s[20:21]
	s_cbranch_execnz .LBB158_1194
	s_branch .LBB158_1195
.LBB158_1211:
	s_mov_b64 s[4:5], -1
                                        ; implicit-def: $vgpr5
	s_branch .LBB158_1216
.LBB158_1212:
	s_mov_b64 s[4:5], -1
                                        ; implicit-def: $vgpr5
.LBB158_1213:
	s_and_b64 vcc, exec, s[4:5]
	s_cbranch_vccz .LBB158_1215
; %bb.1214:
	global_load_ubyte v5, v[0:1], off
	s_mov_b32 s4, 0x7f800000
	s_waitcnt vmcnt(0)
	v_lshlrev_b32_e32 v5, 24, v5
	v_and_b32_e32 v6, 0x7f000000, v5
	v_ffbh_u32_e32 v7, v6
	v_min_u32_e32 v7, 32, v7
	v_sub_u32_e64 v7, v7, 4 clamp
	v_lshlrev_b32_e32 v9, v7, v6
	v_lshlrev_b32_e32 v7, 23, v7
	v_lshrrev_b32_e32 v9, 4, v9
	v_add_u32_e32 v8, 0x1000000, v6
	v_sub_u32_e32 v7, v9, v7
	v_ashrrev_i32_e32 v8, 8, v8
	v_add_u32_e32 v7, 0x3c000000, v7
	v_and_or_b32 v7, v8, s4, v7
	v_cmp_ne_u32_e32 vcc, 0, v6
	v_cndmask_b32_e32 v6, 0, v7, vcc
	s_brev_b32 s4, 1
	v_and_or_b32 v5, v5, s4, v6
.LBB158_1215:
	s_mov_b64 s[4:5], 0
.LBB158_1216:
	s_andn2_b64 vcc, exec, s[4:5]
	s_cbranch_vccnz .LBB158_1218
; %bb.1217:
	global_load_ubyte v5, v[0:1], off
	s_movk_i32 s4, 0x7f00
	s_brev_b32 s5, 16
	s_waitcnt vmcnt(0)
	v_lshlrev_b16_e32 v6, 8, v5
	v_lshlrev_b32_e32 v5, 25, v5
	v_lshrrev_b32_e32 v7, 4, v5
	v_and_or_b32 v8, v6, s4, 0.5
	v_or_b32_e32 v7, 0x70000000, v7
	v_add_f32_e32 v8, -0.5, v8
	v_mul_f32_e32 v7, 0x7800000, v7
	v_cmp_gt_u32_e32 vcc, s5, v5
	v_bfe_i32 v6, v6, 0, 16
	v_cndmask_b32_e32 v5, v7, v8, vcc
	s_brev_b32 s4, 1
	v_and_or_b32 v5, v6, s4, v5
.LBB158_1218:
	s_mov_b64 s[4:5], 0
	s_mov_b64 s[20:21], -1
.LBB158_1219:
	s_andn2_b64 vcc, exec, s[4:5]
	s_mov_b64 s[4:5], 0
	s_cbranch_vccnz .LBB158_1230
; %bb.1220:
	s_cmp_gt_i32 s26, 14
	s_cbranch_scc0 .LBB158_1223
; %bb.1221:
	s_cmp_eq_u32 s26, 15
	s_cbranch_scc0 .LBB158_1226
; %bb.1222:
	global_load_ushort v5, v[0:1], off
	s_mov_b64 s[0:1], 0
	s_mov_b64 s[20:21], -1
	s_waitcnt vmcnt(0)
	v_lshlrev_b32_e32 v5, 16, v5
	s_branch .LBB158_1227
.LBB158_1223:
	s_mov_b64 s[22:23], -1
                                        ; implicit-def: $vgpr5
	s_branch .LBB158_1228
.LBB158_1224:
	s_or_saveexec_b64 s[20:21], s[20:21]
	v_mov_b32_e32 v5, 0x7f800001
	s_xor_b64 exec, exec, s[20:21]
	s_cbranch_execz .LBB158_1205
.LBB158_1225:
	v_cmp_ne_u16_e32 vcc, 0, v6
	s_andn2_b64 s[4:5], s[4:5], exec
	s_and_b64 s[22:23], vcc, exec
	v_mov_b32_e32 v5, 0
	s_or_b64 s[4:5], s[4:5], s[22:23]
	s_or_b64 exec, exec, s[20:21]
	s_and_saveexec_b64 s[20:21], s[4:5]
	s_cbranch_execnz .LBB158_1206
	s_branch .LBB158_1207
.LBB158_1226:
	s_mov_b64 s[0:1], -1
                                        ; implicit-def: $vgpr5
.LBB158_1227:
	s_mov_b64 s[22:23], 0
.LBB158_1228:
	s_and_b64 vcc, exec, s[22:23]
	s_cbranch_vccz .LBB158_1230
; %bb.1229:
	s_cmp_lg_u32 s26, 11
	s_mov_b64 s[4:5], -1
	s_cselect_b64 s[0:1], -1, 0
.LBB158_1230:
	s_and_b64 vcc, exec, s[0:1]
	s_cbranch_vccnz .LBB158_1293
; %bb.1231:
	s_andn2_b64 vcc, exec, s[4:5]
	s_cbranch_vccnz .LBB158_1233
.LBB158_1232:
	global_load_ubyte v5, v[0:1], off
	s_mov_b64 s[20:21], -1
	s_waitcnt vmcnt(0)
	v_cmp_ne_u16_e32 vcc, 0, v5
	v_cndmask_b32_e64 v5, 0, 1.0, vcc
.LBB158_1233:
	s_branch .LBB158_1160
.LBB158_1234:
	s_cmp_lt_i32 s26, 5
	s_cbranch_scc1 .LBB158_1239
; %bb.1235:
	s_cmp_lt_i32 s26, 8
	s_cbranch_scc1 .LBB158_1240
; %bb.1236:
	;; [unrolled: 3-line block ×3, first 2 shown]
	s_cmp_gt_i32 s26, 9
	s_cbranch_scc0 .LBB158_1242
; %bb.1238:
	global_load_dwordx2 v[5:6], v[0:1], off
	s_mov_b64 s[0:1], 0
	s_waitcnt vmcnt(0)
	v_cvt_f32_f64_e32 v5, v[5:6]
	s_branch .LBB158_1243
.LBB158_1239:
                                        ; implicit-def: $vgpr5
	s_branch .LBB158_1261
.LBB158_1240:
	s_mov_b64 s[0:1], -1
                                        ; implicit-def: $vgpr5
	s_branch .LBB158_1249
.LBB158_1241:
	s_mov_b64 s[0:1], -1
                                        ; implicit-def: $vgpr5
	s_branch .LBB158_1246
.LBB158_1242:
	s_mov_b64 s[0:1], -1
                                        ; implicit-def: $vgpr5
.LBB158_1243:
	s_andn2_b64 vcc, exec, s[0:1]
	s_cbranch_vccnz .LBB158_1245
; %bb.1244:
	global_load_dword v5, v[0:1], off
.LBB158_1245:
	s_mov_b64 s[0:1], 0
.LBB158_1246:
	s_andn2_b64 vcc, exec, s[0:1]
	s_cbranch_vccnz .LBB158_1248
; %bb.1247:
	global_load_dword v5, v[0:1], off
	s_waitcnt vmcnt(0)
	v_cvt_f32_f16_e32 v5, v5
.LBB158_1248:
	s_mov_b64 s[0:1], 0
.LBB158_1249:
	s_andn2_b64 vcc, exec, s[0:1]
	s_cbranch_vccnz .LBB158_1260
; %bb.1250:
	s_cmp_lt_i32 s26, 6
	s_cbranch_scc1 .LBB158_1253
; %bb.1251:
	s_cmp_gt_i32 s26, 6
	s_cbranch_scc0 .LBB158_1254
; %bb.1252:
	global_load_dwordx2 v[5:6], v[0:1], off
	s_mov_b64 s[0:1], 0
	s_waitcnt vmcnt(0)
	v_cvt_f32_f64_e32 v5, v[5:6]
	s_branch .LBB158_1255
.LBB158_1253:
	s_mov_b64 s[0:1], -1
                                        ; implicit-def: $vgpr5
	s_branch .LBB158_1258
.LBB158_1254:
	s_mov_b64 s[0:1], -1
                                        ; implicit-def: $vgpr5
.LBB158_1255:
	s_andn2_b64 vcc, exec, s[0:1]
	s_cbranch_vccnz .LBB158_1257
; %bb.1256:
	global_load_dword v5, v[0:1], off
.LBB158_1257:
	s_mov_b64 s[0:1], 0
.LBB158_1258:
	s_andn2_b64 vcc, exec, s[0:1]
	s_cbranch_vccnz .LBB158_1260
; %bb.1259:
	global_load_ushort v5, v[0:1], off
	s_waitcnt vmcnt(0)
	v_cvt_f32_f16_e32 v5, v5
.LBB158_1260:
	s_cbranch_execnz .LBB158_1280
.LBB158_1261:
	s_cmp_lt_i32 s26, 2
	s_cbranch_scc1 .LBB158_1265
; %bb.1262:
	s_cmp_lt_i32 s26, 3
	s_cbranch_scc1 .LBB158_1266
; %bb.1263:
	s_cmp_gt_i32 s26, 3
	s_cbranch_scc0 .LBB158_1267
; %bb.1264:
	global_load_dwordx2 v[5:6], v[0:1], off
	s_mov_b64 s[0:1], 0
	s_waitcnt vmcnt(0)
	v_xor_b32_e32 v8, v5, v6
	v_ffbh_i32_e32 v7, v6
	v_ashrrev_i32_e32 v8, 31, v8
	v_add_u32_e32 v7, -1, v7
	v_add_u32_e32 v8, 32, v8
	v_min_u32_e32 v7, v7, v8
	v_lshlrev_b64 v[5:6], v7, v[5:6]
	v_min_u32_e32 v5, 1, v5
	v_or_b32_e32 v5, v6, v5
	v_cvt_f32_i32_e32 v5, v5
	v_sub_u32_e32 v6, 32, v7
	v_ldexp_f32 v5, v5, v6
	s_branch .LBB158_1268
.LBB158_1265:
	s_mov_b64 s[0:1], -1
                                        ; implicit-def: $vgpr5
	s_branch .LBB158_1274
.LBB158_1266:
	s_mov_b64 s[0:1], -1
                                        ; implicit-def: $vgpr5
	s_branch .LBB158_1271
.LBB158_1267:
	s_mov_b64 s[0:1], -1
                                        ; implicit-def: $vgpr5
.LBB158_1268:
	s_andn2_b64 vcc, exec, s[0:1]
	s_cbranch_vccnz .LBB158_1270
; %bb.1269:
	global_load_dword v5, v[0:1], off
	s_waitcnt vmcnt(0)
	v_cvt_f32_i32_e32 v5, v5
.LBB158_1270:
	s_mov_b64 s[0:1], 0
.LBB158_1271:
	s_andn2_b64 vcc, exec, s[0:1]
	s_cbranch_vccnz .LBB158_1273
; %bb.1272:
	global_load_sshort v5, v[0:1], off
	s_waitcnt vmcnt(0)
	v_cvt_f32_i32_e32 v5, v5
.LBB158_1273:
	s_mov_b64 s[0:1], 0
.LBB158_1274:
	s_andn2_b64 vcc, exec, s[0:1]
	s_cbranch_vccnz .LBB158_1280
; %bb.1275:
	s_cmp_gt_i32 s26, 0
	s_cbranch_scc0 .LBB158_1277
; %bb.1276:
	global_load_sbyte v5, v[0:1], off
	s_mov_b64 s[0:1], 0
	s_waitcnt vmcnt(0)
	v_cvt_f32_i32_e32 v5, v5
	s_branch .LBB158_1278
.LBB158_1277:
	s_mov_b64 s[0:1], -1
                                        ; implicit-def: $vgpr5
.LBB158_1278:
	s_andn2_b64 vcc, exec, s[0:1]
	s_cbranch_vccnz .LBB158_1280
; %bb.1279:
	global_load_ubyte v0, v[0:1], off
	s_waitcnt vmcnt(0)
	v_cvt_f32_ubyte0_e32 v5, v0
.LBB158_1280:
.LBB158_1281:
	v_add_u32_e32 v3, s13, v3
	v_ashrrev_i32_e32 v1, 31, v3
	v_mov_b32_e32 v6, s11
	v_add_co_u32_e32 v0, vcc, s10, v3
	s_cmp_lt_i32 s26, 11
	v_addc_co_u32_e32 v1, vcc, v6, v1, vcc
	s_cbranch_scc1 .LBB158_1288
; %bb.1282:
	s_cmp_gt_i32 s26, 25
	s_mov_b64 s[4:5], 0
	s_cbranch_scc0 .LBB158_1290
; %bb.1283:
	s_cmp_gt_i32 s26, 28
	s_cbranch_scc0 .LBB158_1291
; %bb.1284:
	s_cmp_gt_i32 s26, 43
	;; [unrolled: 3-line block ×3, first 2 shown]
	s_cbranch_scc0 .LBB158_1294
; %bb.1286:
	s_cmp_eq_u32 s26, 46
	s_mov_b64 s[22:23], 0
	s_cbranch_scc0 .LBB158_1295
; %bb.1287:
	global_load_dword v6, v[0:1], off
	s_mov_b64 s[0:1], 0
	s_mov_b64 s[20:21], -1
	s_waitcnt vmcnt(0)
	v_lshlrev_b32_e32 v6, 16, v6
	s_branch .LBB158_1296
.LBB158_1288:
	s_mov_b64 s[20:21], 0
                                        ; implicit-def: $vgpr6
	s_cbranch_execnz .LBB158_1362
.LBB158_1289:
	s_andn2_b64 vcc, exec, s[20:21]
	s_cbranch_vccnz .LBB158_1973
	s_branch .LBB158_1410
.LBB158_1290:
	s_mov_b64 s[22:23], -1
	s_mov_b64 s[20:21], 0
	s_mov_b64 s[0:1], 0
                                        ; implicit-def: $vgpr6
	s_branch .LBB158_1325
.LBB158_1291:
	s_mov_b64 s[22:23], -1
	s_mov_b64 s[20:21], 0
	s_mov_b64 s[0:1], 0
                                        ; implicit-def: $vgpr6
	s_branch .LBB158_1306
.LBB158_1292:
	s_mov_b64 s[22:23], -1
	s_mov_b64 s[20:21], 0
	s_mov_b64 s[0:1], 0
                                        ; implicit-def: $vgpr6
	s_branch .LBB158_1301
.LBB158_1293:
	s_trap 2
	s_or_b64 s[18:19], s[18:19], exec
	s_cbranch_execz .LBB158_1232
	s_branch .LBB158_1233
.LBB158_1294:
	s_mov_b64 s[22:23], -1
	s_mov_b64 s[20:21], 0
	s_mov_b64 s[0:1], 0
                                        ; implicit-def: $vgpr6
	s_branch .LBB158_1296
.LBB158_1295:
	s_mov_b64 s[0:1], -1
                                        ; implicit-def: $vgpr6
	s_mov_b64 s[20:21], 0
.LBB158_1296:
	s_and_b64 vcc, exec, s[22:23]
	s_cbranch_vccz .LBB158_1300
; %bb.1297:
	s_cmp_eq_u32 s26, 44
	s_cbranch_scc0 .LBB158_1299
; %bb.1298:
	global_load_ubyte v6, v[0:1], off
	s_movk_i32 s20, 0xff
	v_mov_b32_e32 v7, 0x7f800001
	v_mov_b32_e32 v8, 0x400000
	s_mov_b64 s[0:1], 0
	s_waitcnt vmcnt(0)
	v_lshlrev_b32_e32 v9, 23, v6
	v_cmp_ne_u32_e32 vcc, s20, v6
	v_cndmask_b32_e32 v7, v7, v9, vcc
	v_cmp_ne_u32_e32 vcc, 0, v6
	v_cndmask_b32_e32 v6, v8, v7, vcc
	s_mov_b64 s[20:21], -1
	s_branch .LBB158_1300
.LBB158_1299:
	s_mov_b64 s[0:1], -1
                                        ; implicit-def: $vgpr6
.LBB158_1300:
	s_mov_b64 s[22:23], 0
.LBB158_1301:
	s_and_b64 vcc, exec, s[22:23]
	s_cbranch_vccz .LBB158_1305
; %bb.1302:
	s_cmp_eq_u32 s26, 29
	s_cbranch_scc0 .LBB158_1304
; %bb.1303:
	global_load_dwordx2 v[6:7], v[0:1], off
	s_mov_b64 s[0:1], 0
	s_mov_b64 s[20:21], -1
	s_mov_b64 s[22:23], 0
	s_waitcnt vmcnt(0)
	v_ffbh_u32_e32 v8, v7
	v_min_u32_e32 v8, 32, v8
	v_lshlrev_b64 v[6:7], v8, v[6:7]
	v_min_u32_e32 v6, 1, v6
	v_or_b32_e32 v6, v7, v6
	v_cvt_f32_u32_e32 v6, v6
	v_sub_u32_e32 v7, 32, v8
	v_ldexp_f32 v6, v6, v7
	s_branch .LBB158_1306
.LBB158_1304:
	s_mov_b64 s[0:1], -1
                                        ; implicit-def: $vgpr6
.LBB158_1305:
	s_mov_b64 s[22:23], 0
.LBB158_1306:
	s_and_b64 vcc, exec, s[22:23]
	s_cbranch_vccz .LBB158_1324
; %bb.1307:
	s_cmp_lt_i32 s26, 27
	s_cbranch_scc1 .LBB158_1310
; %bb.1308:
	s_cmp_gt_i32 s26, 27
	s_cbranch_scc0 .LBB158_1311
; %bb.1309:
	global_load_dword v6, v[0:1], off
	s_mov_b64 s[20:21], 0
	s_waitcnt vmcnt(0)
	v_cvt_f32_u32_e32 v6, v6
	s_branch .LBB158_1312
.LBB158_1310:
	s_mov_b64 s[20:21], -1
                                        ; implicit-def: $vgpr6
	s_branch .LBB158_1315
.LBB158_1311:
	s_mov_b64 s[20:21], -1
                                        ; implicit-def: $vgpr6
.LBB158_1312:
	s_andn2_b64 vcc, exec, s[20:21]
	s_cbranch_vccnz .LBB158_1314
; %bb.1313:
	global_load_ushort v6, v[0:1], off
	s_waitcnt vmcnt(0)
	v_cvt_f32_u32_e32 v6, v6
.LBB158_1314:
	s_mov_b64 s[20:21], 0
.LBB158_1315:
	s_andn2_b64 vcc, exec, s[20:21]
	s_cbranch_vccnz .LBB158_1323
; %bb.1316:
	global_load_ubyte v7, v[0:1], off
	s_movk_i32 s20, 0x7f
	s_waitcnt vmcnt(0)
	v_cmp_lt_i16_e32 vcc, s20, v7
	s_mov_b64 s[20:21], 0
	s_and_saveexec_b64 s[22:23], vcc
	s_xor_b64 s[22:23], exec, s[22:23]
	s_cbranch_execz .LBB158_1337
; %bb.1317:
	s_movk_i32 s20, 0x80
	v_cmp_eq_u16_e32 vcc, s20, v7
	s_mov_b64 s[20:21], -1
	s_and_saveexec_b64 s[24:25], vcc
; %bb.1318:
	s_xor_b64 s[20:21], exec, -1
; %bb.1319:
	s_or_b64 exec, exec, s[24:25]
	s_and_b64 s[20:21], s[20:21], exec
	s_or_saveexec_b64 s[22:23], s[22:23]
	v_mov_b32_e32 v6, 0x7f800001
	s_xor_b64 exec, exec, s[22:23]
	s_cbranch_execnz .LBB158_1338
.LBB158_1320:
	s_or_b64 exec, exec, s[22:23]
	s_and_saveexec_b64 s[22:23], s[20:21]
	s_cbranch_execz .LBB158_1322
.LBB158_1321:
	v_lshlrev_b32_e32 v6, 24, v7
	v_and_b32_e32 v7, 0xffff, v7
	v_and_b32_e32 v8, 7, v7
	v_ffbh_u32_e32 v10, v8
	v_min_u32_e32 v10, 32, v10
	v_subrev_u32_e32 v11, 28, v10
	v_bfe_u32 v9, v7, 3, 4
	v_lshlrev_b32_e32 v7, v11, v7
	v_sub_u32_e32 v10, 29, v10
	v_and_b32_e32 v7, 7, v7
	v_cmp_eq_u32_e32 vcc, 0, v9
	v_cndmask_b32_e32 v9, v9, v10, vcc
	v_cndmask_b32_e32 v7, v8, v7, vcc
	v_mov_b32_e32 v8, 0x3b800000
	v_lshlrev_b32_e32 v7, 20, v7
	v_and_b32_e32 v6, 0x80000000, v6
	v_lshl_add_u32 v8, v9, 23, v8
	v_or3_b32 v6, v6, v8, v7
.LBB158_1322:
	s_or_b64 exec, exec, s[22:23]
.LBB158_1323:
	s_mov_b64 s[20:21], -1
.LBB158_1324:
	s_mov_b64 s[22:23], 0
.LBB158_1325:
	s_and_b64 vcc, exec, s[22:23]
	s_cbranch_vccz .LBB158_1358
; %bb.1326:
	s_cmp_gt_i32 s26, 22
	s_cbranch_scc0 .LBB158_1336
; %bb.1327:
	s_cmp_lt_i32 s26, 24
	s_cbranch_scc1 .LBB158_1339
; %bb.1328:
	s_cmp_gt_i32 s26, 24
	s_cbranch_scc0 .LBB158_1340
; %bb.1329:
	global_load_ubyte v7, v[0:1], off
	s_movk_i32 s4, 0x7f
	s_waitcnt vmcnt(0)
	v_cmp_lt_i16_e32 vcc, s4, v7
	s_mov_b64 s[4:5], 0
	s_and_saveexec_b64 s[20:21], vcc
	s_xor_b64 s[20:21], exec, s[20:21]
	s_cbranch_execz .LBB158_1352
; %bb.1330:
	s_movk_i32 s4, 0x80
	v_cmp_eq_u16_e32 vcc, s4, v7
	s_mov_b64 s[4:5], -1
	s_and_saveexec_b64 s[22:23], vcc
; %bb.1331:
	s_xor_b64 s[4:5], exec, -1
; %bb.1332:
	s_or_b64 exec, exec, s[22:23]
	s_and_b64 s[4:5], s[4:5], exec
	s_or_saveexec_b64 s[20:21], s[20:21]
	v_mov_b32_e32 v6, 0x7f800001
	s_xor_b64 exec, exec, s[20:21]
	s_cbranch_execnz .LBB158_1353
.LBB158_1333:
	s_or_b64 exec, exec, s[20:21]
	s_and_saveexec_b64 s[20:21], s[4:5]
	s_cbranch_execz .LBB158_1335
.LBB158_1334:
	v_lshlrev_b32_e32 v6, 24, v7
	v_and_b32_e32 v7, 0xffff, v7
	v_and_b32_e32 v8, 3, v7
	v_ffbh_u32_e32 v10, v8
	v_min_u32_e32 v10, 32, v10
	v_subrev_u32_e32 v11, 29, v10
	v_bfe_u32 v9, v7, 2, 5
	v_lshlrev_b32_e32 v7, v11, v7
	v_sub_u32_e32 v10, 30, v10
	v_and_b32_e32 v7, 3, v7
	v_cmp_eq_u32_e32 vcc, 0, v9
	v_cndmask_b32_e32 v9, v9, v10, vcc
	v_cndmask_b32_e32 v7, v8, v7, vcc
	v_mov_b32_e32 v8, 0x37800000
	v_lshlrev_b32_e32 v7, 21, v7
	v_and_b32_e32 v6, 0x80000000, v6
	v_lshl_add_u32 v8, v9, 23, v8
	v_or3_b32 v6, v6, v8, v7
.LBB158_1335:
	s_or_b64 exec, exec, s[20:21]
	s_mov_b64 s[4:5], 0
	s_branch .LBB158_1341
.LBB158_1336:
	s_mov_b64 s[4:5], -1
                                        ; implicit-def: $vgpr6
	s_branch .LBB158_1347
.LBB158_1337:
	s_or_saveexec_b64 s[22:23], s[22:23]
	v_mov_b32_e32 v6, 0x7f800001
	s_xor_b64 exec, exec, s[22:23]
	s_cbranch_execz .LBB158_1320
.LBB158_1338:
	v_cmp_ne_u16_e32 vcc, 0, v7
	s_andn2_b64 s[20:21], s[20:21], exec
	s_and_b64 s[24:25], vcc, exec
	v_mov_b32_e32 v6, 0
	s_or_b64 s[20:21], s[20:21], s[24:25]
	s_or_b64 exec, exec, s[22:23]
	s_and_saveexec_b64 s[22:23], s[20:21]
	s_cbranch_execnz .LBB158_1321
	s_branch .LBB158_1322
.LBB158_1339:
	s_mov_b64 s[4:5], -1
                                        ; implicit-def: $vgpr6
	s_branch .LBB158_1344
.LBB158_1340:
	s_mov_b64 s[4:5], -1
                                        ; implicit-def: $vgpr6
.LBB158_1341:
	s_and_b64 vcc, exec, s[4:5]
	s_cbranch_vccz .LBB158_1343
; %bb.1342:
	global_load_ubyte v6, v[0:1], off
	s_mov_b32 s4, 0x7f800000
	s_waitcnt vmcnt(0)
	v_lshlrev_b32_e32 v6, 24, v6
	v_and_b32_e32 v7, 0x7f000000, v6
	v_ffbh_u32_e32 v8, v7
	v_min_u32_e32 v8, 32, v8
	v_sub_u32_e64 v8, v8, 4 clamp
	v_lshlrev_b32_e32 v10, v8, v7
	v_lshlrev_b32_e32 v8, 23, v8
	v_lshrrev_b32_e32 v10, 4, v10
	v_add_u32_e32 v9, 0x1000000, v7
	v_sub_u32_e32 v8, v10, v8
	v_ashrrev_i32_e32 v9, 8, v9
	v_add_u32_e32 v8, 0x3c000000, v8
	v_and_or_b32 v8, v9, s4, v8
	v_cmp_ne_u32_e32 vcc, 0, v7
	v_cndmask_b32_e32 v7, 0, v8, vcc
	s_brev_b32 s4, 1
	v_and_or_b32 v6, v6, s4, v7
.LBB158_1343:
	s_mov_b64 s[4:5], 0
.LBB158_1344:
	s_andn2_b64 vcc, exec, s[4:5]
	s_cbranch_vccnz .LBB158_1346
; %bb.1345:
	global_load_ubyte v6, v[0:1], off
	s_movk_i32 s4, 0x7f00
	s_brev_b32 s5, 16
	s_waitcnt vmcnt(0)
	v_lshlrev_b16_e32 v7, 8, v6
	v_lshlrev_b32_e32 v6, 25, v6
	v_lshrrev_b32_e32 v8, 4, v6
	v_and_or_b32 v9, v7, s4, 0.5
	v_or_b32_e32 v8, 0x70000000, v8
	v_add_f32_e32 v9, -0.5, v9
	v_mul_f32_e32 v8, 0x7800000, v8
	v_cmp_gt_u32_e32 vcc, s5, v6
	v_bfe_i32 v7, v7, 0, 16
	v_cndmask_b32_e32 v6, v8, v9, vcc
	s_brev_b32 s4, 1
	v_and_or_b32 v6, v7, s4, v6
.LBB158_1346:
	s_mov_b64 s[4:5], 0
	s_mov_b64 s[20:21], -1
.LBB158_1347:
	s_andn2_b64 vcc, exec, s[4:5]
	s_mov_b64 s[4:5], 0
	s_cbranch_vccnz .LBB158_1358
; %bb.1348:
	s_cmp_gt_i32 s26, 14
	s_cbranch_scc0 .LBB158_1351
; %bb.1349:
	s_cmp_eq_u32 s26, 15
	s_cbranch_scc0 .LBB158_1354
; %bb.1350:
	global_load_ushort v6, v[0:1], off
	s_mov_b64 s[0:1], 0
	s_mov_b64 s[20:21], -1
	s_waitcnt vmcnt(0)
	v_lshlrev_b32_e32 v6, 16, v6
	s_branch .LBB158_1355
.LBB158_1351:
	s_mov_b64 s[22:23], -1
                                        ; implicit-def: $vgpr6
	s_branch .LBB158_1356
.LBB158_1352:
	s_or_saveexec_b64 s[20:21], s[20:21]
	v_mov_b32_e32 v6, 0x7f800001
	s_xor_b64 exec, exec, s[20:21]
	s_cbranch_execz .LBB158_1333
.LBB158_1353:
	v_cmp_ne_u16_e32 vcc, 0, v7
	s_andn2_b64 s[4:5], s[4:5], exec
	s_and_b64 s[22:23], vcc, exec
	v_mov_b32_e32 v6, 0
	s_or_b64 s[4:5], s[4:5], s[22:23]
	s_or_b64 exec, exec, s[20:21]
	s_and_saveexec_b64 s[20:21], s[4:5]
	s_cbranch_execnz .LBB158_1334
	s_branch .LBB158_1335
.LBB158_1354:
	s_mov_b64 s[0:1], -1
                                        ; implicit-def: $vgpr6
.LBB158_1355:
	s_mov_b64 s[22:23], 0
.LBB158_1356:
	s_and_b64 vcc, exec, s[22:23]
	s_cbranch_vccz .LBB158_1358
; %bb.1357:
	s_cmp_lg_u32 s26, 11
	s_mov_b64 s[4:5], -1
	s_cselect_b64 s[0:1], -1, 0
.LBB158_1358:
	s_and_b64 vcc, exec, s[0:1]
	s_cbranch_vccnz .LBB158_1421
; %bb.1359:
	s_andn2_b64 vcc, exec, s[4:5]
	s_cbranch_vccnz .LBB158_1361
.LBB158_1360:
	global_load_ubyte v6, v[0:1], off
	s_mov_b64 s[20:21], -1
	s_waitcnt vmcnt(0)
	v_cmp_ne_u16_e32 vcc, 0, v6
	v_cndmask_b32_e64 v6, 0, 1.0, vcc
.LBB158_1361:
	s_branch .LBB158_1289
.LBB158_1362:
	s_cmp_lt_i32 s26, 5
	s_cbranch_scc1 .LBB158_1367
; %bb.1363:
	s_cmp_lt_i32 s26, 8
	s_cbranch_scc1 .LBB158_1368
; %bb.1364:
	s_cmp_lt_i32 s26, 9
	s_cbranch_scc1 .LBB158_1369
; %bb.1365:
	s_cmp_gt_i32 s26, 9
	s_cbranch_scc0 .LBB158_1370
; %bb.1366:
	global_load_dwordx2 v[6:7], v[0:1], off
	s_mov_b64 s[0:1], 0
	s_waitcnt vmcnt(0)
	v_cvt_f32_f64_e32 v6, v[6:7]
	s_branch .LBB158_1371
.LBB158_1367:
	s_mov_b64 s[0:1], -1
                                        ; implicit-def: $vgpr6
	s_branch .LBB158_1389
.LBB158_1368:
	s_mov_b64 s[0:1], -1
                                        ; implicit-def: $vgpr6
	s_branch .LBB158_1377
.LBB158_1369:
	s_mov_b64 s[0:1], -1
                                        ; implicit-def: $vgpr6
	s_branch .LBB158_1374
.LBB158_1370:
	s_mov_b64 s[0:1], -1
                                        ; implicit-def: $vgpr6
.LBB158_1371:
	s_andn2_b64 vcc, exec, s[0:1]
	s_cbranch_vccnz .LBB158_1373
; %bb.1372:
	global_load_dword v6, v[0:1], off
.LBB158_1373:
	s_mov_b64 s[0:1], 0
.LBB158_1374:
	s_andn2_b64 vcc, exec, s[0:1]
	s_cbranch_vccnz .LBB158_1376
; %bb.1375:
	global_load_dword v6, v[0:1], off
	s_waitcnt vmcnt(0)
	v_cvt_f32_f16_e32 v6, v6
.LBB158_1376:
	s_mov_b64 s[0:1], 0
.LBB158_1377:
	s_andn2_b64 vcc, exec, s[0:1]
	s_cbranch_vccnz .LBB158_1388
; %bb.1378:
	s_cmp_lt_i32 s26, 6
	s_cbranch_scc1 .LBB158_1381
; %bb.1379:
	s_cmp_gt_i32 s26, 6
	s_cbranch_scc0 .LBB158_1382
; %bb.1380:
	global_load_dwordx2 v[6:7], v[0:1], off
	s_mov_b64 s[0:1], 0
	s_waitcnt vmcnt(0)
	v_cvt_f32_f64_e32 v6, v[6:7]
	s_branch .LBB158_1383
.LBB158_1381:
	s_mov_b64 s[0:1], -1
                                        ; implicit-def: $vgpr6
	s_branch .LBB158_1386
.LBB158_1382:
	s_mov_b64 s[0:1], -1
                                        ; implicit-def: $vgpr6
.LBB158_1383:
	s_andn2_b64 vcc, exec, s[0:1]
	s_cbranch_vccnz .LBB158_1385
; %bb.1384:
	global_load_dword v6, v[0:1], off
.LBB158_1385:
	s_mov_b64 s[0:1], 0
.LBB158_1386:
	s_andn2_b64 vcc, exec, s[0:1]
	s_cbranch_vccnz .LBB158_1388
; %bb.1387:
	global_load_ushort v6, v[0:1], off
	s_waitcnt vmcnt(0)
	v_cvt_f32_f16_e32 v6, v6
.LBB158_1388:
	s_mov_b64 s[0:1], 0
.LBB158_1389:
	s_andn2_b64 vcc, exec, s[0:1]
	s_cbranch_vccnz .LBB158_1409
; %bb.1390:
	s_cmp_lt_i32 s26, 2
	s_cbranch_scc1 .LBB158_1394
; %bb.1391:
	s_cmp_lt_i32 s26, 3
	s_cbranch_scc1 .LBB158_1395
; %bb.1392:
	s_cmp_gt_i32 s26, 3
	s_cbranch_scc0 .LBB158_1396
; %bb.1393:
	global_load_dwordx2 v[6:7], v[0:1], off
	s_mov_b64 s[0:1], 0
	s_waitcnt vmcnt(0)
	v_xor_b32_e32 v9, v6, v7
	v_ffbh_i32_e32 v8, v7
	v_ashrrev_i32_e32 v9, 31, v9
	v_add_u32_e32 v8, -1, v8
	v_add_u32_e32 v9, 32, v9
	v_min_u32_e32 v8, v8, v9
	v_lshlrev_b64 v[6:7], v8, v[6:7]
	v_min_u32_e32 v6, 1, v6
	v_or_b32_e32 v6, v7, v6
	v_cvt_f32_i32_e32 v6, v6
	v_sub_u32_e32 v7, 32, v8
	v_ldexp_f32 v6, v6, v7
	s_branch .LBB158_1397
.LBB158_1394:
	s_mov_b64 s[0:1], -1
                                        ; implicit-def: $vgpr6
	s_branch .LBB158_1403
.LBB158_1395:
	s_mov_b64 s[0:1], -1
                                        ; implicit-def: $vgpr6
	s_branch .LBB158_1400
.LBB158_1396:
	s_mov_b64 s[0:1], -1
                                        ; implicit-def: $vgpr6
.LBB158_1397:
	s_andn2_b64 vcc, exec, s[0:1]
	s_cbranch_vccnz .LBB158_1399
; %bb.1398:
	global_load_dword v6, v[0:1], off
	s_waitcnt vmcnt(0)
	v_cvt_f32_i32_e32 v6, v6
.LBB158_1399:
	s_mov_b64 s[0:1], 0
.LBB158_1400:
	s_andn2_b64 vcc, exec, s[0:1]
	s_cbranch_vccnz .LBB158_1402
; %bb.1401:
	global_load_sshort v6, v[0:1], off
	s_waitcnt vmcnt(0)
	v_cvt_f32_i32_e32 v6, v6
.LBB158_1402:
	s_mov_b64 s[0:1], 0
.LBB158_1403:
	s_andn2_b64 vcc, exec, s[0:1]
	s_cbranch_vccnz .LBB158_1409
; %bb.1404:
	s_cmp_gt_i32 s26, 0
	s_cbranch_scc0 .LBB158_1406
; %bb.1405:
	global_load_sbyte v6, v[0:1], off
	s_mov_b64 s[0:1], 0
	s_waitcnt vmcnt(0)
	v_cvt_f32_i32_e32 v6, v6
	s_branch .LBB158_1407
.LBB158_1406:
	s_mov_b64 s[0:1], -1
                                        ; implicit-def: $vgpr6
.LBB158_1407:
	s_andn2_b64 vcc, exec, s[0:1]
	s_cbranch_vccnz .LBB158_1409
; %bb.1408:
	global_load_ubyte v0, v[0:1], off
	s_waitcnt vmcnt(0)
	v_cvt_f32_ubyte0_e32 v6, v0
.LBB158_1409:
.LBB158_1410:
	v_add_u32_e32 v0, s13, v3
	v_ashrrev_i32_e32 v1, 31, v0
	v_mov_b32_e32 v3, s11
	v_add_co_u32_e32 v0, vcc, s10, v0
	s_cmp_lt_i32 s26, 11
	v_addc_co_u32_e32 v1, vcc, v3, v1, vcc
	s_cbranch_scc1 .LBB158_1417
; %bb.1411:
	s_cmp_gt_i32 s26, 25
	s_mov_b64 s[4:5], 0
	s_cbranch_scc0 .LBB158_1418
; %bb.1412:
	s_cmp_gt_i32 s26, 28
	s_cbranch_scc0 .LBB158_1419
; %bb.1413:
	s_cmp_gt_i32 s26, 43
	;; [unrolled: 3-line block ×3, first 2 shown]
	s_cbranch_scc0 .LBB158_1422
; %bb.1415:
	s_cmp_eq_u32 s26, 46
	s_mov_b64 s[20:21], 0
	s_cbranch_scc0 .LBB158_1423
; %bb.1416:
	global_load_dword v3, v[0:1], off
	s_mov_b64 s[0:1], 0
	s_mov_b64 s[10:11], -1
	s_waitcnt vmcnt(0)
	v_lshlrev_b32_e32 v7, 16, v3
	s_branch .LBB158_1424
.LBB158_1417:
	s_mov_b64 s[0:1], -1
	s_mov_b64 s[10:11], 0
                                        ; implicit-def: $vgpr7
	s_branch .LBB158_1490
.LBB158_1418:
	s_mov_b64 s[20:21], -1
	s_mov_b64 s[10:11], 0
	s_mov_b64 s[0:1], 0
                                        ; implicit-def: $vgpr7
	s_branch .LBB158_1453
.LBB158_1419:
	s_mov_b64 s[20:21], -1
	s_mov_b64 s[10:11], 0
	s_mov_b64 s[0:1], 0
                                        ; implicit-def: $vgpr7
	s_branch .LBB158_1434
.LBB158_1420:
	s_mov_b64 s[20:21], -1
	s_mov_b64 s[10:11], 0
	s_mov_b64 s[0:1], 0
                                        ; implicit-def: $vgpr7
	s_branch .LBB158_1429
.LBB158_1421:
	s_trap 2
	s_or_b64 s[18:19], s[18:19], exec
	s_cbranch_execz .LBB158_1360
	s_branch .LBB158_1361
.LBB158_1422:
	s_mov_b64 s[20:21], -1
	s_mov_b64 s[10:11], 0
	s_mov_b64 s[0:1], 0
                                        ; implicit-def: $vgpr7
	s_branch .LBB158_1424
.LBB158_1423:
	s_mov_b64 s[0:1], -1
                                        ; implicit-def: $vgpr7
	s_mov_b64 s[10:11], 0
.LBB158_1424:
	s_and_b64 vcc, exec, s[20:21]
	s_cbranch_vccz .LBB158_1428
; %bb.1425:
	s_cmp_eq_u32 s26, 44
	s_cbranch_scc0 .LBB158_1427
; %bb.1426:
	global_load_ubyte v3, v[0:1], off
	s_movk_i32 s10, 0xff
	v_mov_b32_e32 v7, 0x7f800001
	v_mov_b32_e32 v8, 0x400000
	s_mov_b64 s[0:1], 0
	s_waitcnt vmcnt(0)
	v_lshlrev_b32_e32 v9, 23, v3
	v_cmp_ne_u32_e32 vcc, s10, v3
	v_cndmask_b32_e32 v7, v7, v9, vcc
	v_cmp_ne_u32_e32 vcc, 0, v3
	v_cndmask_b32_e32 v7, v8, v7, vcc
	s_mov_b64 s[10:11], -1
	s_branch .LBB158_1428
.LBB158_1427:
	s_mov_b64 s[0:1], -1
                                        ; implicit-def: $vgpr7
.LBB158_1428:
	s_mov_b64 s[20:21], 0
.LBB158_1429:
	s_and_b64 vcc, exec, s[20:21]
	s_cbranch_vccz .LBB158_1433
; %bb.1430:
	s_cmp_eq_u32 s26, 29
	s_cbranch_scc0 .LBB158_1432
; %bb.1431:
	global_load_dwordx2 v[7:8], v[0:1], off
	s_mov_b64 s[0:1], 0
	s_mov_b64 s[10:11], -1
	s_mov_b64 s[20:21], 0
	s_waitcnt vmcnt(0)
	v_ffbh_u32_e32 v3, v8
	v_min_u32_e32 v3, 32, v3
	v_lshlrev_b64 v[7:8], v3, v[7:8]
	v_sub_u32_e32 v3, 32, v3
	v_min_u32_e32 v7, 1, v7
	v_or_b32_e32 v7, v8, v7
	v_cvt_f32_u32_e32 v7, v7
	v_ldexp_f32 v7, v7, v3
	s_branch .LBB158_1434
.LBB158_1432:
	s_mov_b64 s[0:1], -1
                                        ; implicit-def: $vgpr7
.LBB158_1433:
	s_mov_b64 s[20:21], 0
.LBB158_1434:
	s_and_b64 vcc, exec, s[20:21]
	s_cbranch_vccz .LBB158_1452
; %bb.1435:
	s_cmp_lt_i32 s26, 27
	s_cbranch_scc1 .LBB158_1438
; %bb.1436:
	s_cmp_gt_i32 s26, 27
	s_cbranch_scc0 .LBB158_1439
; %bb.1437:
	global_load_dword v3, v[0:1], off
	s_mov_b64 s[10:11], 0
	s_waitcnt vmcnt(0)
	v_cvt_f32_u32_e32 v7, v3
	s_branch .LBB158_1440
.LBB158_1438:
	s_mov_b64 s[10:11], -1
                                        ; implicit-def: $vgpr7
	s_branch .LBB158_1443
.LBB158_1439:
	s_mov_b64 s[10:11], -1
                                        ; implicit-def: $vgpr7
.LBB158_1440:
	s_andn2_b64 vcc, exec, s[10:11]
	s_cbranch_vccnz .LBB158_1442
; %bb.1441:
	global_load_ushort v3, v[0:1], off
	s_waitcnt vmcnt(0)
	v_cvt_f32_u32_e32 v7, v3
.LBB158_1442:
	s_mov_b64 s[10:11], 0
.LBB158_1443:
	s_andn2_b64 vcc, exec, s[10:11]
	s_cbranch_vccnz .LBB158_1451
; %bb.1444:
	global_load_ubyte v3, v[0:1], off
	s_movk_i32 s10, 0x7f
	s_waitcnt vmcnt(0)
	v_cmp_lt_i16_e32 vcc, s10, v3
	s_mov_b64 s[10:11], 0
	s_and_saveexec_b64 s[20:21], vcc
	s_xor_b64 s[20:21], exec, s[20:21]
	s_cbranch_execz .LBB158_1465
; %bb.1445:
	s_movk_i32 s10, 0x80
	v_cmp_eq_u16_e32 vcc, s10, v3
	s_mov_b64 s[10:11], -1
	s_and_saveexec_b64 s[22:23], vcc
; %bb.1446:
	s_xor_b64 s[10:11], exec, -1
; %bb.1447:
	s_or_b64 exec, exec, s[22:23]
	s_and_b64 s[10:11], s[10:11], exec
	s_or_saveexec_b64 s[20:21], s[20:21]
	v_mov_b32_e32 v7, 0x7f800001
	s_xor_b64 exec, exec, s[20:21]
	s_cbranch_execnz .LBB158_1466
.LBB158_1448:
	s_or_b64 exec, exec, s[20:21]
	s_and_saveexec_b64 s[20:21], s[10:11]
	s_cbranch_execz .LBB158_1450
.LBB158_1449:
	v_lshlrev_b32_e32 v7, 24, v3
	v_and_b32_e32 v3, 0xffff, v3
	v_and_b32_e32 v8, 7, v3
	v_ffbh_u32_e32 v10, v8
	v_min_u32_e32 v10, 32, v10
	v_subrev_u32_e32 v11, 28, v10
	v_bfe_u32 v9, v3, 3, 4
	v_lshlrev_b32_e32 v3, v11, v3
	v_sub_u32_e32 v10, 29, v10
	v_and_b32_e32 v3, 7, v3
	v_cmp_eq_u32_e32 vcc, 0, v9
	v_cndmask_b32_e32 v9, v9, v10, vcc
	v_cndmask_b32_e32 v3, v8, v3, vcc
	v_mov_b32_e32 v8, 0x3b800000
	v_lshlrev_b32_e32 v3, 20, v3
	v_and_b32_e32 v7, 0x80000000, v7
	v_lshl_add_u32 v8, v9, 23, v8
	v_or3_b32 v7, v7, v8, v3
.LBB158_1450:
	s_or_b64 exec, exec, s[20:21]
.LBB158_1451:
	s_mov_b64 s[10:11], -1
.LBB158_1452:
	s_mov_b64 s[20:21], 0
.LBB158_1453:
	s_and_b64 vcc, exec, s[20:21]
	s_cbranch_vccz .LBB158_1486
; %bb.1454:
	s_cmp_gt_i32 s26, 22
	s_cbranch_scc0 .LBB158_1464
; %bb.1455:
	s_cmp_lt_i32 s26, 24
	s_cbranch_scc1 .LBB158_1467
; %bb.1456:
	s_cmp_gt_i32 s26, 24
	s_cbranch_scc0 .LBB158_1468
; %bb.1457:
	global_load_ubyte v3, v[0:1], off
	s_movk_i32 s4, 0x7f
	s_waitcnt vmcnt(0)
	v_cmp_lt_i16_e32 vcc, s4, v3
	s_mov_b64 s[4:5], 0
	s_and_saveexec_b64 s[10:11], vcc
	s_xor_b64 s[10:11], exec, s[10:11]
	s_cbranch_execz .LBB158_1480
; %bb.1458:
	s_movk_i32 s4, 0x80
	v_cmp_eq_u16_e32 vcc, s4, v3
	s_mov_b64 s[4:5], -1
	s_and_saveexec_b64 s[20:21], vcc
; %bb.1459:
	s_xor_b64 s[4:5], exec, -1
; %bb.1460:
	s_or_b64 exec, exec, s[20:21]
	s_and_b64 s[4:5], s[4:5], exec
	s_or_saveexec_b64 s[10:11], s[10:11]
	v_mov_b32_e32 v7, 0x7f800001
	s_xor_b64 exec, exec, s[10:11]
	s_cbranch_execnz .LBB158_1481
.LBB158_1461:
	s_or_b64 exec, exec, s[10:11]
	s_and_saveexec_b64 s[10:11], s[4:5]
	s_cbranch_execz .LBB158_1463
.LBB158_1462:
	v_lshlrev_b32_e32 v7, 24, v3
	v_and_b32_e32 v3, 0xffff, v3
	v_and_b32_e32 v8, 3, v3
	v_ffbh_u32_e32 v10, v8
	v_min_u32_e32 v10, 32, v10
	v_subrev_u32_e32 v11, 29, v10
	v_bfe_u32 v9, v3, 2, 5
	v_lshlrev_b32_e32 v3, v11, v3
	v_sub_u32_e32 v10, 30, v10
	v_and_b32_e32 v3, 3, v3
	v_cmp_eq_u32_e32 vcc, 0, v9
	v_cndmask_b32_e32 v9, v9, v10, vcc
	v_cndmask_b32_e32 v3, v8, v3, vcc
	v_mov_b32_e32 v8, 0x37800000
	v_lshlrev_b32_e32 v3, 21, v3
	v_and_b32_e32 v7, 0x80000000, v7
	v_lshl_add_u32 v8, v9, 23, v8
	v_or3_b32 v7, v7, v8, v3
.LBB158_1463:
	s_or_b64 exec, exec, s[10:11]
	s_mov_b64 s[4:5], 0
	s_branch .LBB158_1469
.LBB158_1464:
	s_mov_b64 s[4:5], -1
                                        ; implicit-def: $vgpr7
	s_branch .LBB158_1475
.LBB158_1465:
	s_or_saveexec_b64 s[20:21], s[20:21]
	v_mov_b32_e32 v7, 0x7f800001
	s_xor_b64 exec, exec, s[20:21]
	s_cbranch_execz .LBB158_1448
.LBB158_1466:
	v_cmp_ne_u16_e32 vcc, 0, v3
	s_andn2_b64 s[10:11], s[10:11], exec
	s_and_b64 s[22:23], vcc, exec
	v_mov_b32_e32 v7, 0
	s_or_b64 s[10:11], s[10:11], s[22:23]
	s_or_b64 exec, exec, s[20:21]
	s_and_saveexec_b64 s[20:21], s[10:11]
	s_cbranch_execnz .LBB158_1449
	s_branch .LBB158_1450
.LBB158_1467:
	s_mov_b64 s[4:5], -1
                                        ; implicit-def: $vgpr7
	s_branch .LBB158_1472
.LBB158_1468:
	s_mov_b64 s[4:5], -1
                                        ; implicit-def: $vgpr7
.LBB158_1469:
	s_and_b64 vcc, exec, s[4:5]
	s_cbranch_vccz .LBB158_1471
; %bb.1470:
	global_load_ubyte v3, v[0:1], off
	s_mov_b32 s4, 0x7f800000
	s_waitcnt vmcnt(0)
	v_lshlrev_b32_e32 v3, 24, v3
	v_and_b32_e32 v7, 0x7f000000, v3
	v_ffbh_u32_e32 v8, v7
	v_min_u32_e32 v8, 32, v8
	v_sub_u32_e64 v8, v8, 4 clamp
	v_lshlrev_b32_e32 v10, v8, v7
	v_lshlrev_b32_e32 v8, 23, v8
	v_lshrrev_b32_e32 v10, 4, v10
	v_add_u32_e32 v9, 0x1000000, v7
	v_sub_u32_e32 v8, v10, v8
	v_ashrrev_i32_e32 v9, 8, v9
	v_add_u32_e32 v8, 0x3c000000, v8
	v_and_or_b32 v8, v9, s4, v8
	v_cmp_ne_u32_e32 vcc, 0, v7
	v_cndmask_b32_e32 v7, 0, v8, vcc
	s_brev_b32 s4, 1
	v_and_or_b32 v7, v3, s4, v7
.LBB158_1471:
	s_mov_b64 s[4:5], 0
.LBB158_1472:
	s_andn2_b64 vcc, exec, s[4:5]
	s_cbranch_vccnz .LBB158_1474
; %bb.1473:
	global_load_ubyte v3, v[0:1], off
	s_movk_i32 s4, 0x7f00
	s_brev_b32 s5, 16
	s_waitcnt vmcnt(0)
	v_lshlrev_b16_e32 v7, 8, v3
	v_lshlrev_b32_e32 v3, 25, v3
	v_lshrrev_b32_e32 v8, 4, v3
	v_and_or_b32 v9, v7, s4, 0.5
	v_or_b32_e32 v8, 0x70000000, v8
	v_add_f32_e32 v9, -0.5, v9
	v_mul_f32_e32 v8, 0x7800000, v8
	v_cmp_gt_u32_e32 vcc, s5, v3
	v_bfe_i32 v7, v7, 0, 16
	v_cndmask_b32_e32 v3, v8, v9, vcc
	s_brev_b32 s4, 1
	v_and_or_b32 v7, v7, s4, v3
.LBB158_1474:
	s_mov_b64 s[4:5], 0
	s_mov_b64 s[10:11], -1
.LBB158_1475:
	s_andn2_b64 vcc, exec, s[4:5]
	s_mov_b64 s[4:5], 0
	s_cbranch_vccnz .LBB158_1486
; %bb.1476:
	s_cmp_gt_i32 s26, 14
	s_cbranch_scc0 .LBB158_1479
; %bb.1477:
	s_cmp_eq_u32 s26, 15
	s_cbranch_scc0 .LBB158_1482
; %bb.1478:
	global_load_ushort v3, v[0:1], off
	s_mov_b64 s[0:1], 0
	s_mov_b64 s[10:11], -1
	s_waitcnt vmcnt(0)
	v_lshlrev_b32_e32 v7, 16, v3
	s_branch .LBB158_1483
.LBB158_1479:
	s_mov_b64 s[20:21], -1
                                        ; implicit-def: $vgpr7
	s_branch .LBB158_1484
.LBB158_1480:
	s_or_saveexec_b64 s[10:11], s[10:11]
	v_mov_b32_e32 v7, 0x7f800001
	s_xor_b64 exec, exec, s[10:11]
	s_cbranch_execz .LBB158_1461
.LBB158_1481:
	v_cmp_ne_u16_e32 vcc, 0, v3
	s_andn2_b64 s[4:5], s[4:5], exec
	s_and_b64 s[20:21], vcc, exec
	v_mov_b32_e32 v7, 0
	s_or_b64 s[4:5], s[4:5], s[20:21]
	s_or_b64 exec, exec, s[10:11]
	s_and_saveexec_b64 s[10:11], s[4:5]
	s_cbranch_execnz .LBB158_1462
	s_branch .LBB158_1463
.LBB158_1482:
	s_mov_b64 s[0:1], -1
                                        ; implicit-def: $vgpr7
.LBB158_1483:
	s_mov_b64 s[20:21], 0
.LBB158_1484:
	s_and_b64 vcc, exec, s[20:21]
	s_cbranch_vccz .LBB158_1486
; %bb.1485:
	s_cmp_lg_u32 s26, 11
	s_mov_b64 s[4:5], -1
	s_cselect_b64 s[0:1], -1, 0
.LBB158_1486:
	s_and_b64 vcc, exec, s[0:1]
	s_cbranch_vccnz .LBB158_2019
; %bb.1487:
	s_andn2_b64 vcc, exec, s[4:5]
	s_cbranch_vccnz .LBB158_1489
.LBB158_1488:
	global_load_ubyte v3, v[0:1], off
	s_mov_b64 s[10:11], -1
	s_waitcnt vmcnt(0)
	v_cmp_ne_u16_e32 vcc, 0, v3
	v_cndmask_b32_e64 v7, 0, 1.0, vcc
.LBB158_1489:
	s_mov_b64 s[0:1], 0
.LBB158_1490:
	s_and_b64 vcc, exec, s[0:1]
	s_cbranch_vccz .LBB158_1539
; %bb.1491:
	s_cmp_lt_i32 s26, 5
	s_cbranch_scc1 .LBB158_1496
; %bb.1492:
	s_cmp_lt_i32 s26, 8
	s_cbranch_scc1 .LBB158_1497
	;; [unrolled: 3-line block ×3, first 2 shown]
; %bb.1494:
	s_cmp_gt_i32 s26, 9
	s_cbranch_scc0 .LBB158_1499
; %bb.1495:
	global_load_dwordx2 v[7:8], v[0:1], off
	s_mov_b64 s[0:1], 0
	s_waitcnt vmcnt(0)
	v_cvt_f32_f64_e32 v7, v[7:8]
	s_branch .LBB158_1500
.LBB158_1496:
	s_mov_b64 s[0:1], -1
                                        ; implicit-def: $vgpr7
	s_branch .LBB158_1518
.LBB158_1497:
	s_mov_b64 s[0:1], -1
                                        ; implicit-def: $vgpr7
	s_branch .LBB158_1506
.LBB158_1498:
	s_mov_b64 s[0:1], -1
                                        ; implicit-def: $vgpr7
	s_branch .LBB158_1503
.LBB158_1499:
	s_mov_b64 s[0:1], -1
                                        ; implicit-def: $vgpr7
.LBB158_1500:
	s_andn2_b64 vcc, exec, s[0:1]
	s_cbranch_vccnz .LBB158_1502
; %bb.1501:
	global_load_dword v7, v[0:1], off
.LBB158_1502:
	s_mov_b64 s[0:1], 0
.LBB158_1503:
	s_andn2_b64 vcc, exec, s[0:1]
	s_cbranch_vccnz .LBB158_1505
; %bb.1504:
	global_load_dword v3, v[0:1], off
	s_waitcnt vmcnt(0)
	v_cvt_f32_f16_e32 v7, v3
.LBB158_1505:
	s_mov_b64 s[0:1], 0
.LBB158_1506:
	s_andn2_b64 vcc, exec, s[0:1]
	s_cbranch_vccnz .LBB158_1517
; %bb.1507:
	s_cmp_lt_i32 s26, 6
	s_cbranch_scc1 .LBB158_1510
; %bb.1508:
	s_cmp_gt_i32 s26, 6
	s_cbranch_scc0 .LBB158_1511
; %bb.1509:
	global_load_dwordx2 v[7:8], v[0:1], off
	s_mov_b64 s[0:1], 0
	s_waitcnt vmcnt(0)
	v_cvt_f32_f64_e32 v7, v[7:8]
	s_branch .LBB158_1512
.LBB158_1510:
	s_mov_b64 s[0:1], -1
                                        ; implicit-def: $vgpr7
	s_branch .LBB158_1515
.LBB158_1511:
	s_mov_b64 s[0:1], -1
                                        ; implicit-def: $vgpr7
.LBB158_1512:
	s_andn2_b64 vcc, exec, s[0:1]
	s_cbranch_vccnz .LBB158_1514
; %bb.1513:
	global_load_dword v7, v[0:1], off
.LBB158_1514:
	s_mov_b64 s[0:1], 0
.LBB158_1515:
	s_andn2_b64 vcc, exec, s[0:1]
	s_cbranch_vccnz .LBB158_1517
; %bb.1516:
	global_load_ushort v3, v[0:1], off
	s_waitcnt vmcnt(0)
	v_cvt_f32_f16_e32 v7, v3
.LBB158_1517:
	s_mov_b64 s[0:1], 0
.LBB158_1518:
	s_andn2_b64 vcc, exec, s[0:1]
	s_cbranch_vccnz .LBB158_1538
; %bb.1519:
	s_cmp_lt_i32 s26, 2
	s_cbranch_scc1 .LBB158_1523
; %bb.1520:
	s_cmp_lt_i32 s26, 3
	s_cbranch_scc1 .LBB158_1524
; %bb.1521:
	s_cmp_gt_i32 s26, 3
	s_cbranch_scc0 .LBB158_1525
; %bb.1522:
	global_load_dwordx2 v[7:8], v[0:1], off
	s_mov_b64 s[0:1], 0
	s_waitcnt vmcnt(0)
	v_xor_b32_e32 v9, v7, v8
	v_ffbh_i32_e32 v3, v8
	v_ashrrev_i32_e32 v9, 31, v9
	v_add_u32_e32 v3, -1, v3
	v_add_u32_e32 v9, 32, v9
	v_min_u32_e32 v3, v3, v9
	v_lshlrev_b64 v[7:8], v3, v[7:8]
	v_sub_u32_e32 v3, 32, v3
	v_min_u32_e32 v7, 1, v7
	v_or_b32_e32 v7, v8, v7
	v_cvt_f32_i32_e32 v7, v7
	v_ldexp_f32 v7, v7, v3
	s_branch .LBB158_1526
.LBB158_1523:
	s_mov_b64 s[0:1], -1
                                        ; implicit-def: $vgpr7
	s_branch .LBB158_1532
.LBB158_1524:
	s_mov_b64 s[0:1], -1
                                        ; implicit-def: $vgpr7
	s_branch .LBB158_1529
.LBB158_1525:
	s_mov_b64 s[0:1], -1
                                        ; implicit-def: $vgpr7
.LBB158_1526:
	s_andn2_b64 vcc, exec, s[0:1]
	s_cbranch_vccnz .LBB158_1528
; %bb.1527:
	global_load_dword v3, v[0:1], off
	s_waitcnt vmcnt(0)
	v_cvt_f32_i32_e32 v7, v3
.LBB158_1528:
	s_mov_b64 s[0:1], 0
.LBB158_1529:
	s_andn2_b64 vcc, exec, s[0:1]
	s_cbranch_vccnz .LBB158_1531
; %bb.1530:
	global_load_sshort v3, v[0:1], off
	s_waitcnt vmcnt(0)
	v_cvt_f32_i32_e32 v7, v3
.LBB158_1531:
	s_mov_b64 s[0:1], 0
.LBB158_1532:
	s_andn2_b64 vcc, exec, s[0:1]
	s_cbranch_vccnz .LBB158_1538
; %bb.1533:
	s_cmp_gt_i32 s26, 0
	s_cbranch_scc0 .LBB158_1535
; %bb.1534:
	global_load_sbyte v3, v[0:1], off
	s_mov_b64 s[0:1], 0
	s_waitcnt vmcnt(0)
	v_cvt_f32_i32_e32 v7, v3
	s_branch .LBB158_1536
.LBB158_1535:
	s_mov_b64 s[0:1], -1
                                        ; implicit-def: $vgpr7
.LBB158_1536:
	s_andn2_b64 vcc, exec, s[0:1]
	s_cbranch_vccnz .LBB158_1538
; %bb.1537:
	global_load_ubyte v0, v[0:1], off
	s_waitcnt vmcnt(0)
	v_cvt_f32_ubyte0_e32 v7, v0
.LBB158_1538:
	s_mov_b64 s[10:11], -1
.LBB158_1539:
	s_andn2_b64 vcc, exec, s[10:11]
	s_cbranch_vccnz .LBB158_1973
; %bb.1540:
	v_mul_lo_u32 v4, s12, v4
	v_mov_b32_e32 v0, s15
	v_mov_b32_e32 v1, s2
	s_waitcnt vmcnt(0)
	v_cmp_nge_f32_e32 vcc, s14, v2
	v_cndmask_b32_e32 v2, v0, v1, vcc
	v_ashrrev_i32_e32 v1, 31, v4
	v_mov_b32_e32 v3, s9
	s_and_b32 s24, s3, 0xff
	v_add_co_u32_e32 v0, vcc, s8, v4
	s_cmp_lt_i32 s24, 11
	v_addc_co_u32_e32 v1, vcc, v3, v1, vcc
	s_cbranch_scc1 .LBB158_1618
; %bb.1541:
	s_and_b32 s3, 0xffff, s24
	s_mov_b64 s[20:21], -1
	s_mov_b64 s[4:5], 0
	s_cmp_gt_i32 s3, 25
	s_mov_b64 s[10:11], 0
	s_mov_b64 s[0:1], 0
	s_cbranch_scc0 .LBB158_1574
; %bb.1542:
	s_cmp_gt_i32 s3, 28
	s_cbranch_scc0 .LBB158_1557
; %bb.1543:
	s_cmp_gt_i32 s3, 43
	;; [unrolled: 3-line block ×3, first 2 shown]
	s_cbranch_scc0 .LBB158_1547
; %bb.1545:
	s_mov_b64 s[0:1], -1
	s_mov_b64 s[20:21], 0
	s_cmp_eq_u32 s3, 46
	s_cbranch_scc0 .LBB158_1547
; %bb.1546:
	v_bfe_u32 v3, v2, 16, 1
	s_movk_i32 s0, 0x7fff
	v_add3_u32 v3, v2, v3, s0
	v_cmp_o_f32_e32 vcc, v2, v2
	v_mov_b32_e32 v8, 0x7fc0
	v_cndmask_b32_sdwa v3, v8, v3, vcc dst_sel:DWORD dst_unused:UNUSED_PAD src0_sel:DWORD src1_sel:WORD_1
	global_store_dword v[0:1], v3, off
	s_mov_b64 s[0:1], 0
	s_mov_b64 s[10:11], -1
.LBB158_1547:
	s_and_b64 vcc, exec, s[20:21]
	s_cbranch_vccz .LBB158_1552
; %bb.1548:
	s_cmp_eq_u32 s3, 44
	s_mov_b64 s[0:1], -1
	s_cbranch_scc0 .LBB158_1552
; %bb.1549:
	v_bfe_u32 v3, v2, 23, 8
	s_movk_i32 s0, 0xff
	v_cmp_ne_u32_e32 vcc, s0, v3
	v_mov_b32_e32 v8, 0xff
	s_and_saveexec_b64 s[10:11], vcc
; %bb.1550:
	s_mov_b32 s0, 0x3fffff
	v_and_b32_e32 v9, 0x400000, v2
	v_and_or_b32 v3, v2, s0, v3
	v_cmp_ne_u32_e32 vcc, 0, v9
	v_cmp_ne_u32_e64 s[0:1], 0, v3
	s_and_b64 s[0:1], vcc, s[0:1]
	v_lshrrev_b32_e32 v8, 23, v2
	v_cndmask_b32_e64 v3, 0, 1, s[0:1]
	v_add_u32_e32 v8, v8, v3
; %bb.1551:
	s_or_b64 exec, exec, s[10:11]
	s_mov_b64 s[0:1], 0
	s_mov_b64 s[10:11], -1
	global_store_byte v[0:1], v8, off
.LBB158_1552:
	s_mov_b64 s[20:21], 0
.LBB158_1553:
	s_and_b64 vcc, exec, s[20:21]
	s_cbranch_vccz .LBB158_1556
; %bb.1554:
	s_cmp_eq_u32 s3, 29
	s_mov_b64 s[0:1], -1
	s_cbranch_scc0 .LBB158_1556
; %bb.1555:
	v_trunc_f32_e32 v3, v2
	v_mul_f32_e32 v8, 0x2f800000, v3
	v_floor_f32_e32 v8, v8
	v_fmac_f32_e32 v3, 0xcf800000, v8
	v_cvt_u32_f32_e32 v9, v8
	v_cvt_u32_f32_e32 v8, v3
	s_mov_b64 s[0:1], 0
	s_mov_b64 s[10:11], -1
	global_store_dwordx2 v[0:1], v[8:9], off
.LBB158_1556:
	s_mov_b64 s[20:21], 0
.LBB158_1557:
	s_and_b64 vcc, exec, s[20:21]
	s_cbranch_vccz .LBB158_1573
; %bb.1558:
	s_cmp_lt_i32 s3, 27
	s_mov_b64 s[10:11], -1
	s_cbranch_scc1 .LBB158_1564
; %bb.1559:
	v_cvt_u32_f32_e32 v3, v2
	s_cmp_gt_i32 s3, 27
	s_cbranch_scc0 .LBB158_1561
; %bb.1560:
	s_mov_b64 s[10:11], 0
	global_store_dword v[0:1], v3, off
.LBB158_1561:
	s_andn2_b64 vcc, exec, s[10:11]
	s_cbranch_vccnz .LBB158_1563
; %bb.1562:
	global_store_short v[0:1], v3, off
.LBB158_1563:
	s_mov_b64 s[10:11], 0
.LBB158_1564:
	s_andn2_b64 vcc, exec, s[10:11]
	s_cbranch_vccnz .LBB158_1572
; %bb.1565:
	v_and_b32_e32 v3, 0x7fffffff, v2
	s_mov_b32 s10, 0x43800000
	v_cmp_gt_u32_e32 vcc, s10, v3
	v_mov_b32_e32 v8, 0x80
	s_and_saveexec_b64 s[10:11], vcc
	s_cbranch_execz .LBB158_1571
; %bb.1566:
	s_mov_b32 s13, 0x3bffffff
	v_cmp_lt_u32_e32 vcc, s13, v3
	s_mov_b64 s[20:21], 0
                                        ; implicit-def: $vgpr3
	s_and_saveexec_b64 s[22:23], vcc
	s_xor_b64 s[22:23], exec, s[22:23]
	s_cbranch_execz .LBB158_2020
; %bb.1567:
	v_bfe_u32 v3, v2, 20, 1
	s_mov_b32 s13, 0x487ffff
	v_add3_u32 v3, v2, v3, s13
	s_mov_b64 s[20:21], exec
	v_lshrrev_b32_e32 v3, 20, v3
	s_andn2_saveexec_b64 s[22:23], s[22:23]
	s_cbranch_execnz .LBB158_2021
.LBB158_1568:
	s_or_b64 exec, exec, s[22:23]
	v_mov_b32_e32 v8, 0
	s_and_saveexec_b64 s[22:23], s[20:21]
.LBB158_1569:
	v_lshrrev_b32_e32 v8, 24, v2
	s_movk_i32 s13, 0x80
	v_and_or_b32 v8, v8, s13, v3
.LBB158_1570:
	s_or_b64 exec, exec, s[22:23]
.LBB158_1571:
	s_or_b64 exec, exec, s[10:11]
	global_store_byte v[0:1], v8, off
.LBB158_1572:
	s_mov_b64 s[10:11], -1
.LBB158_1573:
	s_mov_b64 s[20:21], 0
.LBB158_1574:
	s_and_b64 vcc, exec, s[20:21]
	s_cbranch_vccz .LBB158_1614
; %bb.1575:
	s_cmp_gt_i32 s3, 22
	s_mov_b64 s[4:5], -1
	s_cbranch_scc0 .LBB158_1607
; %bb.1576:
	s_cmp_lt_i32 s3, 24
	s_cbranch_scc1 .LBB158_1596
; %bb.1577:
	s_cmp_gt_i32 s3, 24
	s_cbranch_scc0 .LBB158_1585
; %bb.1578:
	v_and_b32_e32 v3, 0x7fffffff, v2
	s_mov_b32 s4, 0x47800000
	v_cmp_gt_u32_e32 vcc, s4, v3
	v_mov_b32_e32 v8, 0x80
	s_and_saveexec_b64 s[4:5], vcc
	s_cbranch_execz .LBB158_1584
; %bb.1579:
	s_mov_b32 s10, 0x37ffffff
	v_cmp_lt_u32_e32 vcc, s10, v3
	s_mov_b64 s[10:11], 0
                                        ; implicit-def: $vgpr3
	s_and_saveexec_b64 s[20:21], vcc
	s_xor_b64 s[20:21], exec, s[20:21]
	s_cbranch_execz .LBB158_2023
; %bb.1580:
	v_bfe_u32 v3, v2, 21, 1
	s_mov_b32 s13, 0x88fffff
	v_add3_u32 v3, v2, v3, s13
	s_mov_b64 s[10:11], exec
	v_lshrrev_b32_e32 v3, 21, v3
	s_andn2_saveexec_b64 s[20:21], s[20:21]
	s_cbranch_execnz .LBB158_2024
.LBB158_1581:
	s_or_b64 exec, exec, s[20:21]
	v_mov_b32_e32 v8, 0
	s_and_saveexec_b64 s[20:21], s[10:11]
.LBB158_1582:
	v_lshrrev_b32_e32 v8, 24, v2
	s_movk_i32 s10, 0x80
	v_and_or_b32 v8, v8, s10, v3
.LBB158_1583:
	s_or_b64 exec, exec, s[20:21]
.LBB158_1584:
	s_or_b64 exec, exec, s[4:5]
	s_mov_b64 s[4:5], 0
	global_store_byte v[0:1], v8, off
.LBB158_1585:
	s_and_b64 vcc, exec, s[4:5]
	s_cbranch_vccz .LBB158_1595
; %bb.1586:
	v_and_b32_e32 v8, 0x7fffffff, v2
	s_mov_b32 s4, 0x43f00000
	v_cmp_gt_u32_e32 vcc, s4, v8
                                        ; implicit-def: $vgpr3
	s_and_saveexec_b64 s[4:5], vcc
	s_xor_b64 s[4:5], exec, s[4:5]
	s_cbranch_execz .LBB158_1592
; %bb.1587:
	s_mov_b32 s10, 0x3c7fffff
	v_cmp_lt_u32_e32 vcc, s10, v8
                                        ; implicit-def: $vgpr3
	s_and_saveexec_b64 s[10:11], vcc
	s_xor_b64 s[10:11], exec, s[10:11]
; %bb.1588:
	v_bfe_u32 v3, v2, 20, 1
	s_mov_b32 s13, 0x407ffff
	v_add3_u32 v3, v2, v3, s13
	v_lshrrev_b32_e32 v8, 20, v3
	v_and_b32_e32 v3, 0xff00000, v3
	s_mov_b32 s13, 0x7f00000
	v_mov_b32_e32 v9, 0x7e
	v_cmp_ne_u32_e32 vcc, s13, v3
	v_cndmask_b32_e32 v3, v9, v8, vcc
; %bb.1589:
	s_andn2_saveexec_b64 s[10:11], s[10:11]
; %bb.1590:
	s_mov_b32 s13, 0x46800000
	v_add_f32_e64 v3, |v2|, s13
; %bb.1591:
	s_or_b64 exec, exec, s[10:11]
                                        ; implicit-def: $vgpr8
.LBB158_1592:
	s_andn2_saveexec_b64 s[4:5], s[4:5]
; %bb.1593:
	s_mov_b32 s10, 0x7f800000
	v_mov_b32_e32 v3, 0x7e
	v_mov_b32_e32 v9, 0x7f
	v_cmp_lt_u32_e32 vcc, s10, v8
	v_cndmask_b32_e32 v3, v3, v9, vcc
; %bb.1594:
	s_or_b64 exec, exec, s[4:5]
	v_lshrrev_b32_e32 v8, 24, v2
	s_movk_i32 s4, 0x80
	v_and_or_b32 v3, v8, s4, v3
	global_store_byte v[0:1], v3, off
.LBB158_1595:
	s_mov_b64 s[4:5], 0
.LBB158_1596:
	s_andn2_b64 vcc, exec, s[4:5]
	s_cbranch_vccnz .LBB158_1606
; %bb.1597:
	v_and_b32_e32 v8, 0x7fffffff, v2
	s_mov_b32 s4, 0x47800000
	v_cmp_gt_u32_e32 vcc, s4, v8
                                        ; implicit-def: $vgpr3
	s_and_saveexec_b64 s[4:5], vcc
	s_xor_b64 s[4:5], exec, s[4:5]
	s_cbranch_execz .LBB158_1603
; %bb.1598:
	s_mov_b32 s10, 0x387fffff
	v_cmp_lt_u32_e32 vcc, s10, v8
                                        ; implicit-def: $vgpr3
	s_and_saveexec_b64 s[10:11], vcc
	s_xor_b64 s[10:11], exec, s[10:11]
; %bb.1599:
	v_bfe_u32 v3, v2, 21, 1
	s_mov_b32 s13, 0x80fffff
	v_add3_u32 v3, v2, v3, s13
	v_lshrrev_b32_e32 v3, 21, v3
; %bb.1600:
	s_andn2_saveexec_b64 s[10:11], s[10:11]
; %bb.1601:
	s_mov_b32 s13, 0x43000000
	v_add_f32_e64 v3, |v2|, s13
; %bb.1602:
	s_or_b64 exec, exec, s[10:11]
                                        ; implicit-def: $vgpr8
.LBB158_1603:
	s_andn2_saveexec_b64 s[4:5], s[4:5]
; %bb.1604:
	s_mov_b32 s10, 0x7f800000
	v_mov_b32_e32 v3, 0x7c
	v_mov_b32_e32 v9, 0x7f
	v_cmp_lt_u32_e32 vcc, s10, v8
	v_cndmask_b32_e32 v3, v3, v9, vcc
; %bb.1605:
	s_or_b64 exec, exec, s[4:5]
	v_lshrrev_b32_e32 v8, 24, v2
	s_movk_i32 s4, 0x80
	v_and_or_b32 v3, v8, s4, v3
	global_store_byte v[0:1], v3, off
.LBB158_1606:
	s_mov_b64 s[4:5], 0
	s_mov_b64 s[10:11], -1
.LBB158_1607:
	s_andn2_b64 vcc, exec, s[4:5]
	s_mov_b64 s[4:5], 0
	s_cbranch_vccnz .LBB158_1614
; %bb.1608:
	s_cmp_gt_i32 s3, 14
	s_mov_b64 s[20:21], -1
	s_cbranch_scc0 .LBB158_1612
; %bb.1609:
	s_cmp_eq_u32 s3, 15
	s_mov_b64 s[0:1], -1
	s_cbranch_scc0 .LBB158_1611
; %bb.1610:
	v_bfe_u32 v3, v2, 16, 1
	s_movk_i32 s0, 0x7fff
	v_add3_u32 v3, v2, v3, s0
	v_cmp_o_f32_e32 vcc, v2, v2
	v_mov_b32_e32 v8, 0x7fc0
	v_cndmask_b32_sdwa v3, v8, v3, vcc dst_sel:DWORD dst_unused:UNUSED_PAD src0_sel:DWORD src1_sel:WORD_1
	global_store_short v[0:1], v3, off
	s_mov_b64 s[0:1], 0
	s_mov_b64 s[10:11], -1
.LBB158_1611:
	s_mov_b64 s[20:21], 0
.LBB158_1612:
	s_and_b64 vcc, exec, s[20:21]
	s_cbranch_vccz .LBB158_1614
; %bb.1613:
	s_cmp_lg_u32 s3, 11
	s_mov_b64 s[4:5], -1
	s_cselect_b64 s[0:1], -1, 0
.LBB158_1614:
	s_and_b64 vcc, exec, s[0:1]
	s_cbranch_vccnz .LBB158_2022
; %bb.1615:
	s_andn2_b64 vcc, exec, s[4:5]
	s_cbranch_vccnz .LBB158_1617
.LBB158_1616:
	v_cmp_neq_f32_e32 vcc, 0, v2
	v_cndmask_b32_e64 v3, 0, 1, vcc
	s_mov_b64 s[10:11], -1
	global_store_byte v[0:1], v3, off
.LBB158_1617:
	s_mov_b64 s[0:1], 0
	s_branch .LBB158_1619
.LBB158_1618:
	s_mov_b64 s[0:1], -1
	s_mov_b64 s[10:11], 0
.LBB158_1619:
	s_and_b64 vcc, exec, s[0:1]
	s_cbranch_vccz .LBB158_1658
; %bb.1620:
	s_and_b32 s3, 0xffff, s24
	s_cmp_lt_i32 s3, 5
	s_mov_b64 s[0:1], -1
	s_cbranch_scc1 .LBB158_1641
; %bb.1621:
	s_cmp_lt_i32 s3, 8
	s_cbranch_scc1 .LBB158_1631
; %bb.1622:
	s_cmp_lt_i32 s3, 9
	s_cbranch_scc1 .LBB158_1628
; %bb.1623:
	s_cmp_gt_i32 s3, 9
	s_cbranch_scc0 .LBB158_1625
; %bb.1624:
	v_cvt_f64_f32_e32 v[8:9], v2
	v_mov_b32_e32 v10, 0
	v_mov_b32_e32 v11, v10
	s_mov_b64 s[0:1], 0
	global_store_dwordx4 v[0:1], v[8:11], off
.LBB158_1625:
	s_andn2_b64 vcc, exec, s[0:1]
	s_cbranch_vccnz .LBB158_1627
; %bb.1626:
	v_mov_b32_e32 v3, 0
	global_store_dwordx2 v[0:1], v[2:3], off
.LBB158_1627:
	s_mov_b64 s[0:1], 0
.LBB158_1628:
	s_andn2_b64 vcc, exec, s[0:1]
	s_cbranch_vccnz .LBB158_1630
; %bb.1629:
	v_cvt_f16_f32_e32 v3, v2
	global_store_dword v[0:1], v3, off
.LBB158_1630:
	s_mov_b64 s[0:1], 0
.LBB158_1631:
	s_andn2_b64 vcc, exec, s[0:1]
	s_cbranch_vccnz .LBB158_1640
; %bb.1632:
	s_cmp_lt_i32 s3, 6
	s_mov_b64 s[0:1], -1
	s_cbranch_scc1 .LBB158_1638
; %bb.1633:
	s_cmp_gt_i32 s3, 6
	s_cbranch_scc0 .LBB158_1635
; %bb.1634:
	v_cvt_f64_f32_e32 v[8:9], v2
	s_mov_b64 s[0:1], 0
	global_store_dwordx2 v[0:1], v[8:9], off
.LBB158_1635:
	s_andn2_b64 vcc, exec, s[0:1]
	s_cbranch_vccnz .LBB158_1637
; %bb.1636:
	global_store_dword v[0:1], v2, off
.LBB158_1637:
	s_mov_b64 s[0:1], 0
.LBB158_1638:
	s_andn2_b64 vcc, exec, s[0:1]
	s_cbranch_vccnz .LBB158_1640
; %bb.1639:
	v_cvt_f16_f32_e32 v3, v2
	global_store_short v[0:1], v3, off
.LBB158_1640:
	s_mov_b64 s[0:1], 0
.LBB158_1641:
	s_andn2_b64 vcc, exec, s[0:1]
	s_cbranch_vccnz .LBB158_1657
; %bb.1642:
	s_cmp_lt_i32 s3, 2
	s_mov_b64 s[0:1], -1
	s_cbranch_scc1 .LBB158_1652
; %bb.1643:
	s_cmp_lt_i32 s3, 3
	s_cbranch_scc1 .LBB158_1649
; %bb.1644:
	s_cmp_gt_i32 s3, 3
	s_cbranch_scc0 .LBB158_1646
; %bb.1645:
	v_trunc_f32_e32 v3, v2
	s_mov_b32 s0, 0x2f800000
	v_mul_f32_e64 v8, |v3|, s0
	v_floor_f32_e32 v8, v8
	s_mov_b32 s0, 0xcf800000
	v_cvt_u32_f32_e32 v9, v8
	v_fma_f32 v8, v8, s0, |v3|
	v_cvt_u32_f32_e32 v8, v8
	v_ashrrev_i32_e32 v3, 31, v3
	v_xor_b32_e32 v9, v9, v3
	s_mov_b64 s[0:1], 0
	v_xor_b32_e32 v8, v8, v3
	v_sub_co_u32_e32 v8, vcc, v8, v3
	v_subb_co_u32_e32 v9, vcc, v9, v3, vcc
	global_store_dwordx2 v[0:1], v[8:9], off
.LBB158_1646:
	s_andn2_b64 vcc, exec, s[0:1]
	s_cbranch_vccnz .LBB158_1648
; %bb.1647:
	v_cvt_i32_f32_e32 v3, v2
	global_store_dword v[0:1], v3, off
.LBB158_1648:
	s_mov_b64 s[0:1], 0
.LBB158_1649:
	s_andn2_b64 vcc, exec, s[0:1]
	s_cbranch_vccnz .LBB158_1651
; %bb.1650:
	v_cvt_i32_f32_e32 v3, v2
	global_store_short v[0:1], v3, off
.LBB158_1651:
	s_mov_b64 s[0:1], 0
.LBB158_1652:
	s_andn2_b64 vcc, exec, s[0:1]
	s_cbranch_vccnz .LBB158_1657
; %bb.1653:
	s_cmp_gt_i32 s3, 0
	s_mov_b64 s[0:1], -1
	s_cbranch_scc0 .LBB158_1655
; %bb.1654:
	v_cvt_i32_f32_e32 v3, v2
	s_mov_b64 s[0:1], 0
	global_store_byte v[0:1], v3, off
.LBB158_1655:
	s_andn2_b64 vcc, exec, s[0:1]
	s_cbranch_vccnz .LBB158_1657
; %bb.1656:
	v_trunc_f32_e32 v2, v2
	s_mov_b32 s0, 0x2f800000
	v_mul_f32_e64 v3, |v2|, s0
	v_floor_f32_e32 v3, v3
	s_mov_b32 s0, 0xcf800000
	v_fma_f32 v3, v3, s0, |v2|
	v_cvt_u32_f32_e32 v3, v3
	v_ashrrev_i32_e32 v2, 31, v2
	v_xor_b32_e32 v3, v3, v2
	v_sub_u32_e32 v2, v3, v2
	global_store_byte v[0:1], v2, off
.LBB158_1657:
	s_mov_b64 s[10:11], -1
.LBB158_1658:
	s_andn2_b64 vcc, exec, s[10:11]
	s_cbranch_vccnz .LBB158_1973
; %bb.1659:
	s_lshl_b32 s3, s12, 7
	v_mov_b32_e32 v0, s15
	v_mov_b32_e32 v1, s2
	v_cmp_nge_f32_e32 vcc, s14, v5
	v_add_u32_e32 v4, s3, v4
	v_cndmask_b32_e32 v2, v0, v1, vcc
	v_ashrrev_i32_e32 v1, 31, v4
	v_mov_b32_e32 v3, s9
	v_add_co_u32_e32 v0, vcc, s8, v4
	s_cmp_lt_i32 s24, 11
	v_addc_co_u32_e32 v1, vcc, v3, v1, vcc
	s_cbranch_scc1 .LBB158_1737
; %bb.1660:
	s_and_b32 s22, 0xffff, s24
	s_mov_b64 s[12:13], -1
	s_mov_b64 s[4:5], 0
	s_cmp_gt_i32 s22, 25
	s_mov_b64 s[10:11], 0
	s_mov_b64 s[0:1], 0
	s_cbranch_scc0 .LBB158_1693
; %bb.1661:
	s_cmp_gt_i32 s22, 28
	s_cbranch_scc0 .LBB158_1676
; %bb.1662:
	s_cmp_gt_i32 s22, 43
	;; [unrolled: 3-line block ×3, first 2 shown]
	s_cbranch_scc0 .LBB158_1666
; %bb.1664:
	s_mov_b64 s[0:1], -1
	s_mov_b64 s[12:13], 0
	s_cmp_eq_u32 s22, 46
	s_cbranch_scc0 .LBB158_1666
; %bb.1665:
	v_bfe_u32 v3, v2, 16, 1
	s_movk_i32 s0, 0x7fff
	v_add3_u32 v3, v2, v3, s0
	v_cmp_o_f32_e32 vcc, v2, v2
	v_mov_b32_e32 v5, 0x7fc0
	v_cndmask_b32_sdwa v3, v5, v3, vcc dst_sel:DWORD dst_unused:UNUSED_PAD src0_sel:DWORD src1_sel:WORD_1
	global_store_dword v[0:1], v3, off
	s_mov_b64 s[0:1], 0
	s_mov_b64 s[10:11], -1
.LBB158_1666:
	s_and_b64 vcc, exec, s[12:13]
	s_cbranch_vccz .LBB158_1671
; %bb.1667:
	s_cmp_eq_u32 s22, 44
	s_mov_b64 s[0:1], -1
	s_cbranch_scc0 .LBB158_1671
; %bb.1668:
	v_bfe_u32 v3, v2, 23, 8
	s_movk_i32 s0, 0xff
	v_cmp_ne_u32_e32 vcc, s0, v3
	v_mov_b32_e32 v5, 0xff
	s_and_saveexec_b64 s[10:11], vcc
; %bb.1669:
	s_mov_b32 s0, 0x3fffff
	v_and_b32_e32 v8, 0x400000, v2
	v_and_or_b32 v3, v2, s0, v3
	v_cmp_ne_u32_e32 vcc, 0, v8
	v_cmp_ne_u32_e64 s[0:1], 0, v3
	s_and_b64 s[0:1], vcc, s[0:1]
	v_lshrrev_b32_e32 v5, 23, v2
	v_cndmask_b32_e64 v3, 0, 1, s[0:1]
	v_add_u32_e32 v5, v5, v3
; %bb.1670:
	s_or_b64 exec, exec, s[10:11]
	s_mov_b64 s[0:1], 0
	s_mov_b64 s[10:11], -1
	global_store_byte v[0:1], v5, off
.LBB158_1671:
	s_mov_b64 s[12:13], 0
.LBB158_1672:
	s_and_b64 vcc, exec, s[12:13]
	s_cbranch_vccz .LBB158_1675
; %bb.1673:
	s_cmp_eq_u32 s22, 29
	s_mov_b64 s[0:1], -1
	s_cbranch_scc0 .LBB158_1675
; %bb.1674:
	v_trunc_f32_e32 v3, v2
	v_mul_f32_e32 v5, 0x2f800000, v3
	v_floor_f32_e32 v5, v5
	v_fmac_f32_e32 v3, 0xcf800000, v5
	v_cvt_u32_f32_e32 v9, v5
	v_cvt_u32_f32_e32 v8, v3
	s_mov_b64 s[0:1], 0
	s_mov_b64 s[10:11], -1
	global_store_dwordx2 v[0:1], v[8:9], off
.LBB158_1675:
	s_mov_b64 s[12:13], 0
.LBB158_1676:
	s_and_b64 vcc, exec, s[12:13]
	s_cbranch_vccz .LBB158_1692
; %bb.1677:
	s_cmp_lt_i32 s22, 27
	s_mov_b64 s[10:11], -1
	s_cbranch_scc1 .LBB158_1683
; %bb.1678:
	v_cvt_u32_f32_e32 v3, v2
	s_cmp_gt_i32 s22, 27
	s_cbranch_scc0 .LBB158_1680
; %bb.1679:
	s_mov_b64 s[10:11], 0
	global_store_dword v[0:1], v3, off
.LBB158_1680:
	s_andn2_b64 vcc, exec, s[10:11]
	s_cbranch_vccnz .LBB158_1682
; %bb.1681:
	global_store_short v[0:1], v3, off
.LBB158_1682:
	s_mov_b64 s[10:11], 0
.LBB158_1683:
	s_andn2_b64 vcc, exec, s[10:11]
	s_cbranch_vccnz .LBB158_1691
; %bb.1684:
	v_and_b32_e32 v3, 0x7fffffff, v2
	s_mov_b32 s10, 0x43800000
	v_cmp_gt_u32_e32 vcc, s10, v3
	v_mov_b32_e32 v5, 0x80
	s_and_saveexec_b64 s[10:11], vcc
	s_cbranch_execz .LBB158_1690
; %bb.1685:
	s_mov_b32 s12, 0x3bffffff
	v_cmp_lt_u32_e32 vcc, s12, v3
	s_mov_b64 s[12:13], 0
                                        ; implicit-def: $vgpr3
	s_and_saveexec_b64 s[20:21], vcc
	s_xor_b64 s[20:21], exec, s[20:21]
	s_cbranch_execz .LBB158_2025
; %bb.1686:
	v_bfe_u32 v3, v2, 20, 1
	s_mov_b32 s23, 0x487ffff
	v_add3_u32 v3, v2, v3, s23
	s_mov_b64 s[12:13], exec
	v_lshrrev_b32_e32 v3, 20, v3
	s_andn2_saveexec_b64 s[20:21], s[20:21]
	s_cbranch_execnz .LBB158_2026
.LBB158_1687:
	s_or_b64 exec, exec, s[20:21]
	v_mov_b32_e32 v5, 0
	s_and_saveexec_b64 s[20:21], s[12:13]
.LBB158_1688:
	v_lshrrev_b32_e32 v5, 24, v2
	s_movk_i32 s12, 0x80
	v_and_or_b32 v5, v5, s12, v3
.LBB158_1689:
	s_or_b64 exec, exec, s[20:21]
.LBB158_1690:
	s_or_b64 exec, exec, s[10:11]
	global_store_byte v[0:1], v5, off
.LBB158_1691:
	s_mov_b64 s[10:11], -1
.LBB158_1692:
	s_mov_b64 s[12:13], 0
.LBB158_1693:
	s_and_b64 vcc, exec, s[12:13]
	s_cbranch_vccz .LBB158_1733
; %bb.1694:
	s_cmp_gt_i32 s22, 22
	s_mov_b64 s[4:5], -1
	s_cbranch_scc0 .LBB158_1726
; %bb.1695:
	s_cmp_lt_i32 s22, 24
	s_cbranch_scc1 .LBB158_1715
; %bb.1696:
	s_cmp_gt_i32 s22, 24
	s_cbranch_scc0 .LBB158_1704
; %bb.1697:
	v_and_b32_e32 v3, 0x7fffffff, v2
	s_mov_b32 s4, 0x47800000
	v_cmp_gt_u32_e32 vcc, s4, v3
	v_mov_b32_e32 v5, 0x80
	s_and_saveexec_b64 s[4:5], vcc
	s_cbranch_execz .LBB158_1703
; %bb.1698:
	s_mov_b32 s10, 0x37ffffff
	v_cmp_lt_u32_e32 vcc, s10, v3
	s_mov_b64 s[10:11], 0
                                        ; implicit-def: $vgpr3
	s_and_saveexec_b64 s[12:13], vcc
	s_xor_b64 s[12:13], exec, s[12:13]
	s_cbranch_execz .LBB158_2028
; %bb.1699:
	v_bfe_u32 v3, v2, 21, 1
	s_mov_b32 s20, 0x88fffff
	v_add3_u32 v3, v2, v3, s20
	s_mov_b64 s[10:11], exec
	v_lshrrev_b32_e32 v3, 21, v3
	s_andn2_saveexec_b64 s[12:13], s[12:13]
	s_cbranch_execnz .LBB158_2029
.LBB158_1700:
	s_or_b64 exec, exec, s[12:13]
	v_mov_b32_e32 v5, 0
	s_and_saveexec_b64 s[12:13], s[10:11]
.LBB158_1701:
	v_lshrrev_b32_e32 v5, 24, v2
	s_movk_i32 s10, 0x80
	v_and_or_b32 v5, v5, s10, v3
.LBB158_1702:
	s_or_b64 exec, exec, s[12:13]
.LBB158_1703:
	s_or_b64 exec, exec, s[4:5]
	s_mov_b64 s[4:5], 0
	global_store_byte v[0:1], v5, off
.LBB158_1704:
	s_and_b64 vcc, exec, s[4:5]
	s_cbranch_vccz .LBB158_1714
; %bb.1705:
	v_and_b32_e32 v5, 0x7fffffff, v2
	s_mov_b32 s4, 0x43f00000
	v_cmp_gt_u32_e32 vcc, s4, v5
                                        ; implicit-def: $vgpr3
	s_and_saveexec_b64 s[4:5], vcc
	s_xor_b64 s[4:5], exec, s[4:5]
	s_cbranch_execz .LBB158_1711
; %bb.1706:
	s_mov_b32 s10, 0x3c7fffff
	v_cmp_lt_u32_e32 vcc, s10, v5
                                        ; implicit-def: $vgpr3
	s_and_saveexec_b64 s[10:11], vcc
	s_xor_b64 s[10:11], exec, s[10:11]
; %bb.1707:
	v_bfe_u32 v3, v2, 20, 1
	s_mov_b32 s12, 0x407ffff
	v_add3_u32 v3, v2, v3, s12
	v_lshrrev_b32_e32 v5, 20, v3
	v_and_b32_e32 v3, 0xff00000, v3
	s_mov_b32 s12, 0x7f00000
	v_mov_b32_e32 v8, 0x7e
	v_cmp_ne_u32_e32 vcc, s12, v3
	v_cndmask_b32_e32 v3, v8, v5, vcc
; %bb.1708:
	s_andn2_saveexec_b64 s[10:11], s[10:11]
; %bb.1709:
	s_mov_b32 s12, 0x46800000
	v_add_f32_e64 v3, |v2|, s12
; %bb.1710:
	s_or_b64 exec, exec, s[10:11]
                                        ; implicit-def: $vgpr5
.LBB158_1711:
	s_andn2_saveexec_b64 s[4:5], s[4:5]
; %bb.1712:
	s_mov_b32 s10, 0x7f800000
	v_mov_b32_e32 v3, 0x7e
	v_mov_b32_e32 v8, 0x7f
	v_cmp_lt_u32_e32 vcc, s10, v5
	v_cndmask_b32_e32 v3, v3, v8, vcc
; %bb.1713:
	s_or_b64 exec, exec, s[4:5]
	v_lshrrev_b32_e32 v5, 24, v2
	s_movk_i32 s4, 0x80
	v_and_or_b32 v3, v5, s4, v3
	global_store_byte v[0:1], v3, off
.LBB158_1714:
	s_mov_b64 s[4:5], 0
.LBB158_1715:
	s_andn2_b64 vcc, exec, s[4:5]
	s_cbranch_vccnz .LBB158_1725
; %bb.1716:
	v_and_b32_e32 v5, 0x7fffffff, v2
	s_mov_b32 s4, 0x47800000
	v_cmp_gt_u32_e32 vcc, s4, v5
                                        ; implicit-def: $vgpr3
	s_and_saveexec_b64 s[4:5], vcc
	s_xor_b64 s[4:5], exec, s[4:5]
	s_cbranch_execz .LBB158_1722
; %bb.1717:
	s_mov_b32 s10, 0x387fffff
	v_cmp_lt_u32_e32 vcc, s10, v5
                                        ; implicit-def: $vgpr3
	s_and_saveexec_b64 s[10:11], vcc
	s_xor_b64 s[10:11], exec, s[10:11]
; %bb.1718:
	v_bfe_u32 v3, v2, 21, 1
	s_mov_b32 s12, 0x80fffff
	v_add3_u32 v3, v2, v3, s12
	v_lshrrev_b32_e32 v3, 21, v3
; %bb.1719:
	s_andn2_saveexec_b64 s[10:11], s[10:11]
; %bb.1720:
	s_mov_b32 s12, 0x43000000
	v_add_f32_e64 v3, |v2|, s12
; %bb.1721:
	s_or_b64 exec, exec, s[10:11]
                                        ; implicit-def: $vgpr5
.LBB158_1722:
	s_andn2_saveexec_b64 s[4:5], s[4:5]
; %bb.1723:
	s_mov_b32 s10, 0x7f800000
	v_mov_b32_e32 v3, 0x7c
	v_mov_b32_e32 v8, 0x7f
	v_cmp_lt_u32_e32 vcc, s10, v5
	v_cndmask_b32_e32 v3, v3, v8, vcc
; %bb.1724:
	s_or_b64 exec, exec, s[4:5]
	v_lshrrev_b32_e32 v5, 24, v2
	s_movk_i32 s4, 0x80
	v_and_or_b32 v3, v5, s4, v3
	global_store_byte v[0:1], v3, off
.LBB158_1725:
	s_mov_b64 s[4:5], 0
	s_mov_b64 s[10:11], -1
.LBB158_1726:
	s_andn2_b64 vcc, exec, s[4:5]
	s_mov_b64 s[4:5], 0
	s_cbranch_vccnz .LBB158_1733
; %bb.1727:
	s_cmp_gt_i32 s22, 14
	s_mov_b64 s[12:13], -1
	s_cbranch_scc0 .LBB158_1731
; %bb.1728:
	s_cmp_eq_u32 s22, 15
	s_mov_b64 s[0:1], -1
	s_cbranch_scc0 .LBB158_1730
; %bb.1729:
	v_bfe_u32 v3, v2, 16, 1
	s_movk_i32 s0, 0x7fff
	v_add3_u32 v3, v2, v3, s0
	v_cmp_o_f32_e32 vcc, v2, v2
	v_mov_b32_e32 v5, 0x7fc0
	v_cndmask_b32_sdwa v3, v5, v3, vcc dst_sel:DWORD dst_unused:UNUSED_PAD src0_sel:DWORD src1_sel:WORD_1
	global_store_short v[0:1], v3, off
	s_mov_b64 s[0:1], 0
	s_mov_b64 s[10:11], -1
.LBB158_1730:
	s_mov_b64 s[12:13], 0
.LBB158_1731:
	s_and_b64 vcc, exec, s[12:13]
	s_cbranch_vccz .LBB158_1733
; %bb.1732:
	s_cmp_lg_u32 s22, 11
	s_mov_b64 s[4:5], -1
	s_cselect_b64 s[0:1], -1, 0
.LBB158_1733:
	s_and_b64 vcc, exec, s[0:1]
	s_cbranch_vccnz .LBB158_2027
; %bb.1734:
	s_andn2_b64 vcc, exec, s[4:5]
	s_cbranch_vccnz .LBB158_1736
.LBB158_1735:
	v_cmp_neq_f32_e32 vcc, 0, v2
	v_cndmask_b32_e64 v3, 0, 1, vcc
	s_mov_b64 s[10:11], -1
	global_store_byte v[0:1], v3, off
.LBB158_1736:
	s_mov_b64 s[0:1], 0
	s_branch .LBB158_1738
.LBB158_1737:
	s_mov_b64 s[0:1], -1
	s_mov_b64 s[10:11], 0
.LBB158_1738:
	s_and_b64 vcc, exec, s[0:1]
	s_cbranch_vccz .LBB158_1777
; %bb.1739:
	s_and_b32 s4, 0xffff, s24
	s_cmp_lt_i32 s4, 5
	s_mov_b64 s[0:1], -1
	s_cbranch_scc1 .LBB158_1760
; %bb.1740:
	s_cmp_lt_i32 s4, 8
	s_cbranch_scc1 .LBB158_1750
; %bb.1741:
	s_cmp_lt_i32 s4, 9
	s_cbranch_scc1 .LBB158_1747
; %bb.1742:
	s_cmp_gt_i32 s4, 9
	s_cbranch_scc0 .LBB158_1744
; %bb.1743:
	v_cvt_f64_f32_e32 v[8:9], v2
	v_mov_b32_e32 v10, 0
	v_mov_b32_e32 v11, v10
	s_mov_b64 s[0:1], 0
	global_store_dwordx4 v[0:1], v[8:11], off
.LBB158_1744:
	s_andn2_b64 vcc, exec, s[0:1]
	s_cbranch_vccnz .LBB158_1746
; %bb.1745:
	v_mov_b32_e32 v3, 0
	global_store_dwordx2 v[0:1], v[2:3], off
.LBB158_1746:
	s_mov_b64 s[0:1], 0
.LBB158_1747:
	s_andn2_b64 vcc, exec, s[0:1]
	s_cbranch_vccnz .LBB158_1749
; %bb.1748:
	v_cvt_f16_f32_e32 v3, v2
	global_store_dword v[0:1], v3, off
.LBB158_1749:
	s_mov_b64 s[0:1], 0
.LBB158_1750:
	s_andn2_b64 vcc, exec, s[0:1]
	s_cbranch_vccnz .LBB158_1759
; %bb.1751:
	s_cmp_lt_i32 s4, 6
	s_mov_b64 s[0:1], -1
	s_cbranch_scc1 .LBB158_1757
; %bb.1752:
	s_cmp_gt_i32 s4, 6
	s_cbranch_scc0 .LBB158_1754
; %bb.1753:
	v_cvt_f64_f32_e32 v[8:9], v2
	s_mov_b64 s[0:1], 0
	global_store_dwordx2 v[0:1], v[8:9], off
.LBB158_1754:
	s_andn2_b64 vcc, exec, s[0:1]
	s_cbranch_vccnz .LBB158_1756
; %bb.1755:
	global_store_dword v[0:1], v2, off
.LBB158_1756:
	s_mov_b64 s[0:1], 0
.LBB158_1757:
	s_andn2_b64 vcc, exec, s[0:1]
	s_cbranch_vccnz .LBB158_1759
; %bb.1758:
	v_cvt_f16_f32_e32 v3, v2
	global_store_short v[0:1], v3, off
.LBB158_1759:
	s_mov_b64 s[0:1], 0
.LBB158_1760:
	s_andn2_b64 vcc, exec, s[0:1]
	s_cbranch_vccnz .LBB158_1776
; %bb.1761:
	s_cmp_lt_i32 s4, 2
	s_mov_b64 s[0:1], -1
	s_cbranch_scc1 .LBB158_1771
; %bb.1762:
	s_cmp_lt_i32 s4, 3
	s_cbranch_scc1 .LBB158_1768
; %bb.1763:
	s_cmp_gt_i32 s4, 3
	s_cbranch_scc0 .LBB158_1765
; %bb.1764:
	v_trunc_f32_e32 v3, v2
	s_mov_b32 s0, 0x2f800000
	v_mul_f32_e64 v5, |v3|, s0
	v_floor_f32_e32 v5, v5
	s_mov_b32 s0, 0xcf800000
	v_cvt_u32_f32_e32 v8, v5
	v_fma_f32 v5, v5, s0, |v3|
	v_cvt_u32_f32_e32 v5, v5
	v_ashrrev_i32_e32 v3, 31, v3
	v_xor_b32_e32 v9, v8, v3
	s_mov_b64 s[0:1], 0
	v_xor_b32_e32 v5, v5, v3
	v_sub_co_u32_e32 v8, vcc, v5, v3
	v_subb_co_u32_e32 v9, vcc, v9, v3, vcc
	global_store_dwordx2 v[0:1], v[8:9], off
.LBB158_1765:
	s_andn2_b64 vcc, exec, s[0:1]
	s_cbranch_vccnz .LBB158_1767
; %bb.1766:
	v_cvt_i32_f32_e32 v3, v2
	global_store_dword v[0:1], v3, off
.LBB158_1767:
	s_mov_b64 s[0:1], 0
.LBB158_1768:
	s_andn2_b64 vcc, exec, s[0:1]
	s_cbranch_vccnz .LBB158_1770
; %bb.1769:
	v_cvt_i32_f32_e32 v3, v2
	global_store_short v[0:1], v3, off
.LBB158_1770:
	s_mov_b64 s[0:1], 0
.LBB158_1771:
	s_andn2_b64 vcc, exec, s[0:1]
	s_cbranch_vccnz .LBB158_1776
; %bb.1772:
	s_cmp_gt_i32 s4, 0
	s_mov_b64 s[0:1], -1
	s_cbranch_scc0 .LBB158_1774
; %bb.1773:
	v_cvt_i32_f32_e32 v3, v2
	s_mov_b64 s[0:1], 0
	global_store_byte v[0:1], v3, off
.LBB158_1774:
	s_andn2_b64 vcc, exec, s[0:1]
	s_cbranch_vccnz .LBB158_1776
; %bb.1775:
	v_trunc_f32_e32 v2, v2
	s_mov_b32 s0, 0x2f800000
	v_mul_f32_e64 v3, |v2|, s0
	v_floor_f32_e32 v3, v3
	s_mov_b32 s0, 0xcf800000
	v_fma_f32 v3, v3, s0, |v2|
	v_cvt_u32_f32_e32 v3, v3
	v_ashrrev_i32_e32 v2, 31, v2
	v_xor_b32_e32 v3, v3, v2
	v_sub_u32_e32 v2, v3, v2
	global_store_byte v[0:1], v2, off
.LBB158_1776:
	s_mov_b64 s[10:11], -1
.LBB158_1777:
	s_andn2_b64 vcc, exec, s[10:11]
	s_cbranch_vccnz .LBB158_1973
; %bb.1778:
	v_mov_b32_e32 v0, s15
	v_mov_b32_e32 v1, s2
	v_cmp_nge_f32_e32 vcc, s14, v6
	v_add_u32_e32 v4, s3, v4
	v_cndmask_b32_e32 v2, v0, v1, vcc
	v_ashrrev_i32_e32 v1, 31, v4
	v_mov_b32_e32 v3, s9
	v_add_co_u32_e32 v0, vcc, s8, v4
	s_cmp_lt_i32 s24, 11
	v_addc_co_u32_e32 v1, vcc, v3, v1, vcc
	s_cbranch_scc1 .LBB158_1856
; %bb.1779:
	s_and_b32 s22, 0xffff, s24
	s_mov_b64 s[12:13], -1
	s_mov_b64 s[4:5], 0
	s_cmp_gt_i32 s22, 25
	s_mov_b64 s[10:11], 0
	s_mov_b64 s[0:1], 0
	s_cbranch_scc0 .LBB158_1812
; %bb.1780:
	s_cmp_gt_i32 s22, 28
	s_cbranch_scc0 .LBB158_1795
; %bb.1781:
	s_cmp_gt_i32 s22, 43
	;; [unrolled: 3-line block ×3, first 2 shown]
	s_cbranch_scc0 .LBB158_1785
; %bb.1783:
	s_mov_b64 s[0:1], -1
	s_mov_b64 s[12:13], 0
	s_cmp_eq_u32 s22, 46
	s_cbranch_scc0 .LBB158_1785
; %bb.1784:
	v_bfe_u32 v3, v2, 16, 1
	s_movk_i32 s0, 0x7fff
	v_add3_u32 v3, v2, v3, s0
	v_cmp_o_f32_e32 vcc, v2, v2
	v_mov_b32_e32 v5, 0x7fc0
	v_cndmask_b32_sdwa v3, v5, v3, vcc dst_sel:DWORD dst_unused:UNUSED_PAD src0_sel:DWORD src1_sel:WORD_1
	global_store_dword v[0:1], v3, off
	s_mov_b64 s[0:1], 0
	s_mov_b64 s[10:11], -1
.LBB158_1785:
	s_and_b64 vcc, exec, s[12:13]
	s_cbranch_vccz .LBB158_1790
; %bb.1786:
	s_cmp_eq_u32 s22, 44
	s_mov_b64 s[0:1], -1
	s_cbranch_scc0 .LBB158_1790
; %bb.1787:
	v_bfe_u32 v3, v2, 23, 8
	s_movk_i32 s0, 0xff
	v_cmp_ne_u32_e32 vcc, s0, v3
	v_mov_b32_e32 v5, 0xff
	s_and_saveexec_b64 s[10:11], vcc
; %bb.1788:
	s_mov_b32 s0, 0x3fffff
	v_and_b32_e32 v6, 0x400000, v2
	v_and_or_b32 v3, v2, s0, v3
	v_cmp_ne_u32_e32 vcc, 0, v6
	v_cmp_ne_u32_e64 s[0:1], 0, v3
	s_and_b64 s[0:1], vcc, s[0:1]
	v_lshrrev_b32_e32 v5, 23, v2
	v_cndmask_b32_e64 v3, 0, 1, s[0:1]
	v_add_u32_e32 v5, v5, v3
; %bb.1789:
	s_or_b64 exec, exec, s[10:11]
	s_mov_b64 s[0:1], 0
	s_mov_b64 s[10:11], -1
	global_store_byte v[0:1], v5, off
.LBB158_1790:
	s_mov_b64 s[12:13], 0
.LBB158_1791:
	s_and_b64 vcc, exec, s[12:13]
	s_cbranch_vccz .LBB158_1794
; %bb.1792:
	s_cmp_eq_u32 s22, 29
	s_mov_b64 s[0:1], -1
	s_cbranch_scc0 .LBB158_1794
; %bb.1793:
	v_trunc_f32_e32 v3, v2
	v_mul_f32_e32 v5, 0x2f800000, v3
	v_floor_f32_e32 v5, v5
	v_fmac_f32_e32 v3, 0xcf800000, v5
	v_cvt_u32_f32_e32 v6, v5
	v_cvt_u32_f32_e32 v5, v3
	s_mov_b64 s[0:1], 0
	s_mov_b64 s[10:11], -1
	global_store_dwordx2 v[0:1], v[5:6], off
.LBB158_1794:
	s_mov_b64 s[12:13], 0
.LBB158_1795:
	s_and_b64 vcc, exec, s[12:13]
	s_cbranch_vccz .LBB158_1811
; %bb.1796:
	s_cmp_lt_i32 s22, 27
	s_mov_b64 s[10:11], -1
	s_cbranch_scc1 .LBB158_1802
; %bb.1797:
	v_cvt_u32_f32_e32 v3, v2
	s_cmp_gt_i32 s22, 27
	s_cbranch_scc0 .LBB158_1799
; %bb.1798:
	s_mov_b64 s[10:11], 0
	global_store_dword v[0:1], v3, off
.LBB158_1799:
	s_andn2_b64 vcc, exec, s[10:11]
	s_cbranch_vccnz .LBB158_1801
; %bb.1800:
	global_store_short v[0:1], v3, off
.LBB158_1801:
	s_mov_b64 s[10:11], 0
.LBB158_1802:
	s_andn2_b64 vcc, exec, s[10:11]
	s_cbranch_vccnz .LBB158_1810
; %bb.1803:
	v_and_b32_e32 v3, 0x7fffffff, v2
	s_mov_b32 s10, 0x43800000
	v_cmp_gt_u32_e32 vcc, s10, v3
	v_mov_b32_e32 v5, 0x80
	s_and_saveexec_b64 s[10:11], vcc
	s_cbranch_execz .LBB158_1809
; %bb.1804:
	s_mov_b32 s12, 0x3bffffff
	v_cmp_lt_u32_e32 vcc, s12, v3
	s_mov_b64 s[12:13], 0
                                        ; implicit-def: $vgpr3
	s_and_saveexec_b64 s[20:21], vcc
	s_xor_b64 s[20:21], exec, s[20:21]
	s_cbranch_execz .LBB158_2030
; %bb.1805:
	v_bfe_u32 v3, v2, 20, 1
	s_mov_b32 s23, 0x487ffff
	v_add3_u32 v3, v2, v3, s23
	s_mov_b64 s[12:13], exec
	v_lshrrev_b32_e32 v3, 20, v3
	s_andn2_saveexec_b64 s[20:21], s[20:21]
	s_cbranch_execnz .LBB158_2031
.LBB158_1806:
	s_or_b64 exec, exec, s[20:21]
	v_mov_b32_e32 v5, 0
	s_and_saveexec_b64 s[20:21], s[12:13]
.LBB158_1807:
	v_lshrrev_b32_e32 v5, 24, v2
	s_movk_i32 s12, 0x80
	v_and_or_b32 v5, v5, s12, v3
.LBB158_1808:
	s_or_b64 exec, exec, s[20:21]
.LBB158_1809:
	s_or_b64 exec, exec, s[10:11]
	global_store_byte v[0:1], v5, off
.LBB158_1810:
	s_mov_b64 s[10:11], -1
.LBB158_1811:
	s_mov_b64 s[12:13], 0
.LBB158_1812:
	s_and_b64 vcc, exec, s[12:13]
	s_cbranch_vccz .LBB158_1852
; %bb.1813:
	s_cmp_gt_i32 s22, 22
	s_mov_b64 s[4:5], -1
	s_cbranch_scc0 .LBB158_1845
; %bb.1814:
	s_cmp_lt_i32 s22, 24
	s_cbranch_scc1 .LBB158_1834
; %bb.1815:
	s_cmp_gt_i32 s22, 24
	s_cbranch_scc0 .LBB158_1823
; %bb.1816:
	v_and_b32_e32 v3, 0x7fffffff, v2
	s_mov_b32 s4, 0x47800000
	v_cmp_gt_u32_e32 vcc, s4, v3
	v_mov_b32_e32 v5, 0x80
	s_and_saveexec_b64 s[4:5], vcc
	s_cbranch_execz .LBB158_1822
; %bb.1817:
	s_mov_b32 s10, 0x37ffffff
	v_cmp_lt_u32_e32 vcc, s10, v3
	s_mov_b64 s[10:11], 0
                                        ; implicit-def: $vgpr3
	s_and_saveexec_b64 s[12:13], vcc
	s_xor_b64 s[12:13], exec, s[12:13]
	s_cbranch_execz .LBB158_2033
; %bb.1818:
	v_bfe_u32 v3, v2, 21, 1
	s_mov_b32 s20, 0x88fffff
	v_add3_u32 v3, v2, v3, s20
	s_mov_b64 s[10:11], exec
	v_lshrrev_b32_e32 v3, 21, v3
	s_andn2_saveexec_b64 s[12:13], s[12:13]
	s_cbranch_execnz .LBB158_2034
.LBB158_1819:
	s_or_b64 exec, exec, s[12:13]
	v_mov_b32_e32 v5, 0
	s_and_saveexec_b64 s[12:13], s[10:11]
.LBB158_1820:
	v_lshrrev_b32_e32 v5, 24, v2
	s_movk_i32 s10, 0x80
	v_and_or_b32 v5, v5, s10, v3
.LBB158_1821:
	s_or_b64 exec, exec, s[12:13]
.LBB158_1822:
	s_or_b64 exec, exec, s[4:5]
	s_mov_b64 s[4:5], 0
	global_store_byte v[0:1], v5, off
.LBB158_1823:
	s_and_b64 vcc, exec, s[4:5]
	s_cbranch_vccz .LBB158_1833
; %bb.1824:
	v_and_b32_e32 v5, 0x7fffffff, v2
	s_mov_b32 s4, 0x43f00000
	v_cmp_gt_u32_e32 vcc, s4, v5
                                        ; implicit-def: $vgpr3
	s_and_saveexec_b64 s[4:5], vcc
	s_xor_b64 s[4:5], exec, s[4:5]
	s_cbranch_execz .LBB158_1830
; %bb.1825:
	s_mov_b32 s10, 0x3c7fffff
	v_cmp_lt_u32_e32 vcc, s10, v5
                                        ; implicit-def: $vgpr3
	s_and_saveexec_b64 s[10:11], vcc
	s_xor_b64 s[10:11], exec, s[10:11]
; %bb.1826:
	v_bfe_u32 v3, v2, 20, 1
	s_mov_b32 s12, 0x407ffff
	v_add3_u32 v3, v2, v3, s12
	v_lshrrev_b32_e32 v5, 20, v3
	v_and_b32_e32 v3, 0xff00000, v3
	s_mov_b32 s12, 0x7f00000
	v_mov_b32_e32 v6, 0x7e
	v_cmp_ne_u32_e32 vcc, s12, v3
	v_cndmask_b32_e32 v3, v6, v5, vcc
; %bb.1827:
	s_andn2_saveexec_b64 s[10:11], s[10:11]
; %bb.1828:
	s_mov_b32 s12, 0x46800000
	v_add_f32_e64 v3, |v2|, s12
; %bb.1829:
	s_or_b64 exec, exec, s[10:11]
                                        ; implicit-def: $vgpr5
.LBB158_1830:
	s_andn2_saveexec_b64 s[4:5], s[4:5]
; %bb.1831:
	s_mov_b32 s10, 0x7f800000
	v_mov_b32_e32 v3, 0x7e
	v_mov_b32_e32 v6, 0x7f
	v_cmp_lt_u32_e32 vcc, s10, v5
	v_cndmask_b32_e32 v3, v3, v6, vcc
; %bb.1832:
	s_or_b64 exec, exec, s[4:5]
	v_lshrrev_b32_e32 v5, 24, v2
	s_movk_i32 s4, 0x80
	v_and_or_b32 v3, v5, s4, v3
	global_store_byte v[0:1], v3, off
.LBB158_1833:
	s_mov_b64 s[4:5], 0
.LBB158_1834:
	s_andn2_b64 vcc, exec, s[4:5]
	s_cbranch_vccnz .LBB158_1844
; %bb.1835:
	v_and_b32_e32 v5, 0x7fffffff, v2
	s_mov_b32 s4, 0x47800000
	v_cmp_gt_u32_e32 vcc, s4, v5
                                        ; implicit-def: $vgpr3
	s_and_saveexec_b64 s[4:5], vcc
	s_xor_b64 s[4:5], exec, s[4:5]
	s_cbranch_execz .LBB158_1841
; %bb.1836:
	s_mov_b32 s10, 0x387fffff
	v_cmp_lt_u32_e32 vcc, s10, v5
                                        ; implicit-def: $vgpr3
	s_and_saveexec_b64 s[10:11], vcc
	s_xor_b64 s[10:11], exec, s[10:11]
; %bb.1837:
	v_bfe_u32 v3, v2, 21, 1
	s_mov_b32 s12, 0x80fffff
	v_add3_u32 v3, v2, v3, s12
	v_lshrrev_b32_e32 v3, 21, v3
; %bb.1838:
	s_andn2_saveexec_b64 s[10:11], s[10:11]
; %bb.1839:
	s_mov_b32 s12, 0x43000000
	v_add_f32_e64 v3, |v2|, s12
; %bb.1840:
	s_or_b64 exec, exec, s[10:11]
                                        ; implicit-def: $vgpr5
.LBB158_1841:
	s_andn2_saveexec_b64 s[4:5], s[4:5]
; %bb.1842:
	s_mov_b32 s10, 0x7f800000
	v_mov_b32_e32 v3, 0x7c
	v_mov_b32_e32 v6, 0x7f
	v_cmp_lt_u32_e32 vcc, s10, v5
	v_cndmask_b32_e32 v3, v3, v6, vcc
; %bb.1843:
	s_or_b64 exec, exec, s[4:5]
	v_lshrrev_b32_e32 v5, 24, v2
	s_movk_i32 s4, 0x80
	v_and_or_b32 v3, v5, s4, v3
	global_store_byte v[0:1], v3, off
.LBB158_1844:
	s_mov_b64 s[4:5], 0
	s_mov_b64 s[10:11], -1
.LBB158_1845:
	s_andn2_b64 vcc, exec, s[4:5]
	s_mov_b64 s[4:5], 0
	s_cbranch_vccnz .LBB158_1852
; %bb.1846:
	s_cmp_gt_i32 s22, 14
	s_mov_b64 s[12:13], -1
	s_cbranch_scc0 .LBB158_1850
; %bb.1847:
	s_cmp_eq_u32 s22, 15
	s_mov_b64 s[0:1], -1
	s_cbranch_scc0 .LBB158_1849
; %bb.1848:
	v_bfe_u32 v3, v2, 16, 1
	s_movk_i32 s0, 0x7fff
	v_add3_u32 v3, v2, v3, s0
	v_cmp_o_f32_e32 vcc, v2, v2
	v_mov_b32_e32 v5, 0x7fc0
	v_cndmask_b32_sdwa v3, v5, v3, vcc dst_sel:DWORD dst_unused:UNUSED_PAD src0_sel:DWORD src1_sel:WORD_1
	global_store_short v[0:1], v3, off
	s_mov_b64 s[0:1], 0
	s_mov_b64 s[10:11], -1
.LBB158_1849:
	s_mov_b64 s[12:13], 0
.LBB158_1850:
	s_and_b64 vcc, exec, s[12:13]
	s_cbranch_vccz .LBB158_1852
; %bb.1851:
	s_cmp_lg_u32 s22, 11
	s_mov_b64 s[4:5], -1
	s_cselect_b64 s[0:1], -1, 0
.LBB158_1852:
	s_and_b64 vcc, exec, s[0:1]
	s_cbranch_vccnz .LBB158_2032
; %bb.1853:
	s_andn2_b64 vcc, exec, s[4:5]
	s_cbranch_vccnz .LBB158_1855
.LBB158_1854:
	v_cmp_neq_f32_e32 vcc, 0, v2
	v_cndmask_b32_e64 v3, 0, 1, vcc
	s_mov_b64 s[10:11], -1
	global_store_byte v[0:1], v3, off
.LBB158_1855:
	s_mov_b64 s[0:1], 0
	s_branch .LBB158_1857
.LBB158_1856:
	s_mov_b64 s[0:1], -1
	s_mov_b64 s[10:11], 0
.LBB158_1857:
	s_and_b64 vcc, exec, s[0:1]
	s_cbranch_vccz .LBB158_1896
; %bb.1858:
	s_and_b32 s4, 0xffff, s24
	s_cmp_lt_i32 s4, 5
	s_mov_b64 s[0:1], -1
	s_cbranch_scc1 .LBB158_1879
; %bb.1859:
	s_cmp_lt_i32 s4, 8
	s_cbranch_scc1 .LBB158_1869
; %bb.1860:
	s_cmp_lt_i32 s4, 9
	s_cbranch_scc1 .LBB158_1866
; %bb.1861:
	s_cmp_gt_i32 s4, 9
	s_cbranch_scc0 .LBB158_1863
; %bb.1862:
	v_cvt_f64_f32_e32 v[8:9], v2
	v_mov_b32_e32 v10, 0
	v_mov_b32_e32 v11, v10
	s_mov_b64 s[0:1], 0
	global_store_dwordx4 v[0:1], v[8:11], off
.LBB158_1863:
	s_andn2_b64 vcc, exec, s[0:1]
	s_cbranch_vccnz .LBB158_1865
; %bb.1864:
	v_mov_b32_e32 v3, 0
	global_store_dwordx2 v[0:1], v[2:3], off
.LBB158_1865:
	s_mov_b64 s[0:1], 0
.LBB158_1866:
	s_andn2_b64 vcc, exec, s[0:1]
	s_cbranch_vccnz .LBB158_1868
; %bb.1867:
	v_cvt_f16_f32_e32 v3, v2
	global_store_dword v[0:1], v3, off
.LBB158_1868:
	s_mov_b64 s[0:1], 0
.LBB158_1869:
	s_andn2_b64 vcc, exec, s[0:1]
	s_cbranch_vccnz .LBB158_1878
; %bb.1870:
	s_cmp_lt_i32 s4, 6
	s_mov_b64 s[0:1], -1
	s_cbranch_scc1 .LBB158_1876
; %bb.1871:
	s_cmp_gt_i32 s4, 6
	s_cbranch_scc0 .LBB158_1873
; %bb.1872:
	v_cvt_f64_f32_e32 v[5:6], v2
	s_mov_b64 s[0:1], 0
	global_store_dwordx2 v[0:1], v[5:6], off
.LBB158_1873:
	s_andn2_b64 vcc, exec, s[0:1]
	s_cbranch_vccnz .LBB158_1875
; %bb.1874:
	global_store_dword v[0:1], v2, off
.LBB158_1875:
	s_mov_b64 s[0:1], 0
.LBB158_1876:
	s_andn2_b64 vcc, exec, s[0:1]
	s_cbranch_vccnz .LBB158_1878
; %bb.1877:
	v_cvt_f16_f32_e32 v3, v2
	global_store_short v[0:1], v3, off
.LBB158_1878:
	s_mov_b64 s[0:1], 0
.LBB158_1879:
	s_andn2_b64 vcc, exec, s[0:1]
	s_cbranch_vccnz .LBB158_1895
; %bb.1880:
	s_cmp_lt_i32 s4, 2
	s_mov_b64 s[0:1], -1
	s_cbranch_scc1 .LBB158_1890
; %bb.1881:
	s_cmp_lt_i32 s4, 3
	s_cbranch_scc1 .LBB158_1887
; %bb.1882:
	s_cmp_gt_i32 s4, 3
	s_cbranch_scc0 .LBB158_1884
; %bb.1883:
	v_trunc_f32_e32 v3, v2
	s_mov_b32 s0, 0x2f800000
	v_mul_f32_e64 v5, |v3|, s0
	v_floor_f32_e32 v5, v5
	s_mov_b32 s0, 0xcf800000
	v_cvt_u32_f32_e32 v6, v5
	v_fma_f32 v5, v5, s0, |v3|
	v_cvt_u32_f32_e32 v5, v5
	v_ashrrev_i32_e32 v3, 31, v3
	v_xor_b32_e32 v6, v6, v3
	s_mov_b64 s[0:1], 0
	v_xor_b32_e32 v5, v5, v3
	v_sub_co_u32_e32 v5, vcc, v5, v3
	v_subb_co_u32_e32 v6, vcc, v6, v3, vcc
	global_store_dwordx2 v[0:1], v[5:6], off
.LBB158_1884:
	s_andn2_b64 vcc, exec, s[0:1]
	s_cbranch_vccnz .LBB158_1886
; %bb.1885:
	v_cvt_i32_f32_e32 v3, v2
	global_store_dword v[0:1], v3, off
.LBB158_1886:
	s_mov_b64 s[0:1], 0
.LBB158_1887:
	s_andn2_b64 vcc, exec, s[0:1]
	s_cbranch_vccnz .LBB158_1889
; %bb.1888:
	v_cvt_i32_f32_e32 v3, v2
	global_store_short v[0:1], v3, off
.LBB158_1889:
	s_mov_b64 s[0:1], 0
.LBB158_1890:
	s_andn2_b64 vcc, exec, s[0:1]
	s_cbranch_vccnz .LBB158_1895
; %bb.1891:
	s_cmp_gt_i32 s4, 0
	s_mov_b64 s[0:1], -1
	s_cbranch_scc0 .LBB158_1893
; %bb.1892:
	v_cvt_i32_f32_e32 v3, v2
	s_mov_b64 s[0:1], 0
	global_store_byte v[0:1], v3, off
.LBB158_1893:
	s_andn2_b64 vcc, exec, s[0:1]
	s_cbranch_vccnz .LBB158_1895
; %bb.1894:
	v_trunc_f32_e32 v2, v2
	s_mov_b32 s0, 0x2f800000
	v_mul_f32_e64 v3, |v2|, s0
	v_floor_f32_e32 v3, v3
	s_mov_b32 s0, 0xcf800000
	v_fma_f32 v3, v3, s0, |v2|
	v_cvt_u32_f32_e32 v3, v3
	v_ashrrev_i32_e32 v2, 31, v2
	v_xor_b32_e32 v3, v3, v2
	v_sub_u32_e32 v2, v3, v2
	global_store_byte v[0:1], v2, off
.LBB158_1895:
	s_mov_b64 s[10:11], -1
.LBB158_1896:
	s_andn2_b64 vcc, exec, s[10:11]
	s_cbranch_vccnz .LBB158_1973
; %bb.1897:
	v_mov_b32_e32 v0, s15
	v_mov_b32_e32 v1, s2
	v_cmp_nge_f32_e32 vcc, s14, v7
	v_cndmask_b32_e32 v2, v0, v1, vcc
	v_add_u32_e32 v0, s3, v4
	v_ashrrev_i32_e32 v1, 31, v0
	v_mov_b32_e32 v3, s9
	v_add_co_u32_e32 v0, vcc, s8, v0
	s_cmp_lt_i32 s24, 11
	v_addc_co_u32_e32 v1, vcc, v3, v1, vcc
	s_cbranch_scc1 .LBB158_2018
; %bb.1898:
	s_and_b32 s12, 0xffff, s24
	s_mov_b64 s[4:5], -1
	s_mov_b64 s[2:3], 0
	s_cmp_gt_i32 s12, 25
	s_mov_b64 s[0:1], 0
	s_cbranch_scc0 .LBB158_1931
; %bb.1899:
	s_cmp_gt_i32 s12, 28
	s_cbranch_scc0 .LBB158_1915
; %bb.1900:
	s_cmp_gt_i32 s12, 43
	;; [unrolled: 3-line block ×3, first 2 shown]
	s_cbranch_scc0 .LBB158_1905
; %bb.1902:
	s_cmp_eq_u32 s12, 46
	s_mov_b64 s[0:1], -1
	s_cbranch_scc0 .LBB158_1904
; %bb.1903:
	v_bfe_u32 v3, v2, 16, 1
	s_movk_i32 s0, 0x7fff
	v_add3_u32 v3, v2, v3, s0
	v_cmp_o_f32_e32 vcc, v2, v2
	v_mov_b32_e32 v4, 0x7fc0
	v_cndmask_b32_sdwa v3, v4, v3, vcc dst_sel:DWORD dst_unused:UNUSED_PAD src0_sel:DWORD src1_sel:WORD_1
	global_store_dword v[0:1], v3, off
	s_mov_b64 s[0:1], 0
.LBB158_1904:
	s_mov_b64 s[4:5], 0
.LBB158_1905:
	s_and_b64 vcc, exec, s[4:5]
	s_cbranch_vccz .LBB158_1910
; %bb.1906:
	s_cmp_eq_u32 s12, 44
	s_mov_b64 s[0:1], -1
	s_cbranch_scc0 .LBB158_1910
; %bb.1907:
	v_bfe_u32 v3, v2, 23, 8
	s_movk_i32 s0, 0xff
	v_cmp_ne_u32_e32 vcc, s0, v3
	v_mov_b32_e32 v4, 0xff
	s_and_saveexec_b64 s[4:5], vcc
; %bb.1908:
	s_mov_b32 s0, 0x3fffff
	v_and_b32_e32 v5, 0x400000, v2
	v_and_or_b32 v3, v2, s0, v3
	v_cmp_ne_u32_e32 vcc, 0, v5
	v_cmp_ne_u32_e64 s[0:1], 0, v3
	s_and_b64 s[0:1], vcc, s[0:1]
	v_lshrrev_b32_e32 v4, 23, v2
	v_cndmask_b32_e64 v3, 0, 1, s[0:1]
	v_add_u32_e32 v4, v4, v3
; %bb.1909:
	s_or_b64 exec, exec, s[4:5]
	s_mov_b64 s[0:1], 0
	global_store_byte v[0:1], v4, off
.LBB158_1910:
	s_mov_b64 s[4:5], 0
.LBB158_1911:
	s_and_b64 vcc, exec, s[4:5]
	s_cbranch_vccz .LBB158_1914
; %bb.1912:
	s_cmp_eq_u32 s12, 29
	s_mov_b64 s[0:1], -1
	s_cbranch_scc0 .LBB158_1914
; %bb.1913:
	v_trunc_f32_e32 v3, v2
	v_mul_f32_e32 v4, 0x2f800000, v3
	v_floor_f32_e32 v5, v4
	v_fmac_f32_e32 v3, 0xcf800000, v5
	v_cvt_u32_f32_e32 v4, v5
	v_cvt_u32_f32_e32 v3, v3
	s_mov_b64 s[0:1], 0
	global_store_dwordx2 v[0:1], v[3:4], off
.LBB158_1914:
	s_mov_b64 s[4:5], 0
.LBB158_1915:
	s_and_b64 vcc, exec, s[4:5]
	s_cbranch_vccz .LBB158_1930
; %bb.1916:
	s_cmp_lt_i32 s12, 27
	s_mov_b64 s[4:5], -1
	s_cbranch_scc1 .LBB158_1922
; %bb.1917:
	v_cvt_u32_f32_e32 v3, v2
	s_cmp_gt_i32 s12, 27
	s_cbranch_scc0 .LBB158_1919
; %bb.1918:
	global_store_dword v[0:1], v3, off
	s_mov_b64 s[4:5], 0
.LBB158_1919:
	s_andn2_b64 vcc, exec, s[4:5]
	s_cbranch_vccnz .LBB158_1921
; %bb.1920:
	global_store_short v[0:1], v3, off
.LBB158_1921:
	s_mov_b64 s[4:5], 0
.LBB158_1922:
	s_andn2_b64 vcc, exec, s[4:5]
	s_cbranch_vccnz .LBB158_1930
; %bb.1923:
	v_and_b32_e32 v3, 0x7fffffff, v2
	s_mov_b32 s4, 0x43800000
	v_cmp_gt_u32_e32 vcc, s4, v3
	v_mov_b32_e32 v4, 0x80
	s_and_saveexec_b64 s[4:5], vcc
	s_cbranch_execz .LBB158_1929
; %bb.1924:
	s_mov_b32 s8, 0x3bffffff
	v_cmp_lt_u32_e32 vcc, s8, v3
	s_mov_b64 s[8:9], 0
                                        ; implicit-def: $vgpr3
	s_and_saveexec_b64 s[10:11], vcc
	s_xor_b64 s[10:11], exec, s[10:11]
	s_cbranch_execz .LBB158_2035
; %bb.1925:
	v_bfe_u32 v3, v2, 20, 1
	s_mov_b32 s13, 0x487ffff
	v_add3_u32 v3, v2, v3, s13
	s_mov_b64 s[8:9], exec
	v_lshrrev_b32_e32 v3, 20, v3
	s_andn2_saveexec_b64 s[10:11], s[10:11]
	s_cbranch_execnz .LBB158_2036
.LBB158_1926:
	s_or_b64 exec, exec, s[10:11]
	v_mov_b32_e32 v4, 0
	s_and_saveexec_b64 s[10:11], s[8:9]
.LBB158_1927:
	v_lshrrev_b32_e32 v4, 24, v2
	s_movk_i32 s8, 0x80
	v_and_or_b32 v4, v4, s8, v3
.LBB158_1928:
	s_or_b64 exec, exec, s[10:11]
.LBB158_1929:
	s_or_b64 exec, exec, s[4:5]
	global_store_byte v[0:1], v4, off
.LBB158_1930:
	s_mov_b64 s[4:5], 0
.LBB158_1931:
	s_and_b64 vcc, exec, s[4:5]
	s_cbranch_vccz .LBB158_1971
; %bb.1932:
	s_cmp_gt_i32 s12, 22
	s_mov_b64 s[2:3], -1
	s_cbranch_scc0 .LBB158_1964
; %bb.1933:
	s_cmp_lt_i32 s12, 24
	s_cbranch_scc1 .LBB158_1953
; %bb.1934:
	s_cmp_gt_i32 s12, 24
	s_cbranch_scc0 .LBB158_1942
; %bb.1935:
	v_and_b32_e32 v3, 0x7fffffff, v2
	s_mov_b32 s2, 0x47800000
	v_cmp_gt_u32_e32 vcc, s2, v3
	v_mov_b32_e32 v4, 0x80
	s_and_saveexec_b64 s[2:3], vcc
	s_cbranch_execz .LBB158_1941
; %bb.1936:
	s_mov_b32 s4, 0x37ffffff
	v_cmp_lt_u32_e32 vcc, s4, v3
	s_mov_b64 s[4:5], 0
                                        ; implicit-def: $vgpr3
	s_and_saveexec_b64 s[8:9], vcc
	s_xor_b64 s[8:9], exec, s[8:9]
	s_cbranch_execz .LBB158_2038
; %bb.1937:
	v_bfe_u32 v3, v2, 21, 1
	s_mov_b32 s10, 0x88fffff
	v_add3_u32 v3, v2, v3, s10
	s_mov_b64 s[4:5], exec
	v_lshrrev_b32_e32 v3, 21, v3
	s_andn2_saveexec_b64 s[8:9], s[8:9]
	s_cbranch_execnz .LBB158_2039
.LBB158_1938:
	s_or_b64 exec, exec, s[8:9]
	v_mov_b32_e32 v4, 0
	s_and_saveexec_b64 s[8:9], s[4:5]
.LBB158_1939:
	v_lshrrev_b32_e32 v4, 24, v2
	s_movk_i32 s4, 0x80
	v_and_or_b32 v4, v4, s4, v3
.LBB158_1940:
	s_or_b64 exec, exec, s[8:9]
.LBB158_1941:
	s_or_b64 exec, exec, s[2:3]
	s_mov_b64 s[2:3], 0
	global_store_byte v[0:1], v4, off
.LBB158_1942:
	s_and_b64 vcc, exec, s[2:3]
	s_cbranch_vccz .LBB158_1952
; %bb.1943:
	v_and_b32_e32 v4, 0x7fffffff, v2
	s_mov_b32 s2, 0x43f00000
	v_cmp_gt_u32_e32 vcc, s2, v4
                                        ; implicit-def: $vgpr3
	s_and_saveexec_b64 s[2:3], vcc
	s_xor_b64 s[2:3], exec, s[2:3]
	s_cbranch_execz .LBB158_1949
; %bb.1944:
	s_mov_b32 s4, 0x3c7fffff
	v_cmp_lt_u32_e32 vcc, s4, v4
                                        ; implicit-def: $vgpr3
	s_and_saveexec_b64 s[4:5], vcc
	s_xor_b64 s[4:5], exec, s[4:5]
; %bb.1945:
	v_bfe_u32 v3, v2, 20, 1
	s_mov_b32 s8, 0x407ffff
	v_add3_u32 v3, v2, v3, s8
	v_lshrrev_b32_e32 v4, 20, v3
	v_and_b32_e32 v3, 0xff00000, v3
	s_mov_b32 s8, 0x7f00000
	v_mov_b32_e32 v5, 0x7e
	v_cmp_ne_u32_e32 vcc, s8, v3
	v_cndmask_b32_e32 v3, v5, v4, vcc
; %bb.1946:
	s_andn2_saveexec_b64 s[4:5], s[4:5]
; %bb.1947:
	s_mov_b32 s8, 0x46800000
	v_add_f32_e64 v3, |v2|, s8
; %bb.1948:
	s_or_b64 exec, exec, s[4:5]
                                        ; implicit-def: $vgpr4
.LBB158_1949:
	s_andn2_saveexec_b64 s[2:3], s[2:3]
; %bb.1950:
	s_mov_b32 s4, 0x7f800000
	v_mov_b32_e32 v3, 0x7e
	v_mov_b32_e32 v5, 0x7f
	v_cmp_lt_u32_e32 vcc, s4, v4
	v_cndmask_b32_e32 v3, v3, v5, vcc
; %bb.1951:
	s_or_b64 exec, exec, s[2:3]
	v_lshrrev_b32_e32 v4, 24, v2
	s_movk_i32 s2, 0x80
	v_and_or_b32 v3, v4, s2, v3
	global_store_byte v[0:1], v3, off
.LBB158_1952:
	s_mov_b64 s[2:3], 0
.LBB158_1953:
	s_andn2_b64 vcc, exec, s[2:3]
	s_cbranch_vccnz .LBB158_1963
; %bb.1954:
	v_and_b32_e32 v4, 0x7fffffff, v2
	s_mov_b32 s2, 0x47800000
	v_cmp_gt_u32_e32 vcc, s2, v4
                                        ; implicit-def: $vgpr3
	s_and_saveexec_b64 s[2:3], vcc
	s_xor_b64 s[2:3], exec, s[2:3]
	s_cbranch_execz .LBB158_1960
; %bb.1955:
	s_mov_b32 s4, 0x387fffff
	v_cmp_lt_u32_e32 vcc, s4, v4
                                        ; implicit-def: $vgpr3
	s_and_saveexec_b64 s[4:5], vcc
	s_xor_b64 s[4:5], exec, s[4:5]
; %bb.1956:
	v_bfe_u32 v3, v2, 21, 1
	s_mov_b32 s8, 0x80fffff
	v_add3_u32 v3, v2, v3, s8
	v_lshrrev_b32_e32 v3, 21, v3
; %bb.1957:
	s_andn2_saveexec_b64 s[4:5], s[4:5]
; %bb.1958:
	s_mov_b32 s8, 0x43000000
	v_add_f32_e64 v3, |v2|, s8
; %bb.1959:
	s_or_b64 exec, exec, s[4:5]
                                        ; implicit-def: $vgpr4
.LBB158_1960:
	s_andn2_saveexec_b64 s[2:3], s[2:3]
; %bb.1961:
	s_mov_b32 s4, 0x7f800000
	v_mov_b32_e32 v3, 0x7c
	v_mov_b32_e32 v5, 0x7f
	v_cmp_lt_u32_e32 vcc, s4, v4
	v_cndmask_b32_e32 v3, v3, v5, vcc
; %bb.1962:
	s_or_b64 exec, exec, s[2:3]
	v_lshrrev_b32_e32 v4, 24, v2
	s_movk_i32 s2, 0x80
	v_and_or_b32 v3, v4, s2, v3
	global_store_byte v[0:1], v3, off
.LBB158_1963:
	s_mov_b64 s[2:3], 0
.LBB158_1964:
	s_andn2_b64 vcc, exec, s[2:3]
	s_mov_b64 s[2:3], 0
	s_cbranch_vccnz .LBB158_1971
; %bb.1965:
	s_cmp_gt_i32 s12, 14
	s_mov_b64 s[4:5], -1
	s_cbranch_scc0 .LBB158_1969
; %bb.1966:
	s_cmp_eq_u32 s12, 15
	s_mov_b64 s[0:1], -1
	s_cbranch_scc0 .LBB158_1968
; %bb.1967:
	v_bfe_u32 v3, v2, 16, 1
	s_movk_i32 s0, 0x7fff
	v_add3_u32 v3, v2, v3, s0
	v_cmp_o_f32_e32 vcc, v2, v2
	v_mov_b32_e32 v4, 0x7fc0
	v_cndmask_b32_sdwa v3, v4, v3, vcc dst_sel:DWORD dst_unused:UNUSED_PAD src0_sel:DWORD src1_sel:WORD_1
	global_store_short v[0:1], v3, off
	s_mov_b64 s[0:1], 0
.LBB158_1968:
	s_mov_b64 s[4:5], 0
.LBB158_1969:
	s_and_b64 vcc, exec, s[4:5]
	s_cbranch_vccz .LBB158_1971
; %bb.1970:
	s_cmp_lg_u32 s12, 11
	s_mov_b64 s[2:3], -1
	s_cselect_b64 s[0:1], -1, 0
.LBB158_1971:
	s_and_b64 vcc, exec, s[0:1]
	s_cbranch_vccnz .LBB158_2037
.LBB158_1972:
	s_mov_b64 s[0:1], 0
	s_branch .LBB158_1974
.LBB158_1973:
	s_mov_b64 s[0:1], 0
	s_mov_b64 s[2:3], 0
                                        ; implicit-def: $sgpr24
                                        ; implicit-def: $vgpr0_vgpr1
                                        ; implicit-def: $vgpr2
.LBB158_1974:
	s_and_b64 s[4:5], s[2:3], exec
	s_andn2_b64 s[2:3], s[16:17], exec
	s_and_b64 s[8:9], s[18:19], exec
	s_and_b64 s[0:1], s[0:1], exec
	s_or_b64 s[16:17], s[2:3], s[8:9]
.LBB158_1975:
	s_or_b64 exec, exec, s[6:7]
	s_and_saveexec_b64 s[2:3], s[16:17]
	s_cbranch_execz .LBB158_1978
; %bb.1976:
	; divergent unreachable
	s_or_b64 exec, exec, s[2:3]
	s_and_saveexec_b64 s[2:3], s[4:5]
	s_xor_b64 s[2:3], exec, s[2:3]
	s_cbranch_execnz .LBB158_1979
.LBB158_1977:
	s_or_b64 exec, exec, s[2:3]
	s_and_saveexec_b64 s[2:3], s[0:1]
	s_cbranch_execnz .LBB158_1980
	s_branch .LBB158_2017
.LBB158_1978:
	s_or_b64 exec, exec, s[2:3]
	s_and_saveexec_b64 s[2:3], s[4:5]
	s_xor_b64 s[2:3], exec, s[2:3]
	s_cbranch_execz .LBB158_1977
.LBB158_1979:
	s_waitcnt vmcnt(0)
	v_cmp_neq_f32_e32 vcc, 0, v2
	v_cndmask_b32_e64 v3, 0, 1, vcc
	global_store_byte v[0:1], v3, off
	s_or_b64 exec, exec, s[2:3]
	s_and_saveexec_b64 s[2:3], s[0:1]
	s_cbranch_execz .LBB158_2017
.LBB158_1980:
	s_sext_i32_i16 s2, s24
	s_cmp_lt_i32 s2, 5
	s_mov_b64 s[0:1], -1
	s_cbranch_scc1 .LBB158_2001
; %bb.1981:
	s_cmp_lt_i32 s2, 8
	s_cbranch_scc1 .LBB158_1991
; %bb.1982:
	s_cmp_lt_i32 s2, 9
	s_cbranch_scc1 .LBB158_1988
; %bb.1983:
	s_cmp_gt_i32 s2, 9
	s_cbranch_scc0 .LBB158_1985
; %bb.1984:
	s_waitcnt vmcnt(0)
	v_cvt_f64_f32_e32 v[3:4], v2
	v_mov_b32_e32 v5, 0
	v_mov_b32_e32 v6, v5
	s_mov_b64 s[0:1], 0
	global_store_dwordx4 v[0:1], v[3:6], off
.LBB158_1985:
	s_andn2_b64 vcc, exec, s[0:1]
	s_cbranch_vccnz .LBB158_1987
; %bb.1986:
	s_waitcnt vmcnt(0)
	v_mov_b32_e32 v3, 0
	global_store_dwordx2 v[0:1], v[2:3], off
.LBB158_1987:
	s_mov_b64 s[0:1], 0
.LBB158_1988:
	s_andn2_b64 vcc, exec, s[0:1]
	s_cbranch_vccnz .LBB158_1990
; %bb.1989:
	s_waitcnt vmcnt(0)
	v_cvt_f16_f32_e32 v3, v2
	global_store_dword v[0:1], v3, off
.LBB158_1990:
	s_mov_b64 s[0:1], 0
.LBB158_1991:
	s_andn2_b64 vcc, exec, s[0:1]
	s_cbranch_vccnz .LBB158_2000
; %bb.1992:
	s_sext_i32_i16 s2, s24
	s_cmp_lt_i32 s2, 6
	s_mov_b64 s[0:1], -1
	s_cbranch_scc1 .LBB158_1998
; %bb.1993:
	s_cmp_gt_i32 s2, 6
	s_cbranch_scc0 .LBB158_1995
; %bb.1994:
	s_waitcnt vmcnt(0)
	v_cvt_f64_f32_e32 v[3:4], v2
	s_mov_b64 s[0:1], 0
	global_store_dwordx2 v[0:1], v[3:4], off
.LBB158_1995:
	s_andn2_b64 vcc, exec, s[0:1]
	s_cbranch_vccnz .LBB158_1997
; %bb.1996:
	s_waitcnt vmcnt(0)
	global_store_dword v[0:1], v2, off
.LBB158_1997:
	s_mov_b64 s[0:1], 0
.LBB158_1998:
	s_andn2_b64 vcc, exec, s[0:1]
	s_cbranch_vccnz .LBB158_2000
; %bb.1999:
	s_waitcnt vmcnt(0)
	v_cvt_f16_f32_e32 v3, v2
	global_store_short v[0:1], v3, off
.LBB158_2000:
	s_mov_b64 s[0:1], 0
.LBB158_2001:
	s_andn2_b64 vcc, exec, s[0:1]
	s_cbranch_vccnz .LBB158_2017
; %bb.2002:
	s_sext_i32_i16 s2, s24
	s_cmp_lt_i32 s2, 2
	s_mov_b64 s[0:1], -1
	s_cbranch_scc1 .LBB158_2012
; %bb.2003:
	s_cmp_lt_i32 s2, 3
	s_cbranch_scc1 .LBB158_2009
; %bb.2004:
	s_cmp_gt_i32 s2, 3
	s_cbranch_scc0 .LBB158_2006
; %bb.2005:
	s_waitcnt vmcnt(0)
	v_trunc_f32_e32 v3, v2
	s_mov_b32 s0, 0x2f800000
	v_mul_f32_e64 v4, |v3|, s0
	v_floor_f32_e32 v4, v4
	s_mov_b32 s0, 0xcf800000
	v_cvt_u32_f32_e32 v5, v4
	v_fma_f32 v4, v4, s0, |v3|
	v_cvt_u32_f32_e32 v4, v4
	v_ashrrev_i32_e32 v6, 31, v3
	v_xor_b32_e32 v5, v5, v6
	s_mov_b64 s[0:1], 0
	v_xor_b32_e32 v3, v4, v6
	v_sub_co_u32_e32 v3, vcc, v3, v6
	v_subb_co_u32_e32 v4, vcc, v5, v6, vcc
	global_store_dwordx2 v[0:1], v[3:4], off
.LBB158_2006:
	s_andn2_b64 vcc, exec, s[0:1]
	s_cbranch_vccnz .LBB158_2008
; %bb.2007:
	s_waitcnt vmcnt(0)
	v_cvt_i32_f32_e32 v3, v2
	global_store_dword v[0:1], v3, off
.LBB158_2008:
	s_mov_b64 s[0:1], 0
.LBB158_2009:
	s_andn2_b64 vcc, exec, s[0:1]
	s_cbranch_vccnz .LBB158_2011
; %bb.2010:
	s_waitcnt vmcnt(0)
	v_cvt_i32_f32_e32 v3, v2
	global_store_short v[0:1], v3, off
.LBB158_2011:
	s_mov_b64 s[0:1], 0
.LBB158_2012:
	s_andn2_b64 vcc, exec, s[0:1]
	s_cbranch_vccnz .LBB158_2017
; %bb.2013:
	s_sext_i32_i16 s0, s24
	s_cmp_gt_i32 s0, 0
	s_mov_b64 s[0:1], -1
	s_cbranch_scc0 .LBB158_2015
; %bb.2014:
	s_waitcnt vmcnt(0)
	v_cvt_i32_f32_e32 v3, v2
	s_mov_b64 s[0:1], 0
	global_store_byte v[0:1], v3, off
.LBB158_2015:
	s_andn2_b64 vcc, exec, s[0:1]
	s_cbranch_vccnz .LBB158_2017
; %bb.2016:
	s_waitcnt vmcnt(0)
	v_trunc_f32_e32 v2, v2
	s_mov_b32 s0, 0x2f800000
	v_mul_f32_e64 v3, |v2|, s0
	v_floor_f32_e32 v3, v3
	s_mov_b32 s0, 0xcf800000
	v_fma_f32 v3, v3, s0, |v2|
	v_cvt_u32_f32_e32 v3, v3
	v_ashrrev_i32_e32 v2, 31, v2
	v_xor_b32_e32 v3, v3, v2
	v_sub_u32_e32 v2, v3, v2
	global_store_byte v[0:1], v2, off
	s_endpgm
.LBB158_2017:
	s_endpgm
.LBB158_2018:
	s_mov_b64 s[2:3], 0
	s_mov_b64 s[0:1], -1
	s_branch .LBB158_1974
.LBB158_2019:
	s_trap 2
	s_or_b64 s[18:19], s[18:19], exec
	s_cbranch_execz .LBB158_1488
	s_branch .LBB158_1489
.LBB158_2020:
	s_andn2_saveexec_b64 s[22:23], s[22:23]
	s_cbranch_execz .LBB158_1568
.LBB158_2021:
	s_mov_b32 s13, 0x46000000
	v_add_f32_e64 v3, |v2|, s13
	v_and_b32_e32 v3, 0xff, v3
	v_cmp_ne_u32_e32 vcc, 0, v3
	s_andn2_b64 s[20:21], s[20:21], exec
	s_and_b64 s[26:27], vcc, exec
	s_or_b64 s[20:21], s[20:21], s[26:27]
	s_or_b64 exec, exec, s[22:23]
	v_mov_b32_e32 v8, 0
	s_and_saveexec_b64 s[22:23], s[20:21]
	s_cbranch_execnz .LBB158_1569
	s_branch .LBB158_1570
.LBB158_2022:
	s_trap 2
	s_or_b64 s[18:19], s[18:19], exec
	s_cbranch_execz .LBB158_1616
	s_branch .LBB158_1617
.LBB158_2023:
	s_andn2_saveexec_b64 s[20:21], s[20:21]
	s_cbranch_execz .LBB158_1581
.LBB158_2024:
	s_mov_b32 s13, 0x42800000
	v_add_f32_e64 v3, |v2|, s13
	v_and_b32_e32 v3, 0xff, v3
	v_cmp_ne_u32_e32 vcc, 0, v3
	s_andn2_b64 s[10:11], s[10:11], exec
	s_and_b64 s[22:23], vcc, exec
	s_or_b64 s[10:11], s[10:11], s[22:23]
	s_or_b64 exec, exec, s[20:21]
	v_mov_b32_e32 v8, 0
	s_and_saveexec_b64 s[20:21], s[10:11]
	s_cbranch_execnz .LBB158_1582
	s_branch .LBB158_1583
.LBB158_2025:
	s_andn2_saveexec_b64 s[20:21], s[20:21]
	s_cbranch_execz .LBB158_1687
.LBB158_2026:
	s_mov_b32 s23, 0x46000000
	v_add_f32_e64 v3, |v2|, s23
	v_and_b32_e32 v3, 0xff, v3
	v_cmp_ne_u32_e32 vcc, 0, v3
	s_andn2_b64 s[12:13], s[12:13], exec
	s_and_b64 s[26:27], vcc, exec
	s_or_b64 s[12:13], s[12:13], s[26:27]
	s_or_b64 exec, exec, s[20:21]
	v_mov_b32_e32 v5, 0
	s_and_saveexec_b64 s[20:21], s[12:13]
	s_cbranch_execnz .LBB158_1688
	s_branch .LBB158_1689
.LBB158_2027:
	s_trap 2
	s_or_b64 s[18:19], s[18:19], exec
	s_cbranch_execz .LBB158_1735
	s_branch .LBB158_1736
.LBB158_2028:
	s_andn2_saveexec_b64 s[12:13], s[12:13]
	s_cbranch_execz .LBB158_1700
.LBB158_2029:
	s_mov_b32 s20, 0x42800000
	v_add_f32_e64 v3, |v2|, s20
	v_and_b32_e32 v3, 0xff, v3
	v_cmp_ne_u32_e32 vcc, 0, v3
	s_andn2_b64 s[10:11], s[10:11], exec
	s_and_b64 s[20:21], vcc, exec
	s_or_b64 s[10:11], s[10:11], s[20:21]
	s_or_b64 exec, exec, s[12:13]
	v_mov_b32_e32 v5, 0
	s_and_saveexec_b64 s[12:13], s[10:11]
	s_cbranch_execnz .LBB158_1701
	s_branch .LBB158_1702
.LBB158_2030:
	s_andn2_saveexec_b64 s[20:21], s[20:21]
	s_cbranch_execz .LBB158_1806
.LBB158_2031:
	s_mov_b32 s23, 0x46000000
	v_add_f32_e64 v3, |v2|, s23
	v_and_b32_e32 v3, 0xff, v3
	v_cmp_ne_u32_e32 vcc, 0, v3
	s_andn2_b64 s[12:13], s[12:13], exec
	s_and_b64 s[26:27], vcc, exec
	s_or_b64 s[12:13], s[12:13], s[26:27]
	s_or_b64 exec, exec, s[20:21]
	v_mov_b32_e32 v5, 0
	s_and_saveexec_b64 s[20:21], s[12:13]
	s_cbranch_execnz .LBB158_1807
	s_branch .LBB158_1808
.LBB158_2032:
	s_trap 2
	s_or_b64 s[18:19], s[18:19], exec
	s_cbranch_execz .LBB158_1854
	s_branch .LBB158_1855
.LBB158_2033:
	s_andn2_saveexec_b64 s[12:13], s[12:13]
	s_cbranch_execz .LBB158_1819
.LBB158_2034:
	s_mov_b32 s20, 0x42800000
	v_add_f32_e64 v3, |v2|, s20
	v_and_b32_e32 v3, 0xff, v3
	v_cmp_ne_u32_e32 vcc, 0, v3
	s_andn2_b64 s[10:11], s[10:11], exec
	s_and_b64 s[20:21], vcc, exec
	s_or_b64 s[10:11], s[10:11], s[20:21]
	s_or_b64 exec, exec, s[12:13]
	v_mov_b32_e32 v5, 0
	s_and_saveexec_b64 s[12:13], s[10:11]
	s_cbranch_execnz .LBB158_1820
	s_branch .LBB158_1821
.LBB158_2035:
	s_andn2_saveexec_b64 s[10:11], s[10:11]
	s_cbranch_execz .LBB158_1926
.LBB158_2036:
	s_mov_b32 s13, 0x46000000
	v_add_f32_e64 v3, |v2|, s13
	v_and_b32_e32 v3, 0xff, v3
	v_cmp_ne_u32_e32 vcc, 0, v3
	s_andn2_b64 s[8:9], s[8:9], exec
	s_and_b64 s[14:15], vcc, exec
	s_or_b64 s[8:9], s[8:9], s[14:15]
	s_or_b64 exec, exec, s[10:11]
	v_mov_b32_e32 v4, 0
	s_and_saveexec_b64 s[10:11], s[8:9]
	s_cbranch_execnz .LBB158_1927
	s_branch .LBB158_1928
.LBB158_2037:
	s_mov_b64 s[2:3], 0
	s_or_b64 s[18:19], s[18:19], exec
	s_trap 2
	s_branch .LBB158_1972
.LBB158_2038:
	s_andn2_saveexec_b64 s[8:9], s[8:9]
	s_cbranch_execz .LBB158_1938
.LBB158_2039:
	s_mov_b32 s10, 0x42800000
	v_add_f32_e64 v3, |v2|, s10
	v_and_b32_e32 v3, 0xff, v3
	v_cmp_ne_u32_e32 vcc, 0, v3
	s_andn2_b64 s[4:5], s[4:5], exec
	s_and_b64 s[10:11], vcc, exec
	s_or_b64 s[4:5], s[4:5], s[10:11]
	s_or_b64 exec, exec, s[8:9]
	v_mov_b32_e32 v4, 0
	s_and_saveexec_b64 s[8:9], s[4:5]
	s_cbranch_execnz .LBB158_1939
	s_branch .LBB158_1940
	.section	.rodata,"a",@progbits
	.p2align	6, 0x0
	.amdhsa_kernel _ZN2at6native32elementwise_kernel_manual_unrollILi128ELi4EZNS0_15gpu_kernel_implINS0_13BUnaryFunctorIfffZNS0_12_GLOBAL__N_121threshold_kernel_implIfEEvRNS_18TensorIteratorBaseET_S8_EUlffE_EEEEvS7_RKS8_EUlibE_EEviT1_
		.amdhsa_group_segment_fixed_size 0
		.amdhsa_private_segment_fixed_size 0
		.amdhsa_kernarg_size 48
		.amdhsa_user_sgpr_count 6
		.amdhsa_user_sgpr_private_segment_buffer 1
		.amdhsa_user_sgpr_dispatch_ptr 0
		.amdhsa_user_sgpr_queue_ptr 0
		.amdhsa_user_sgpr_kernarg_segment_ptr 1
		.amdhsa_user_sgpr_dispatch_id 0
		.amdhsa_user_sgpr_flat_scratch_init 0
		.amdhsa_user_sgpr_private_segment_size 0
		.amdhsa_uses_dynamic_stack 0
		.amdhsa_system_sgpr_private_segment_wavefront_offset 0
		.amdhsa_system_sgpr_workgroup_id_x 1
		.amdhsa_system_sgpr_workgroup_id_y 0
		.amdhsa_system_sgpr_workgroup_id_z 0
		.amdhsa_system_sgpr_workgroup_info 0
		.amdhsa_system_vgpr_workitem_id 0
		.amdhsa_next_free_vgpr 12
		.amdhsa_next_free_sgpr 47
		.amdhsa_reserve_vcc 1
		.amdhsa_reserve_flat_scratch 0
		.amdhsa_float_round_mode_32 0
		.amdhsa_float_round_mode_16_64 0
		.amdhsa_float_denorm_mode_32 3
		.amdhsa_float_denorm_mode_16_64 3
		.amdhsa_dx10_clamp 1
		.amdhsa_ieee_mode 1
		.amdhsa_fp16_overflow 0
		.amdhsa_exception_fp_ieee_invalid_op 0
		.amdhsa_exception_fp_denorm_src 0
		.amdhsa_exception_fp_ieee_div_zero 0
		.amdhsa_exception_fp_ieee_overflow 0
		.amdhsa_exception_fp_ieee_underflow 0
		.amdhsa_exception_fp_ieee_inexact 0
		.amdhsa_exception_int_div_zero 0
	.end_amdhsa_kernel
	.section	.text._ZN2at6native32elementwise_kernel_manual_unrollILi128ELi4EZNS0_15gpu_kernel_implINS0_13BUnaryFunctorIfffZNS0_12_GLOBAL__N_121threshold_kernel_implIfEEvRNS_18TensorIteratorBaseET_S8_EUlffE_EEEEvS7_RKS8_EUlibE_EEviT1_,"axG",@progbits,_ZN2at6native32elementwise_kernel_manual_unrollILi128ELi4EZNS0_15gpu_kernel_implINS0_13BUnaryFunctorIfffZNS0_12_GLOBAL__N_121threshold_kernel_implIfEEvRNS_18TensorIteratorBaseET_S8_EUlffE_EEEEvS7_RKS8_EUlibE_EEviT1_,comdat
.Lfunc_end158:
	.size	_ZN2at6native32elementwise_kernel_manual_unrollILi128ELi4EZNS0_15gpu_kernel_implINS0_13BUnaryFunctorIfffZNS0_12_GLOBAL__N_121threshold_kernel_implIfEEvRNS_18TensorIteratorBaseET_S8_EUlffE_EEEEvS7_RKS8_EUlibE_EEviT1_, .Lfunc_end158-_ZN2at6native32elementwise_kernel_manual_unrollILi128ELi4EZNS0_15gpu_kernel_implINS0_13BUnaryFunctorIfffZNS0_12_GLOBAL__N_121threshold_kernel_implIfEEvRNS_18TensorIteratorBaseET_S8_EUlffE_EEEEvS7_RKS8_EUlibE_EEviT1_
                                        ; -- End function
	.set _ZN2at6native32elementwise_kernel_manual_unrollILi128ELi4EZNS0_15gpu_kernel_implINS0_13BUnaryFunctorIfffZNS0_12_GLOBAL__N_121threshold_kernel_implIfEEvRNS_18TensorIteratorBaseET_S8_EUlffE_EEEEvS7_RKS8_EUlibE_EEviT1_.num_vgpr, 12
	.set _ZN2at6native32elementwise_kernel_manual_unrollILi128ELi4EZNS0_15gpu_kernel_implINS0_13BUnaryFunctorIfffZNS0_12_GLOBAL__N_121threshold_kernel_implIfEEvRNS_18TensorIteratorBaseET_S8_EUlffE_EEEEvS7_RKS8_EUlibE_EEviT1_.num_agpr, 0
	.set _ZN2at6native32elementwise_kernel_manual_unrollILi128ELi4EZNS0_15gpu_kernel_implINS0_13BUnaryFunctorIfffZNS0_12_GLOBAL__N_121threshold_kernel_implIfEEvRNS_18TensorIteratorBaseET_S8_EUlffE_EEEEvS7_RKS8_EUlibE_EEviT1_.numbered_sgpr, 47
	.set _ZN2at6native32elementwise_kernel_manual_unrollILi128ELi4EZNS0_15gpu_kernel_implINS0_13BUnaryFunctorIfffZNS0_12_GLOBAL__N_121threshold_kernel_implIfEEvRNS_18TensorIteratorBaseET_S8_EUlffE_EEEEvS7_RKS8_EUlibE_EEviT1_.num_named_barrier, 0
	.set _ZN2at6native32elementwise_kernel_manual_unrollILi128ELi4EZNS0_15gpu_kernel_implINS0_13BUnaryFunctorIfffZNS0_12_GLOBAL__N_121threshold_kernel_implIfEEvRNS_18TensorIteratorBaseET_S8_EUlffE_EEEEvS7_RKS8_EUlibE_EEviT1_.private_seg_size, 0
	.set _ZN2at6native32elementwise_kernel_manual_unrollILi128ELi4EZNS0_15gpu_kernel_implINS0_13BUnaryFunctorIfffZNS0_12_GLOBAL__N_121threshold_kernel_implIfEEvRNS_18TensorIteratorBaseET_S8_EUlffE_EEEEvS7_RKS8_EUlibE_EEviT1_.uses_vcc, 1
	.set _ZN2at6native32elementwise_kernel_manual_unrollILi128ELi4EZNS0_15gpu_kernel_implINS0_13BUnaryFunctorIfffZNS0_12_GLOBAL__N_121threshold_kernel_implIfEEvRNS_18TensorIteratorBaseET_S8_EUlffE_EEEEvS7_RKS8_EUlibE_EEviT1_.uses_flat_scratch, 0
	.set _ZN2at6native32elementwise_kernel_manual_unrollILi128ELi4EZNS0_15gpu_kernel_implINS0_13BUnaryFunctorIfffZNS0_12_GLOBAL__N_121threshold_kernel_implIfEEvRNS_18TensorIteratorBaseET_S8_EUlffE_EEEEvS7_RKS8_EUlibE_EEviT1_.has_dyn_sized_stack, 0
	.set _ZN2at6native32elementwise_kernel_manual_unrollILi128ELi4EZNS0_15gpu_kernel_implINS0_13BUnaryFunctorIfffZNS0_12_GLOBAL__N_121threshold_kernel_implIfEEvRNS_18TensorIteratorBaseET_S8_EUlffE_EEEEvS7_RKS8_EUlibE_EEviT1_.has_recursion, 0
	.set _ZN2at6native32elementwise_kernel_manual_unrollILi128ELi4EZNS0_15gpu_kernel_implINS0_13BUnaryFunctorIfffZNS0_12_GLOBAL__N_121threshold_kernel_implIfEEvRNS_18TensorIteratorBaseET_S8_EUlffE_EEEEvS7_RKS8_EUlibE_EEviT1_.has_indirect_call, 0
	.section	.AMDGPU.csdata,"",@progbits
; Kernel info:
; codeLenInByte = 32292
; TotalNumSgprs: 51
; NumVgprs: 12
; ScratchSize: 0
; MemoryBound: 1
; FloatMode: 240
; IeeeMode: 1
; LDSByteSize: 0 bytes/workgroup (compile time only)
; SGPRBlocks: 6
; VGPRBlocks: 2
; NumSGPRsForWavesPerEU: 51
; NumVGPRsForWavesPerEU: 12
; Occupancy: 10
; WaveLimiterHint : 0
; COMPUTE_PGM_RSRC2:SCRATCH_EN: 0
; COMPUTE_PGM_RSRC2:USER_SGPR: 6
; COMPUTE_PGM_RSRC2:TRAP_HANDLER: 0
; COMPUTE_PGM_RSRC2:TGID_X_EN: 1
; COMPUTE_PGM_RSRC2:TGID_Y_EN: 0
; COMPUTE_PGM_RSRC2:TGID_Z_EN: 0
; COMPUTE_PGM_RSRC2:TIDIG_COMP_CNT: 0
	.section	.text._ZN2at6native32elementwise_kernel_manual_unrollILi128ELi4EZNS0_15gpu_kernel_implINS0_13BUnaryFunctorIfffZNS0_12_GLOBAL__N_121threshold_kernel_implIfEEvRNS_18TensorIteratorBaseET_S8_EUlffE_EEEEvS7_RKS8_EUlibE0_EEviT1_,"axG",@progbits,_ZN2at6native32elementwise_kernel_manual_unrollILi128ELi4EZNS0_15gpu_kernel_implINS0_13BUnaryFunctorIfffZNS0_12_GLOBAL__N_121threshold_kernel_implIfEEvRNS_18TensorIteratorBaseET_S8_EUlffE_EEEEvS7_RKS8_EUlibE0_EEviT1_,comdat
	.globl	_ZN2at6native32elementwise_kernel_manual_unrollILi128ELi4EZNS0_15gpu_kernel_implINS0_13BUnaryFunctorIfffZNS0_12_GLOBAL__N_121threshold_kernel_implIfEEvRNS_18TensorIteratorBaseET_S8_EUlffE_EEEEvS7_RKS8_EUlibE0_EEviT1_ ; -- Begin function _ZN2at6native32elementwise_kernel_manual_unrollILi128ELi4EZNS0_15gpu_kernel_implINS0_13BUnaryFunctorIfffZNS0_12_GLOBAL__N_121threshold_kernel_implIfEEvRNS_18TensorIteratorBaseET_S8_EUlffE_EEEEvS7_RKS8_EUlibE0_EEviT1_
	.p2align	8
	.type	_ZN2at6native32elementwise_kernel_manual_unrollILi128ELi4EZNS0_15gpu_kernel_implINS0_13BUnaryFunctorIfffZNS0_12_GLOBAL__N_121threshold_kernel_implIfEEvRNS_18TensorIteratorBaseET_S8_EUlffE_EEEEvS7_RKS8_EUlibE0_EEviT1_,@function
_ZN2at6native32elementwise_kernel_manual_unrollILi128ELi4EZNS0_15gpu_kernel_implINS0_13BUnaryFunctorIfffZNS0_12_GLOBAL__N_121threshold_kernel_implIfEEvRNS_18TensorIteratorBaseET_S8_EUlffE_EEEEvS7_RKS8_EUlibE0_EEviT1_: ; @_ZN2at6native32elementwise_kernel_manual_unrollILi128ELi4EZNS0_15gpu_kernel_implINS0_13BUnaryFunctorIfffZNS0_12_GLOBAL__N_121threshold_kernel_implIfEEvRNS_18TensorIteratorBaseET_S8_EUlffE_EEEEvS7_RKS8_EUlibE0_EEviT1_
; %bb.0:
	s_load_dword s74, s[4:5], 0x0
	s_load_dword s33, s[4:5], 0x8
	s_add_u32 s34, s4, 8
	s_addc_u32 s35, s5, 0
	v_lshl_or_b32 v8, s6, 9, v0
	v_or_b32_e32 v15, 0x180, v8
	s_waitcnt lgkmcnt(0)
	s_add_i32 s76, s33, -1
	s_cmp_gt_u32 s76, 1
	v_cmp_le_i32_e32 vcc, s74, v15
	s_cselect_b64 s[44:45], -1, 0
	s_mov_b64 s[6:7], 0
	s_mov_b64 s[28:29], 0
	s_and_saveexec_b64 s[0:1], vcc
	s_xor_b64 s[46:47], exec, s[0:1]
	s_cbranch_execz .LBB159_1086
; %bb.1:
	s_cmp_lg_u32 s33, 0
	s_load_dwordx4 s[36:39], s[34:35], 0x4
	s_load_dwordx2 s[48:49], s[34:35], 0x14
	s_load_dword s77, s[34:35], 0x164
	s_load_dwordx4 s[40:43], s[34:35], 0xc4
	s_load_dwordx8 s[8:15], s[34:35], 0x148
	s_cselect_b64 s[54:55], -1, 0
	s_add_u32 s52, s34, 0xc4
	s_addc_u32 s53, s35, 0
	s_min_u32 s78, s76, 15
	s_cmp_gt_u32 s33, 1
	s_cselect_b64 s[50:51], -1, 0
	s_waitcnt lgkmcnt(0)
	s_bfe_u32 s15, s77, 0x80008
	v_cmp_gt_i32_e32 vcc, s74, v8
	s_mov_b64 s[2:3], -1
	s_mov_b64 s[64:65], 0
	s_mov_b64 s[58:59], 0
	;; [unrolled: 1-line block ×3, first 2 shown]
	s_and_saveexec_b64 s[60:61], vcc
	s_cbranch_execz .LBB159_266
; %bb.2:
	s_andn2_b64 vcc, exec, s[44:45]
	s_cbranch_vccnz .LBB159_7
; %bb.3:
	s_andn2_b64 vcc, exec, s[54:55]
	s_cbranch_vccnz .LBB159_8
; %bb.4:
	s_add_i32 s63, s78, 1
	s_cmp_eq_u32 s76, 2
	s_cbranch_scc1 .LBB159_9
; %bb.5:
	s_and_b32 s62, s63, 28
	v_mov_b32_e32 v2, 0
	s_mov_b32 s66, 0
	s_mov_b64 s[56:57], s[34:35]
	s_mov_b64 s[58:59], s[52:53]
	v_mov_b32_e32 v0, 0
	v_mov_b32_e32 v1, v8
.LBB159_6:                              ; =>This Inner Loop Header: Depth=1
	s_load_dwordx8 s[24:31], s[56:57], 0x4
	s_load_dwordx4 s[0:3], s[56:57], 0x24
	s_load_dwordx8 s[16:23], s[58:59], 0x0
	s_add_u32 s56, s56, 48
	s_addc_u32 s57, s57, 0
	s_waitcnt lgkmcnt(0)
	v_mul_hi_u32 v3, s25, v1
	s_add_i32 s66, s66, 4
	s_add_u32 s58, s58, 32
	s_addc_u32 s59, s59, 0
	v_add_u32_e32 v3, v1, v3
	v_lshrrev_b32_e32 v3, s26, v3
	v_mul_lo_u32 v4, v3, s24
	v_mul_hi_u32 v5, s28, v3
	s_cmp_lg_u32 s62, s66
	v_sub_u32_e32 v1, v1, v4
	v_add_u32_e32 v4, v3, v5
	v_mul_lo_u32 v5, v1, s16
	v_mul_lo_u32 v6, v1, s17
	v_lshrrev_b32_e32 v1, s29, v4
	v_mul_lo_u32 v4, v1, s27
	v_mul_hi_u32 v7, s31, v1
	v_sub_u32_e32 v3, v3, v4
	v_add_u32_e32 v4, v1, v7
	v_lshrrev_b32_e32 v4, s0, v4
	v_mul_hi_u32 v9, s2, v4
	v_mul_lo_u32 v10, v4, s30
	v_mul_lo_u32 v7, v3, s18
	;; [unrolled: 1-line block ×3, first 2 shown]
	v_sub_u32_e32 v10, v1, v10
	v_add_u32_e32 v1, v4, v9
	v_lshrrev_b32_e32 v1, s3, v1
	v_mul_lo_u32 v9, v1, s1
	v_mul_lo_u32 v11, v10, s20
	;; [unrolled: 1-line block ×3, first 2 shown]
	v_add3_u32 v0, v5, v0, v7
	v_sub_u32_e32 v4, v4, v9
	v_mul_lo_u32 v9, v4, s22
	v_mul_lo_u32 v4, v4, s23
	v_add3_u32 v2, v6, v2, v3
	v_add3_u32 v0, v11, v0, v9
	;; [unrolled: 1-line block ×3, first 2 shown]
	s_cbranch_scc1 .LBB159_6
	s_branch .LBB159_10
.LBB159_7:
                                        ; implicit-def: $vgpr0
                                        ; implicit-def: $vgpr2
	s_branch .LBB159_14
.LBB159_8:
	v_mov_b32_e32 v0, 0
	v_mov_b32_e32 v2, 0
	s_branch .LBB159_13
.LBB159_9:
	s_mov_b32 s62, 0
	v_mov_b32_e32 v0, 0
	v_mov_b32_e32 v2, 0
	;; [unrolled: 1-line block ×3, first 2 shown]
.LBB159_10:
	s_and_b32 s16, s63, 3
	s_cmp_eq_u32 s16, 0
	s_cbranch_scc1 .LBB159_13
; %bb.11:
	s_lshl_b32 s0, s62, 3
	s_add_u32 s0, s34, s0
	s_addc_u32 s1, s35, 0
	s_add_u32 s0, s0, 0xc4
	s_addc_u32 s1, s1, 0
	s_mul_i32 s2, s62, 12
	s_add_u32 s2, s34, s2
	s_addc_u32 s3, s35, 0
.LBB159_12:                             ; =>This Inner Loop Header: Depth=1
	s_load_dwordx2 s[18:19], s[2:3], 0x4
	s_load_dword s17, s[2:3], 0xc
	s_load_dwordx2 s[20:21], s[0:1], 0x0
	s_add_u32 s2, s2, 12
	s_addc_u32 s3, s3, 0
	s_waitcnt lgkmcnt(0)
	v_mul_hi_u32 v3, s19, v1
	s_add_u32 s0, s0, 8
	s_addc_u32 s1, s1, 0
	s_add_i32 s16, s16, -1
	v_add_u32_e32 v3, v1, v3
	v_lshrrev_b32_e32 v4, s17, v3
	v_mul_lo_u32 v3, v4, s18
	s_cmp_lg_u32 s16, 0
	v_sub_u32_e32 v3, v1, v3
	v_mad_u64_u32 v[0:1], s[18:19], v3, s20, v[0:1]
	v_mad_u64_u32 v[2:3], s[18:19], v3, s21, v[2:3]
	v_mov_b32_e32 v1, v4
	s_cbranch_scc1 .LBB159_12
.LBB159_13:
	s_cbranch_execnz .LBB159_16
.LBB159_14:
	v_mul_hi_u32 v0, s37, v8
	s_andn2_b64 vcc, exec, s[50:51]
	v_add_u32_e32 v0, v8, v0
	v_lshrrev_b32_e32 v1, s38, v0
	v_mul_lo_u32 v0, v1, s36
	v_sub_u32_e32 v2, v8, v0
	v_mul_lo_u32 v0, v2, s40
	v_mul_lo_u32 v2, v2, s41
	s_cbranch_vccnz .LBB159_16
; %bb.15:
	v_mul_hi_u32 v3, s48, v1
	v_add_u32_e32 v3, v1, v3
	v_lshrrev_b32_e32 v3, s49, v3
	v_mul_lo_u32 v3, v3, s39
	v_sub_u32_e32 v3, v1, v3
	v_mad_u64_u32 v[0:1], s[0:1], v3, s42, v[0:1]
	v_mad_u64_u32 v[2:3], s[0:1], v3, s43, v[2:3]
.LBB159_16:
	v_mov_b32_e32 v3, s11
	s_and_b32 s20, 0xffff, s15
	v_add_co_u32_e32 v1, vcc, s10, v2
	s_cmp_lt_i32 s20, 11
	v_addc_co_u32_e32 v2, vcc, 0, v3, vcc
	s_cbranch_scc1 .LBB159_23
; %bb.17:
	s_cmp_gt_i32 s20, 25
	s_cbranch_scc0 .LBB159_32
; %bb.18:
	s_cmp_gt_i32 s20, 28
	s_cbranch_scc0 .LBB159_35
; %bb.19:
	s_cmp_gt_i32 s20, 43
	s_cbranch_scc0 .LBB159_37
; %bb.20:
	s_cmp_gt_i32 s20, 45
	s_cbranch_scc0 .LBB159_39
; %bb.21:
	s_cmp_eq_u32 s20, 46
	s_mov_b64 s[16:17], 0
	s_cbranch_scc0 .LBB159_41
; %bb.22:
	global_load_dword v3, v[1:2], off
	s_mov_b64 s[0:1], -1
	s_mov_b64 s[2:3], 0
	s_waitcnt vmcnt(0)
	v_lshlrev_b32_e32 v3, 16, v3
	s_branch .LBB159_43
.LBB159_23:
	s_mov_b64 s[2:3], 0
                                        ; implicit-def: $vgpr3
	s_mov_b64 s[0:1], 0
	s_cbranch_execnz .LBB159_216
.LBB159_24:
	s_andn2_b64 vcc, exec, s[0:1]
	s_cbranch_vccnz .LBB159_263
.LBB159_25:
	v_mov_b32_e32 v1, s13
	v_mov_b32_e32 v2, s14
	s_waitcnt vmcnt(0)
	v_cmp_nge_f32_e32 vcc, s12, v3
	v_cndmask_b32_e32 v2, v1, v2, vcc
	v_mov_b32_e32 v1, s9
	s_and_b32 s22, s77, 0xff
	v_add_co_u32_e32 v0, vcc, s8, v0
	s_cmp_lt_i32 s22, 11
	v_addc_co_u32_e32 v1, vcc, 0, v1, vcc
	s_cbranch_scc1 .LBB159_33
; %bb.26:
	s_and_b32 s23, 0xffff, s22
	s_cmp_gt_i32 s23, 25
	s_cbranch_scc0 .LBB159_36
; %bb.27:
	s_cmp_gt_i32 s23, 28
	s_cbranch_scc0 .LBB159_38
; %bb.28:
	;; [unrolled: 3-line block ×4, first 2 shown]
	s_mov_b64 s[18:19], 0
	s_mov_b64 s[0:1], -1
	s_cmp_eq_u32 s23, 46
	s_mov_b64 s[16:17], 0
	s_cbranch_scc0 .LBB159_47
; %bb.31:
	v_bfe_u32 v3, v2, 16, 1
	s_movk_i32 s0, 0x7fff
	v_add3_u32 v3, v2, v3, s0
	v_cmp_o_f32_e32 vcc, v2, v2
	v_mov_b32_e32 v4, 0x7fc0
	v_cndmask_b32_sdwa v3, v4, v3, vcc dst_sel:DWORD dst_unused:UNUSED_PAD src0_sel:DWORD src1_sel:WORD_1
	global_store_dword v[0:1], v3, off
	s_mov_b64 s[16:17], -1
	s_mov_b64 s[0:1], 0
	s_branch .LBB159_47
.LBB159_32:
	s_mov_b64 s[2:3], 0
	s_mov_b64 s[0:1], 0
                                        ; implicit-def: $vgpr3
	s_cbranch_execnz .LBB159_181
	s_branch .LBB159_215
.LBB159_33:
	s_mov_b64 s[0:1], 0
	s_mov_b64 s[16:17], 0
	s_cbranch_execnz .LBB159_116
.LBB159_34:
	s_andn2_b64 vcc, exec, s[16:17]
	s_cbranch_vccnz .LBB159_264
	s_branch .LBB159_154
.LBB159_35:
	s_mov_b64 s[16:17], -1
	s_mov_b64 s[2:3], 0
	s_mov_b64 s[0:1], 0
                                        ; implicit-def: $vgpr3
	s_branch .LBB159_162
.LBB159_36:
	s_mov_b64 s[18:19], -1
	s_mov_b64 s[0:1], 0
	s_mov_b64 s[16:17], 0
	s_branch .LBB159_74
.LBB159_37:
	s_mov_b64 s[16:17], -1
	s_mov_b64 s[2:3], 0
	s_mov_b64 s[0:1], 0
                                        ; implicit-def: $vgpr3
	s_branch .LBB159_157
.LBB159_38:
	s_mov_b64 s[18:19], -1
	s_mov_b64 s[0:1], 0
	s_mov_b64 s[16:17], 0
	s_branch .LBB159_57
.LBB159_39:
	s_mov_b64 s[16:17], -1
	s_mov_b64 s[2:3], 0
	s_branch .LBB159_42
.LBB159_40:
	s_mov_b64 s[18:19], -1
	s_mov_b64 s[0:1], 0
	s_mov_b64 s[16:17], 0
	s_branch .LBB159_53
.LBB159_41:
	s_mov_b64 s[2:3], -1
.LBB159_42:
	s_mov_b64 s[0:1], 0
                                        ; implicit-def: $vgpr3
.LBB159_43:
	s_and_b64 vcc, exec, s[16:17]
	s_cbranch_vccz .LBB159_156
; %bb.44:
	s_cmp_eq_u32 s20, 44
	s_cbranch_scc0 .LBB159_155
; %bb.45:
	global_load_ubyte v3, v[1:2], off
	s_movk_i32 s2, 0xff
	v_mov_b32_e32 v4, 0x7f800001
	v_mov_b32_e32 v5, 0x400000
	s_mov_b64 s[0:1], -1
	s_waitcnt vmcnt(0)
	v_lshlrev_b32_e32 v6, 23, v3
	v_cmp_ne_u32_e32 vcc, s2, v3
	v_cndmask_b32_e32 v4, v4, v6, vcc
	v_cmp_ne_u32_e32 vcc, 0, v3
	v_cndmask_b32_e32 v3, v5, v4, vcc
	s_mov_b64 s[2:3], 0
	s_branch .LBB159_156
.LBB159_46:
	s_mov_b64 s[18:19], -1
	s_mov_b64 s[0:1], 0
	s_mov_b64 s[16:17], 0
.LBB159_47:
	s_and_b64 vcc, exec, s[18:19]
	s_cbranch_vccz .LBB159_52
; %bb.48:
	s_cmp_eq_u32 s23, 44
	s_mov_b64 s[0:1], -1
	s_cbranch_scc0 .LBB159_52
; %bb.49:
	v_bfe_u32 v3, v2, 23, 8
	s_movk_i32 s0, 0xff
	v_cmp_ne_u32_e32 vcc, s0, v3
	v_mov_b32_e32 v4, 0xff
	s_and_saveexec_b64 s[16:17], vcc
; %bb.50:
	s_mov_b32 s0, 0x3fffff
	v_and_b32_e32 v5, 0x400000, v2
	v_and_or_b32 v3, v2, s0, v3
	v_cmp_ne_u32_e32 vcc, 0, v5
	v_cmp_ne_u32_e64 s[0:1], 0, v3
	s_and_b64 s[0:1], vcc, s[0:1]
	v_lshrrev_b32_e32 v4, 23, v2
	v_cndmask_b32_e64 v3, 0, 1, s[0:1]
	v_add_u32_e32 v4, v4, v3
; %bb.51:
	s_or_b64 exec, exec, s[16:17]
	s_mov_b64 s[16:17], -1
	s_mov_b64 s[0:1], 0
	global_store_byte v[0:1], v4, off
.LBB159_52:
	s_mov_b64 s[18:19], 0
.LBB159_53:
	s_and_b64 vcc, exec, s[18:19]
	s_cbranch_vccz .LBB159_56
; %bb.54:
	s_cmp_eq_u32 s23, 29
	s_mov_b64 s[0:1], -1
	s_cbranch_scc0 .LBB159_56
; %bb.55:
	v_trunc_f32_e32 v3, v2
	v_mul_f32_e32 v4, 0x2f800000, v3
	v_floor_f32_e32 v5, v4
	v_fmac_f32_e32 v3, 0xcf800000, v5
	v_cvt_u32_f32_e32 v4, v5
	v_cvt_u32_f32_e32 v3, v3
	s_mov_b64 s[16:17], -1
	s_mov_b64 s[0:1], 0
	s_mov_b64 s[18:19], 0
	global_store_dwordx2 v[0:1], v[3:4], off
	s_branch .LBB159_57
.LBB159_56:
	s_mov_b64 s[18:19], 0
.LBB159_57:
	s_and_b64 vcc, exec, s[18:19]
	s_cbranch_vccz .LBB159_73
; %bb.58:
	s_cmp_lt_i32 s23, 27
	s_mov_b64 s[16:17], -1
	s_cbranch_scc1 .LBB159_64
; %bb.59:
	v_cvt_u32_f32_e32 v3, v2
	s_cmp_gt_i32 s23, 27
	s_cbranch_scc0 .LBB159_61
; %bb.60:
	s_mov_b64 s[16:17], 0
	global_store_dword v[0:1], v3, off
.LBB159_61:
	s_andn2_b64 vcc, exec, s[16:17]
	s_cbranch_vccnz .LBB159_63
; %bb.62:
	global_store_short v[0:1], v3, off
.LBB159_63:
	s_mov_b64 s[16:17], 0
.LBB159_64:
	s_andn2_b64 vcc, exec, s[16:17]
	s_cbranch_vccnz .LBB159_72
; %bb.65:
	v_and_b32_e32 v3, 0x7fffffff, v2
	s_mov_b32 s16, 0x43800000
	v_cmp_gt_u32_e32 vcc, s16, v3
	v_mov_b32_e32 v4, 0x80
	s_and_saveexec_b64 s[16:17], vcc
	s_cbranch_execz .LBB159_71
; %bb.66:
	s_mov_b32 s18, 0x3bffffff
	v_cmp_lt_u32_e32 vcc, s18, v3
	s_mov_b64 s[18:19], 0
                                        ; implicit-def: $vgpr3
	s_and_saveexec_b64 s[20:21], vcc
	s_xor_b64 s[20:21], exec, s[20:21]
	s_cbranch_execz .LBB159_307
; %bb.67:
	v_bfe_u32 v3, v2, 20, 1
	s_mov_b32 s24, 0x487ffff
	v_add3_u32 v3, v2, v3, s24
	s_mov_b64 s[18:19], exec
	v_lshrrev_b32_e32 v3, 20, v3
	s_andn2_saveexec_b64 s[20:21], s[20:21]
	s_cbranch_execnz .LBB159_308
.LBB159_68:
	s_or_b64 exec, exec, s[20:21]
	v_mov_b32_e32 v4, 0
	s_and_saveexec_b64 s[20:21], s[18:19]
.LBB159_69:
	v_lshrrev_b32_e32 v4, 24, v2
	s_movk_i32 s18, 0x80
	v_and_or_b32 v4, v4, s18, v3
.LBB159_70:
	s_or_b64 exec, exec, s[20:21]
.LBB159_71:
	s_or_b64 exec, exec, s[16:17]
	global_store_byte v[0:1], v4, off
.LBB159_72:
	s_mov_b64 s[16:17], -1
.LBB159_73:
	s_mov_b64 s[18:19], 0
.LBB159_74:
	s_and_b64 vcc, exec, s[18:19]
	s_cbranch_vccz .LBB159_115
; %bb.75:
	s_cmp_gt_i32 s23, 22
	s_mov_b64 s[18:19], -1
	s_cbranch_scc0 .LBB159_107
; %bb.76:
	s_cmp_lt_i32 s23, 24
	s_mov_b64 s[16:17], -1
	s_cbranch_scc1 .LBB159_96
; %bb.77:
	s_cmp_gt_i32 s23, 24
	s_cbranch_scc0 .LBB159_85
; %bb.78:
	v_and_b32_e32 v3, 0x7fffffff, v2
	s_mov_b32 s16, 0x47800000
	v_cmp_gt_u32_e32 vcc, s16, v3
	v_mov_b32_e32 v4, 0x80
	s_and_saveexec_b64 s[16:17], vcc
	s_cbranch_execz .LBB159_84
; %bb.79:
	s_mov_b32 s18, 0x37ffffff
	v_cmp_lt_u32_e32 vcc, s18, v3
	s_mov_b64 s[18:19], 0
                                        ; implicit-def: $vgpr3
	s_and_saveexec_b64 s[20:21], vcc
	s_xor_b64 s[20:21], exec, s[20:21]
	s_cbranch_execz .LBB159_311
; %bb.80:
	v_bfe_u32 v3, v2, 21, 1
	s_mov_b32 s24, 0x88fffff
	v_add3_u32 v3, v2, v3, s24
	s_mov_b64 s[18:19], exec
	v_lshrrev_b32_e32 v3, 21, v3
	s_andn2_saveexec_b64 s[20:21], s[20:21]
	s_cbranch_execnz .LBB159_312
.LBB159_81:
	s_or_b64 exec, exec, s[20:21]
	v_mov_b32_e32 v4, 0
	s_and_saveexec_b64 s[20:21], s[18:19]
.LBB159_82:
	v_lshrrev_b32_e32 v4, 24, v2
	s_movk_i32 s18, 0x80
	v_and_or_b32 v4, v4, s18, v3
.LBB159_83:
	s_or_b64 exec, exec, s[20:21]
.LBB159_84:
	s_or_b64 exec, exec, s[16:17]
	s_mov_b64 s[16:17], 0
	global_store_byte v[0:1], v4, off
.LBB159_85:
	s_and_b64 vcc, exec, s[16:17]
	s_cbranch_vccz .LBB159_95
; %bb.86:
	v_and_b32_e32 v4, 0x7fffffff, v2
	s_mov_b32 s16, 0x43f00000
	v_cmp_gt_u32_e32 vcc, s16, v4
                                        ; implicit-def: $vgpr3
	s_and_saveexec_b64 s[16:17], vcc
	s_xor_b64 s[16:17], exec, s[16:17]
	s_cbranch_execz .LBB159_92
; %bb.87:
	s_mov_b32 s18, 0x3c7fffff
	v_cmp_lt_u32_e32 vcc, s18, v4
                                        ; implicit-def: $vgpr3
	s_and_saveexec_b64 s[18:19], vcc
	s_xor_b64 s[18:19], exec, s[18:19]
; %bb.88:
	v_bfe_u32 v3, v2, 20, 1
	s_mov_b32 s20, 0x407ffff
	v_add3_u32 v3, v2, v3, s20
	v_lshrrev_b32_e32 v4, 20, v3
	v_and_b32_e32 v3, 0xff00000, v3
	s_mov_b32 s20, 0x7f00000
	v_mov_b32_e32 v5, 0x7e
	v_cmp_ne_u32_e32 vcc, s20, v3
	v_cndmask_b32_e32 v3, v5, v4, vcc
; %bb.89:
	s_andn2_saveexec_b64 s[18:19], s[18:19]
; %bb.90:
	s_mov_b32 s20, 0x46800000
	v_add_f32_e64 v3, |v2|, s20
; %bb.91:
	s_or_b64 exec, exec, s[18:19]
                                        ; implicit-def: $vgpr4
.LBB159_92:
	s_andn2_saveexec_b64 s[16:17], s[16:17]
; %bb.93:
	s_mov_b32 s18, 0x7f800000
	v_mov_b32_e32 v3, 0x7e
	v_mov_b32_e32 v5, 0x7f
	v_cmp_lt_u32_e32 vcc, s18, v4
	v_cndmask_b32_e32 v3, v3, v5, vcc
; %bb.94:
	s_or_b64 exec, exec, s[16:17]
	v_lshrrev_b32_e32 v4, 24, v2
	s_movk_i32 s16, 0x80
	v_and_or_b32 v3, v4, s16, v3
	global_store_byte v[0:1], v3, off
.LBB159_95:
	s_mov_b64 s[16:17], 0
.LBB159_96:
	s_andn2_b64 vcc, exec, s[16:17]
	s_cbranch_vccnz .LBB159_106
; %bb.97:
	v_and_b32_e32 v4, 0x7fffffff, v2
	s_mov_b32 s16, 0x47800000
	v_cmp_gt_u32_e32 vcc, s16, v4
                                        ; implicit-def: $vgpr3
	s_and_saveexec_b64 s[16:17], vcc
	s_xor_b64 s[16:17], exec, s[16:17]
	s_cbranch_execz .LBB159_103
; %bb.98:
	s_mov_b32 s18, 0x387fffff
	v_cmp_lt_u32_e32 vcc, s18, v4
                                        ; implicit-def: $vgpr3
	s_and_saveexec_b64 s[18:19], vcc
	s_xor_b64 s[18:19], exec, s[18:19]
; %bb.99:
	v_bfe_u32 v3, v2, 21, 1
	s_mov_b32 s20, 0x80fffff
	v_add3_u32 v3, v2, v3, s20
	v_lshrrev_b32_e32 v3, 21, v3
; %bb.100:
	s_andn2_saveexec_b64 s[18:19], s[18:19]
; %bb.101:
	s_mov_b32 s20, 0x43000000
	v_add_f32_e64 v3, |v2|, s20
; %bb.102:
	s_or_b64 exec, exec, s[18:19]
                                        ; implicit-def: $vgpr4
.LBB159_103:
	s_andn2_saveexec_b64 s[16:17], s[16:17]
; %bb.104:
	s_mov_b32 s18, 0x7f800000
	v_mov_b32_e32 v3, 0x7c
	v_mov_b32_e32 v5, 0x7f
	v_cmp_lt_u32_e32 vcc, s18, v4
	v_cndmask_b32_e32 v3, v3, v5, vcc
; %bb.105:
	s_or_b64 exec, exec, s[16:17]
	v_lshrrev_b32_e32 v4, 24, v2
	s_movk_i32 s16, 0x80
	v_and_or_b32 v3, v4, s16, v3
	global_store_byte v[0:1], v3, off
.LBB159_106:
	s_mov_b64 s[18:19], 0
	s_mov_b64 s[16:17], -1
.LBB159_107:
	s_andn2_b64 vcc, exec, s[18:19]
	s_cbranch_vccnz .LBB159_115
; %bb.108:
	s_cmp_gt_i32 s23, 14
	s_mov_b64 s[18:19], -1
	s_cbranch_scc0 .LBB159_112
; %bb.109:
	s_cmp_eq_u32 s23, 15
	s_mov_b64 s[0:1], -1
	s_cbranch_scc0 .LBB159_111
; %bb.110:
	v_bfe_u32 v3, v2, 16, 1
	s_movk_i32 s0, 0x7fff
	v_add3_u32 v3, v2, v3, s0
	v_cmp_o_f32_e32 vcc, v2, v2
	v_mov_b32_e32 v4, 0x7fc0
	v_cndmask_b32_sdwa v3, v4, v3, vcc dst_sel:DWORD dst_unused:UNUSED_PAD src0_sel:DWORD src1_sel:WORD_1
	global_store_short v[0:1], v3, off
	s_mov_b64 s[16:17], -1
	s_mov_b64 s[0:1], 0
.LBB159_111:
	s_mov_b64 s[18:19], 0
.LBB159_112:
	s_and_b64 vcc, exec, s[18:19]
	s_cbranch_vccz .LBB159_115
; %bb.113:
	s_cmp_eq_u32 s23, 11
	s_mov_b64 s[0:1], -1
	s_cbranch_scc0 .LBB159_115
; %bb.114:
	v_cmp_neq_f32_e32 vcc, 0, v2
	v_cndmask_b32_e64 v3, 0, 1, vcc
	s_mov_b64 s[16:17], -1
	s_mov_b64 s[0:1], 0
	global_store_byte v[0:1], v3, off
.LBB159_115:
	s_branch .LBB159_34
.LBB159_116:
	s_and_b32 s18, 0xffff, s22
	s_cmp_lt_i32 s18, 5
	s_mov_b64 s[16:17], -1
	s_cbranch_scc1 .LBB159_137
; %bb.117:
	s_cmp_lt_i32 s18, 8
	s_cbranch_scc1 .LBB159_127
; %bb.118:
	s_cmp_lt_i32 s18, 9
	s_cbranch_scc1 .LBB159_124
; %bb.119:
	s_cmp_gt_i32 s18, 9
	s_cbranch_scc0 .LBB159_121
; %bb.120:
	v_cvt_f64_f32_e32 v[3:4], v2
	v_mov_b32_e32 v5, 0
	v_mov_b32_e32 v6, v5
	s_mov_b64 s[16:17], 0
	global_store_dwordx4 v[0:1], v[3:6], off
.LBB159_121:
	s_andn2_b64 vcc, exec, s[16:17]
	s_cbranch_vccnz .LBB159_123
; %bb.122:
	v_mov_b32_e32 v3, 0
	global_store_dwordx2 v[0:1], v[2:3], off
.LBB159_123:
	s_mov_b64 s[16:17], 0
.LBB159_124:
	s_andn2_b64 vcc, exec, s[16:17]
	s_cbranch_vccnz .LBB159_126
; %bb.125:
	v_cvt_f16_f32_e32 v3, v2
	global_store_dword v[0:1], v3, off
.LBB159_126:
	s_mov_b64 s[16:17], 0
.LBB159_127:
	s_andn2_b64 vcc, exec, s[16:17]
	s_cbranch_vccnz .LBB159_136
; %bb.128:
	s_cmp_lt_i32 s18, 6
	s_mov_b64 s[16:17], -1
	s_cbranch_scc1 .LBB159_134
; %bb.129:
	s_cmp_gt_i32 s18, 6
	s_cbranch_scc0 .LBB159_131
; %bb.130:
	v_cvt_f64_f32_e32 v[3:4], v2
	s_mov_b64 s[16:17], 0
	global_store_dwordx2 v[0:1], v[3:4], off
.LBB159_131:
	s_andn2_b64 vcc, exec, s[16:17]
	s_cbranch_vccnz .LBB159_133
; %bb.132:
	global_store_dword v[0:1], v2, off
.LBB159_133:
	s_mov_b64 s[16:17], 0
.LBB159_134:
	s_andn2_b64 vcc, exec, s[16:17]
	s_cbranch_vccnz .LBB159_136
; %bb.135:
	v_cvt_f16_f32_e32 v3, v2
	global_store_short v[0:1], v3, off
.LBB159_136:
	s_mov_b64 s[16:17], 0
.LBB159_137:
	s_andn2_b64 vcc, exec, s[16:17]
	s_cbranch_vccnz .LBB159_153
; %bb.138:
	s_cmp_lt_i32 s18, 2
	s_mov_b64 s[16:17], -1
	s_cbranch_scc1 .LBB159_148
; %bb.139:
	s_cmp_lt_i32 s18, 3
	s_cbranch_scc1 .LBB159_145
; %bb.140:
	s_cmp_gt_i32 s18, 3
	s_cbranch_scc0 .LBB159_142
; %bb.141:
	v_trunc_f32_e32 v3, v2
	s_mov_b32 s16, 0x2f800000
	v_mul_f32_e64 v4, |v3|, s16
	v_floor_f32_e32 v4, v4
	s_mov_b32 s16, 0xcf800000
	v_cvt_u32_f32_e32 v5, v4
	v_fma_f32 v4, v4, s16, |v3|
	v_cvt_u32_f32_e32 v4, v4
	v_ashrrev_i32_e32 v6, 31, v3
	v_xor_b32_e32 v5, v5, v6
	s_mov_b64 s[16:17], 0
	v_xor_b32_e32 v3, v4, v6
	v_sub_co_u32_e32 v3, vcc, v3, v6
	v_subb_co_u32_e32 v4, vcc, v5, v6, vcc
	global_store_dwordx2 v[0:1], v[3:4], off
.LBB159_142:
	s_andn2_b64 vcc, exec, s[16:17]
	s_cbranch_vccnz .LBB159_144
; %bb.143:
	v_cvt_i32_f32_e32 v3, v2
	global_store_dword v[0:1], v3, off
.LBB159_144:
	s_mov_b64 s[16:17], 0
.LBB159_145:
	s_andn2_b64 vcc, exec, s[16:17]
	s_cbranch_vccnz .LBB159_147
; %bb.146:
	v_cvt_i32_f32_e32 v3, v2
	global_store_short v[0:1], v3, off
.LBB159_147:
	s_mov_b64 s[16:17], 0
.LBB159_148:
	s_andn2_b64 vcc, exec, s[16:17]
	s_cbranch_vccnz .LBB159_153
; %bb.149:
	s_cmp_gt_i32 s18, 0
	s_mov_b64 s[16:17], -1
	s_cbranch_scc0 .LBB159_151
; %bb.150:
	v_cvt_i32_f32_e32 v3, v2
	s_mov_b64 s[16:17], 0
	global_store_byte v[0:1], v3, off
.LBB159_151:
	s_andn2_b64 vcc, exec, s[16:17]
	s_cbranch_vccnz .LBB159_153
; %bb.152:
	v_trunc_f32_e32 v2, v2
	s_mov_b32 s16, 0x2f800000
	v_mul_f32_e64 v3, |v2|, s16
	v_floor_f32_e32 v3, v3
	s_mov_b32 s16, 0xcf800000
	v_fma_f32 v3, v3, s16, |v2|
	v_cvt_u32_f32_e32 v3, v3
	v_ashrrev_i32_e32 v2, 31, v2
	v_xor_b32_e32 v3, v3, v2
	v_sub_u32_e32 v2, v3, v2
	global_store_byte v[0:1], v2, off
.LBB159_153:
.LBB159_154:
	v_add_u32_e32 v8, 0x80, v8
	s_mov_b64 s[16:17], -1
	s_branch .LBB159_265
.LBB159_155:
	s_mov_b64 s[2:3], -1
                                        ; implicit-def: $vgpr3
.LBB159_156:
	s_mov_b64 s[16:17], 0
.LBB159_157:
	s_and_b64 vcc, exec, s[16:17]
	s_cbranch_vccz .LBB159_161
; %bb.158:
	s_cmp_eq_u32 s20, 29
	s_cbranch_scc0 .LBB159_160
; %bb.159:
	global_load_dwordx2 v[3:4], v[1:2], off
	s_mov_b64 s[0:1], -1
	s_mov_b64 s[2:3], 0
	s_mov_b64 s[16:17], 0
	s_waitcnt vmcnt(0)
	v_ffbh_u32_e32 v5, v4
	v_min_u32_e32 v5, 32, v5
	v_lshlrev_b64 v[3:4], v5, v[3:4]
	v_min_u32_e32 v3, 1, v3
	v_or_b32_e32 v3, v4, v3
	v_cvt_f32_u32_e32 v3, v3
	v_sub_u32_e32 v4, 32, v5
	v_ldexp_f32 v3, v3, v4
	s_branch .LBB159_162
.LBB159_160:
	s_mov_b64 s[2:3], -1
                                        ; implicit-def: $vgpr3
.LBB159_161:
	s_mov_b64 s[16:17], 0
.LBB159_162:
	s_and_b64 vcc, exec, s[16:17]
	s_cbranch_vccz .LBB159_180
; %bb.163:
	s_cmp_lt_i32 s20, 27
	s_cbranch_scc1 .LBB159_166
; %bb.164:
	s_cmp_gt_i32 s20, 27
	s_cbranch_scc0 .LBB159_167
; %bb.165:
	global_load_dword v3, v[1:2], off
	s_mov_b64 s[0:1], 0
	s_waitcnt vmcnt(0)
	v_cvt_f32_u32_e32 v3, v3
	s_branch .LBB159_168
.LBB159_166:
	s_mov_b64 s[0:1], -1
                                        ; implicit-def: $vgpr3
	s_branch .LBB159_171
.LBB159_167:
	s_mov_b64 s[0:1], -1
                                        ; implicit-def: $vgpr3
.LBB159_168:
	s_andn2_b64 vcc, exec, s[0:1]
	s_cbranch_vccnz .LBB159_170
; %bb.169:
	global_load_ushort v3, v[1:2], off
	s_waitcnt vmcnt(0)
	v_cvt_f32_u32_e32 v3, v3
.LBB159_170:
	s_mov_b64 s[0:1], 0
.LBB159_171:
	s_andn2_b64 vcc, exec, s[0:1]
	s_cbranch_vccnz .LBB159_179
; %bb.172:
	global_load_ubyte v4, v[1:2], off
	s_movk_i32 s0, 0x7f
	s_waitcnt vmcnt(0)
	v_cmp_lt_i16_e32 vcc, s0, v4
	s_mov_b64 s[0:1], 0
	s_and_saveexec_b64 s[16:17], vcc
	s_xor_b64 s[16:17], exec, s[16:17]
	s_cbranch_execz .LBB159_192
; %bb.173:
	s_movk_i32 s0, 0x80
	v_cmp_eq_u16_e32 vcc, s0, v4
	s_mov_b64 s[0:1], -1
	s_and_saveexec_b64 s[18:19], vcc
; %bb.174:
	s_xor_b64 s[0:1], exec, -1
; %bb.175:
	s_or_b64 exec, exec, s[18:19]
	s_and_b64 s[0:1], s[0:1], exec
	s_or_saveexec_b64 s[16:17], s[16:17]
	v_mov_b32_e32 v3, 0x7f800001
	s_xor_b64 exec, exec, s[16:17]
	s_cbranch_execnz .LBB159_193
.LBB159_176:
	s_or_b64 exec, exec, s[16:17]
	s_and_saveexec_b64 s[16:17], s[0:1]
	s_cbranch_execz .LBB159_178
.LBB159_177:
	v_lshlrev_b32_e32 v3, 24, v4
	v_and_b32_e32 v4, 0xffff, v4
	v_and_b32_e32 v5, 7, v4
	v_ffbh_u32_e32 v7, v5
	v_min_u32_e32 v7, 32, v7
	v_subrev_u32_e32 v9, 28, v7
	v_bfe_u32 v6, v4, 3, 4
	v_lshlrev_b32_e32 v4, v9, v4
	v_sub_u32_e32 v7, 29, v7
	v_and_b32_e32 v4, 7, v4
	v_cmp_eq_u32_e32 vcc, 0, v6
	v_cndmask_b32_e32 v6, v6, v7, vcc
	v_cndmask_b32_e32 v4, v5, v4, vcc
	v_mov_b32_e32 v5, 0x3b800000
	v_lshlrev_b32_e32 v4, 20, v4
	v_and_b32_e32 v3, 0x80000000, v3
	v_lshl_add_u32 v5, v6, 23, v5
	v_or3_b32 v3, v3, v5, v4
.LBB159_178:
	s_or_b64 exec, exec, s[16:17]
.LBB159_179:
	s_mov_b64 s[0:1], -1
.LBB159_180:
	s_branch .LBB159_215
.LBB159_181:
	s_cmp_gt_i32 s20, 22
	s_cbranch_scc0 .LBB159_191
; %bb.182:
	s_cmp_lt_i32 s20, 24
	s_cbranch_scc1 .LBB159_194
; %bb.183:
	s_cmp_gt_i32 s20, 24
	s_cbranch_scc0 .LBB159_195
; %bb.184:
	global_load_ubyte v4, v[1:2], off
	s_movk_i32 s0, 0x7f
	s_waitcnt vmcnt(0)
	v_cmp_lt_i16_e32 vcc, s0, v4
	s_mov_b64 s[0:1], 0
	s_and_saveexec_b64 s[16:17], vcc
	s_xor_b64 s[16:17], exec, s[16:17]
	s_cbranch_execz .LBB159_207
; %bb.185:
	s_movk_i32 s0, 0x80
	v_cmp_eq_u16_e32 vcc, s0, v4
	s_mov_b64 s[0:1], -1
	s_and_saveexec_b64 s[18:19], vcc
; %bb.186:
	s_xor_b64 s[0:1], exec, -1
; %bb.187:
	s_or_b64 exec, exec, s[18:19]
	s_and_b64 s[0:1], s[0:1], exec
	s_or_saveexec_b64 s[16:17], s[16:17]
	v_mov_b32_e32 v3, 0x7f800001
	s_xor_b64 exec, exec, s[16:17]
	s_cbranch_execnz .LBB159_208
.LBB159_188:
	s_or_b64 exec, exec, s[16:17]
	s_and_saveexec_b64 s[16:17], s[0:1]
	s_cbranch_execz .LBB159_190
.LBB159_189:
	v_lshlrev_b32_e32 v3, 24, v4
	v_and_b32_e32 v4, 0xffff, v4
	v_and_b32_e32 v5, 3, v4
	v_ffbh_u32_e32 v7, v5
	v_min_u32_e32 v7, 32, v7
	v_subrev_u32_e32 v9, 29, v7
	v_bfe_u32 v6, v4, 2, 5
	v_lshlrev_b32_e32 v4, v9, v4
	v_sub_u32_e32 v7, 30, v7
	v_and_b32_e32 v4, 3, v4
	v_cmp_eq_u32_e32 vcc, 0, v6
	v_cndmask_b32_e32 v6, v6, v7, vcc
	v_cndmask_b32_e32 v4, v5, v4, vcc
	v_mov_b32_e32 v5, 0x37800000
	v_lshlrev_b32_e32 v4, 21, v4
	v_and_b32_e32 v3, 0x80000000, v3
	v_lshl_add_u32 v5, v6, 23, v5
	v_or3_b32 v3, v3, v5, v4
.LBB159_190:
	s_or_b64 exec, exec, s[16:17]
	s_mov_b64 s[0:1], 0
	s_branch .LBB159_196
.LBB159_191:
	s_mov_b64 s[16:17], -1
                                        ; implicit-def: $vgpr3
	s_branch .LBB159_202
.LBB159_192:
	s_or_saveexec_b64 s[16:17], s[16:17]
	v_mov_b32_e32 v3, 0x7f800001
	s_xor_b64 exec, exec, s[16:17]
	s_cbranch_execz .LBB159_176
.LBB159_193:
	v_cmp_ne_u16_e32 vcc, 0, v4
	s_andn2_b64 s[0:1], s[0:1], exec
	s_and_b64 s[18:19], vcc, exec
	v_mov_b32_e32 v3, 0
	s_or_b64 s[0:1], s[0:1], s[18:19]
	s_or_b64 exec, exec, s[16:17]
	s_and_saveexec_b64 s[16:17], s[0:1]
	s_cbranch_execnz .LBB159_177
	s_branch .LBB159_178
.LBB159_194:
	s_mov_b64 s[0:1], -1
                                        ; implicit-def: $vgpr3
	s_branch .LBB159_199
.LBB159_195:
	s_mov_b64 s[0:1], -1
                                        ; implicit-def: $vgpr3
.LBB159_196:
	s_and_b64 vcc, exec, s[0:1]
	s_cbranch_vccz .LBB159_198
; %bb.197:
	global_load_ubyte v3, v[1:2], off
	s_mov_b32 s0, 0x7f800000
	s_waitcnt vmcnt(0)
	v_lshlrev_b32_e32 v3, 24, v3
	v_and_b32_e32 v4, 0x7f000000, v3
	v_ffbh_u32_e32 v5, v4
	v_min_u32_e32 v5, 32, v5
	v_sub_u32_e64 v5, v5, 4 clamp
	v_lshlrev_b32_e32 v7, v5, v4
	v_lshlrev_b32_e32 v5, 23, v5
	v_lshrrev_b32_e32 v7, 4, v7
	v_add_u32_e32 v6, 0x1000000, v4
	v_sub_u32_e32 v5, v7, v5
	v_ashrrev_i32_e32 v6, 8, v6
	v_add_u32_e32 v5, 0x3c000000, v5
	v_and_or_b32 v5, v6, s0, v5
	v_cmp_ne_u32_e32 vcc, 0, v4
	v_cndmask_b32_e32 v4, 0, v5, vcc
	s_brev_b32 s0, 1
	v_and_or_b32 v3, v3, s0, v4
.LBB159_198:
	s_mov_b64 s[0:1], 0
.LBB159_199:
	s_andn2_b64 vcc, exec, s[0:1]
	s_cbranch_vccnz .LBB159_201
; %bb.200:
	global_load_ubyte v3, v[1:2], off
	s_movk_i32 s0, 0x7f00
	s_brev_b32 s1, 16
	s_waitcnt vmcnt(0)
	v_lshlrev_b16_e32 v4, 8, v3
	v_lshlrev_b32_e32 v3, 25, v3
	v_lshrrev_b32_e32 v5, 4, v3
	v_and_or_b32 v6, v4, s0, 0.5
	v_or_b32_e32 v5, 0x70000000, v5
	v_add_f32_e32 v6, -0.5, v6
	v_mul_f32_e32 v5, 0x7800000, v5
	v_cmp_gt_u32_e32 vcc, s1, v3
	v_bfe_i32 v4, v4, 0, 16
	v_cndmask_b32_e32 v3, v5, v6, vcc
	s_brev_b32 s0, 1
	v_and_or_b32 v3, v4, s0, v3
.LBB159_201:
	s_mov_b64 s[16:17], 0
	s_mov_b64 s[0:1], -1
.LBB159_202:
	s_andn2_b64 vcc, exec, s[16:17]
	s_cbranch_vccnz .LBB159_215
; %bb.203:
	s_cmp_gt_i32 s20, 14
	s_cbranch_scc0 .LBB159_206
; %bb.204:
	s_cmp_eq_u32 s20, 15
	s_cbranch_scc0 .LBB159_209
; %bb.205:
	global_load_ushort v3, v[1:2], off
	s_mov_b64 s[0:1], -1
	s_mov_b64 s[2:3], 0
	s_waitcnt vmcnt(0)
	v_lshlrev_b32_e32 v3, 16, v3
	s_branch .LBB159_210
.LBB159_206:
	s_mov_b64 s[16:17], -1
                                        ; implicit-def: $vgpr3
	s_branch .LBB159_211
.LBB159_207:
	s_or_saveexec_b64 s[16:17], s[16:17]
	v_mov_b32_e32 v3, 0x7f800001
	s_xor_b64 exec, exec, s[16:17]
	s_cbranch_execz .LBB159_188
.LBB159_208:
	v_cmp_ne_u16_e32 vcc, 0, v4
	s_andn2_b64 s[0:1], s[0:1], exec
	s_and_b64 s[18:19], vcc, exec
	v_mov_b32_e32 v3, 0
	s_or_b64 s[0:1], s[0:1], s[18:19]
	s_or_b64 exec, exec, s[16:17]
	s_and_saveexec_b64 s[16:17], s[0:1]
	s_cbranch_execnz .LBB159_189
	s_branch .LBB159_190
.LBB159_209:
	s_mov_b64 s[2:3], -1
                                        ; implicit-def: $vgpr3
.LBB159_210:
	s_mov_b64 s[16:17], 0
.LBB159_211:
	s_and_b64 vcc, exec, s[16:17]
	s_cbranch_vccz .LBB159_215
; %bb.212:
	s_cmp_eq_u32 s20, 11
	s_cbranch_scc0 .LBB159_214
; %bb.213:
	global_load_ubyte v3, v[1:2], off
	s_mov_b64 s[0:1], -1
	s_mov_b64 s[2:3], 0
	s_waitcnt vmcnt(0)
	v_cmp_ne_u16_e32 vcc, 0, v3
	v_cndmask_b32_e64 v3, 0, 1.0, vcc
	s_branch .LBB159_215
.LBB159_214:
	s_mov_b64 s[2:3], -1
                                        ; implicit-def: $vgpr3
.LBB159_215:
	s_branch .LBB159_24
.LBB159_216:
	s_cmp_lt_i32 s20, 5
	s_cbranch_scc1 .LBB159_221
; %bb.217:
	s_cmp_lt_i32 s20, 8
	s_cbranch_scc1 .LBB159_222
; %bb.218:
	;; [unrolled: 3-line block ×3, first 2 shown]
	s_cmp_gt_i32 s20, 9
	s_cbranch_scc0 .LBB159_224
; %bb.220:
	global_load_dwordx2 v[3:4], v[1:2], off
	s_mov_b64 s[0:1], 0
	s_waitcnt vmcnt(0)
	v_cvt_f32_f64_e32 v3, v[3:4]
	s_branch .LBB159_225
.LBB159_221:
                                        ; implicit-def: $vgpr3
	s_branch .LBB159_243
.LBB159_222:
	s_mov_b64 s[0:1], -1
                                        ; implicit-def: $vgpr3
	s_branch .LBB159_231
.LBB159_223:
	s_mov_b64 s[0:1], -1
                                        ; implicit-def: $vgpr3
	s_branch .LBB159_228
.LBB159_224:
	s_mov_b64 s[0:1], -1
                                        ; implicit-def: $vgpr3
.LBB159_225:
	s_andn2_b64 vcc, exec, s[0:1]
	s_cbranch_vccnz .LBB159_227
; %bb.226:
	global_load_dword v3, v[1:2], off
.LBB159_227:
	s_mov_b64 s[0:1], 0
.LBB159_228:
	s_andn2_b64 vcc, exec, s[0:1]
	s_cbranch_vccnz .LBB159_230
; %bb.229:
	global_load_dword v3, v[1:2], off
	s_waitcnt vmcnt(0)
	v_cvt_f32_f16_e32 v3, v3
.LBB159_230:
	s_mov_b64 s[0:1], 0
.LBB159_231:
	s_andn2_b64 vcc, exec, s[0:1]
	s_cbranch_vccnz .LBB159_242
; %bb.232:
	s_cmp_lt_i32 s20, 6
	s_cbranch_scc1 .LBB159_235
; %bb.233:
	s_cmp_gt_i32 s20, 6
	s_cbranch_scc0 .LBB159_236
; %bb.234:
	global_load_dwordx2 v[3:4], v[1:2], off
	s_mov_b64 s[0:1], 0
	s_waitcnt vmcnt(0)
	v_cvt_f32_f64_e32 v3, v[3:4]
	s_branch .LBB159_237
.LBB159_235:
	s_mov_b64 s[0:1], -1
                                        ; implicit-def: $vgpr3
	s_branch .LBB159_240
.LBB159_236:
	s_mov_b64 s[0:1], -1
                                        ; implicit-def: $vgpr3
.LBB159_237:
	s_andn2_b64 vcc, exec, s[0:1]
	s_cbranch_vccnz .LBB159_239
; %bb.238:
	global_load_dword v3, v[1:2], off
.LBB159_239:
	s_mov_b64 s[0:1], 0
.LBB159_240:
	s_andn2_b64 vcc, exec, s[0:1]
	s_cbranch_vccnz .LBB159_242
; %bb.241:
	global_load_ushort v3, v[1:2], off
	s_waitcnt vmcnt(0)
	v_cvt_f32_f16_e32 v3, v3
.LBB159_242:
	s_cbranch_execnz .LBB159_262
.LBB159_243:
	s_cmp_lt_i32 s20, 2
	s_cbranch_scc1 .LBB159_247
; %bb.244:
	s_cmp_lt_i32 s20, 3
	s_cbranch_scc1 .LBB159_248
; %bb.245:
	s_cmp_gt_i32 s20, 3
	s_cbranch_scc0 .LBB159_249
; %bb.246:
	global_load_dwordx2 v[3:4], v[1:2], off
	s_mov_b64 s[0:1], 0
	s_waitcnt vmcnt(0)
	v_xor_b32_e32 v6, v3, v4
	v_ffbh_i32_e32 v5, v4
	v_ashrrev_i32_e32 v6, 31, v6
	v_add_u32_e32 v5, -1, v5
	v_add_u32_e32 v6, 32, v6
	v_min_u32_e32 v5, v5, v6
	v_lshlrev_b64 v[3:4], v5, v[3:4]
	v_min_u32_e32 v3, 1, v3
	v_or_b32_e32 v3, v4, v3
	v_cvt_f32_i32_e32 v3, v3
	v_sub_u32_e32 v4, 32, v5
	v_ldexp_f32 v3, v3, v4
	s_branch .LBB159_250
.LBB159_247:
	s_mov_b64 s[0:1], -1
                                        ; implicit-def: $vgpr3
	s_branch .LBB159_256
.LBB159_248:
	s_mov_b64 s[0:1], -1
                                        ; implicit-def: $vgpr3
	s_branch .LBB159_253
.LBB159_249:
	s_mov_b64 s[0:1], -1
                                        ; implicit-def: $vgpr3
.LBB159_250:
	s_andn2_b64 vcc, exec, s[0:1]
	s_cbranch_vccnz .LBB159_252
; %bb.251:
	global_load_dword v3, v[1:2], off
	s_waitcnt vmcnt(0)
	v_cvt_f32_i32_e32 v3, v3
.LBB159_252:
	s_mov_b64 s[0:1], 0
.LBB159_253:
	s_andn2_b64 vcc, exec, s[0:1]
	s_cbranch_vccnz .LBB159_255
; %bb.254:
	global_load_sshort v3, v[1:2], off
	s_waitcnt vmcnt(0)
	v_cvt_f32_i32_e32 v3, v3
.LBB159_255:
	s_mov_b64 s[0:1], 0
.LBB159_256:
	s_andn2_b64 vcc, exec, s[0:1]
	s_cbranch_vccnz .LBB159_262
; %bb.257:
	s_cmp_gt_i32 s20, 0
	s_cbranch_scc0 .LBB159_259
; %bb.258:
	global_load_sbyte v3, v[1:2], off
	s_mov_b64 s[0:1], 0
	s_waitcnt vmcnt(0)
	v_cvt_f32_i32_e32 v3, v3
	s_branch .LBB159_260
.LBB159_259:
	s_mov_b64 s[0:1], -1
                                        ; implicit-def: $vgpr3
.LBB159_260:
	s_andn2_b64 vcc, exec, s[0:1]
	s_cbranch_vccnz .LBB159_262
; %bb.261:
	global_load_ubyte v1, v[1:2], off
	s_waitcnt vmcnt(0)
	v_cvt_f32_ubyte0_e32 v3, v1
.LBB159_262:
	s_branch .LBB159_25
.LBB159_263:
	s_mov_b64 s[0:1], 0
.LBB159_264:
	s_mov_b64 s[16:17], 0
                                        ; implicit-def: $vgpr8
.LBB159_265:
	s_and_b64 s[56:57], s[0:1], exec
	s_and_b64 s[58:59], s[2:3], exec
	s_orn2_b64 s[2:3], s[16:17], exec
.LBB159_266:
	s_or_b64 exec, exec, s[60:61]
	s_mov_b64 s[16:17], 0
	s_mov_b64 s[0:1], 0
                                        ; implicit-def: $vgpr1_vgpr2
                                        ; implicit-def: $vgpr0
                                        ; implicit-def: $vgpr4
	s_and_saveexec_b64 s[60:61], s[2:3]
	s_cbranch_execz .LBB159_273
; %bb.267:
	v_cmp_gt_i32_e32 vcc, s74, v8
	s_mov_b64 s[0:1], -1
	s_mov_b64 s[62:63], s[58:59]
	s_mov_b64 s[64:65], s[56:57]
	s_and_saveexec_b64 s[66:67], vcc
	s_cbranch_execz .LBB159_542
; %bb.268:
	s_andn2_b64 vcc, exec, s[44:45]
	s_cbranch_vccnz .LBB159_276
; %bb.269:
	s_andn2_b64 vcc, exec, s[54:55]
	s_cbranch_vccnz .LBB159_277
; %bb.270:
	s_add_i32 s69, s78, 1
	s_cmp_eq_u32 s76, 2
	s_cbranch_scc1 .LBB159_278
; %bb.271:
	s_and_b32 s68, s69, 28
	v_mov_b32_e32 v2, 0
	s_mov_b32 s70, 0
	s_mov_b64 s[62:63], s[34:35]
	s_mov_b64 s[64:65], s[52:53]
	v_mov_b32_e32 v0, 0
	v_mov_b32_e32 v1, v8
.LBB159_272:                            ; =>This Inner Loop Header: Depth=1
	s_load_dwordx8 s[24:31], s[62:63], 0x4
	s_load_dwordx4 s[0:3], s[62:63], 0x24
	s_load_dwordx8 s[16:23], s[64:65], 0x0
	s_add_u32 s62, s62, 48
	s_addc_u32 s63, s63, 0
	s_waitcnt vmcnt(0) lgkmcnt(0)
	v_mul_hi_u32 v3, s25, v1
	s_add_i32 s70, s70, 4
	s_add_u32 s64, s64, 32
	s_addc_u32 s65, s65, 0
	v_add_u32_e32 v3, v1, v3
	v_lshrrev_b32_e32 v3, s26, v3
	v_mul_lo_u32 v4, v3, s24
	v_mul_hi_u32 v5, s28, v3
	s_cmp_eq_u32 s68, s70
	v_sub_u32_e32 v1, v1, v4
	v_add_u32_e32 v4, v3, v5
	v_mul_lo_u32 v5, v1, s16
	v_mul_lo_u32 v6, v1, s17
	v_lshrrev_b32_e32 v1, s29, v4
	v_mul_lo_u32 v4, v1, s27
	v_mul_hi_u32 v7, s31, v1
	v_sub_u32_e32 v3, v3, v4
	v_add_u32_e32 v4, v1, v7
	v_lshrrev_b32_e32 v4, s0, v4
	v_mul_hi_u32 v9, s2, v4
	v_mul_lo_u32 v10, v4, s30
	v_mul_lo_u32 v7, v3, s18
	;; [unrolled: 1-line block ×3, first 2 shown]
	v_sub_u32_e32 v10, v1, v10
	v_add_u32_e32 v1, v4, v9
	v_lshrrev_b32_e32 v1, s3, v1
	v_mul_lo_u32 v9, v1, s1
	v_mul_lo_u32 v11, v10, s20
	;; [unrolled: 1-line block ×3, first 2 shown]
	v_add3_u32 v0, v5, v0, v7
	v_sub_u32_e32 v4, v4, v9
	v_mul_lo_u32 v9, v4, s22
	v_mul_lo_u32 v4, v4, s23
	v_add3_u32 v2, v6, v2, v3
	v_add3_u32 v0, v11, v0, v9
	;; [unrolled: 1-line block ×3, first 2 shown]
	s_cbranch_scc0 .LBB159_272
	s_branch .LBB159_279
.LBB159_273:
	s_or_b64 exec, exec, s[60:61]
	s_mov_b64 s[2:3], 0
	s_and_saveexec_b64 s[10:11], s[58:59]
	s_cbranch_execnz .LBB159_918
.LBB159_274:
	s_or_b64 exec, exec, s[10:11]
	s_and_saveexec_b64 s[10:11], s[64:65]
	s_xor_b64 s[10:11], exec, s[10:11]
	s_cbranch_execz .LBB159_919
.LBB159_275:
	global_load_ubyte v3, v[1:2], off
	s_or_b64 s[0:1], s[0:1], exec
	s_waitcnt vmcnt(0)
	v_cmp_ne_u16_e32 vcc, 0, v3
	v_cndmask_b32_e64 v4, 0, 1.0, vcc
	s_or_b64 exec, exec, s[10:11]
	s_and_saveexec_b64 s[10:11], s[16:17]
	s_cbranch_execz .LBB159_965
	s_branch .LBB159_920
.LBB159_276:
                                        ; implicit-def: $vgpr0
                                        ; implicit-def: $vgpr2
	s_andn2_b64 vcc, exec, s[0:1]
	s_cbranch_vccz .LBB159_283
	s_branch .LBB159_285
.LBB159_277:
	v_mov_b32_e32 v0, 0
	v_mov_b32_e32 v2, 0
	s_branch .LBB159_282
.LBB159_278:
	s_mov_b32 s68, 0
	v_mov_b32_e32 v0, 0
	v_mov_b32_e32 v2, 0
	;; [unrolled: 1-line block ×3, first 2 shown]
.LBB159_279:
	s_and_b32 s16, s69, 3
	s_cmp_eq_u32 s16, 0
	s_cbranch_scc1 .LBB159_282
; %bb.280:
	s_lshl_b32 s0, s68, 3
	s_add_u32 s0, s34, s0
	s_addc_u32 s1, s35, 0
	s_add_u32 s0, s0, 0xc4
	s_addc_u32 s1, s1, 0
	s_mul_i32 s2, s68, 12
	s_add_u32 s2, s34, s2
	s_addc_u32 s3, s35, 0
.LBB159_281:                            ; =>This Inner Loop Header: Depth=1
	s_load_dwordx2 s[18:19], s[2:3], 0x4
	s_load_dword s17, s[2:3], 0xc
	s_load_dwordx2 s[20:21], s[0:1], 0x0
	s_add_u32 s2, s2, 12
	s_addc_u32 s3, s3, 0
	s_waitcnt vmcnt(0) lgkmcnt(0)
	v_mul_hi_u32 v3, s19, v1
	s_add_u32 s0, s0, 8
	s_addc_u32 s1, s1, 0
	s_add_i32 s16, s16, -1
	v_add_u32_e32 v3, v1, v3
	v_lshrrev_b32_e32 v4, s17, v3
	v_mul_lo_u32 v3, v4, s18
	s_cmp_lg_u32 s16, 0
	v_sub_u32_e32 v3, v1, v3
	v_mad_u64_u32 v[0:1], s[18:19], v3, s20, v[0:1]
	v_mad_u64_u32 v[2:3], s[18:19], v3, s21, v[2:3]
	v_mov_b32_e32 v1, v4
	s_cbranch_scc1 .LBB159_281
.LBB159_282:
	s_cbranch_execnz .LBB159_285
.LBB159_283:
	v_mul_hi_u32 v0, s37, v8
	s_andn2_b64 vcc, exec, s[50:51]
	v_add_u32_e32 v0, v8, v0
	v_lshrrev_b32_e32 v1, s38, v0
	v_mul_lo_u32 v0, v1, s36
	v_sub_u32_e32 v2, v8, v0
	v_mul_lo_u32 v0, v2, s40
	v_mul_lo_u32 v2, v2, s41
	s_cbranch_vccnz .LBB159_285
; %bb.284:
	s_waitcnt vmcnt(0)
	v_mul_hi_u32 v3, s48, v1
	v_add_u32_e32 v3, v1, v3
	v_lshrrev_b32_e32 v3, s49, v3
	v_mul_lo_u32 v3, v3, s39
	v_sub_u32_e32 v3, v1, v3
	v_mad_u64_u32 v[0:1], s[0:1], v3, s42, v[0:1]
	v_mad_u64_u32 v[2:3], s[0:1], v3, s43, v[2:3]
.LBB159_285:
	s_waitcnt vmcnt(0)
	v_mov_b32_e32 v3, s11
	s_and_b32 s20, 0xffff, s15
	v_add_co_u32_e32 v1, vcc, s10, v2
	s_cmp_lt_i32 s20, 11
	v_addc_co_u32_e32 v2, vcc, 0, v3, vcc
	s_cbranch_scc1 .LBB159_292
; %bb.286:
	s_cmp_gt_i32 s20, 25
	s_cbranch_scc0 .LBB159_301
; %bb.287:
	s_cmp_gt_i32 s20, 28
	s_cbranch_scc0 .LBB159_303
	;; [unrolled: 3-line block ×4, first 2 shown]
; %bb.290:
	s_cmp_eq_u32 s20, 46
	s_mov_b64 s[16:17], 0
	s_cbranch_scc0 .LBB159_313
; %bb.291:
	global_load_dword v3, v[1:2], off
	s_mov_b64 s[0:1], -1
	s_mov_b64 s[2:3], 0
	s_waitcnt vmcnt(0)
	v_lshlrev_b32_e32 v3, 16, v3
	s_branch .LBB159_314
.LBB159_292:
	s_mov_b64 s[0:1], 0
                                        ; implicit-def: $vgpr3
	s_mov_b64 s[2:3], s[58:59]
	s_cbranch_execnz .LBB159_491
.LBB159_293:
	s_andn2_b64 vcc, exec, s[0:1]
	s_cbranch_vccnz .LBB159_539
.LBB159_294:
	v_mov_b32_e32 v1, s13
	v_mov_b32_e32 v2, s14
	s_waitcnt vmcnt(0)
	v_cmp_nge_f32_e32 vcc, s12, v3
	v_cndmask_b32_e32 v2, v1, v2, vcc
	v_mov_b32_e32 v1, s9
	s_and_b32 s22, s77, 0xff
	v_add_co_u32_e32 v0, vcc, s8, v0
	s_cmp_lt_i32 s22, 11
	v_addc_co_u32_e32 v1, vcc, 0, v1, vcc
	s_cbranch_scc1 .LBB159_302
; %bb.295:
	s_and_b32 s23, 0xffff, s22
	s_cmp_gt_i32 s23, 25
	s_cbranch_scc0 .LBB159_304
; %bb.296:
	s_cmp_gt_i32 s23, 28
	s_cbranch_scc0 .LBB159_306
; %bb.297:
	;; [unrolled: 3-line block ×4, first 2 shown]
	s_mov_b64 s[18:19], 0
	s_mov_b64 s[0:1], -1
	s_cmp_eq_u32 s23, 46
	s_mov_b64 s[16:17], 0
	s_cbranch_scc0 .LBB159_318
; %bb.300:
	v_bfe_u32 v3, v2, 16, 1
	s_movk_i32 s0, 0x7fff
	v_add3_u32 v3, v2, v3, s0
	v_cmp_o_f32_e32 vcc, v2, v2
	v_mov_b32_e32 v4, 0x7fc0
	v_cndmask_b32_sdwa v3, v4, v3, vcc dst_sel:DWORD dst_unused:UNUSED_PAD src0_sel:DWORD src1_sel:WORD_1
	global_store_dword v[0:1], v3, off
	s_mov_b64 s[16:17], -1
	s_mov_b64 s[0:1], 0
	s_branch .LBB159_318
.LBB159_301:
	s_mov_b64 s[16:17], -1
	s_mov_b64 s[0:1], 0
	s_mov_b64 s[2:3], s[58:59]
                                        ; implicit-def: $vgpr3
	s_branch .LBB159_455
.LBB159_302:
	s_mov_b64 s[18:19], -1
	s_mov_b64 s[16:17], 0
	s_mov_b64 s[0:1], s[56:57]
	s_branch .LBB159_387
.LBB159_303:
	s_mov_b64 s[16:17], -1
	s_mov_b64 s[0:1], 0
	s_mov_b64 s[2:3], s[58:59]
                                        ; implicit-def: $vgpr3
	s_branch .LBB159_436
.LBB159_304:
	s_mov_b64 s[18:19], -1
	s_mov_b64 s[16:17], 0
	s_mov_b64 s[0:1], s[56:57]
	s_branch .LBB159_345
.LBB159_305:
	s_mov_b64 s[16:17], -1
	s_mov_b64 s[0:1], 0
	s_mov_b64 s[2:3], s[58:59]
                                        ; implicit-def: $vgpr3
	s_branch .LBB159_431
.LBB159_306:
	s_mov_b64 s[18:19], -1
	s_mov_b64 s[16:17], 0
	s_mov_b64 s[0:1], s[56:57]
	s_branch .LBB159_328
.LBB159_307:
	s_andn2_saveexec_b64 s[20:21], s[20:21]
	s_cbranch_execz .LBB159_68
.LBB159_308:
	s_mov_b32 s24, 0x46000000
	v_add_f32_e64 v3, |v2|, s24
	v_and_b32_e32 v3, 0xff, v3
	v_cmp_ne_u32_e32 vcc, 0, v3
	s_andn2_b64 s[18:19], s[18:19], exec
	s_and_b64 s[24:25], vcc, exec
	s_or_b64 s[18:19], s[18:19], s[24:25]
	s_or_b64 exec, exec, s[20:21]
	v_mov_b32_e32 v4, 0
	s_and_saveexec_b64 s[20:21], s[18:19]
	s_cbranch_execnz .LBB159_69
	s_branch .LBB159_70
.LBB159_309:
	s_mov_b64 s[16:17], -1
	s_mov_b64 s[0:1], 0
	s_mov_b64 s[2:3], s[58:59]
                                        ; implicit-def: $vgpr3
	s_branch .LBB159_314
.LBB159_310:
	s_mov_b64 s[18:19], -1
	s_mov_b64 s[16:17], 0
	s_mov_b64 s[0:1], s[56:57]
	s_branch .LBB159_324
.LBB159_311:
	s_andn2_saveexec_b64 s[20:21], s[20:21]
	s_cbranch_execz .LBB159_81
.LBB159_312:
	s_mov_b32 s24, 0x42800000
	v_add_f32_e64 v3, |v2|, s24
	v_and_b32_e32 v3, 0xff, v3
	v_cmp_ne_u32_e32 vcc, 0, v3
	s_andn2_b64 s[18:19], s[18:19], exec
	s_and_b64 s[24:25], vcc, exec
	s_or_b64 s[18:19], s[18:19], s[24:25]
	s_or_b64 exec, exec, s[20:21]
	v_mov_b32_e32 v4, 0
	s_and_saveexec_b64 s[20:21], s[18:19]
	s_cbranch_execnz .LBB159_82
	s_branch .LBB159_83
.LBB159_313:
	s_mov_b64 s[2:3], -1
                                        ; implicit-def: $vgpr3
	s_mov_b64 s[0:1], 0
.LBB159_314:
	s_and_b64 vcc, exec, s[16:17]
	s_cbranch_vccz .LBB159_430
; %bb.315:
	s_cmp_eq_u32 s20, 44
	s_cbranch_scc0 .LBB159_429
; %bb.316:
	global_load_ubyte v3, v[1:2], off
	s_movk_i32 s2, 0xff
	v_mov_b32_e32 v4, 0x7f800001
	v_mov_b32_e32 v5, 0x400000
	s_mov_b64 s[0:1], -1
	s_waitcnt vmcnt(0)
	v_lshlrev_b32_e32 v6, 23, v3
	v_cmp_ne_u32_e32 vcc, s2, v3
	v_cndmask_b32_e32 v4, v4, v6, vcc
	v_cmp_ne_u32_e32 vcc, 0, v3
	v_cndmask_b32_e32 v3, v5, v4, vcc
	s_mov_b64 s[2:3], 0
	s_branch .LBB159_430
.LBB159_317:
	s_mov_b64 s[18:19], -1
	s_mov_b64 s[16:17], 0
	s_mov_b64 s[0:1], s[56:57]
.LBB159_318:
	s_and_b64 vcc, exec, s[18:19]
	s_cbranch_vccz .LBB159_323
; %bb.319:
	s_cmp_eq_u32 s23, 44
	s_mov_b64 s[0:1], -1
	s_cbranch_scc0 .LBB159_323
; %bb.320:
	v_bfe_u32 v3, v2, 23, 8
	s_movk_i32 s0, 0xff
	v_cmp_ne_u32_e32 vcc, s0, v3
	v_mov_b32_e32 v4, 0xff
	s_and_saveexec_b64 s[16:17], vcc
; %bb.321:
	s_mov_b32 s0, 0x3fffff
	v_and_b32_e32 v5, 0x400000, v2
	v_and_or_b32 v3, v2, s0, v3
	v_cmp_ne_u32_e32 vcc, 0, v5
	v_cmp_ne_u32_e64 s[0:1], 0, v3
	s_and_b64 s[0:1], vcc, s[0:1]
	v_lshrrev_b32_e32 v4, 23, v2
	v_cndmask_b32_e64 v3, 0, 1, s[0:1]
	v_add_u32_e32 v4, v4, v3
; %bb.322:
	s_or_b64 exec, exec, s[16:17]
	s_mov_b64 s[16:17], -1
	s_mov_b64 s[0:1], 0
	global_store_byte v[0:1], v4, off
.LBB159_323:
	s_mov_b64 s[18:19], 0
.LBB159_324:
	s_and_b64 vcc, exec, s[18:19]
	s_cbranch_vccz .LBB159_327
; %bb.325:
	s_cmp_eq_u32 s23, 29
	s_mov_b64 s[0:1], -1
	s_cbranch_scc0 .LBB159_327
; %bb.326:
	v_trunc_f32_e32 v3, v2
	v_mul_f32_e32 v4, 0x2f800000, v3
	v_floor_f32_e32 v5, v4
	v_fmac_f32_e32 v3, 0xcf800000, v5
	v_cvt_u32_f32_e32 v4, v5
	v_cvt_u32_f32_e32 v3, v3
	s_mov_b64 s[16:17], -1
	s_mov_b64 s[0:1], 0
	s_mov_b64 s[18:19], 0
	global_store_dwordx2 v[0:1], v[3:4], off
	s_branch .LBB159_328
.LBB159_327:
	s_mov_b64 s[18:19], 0
.LBB159_328:
	s_and_b64 vcc, exec, s[18:19]
	s_cbranch_vccz .LBB159_344
; %bb.329:
	s_cmp_lt_i32 s23, 27
	s_mov_b64 s[16:17], -1
	s_cbranch_scc1 .LBB159_335
; %bb.330:
	v_cvt_u32_f32_e32 v3, v2
	s_cmp_gt_i32 s23, 27
	s_cbranch_scc0 .LBB159_332
; %bb.331:
	s_mov_b64 s[16:17], 0
	global_store_dword v[0:1], v3, off
.LBB159_332:
	s_andn2_b64 vcc, exec, s[16:17]
	s_cbranch_vccnz .LBB159_334
; %bb.333:
	global_store_short v[0:1], v3, off
.LBB159_334:
	s_mov_b64 s[16:17], 0
.LBB159_335:
	s_andn2_b64 vcc, exec, s[16:17]
	s_cbranch_vccnz .LBB159_343
; %bb.336:
	v_and_b32_e32 v3, 0x7fffffff, v2
	s_mov_b32 s16, 0x43800000
	v_cmp_gt_u32_e32 vcc, s16, v3
	v_mov_b32_e32 v4, 0x80
	s_and_saveexec_b64 s[16:17], vcc
	s_cbranch_execz .LBB159_342
; %bb.337:
	s_mov_b32 s18, 0x3bffffff
	v_cmp_lt_u32_e32 vcc, s18, v3
	s_mov_b64 s[18:19], 0
                                        ; implicit-def: $vgpr3
	s_and_saveexec_b64 s[20:21], vcc
	s_xor_b64 s[20:21], exec, s[20:21]
	s_cbranch_execz .LBB159_570
; %bb.338:
	v_bfe_u32 v3, v2, 20, 1
	s_mov_b32 s24, 0x487ffff
	v_add3_u32 v3, v2, v3, s24
	s_mov_b64 s[18:19], exec
	v_lshrrev_b32_e32 v3, 20, v3
	s_andn2_saveexec_b64 s[20:21], s[20:21]
	s_cbranch_execnz .LBB159_571
.LBB159_339:
	s_or_b64 exec, exec, s[20:21]
	v_mov_b32_e32 v4, 0
	s_and_saveexec_b64 s[20:21], s[18:19]
.LBB159_340:
	v_lshrrev_b32_e32 v4, 24, v2
	s_movk_i32 s18, 0x80
	v_and_or_b32 v4, v4, s18, v3
.LBB159_341:
	s_or_b64 exec, exec, s[20:21]
.LBB159_342:
	s_or_b64 exec, exec, s[16:17]
	global_store_byte v[0:1], v4, off
.LBB159_343:
	s_mov_b64 s[16:17], -1
.LBB159_344:
	s_mov_b64 s[18:19], 0
.LBB159_345:
	s_and_b64 vcc, exec, s[18:19]
	s_cbranch_vccz .LBB159_386
; %bb.346:
	s_cmp_gt_i32 s23, 22
	s_mov_b64 s[18:19], -1
	s_cbranch_scc0 .LBB159_378
; %bb.347:
	s_cmp_lt_i32 s23, 24
	s_mov_b64 s[16:17], -1
	s_cbranch_scc1 .LBB159_367
; %bb.348:
	s_cmp_gt_i32 s23, 24
	s_cbranch_scc0 .LBB159_356
; %bb.349:
	v_and_b32_e32 v3, 0x7fffffff, v2
	s_mov_b32 s16, 0x47800000
	v_cmp_gt_u32_e32 vcc, s16, v3
	v_mov_b32_e32 v4, 0x80
	s_and_saveexec_b64 s[16:17], vcc
	s_cbranch_execz .LBB159_355
; %bb.350:
	s_mov_b32 s18, 0x37ffffff
	v_cmp_lt_u32_e32 vcc, s18, v3
	s_mov_b64 s[18:19], 0
                                        ; implicit-def: $vgpr3
	s_and_saveexec_b64 s[20:21], vcc
	s_xor_b64 s[20:21], exec, s[20:21]
	s_cbranch_execz .LBB159_573
; %bb.351:
	v_bfe_u32 v3, v2, 21, 1
	s_mov_b32 s24, 0x88fffff
	v_add3_u32 v3, v2, v3, s24
	s_mov_b64 s[18:19], exec
	v_lshrrev_b32_e32 v3, 21, v3
	s_andn2_saveexec_b64 s[20:21], s[20:21]
	s_cbranch_execnz .LBB159_574
.LBB159_352:
	s_or_b64 exec, exec, s[20:21]
	v_mov_b32_e32 v4, 0
	s_and_saveexec_b64 s[20:21], s[18:19]
.LBB159_353:
	v_lshrrev_b32_e32 v4, 24, v2
	s_movk_i32 s18, 0x80
	v_and_or_b32 v4, v4, s18, v3
.LBB159_354:
	s_or_b64 exec, exec, s[20:21]
.LBB159_355:
	s_or_b64 exec, exec, s[16:17]
	s_mov_b64 s[16:17], 0
	global_store_byte v[0:1], v4, off
.LBB159_356:
	s_and_b64 vcc, exec, s[16:17]
	s_cbranch_vccz .LBB159_366
; %bb.357:
	v_and_b32_e32 v4, 0x7fffffff, v2
	s_mov_b32 s16, 0x43f00000
	v_cmp_gt_u32_e32 vcc, s16, v4
                                        ; implicit-def: $vgpr3
	s_and_saveexec_b64 s[16:17], vcc
	s_xor_b64 s[16:17], exec, s[16:17]
	s_cbranch_execz .LBB159_363
; %bb.358:
	s_mov_b32 s18, 0x3c7fffff
	v_cmp_lt_u32_e32 vcc, s18, v4
                                        ; implicit-def: $vgpr3
	s_and_saveexec_b64 s[18:19], vcc
	s_xor_b64 s[18:19], exec, s[18:19]
; %bb.359:
	v_bfe_u32 v3, v2, 20, 1
	s_mov_b32 s20, 0x407ffff
	v_add3_u32 v3, v2, v3, s20
	v_lshrrev_b32_e32 v4, 20, v3
	v_and_b32_e32 v3, 0xff00000, v3
	s_mov_b32 s20, 0x7f00000
	v_mov_b32_e32 v5, 0x7e
	v_cmp_ne_u32_e32 vcc, s20, v3
	v_cndmask_b32_e32 v3, v5, v4, vcc
; %bb.360:
	s_andn2_saveexec_b64 s[18:19], s[18:19]
; %bb.361:
	s_mov_b32 s20, 0x46800000
	v_add_f32_e64 v3, |v2|, s20
; %bb.362:
	s_or_b64 exec, exec, s[18:19]
                                        ; implicit-def: $vgpr4
.LBB159_363:
	s_andn2_saveexec_b64 s[16:17], s[16:17]
; %bb.364:
	s_mov_b32 s18, 0x7f800000
	v_mov_b32_e32 v3, 0x7e
	v_mov_b32_e32 v5, 0x7f
	v_cmp_lt_u32_e32 vcc, s18, v4
	v_cndmask_b32_e32 v3, v3, v5, vcc
; %bb.365:
	s_or_b64 exec, exec, s[16:17]
	v_lshrrev_b32_e32 v4, 24, v2
	s_movk_i32 s16, 0x80
	v_and_or_b32 v3, v4, s16, v3
	global_store_byte v[0:1], v3, off
.LBB159_366:
	s_mov_b64 s[16:17], 0
.LBB159_367:
	s_andn2_b64 vcc, exec, s[16:17]
	s_cbranch_vccnz .LBB159_377
; %bb.368:
	v_and_b32_e32 v4, 0x7fffffff, v2
	s_mov_b32 s16, 0x47800000
	v_cmp_gt_u32_e32 vcc, s16, v4
                                        ; implicit-def: $vgpr3
	s_and_saveexec_b64 s[16:17], vcc
	s_xor_b64 s[16:17], exec, s[16:17]
	s_cbranch_execz .LBB159_374
; %bb.369:
	s_mov_b32 s18, 0x387fffff
	v_cmp_lt_u32_e32 vcc, s18, v4
                                        ; implicit-def: $vgpr3
	s_and_saveexec_b64 s[18:19], vcc
	s_xor_b64 s[18:19], exec, s[18:19]
; %bb.370:
	v_bfe_u32 v3, v2, 21, 1
	s_mov_b32 s20, 0x80fffff
	v_add3_u32 v3, v2, v3, s20
	v_lshrrev_b32_e32 v3, 21, v3
; %bb.371:
	s_andn2_saveexec_b64 s[18:19], s[18:19]
; %bb.372:
	s_mov_b32 s20, 0x43000000
	v_add_f32_e64 v3, |v2|, s20
; %bb.373:
	s_or_b64 exec, exec, s[18:19]
                                        ; implicit-def: $vgpr4
.LBB159_374:
	s_andn2_saveexec_b64 s[16:17], s[16:17]
; %bb.375:
	s_mov_b32 s18, 0x7f800000
	v_mov_b32_e32 v3, 0x7c
	v_mov_b32_e32 v5, 0x7f
	v_cmp_lt_u32_e32 vcc, s18, v4
	v_cndmask_b32_e32 v3, v3, v5, vcc
; %bb.376:
	s_or_b64 exec, exec, s[16:17]
	v_lshrrev_b32_e32 v4, 24, v2
	s_movk_i32 s16, 0x80
	v_and_or_b32 v3, v4, s16, v3
	global_store_byte v[0:1], v3, off
.LBB159_377:
	s_mov_b64 s[18:19], 0
	s_mov_b64 s[16:17], -1
.LBB159_378:
	s_andn2_b64 vcc, exec, s[18:19]
	s_cbranch_vccnz .LBB159_386
; %bb.379:
	s_cmp_gt_i32 s23, 14
	s_mov_b64 s[18:19], -1
	s_cbranch_scc0 .LBB159_383
; %bb.380:
	s_cmp_eq_u32 s23, 15
	s_mov_b64 s[0:1], -1
	s_cbranch_scc0 .LBB159_382
; %bb.381:
	v_bfe_u32 v3, v2, 16, 1
	s_movk_i32 s0, 0x7fff
	v_add3_u32 v3, v2, v3, s0
	v_cmp_o_f32_e32 vcc, v2, v2
	v_mov_b32_e32 v4, 0x7fc0
	v_cndmask_b32_sdwa v3, v4, v3, vcc dst_sel:DWORD dst_unused:UNUSED_PAD src0_sel:DWORD src1_sel:WORD_1
	global_store_short v[0:1], v3, off
	s_mov_b64 s[16:17], -1
	s_mov_b64 s[0:1], 0
.LBB159_382:
	s_mov_b64 s[18:19], 0
.LBB159_383:
	s_and_b64 vcc, exec, s[18:19]
	s_cbranch_vccz .LBB159_386
; %bb.384:
	s_cmp_eq_u32 s23, 11
	s_mov_b64 s[0:1], -1
	s_cbranch_scc0 .LBB159_386
; %bb.385:
	v_cmp_neq_f32_e32 vcc, 0, v2
	v_cndmask_b32_e64 v3, 0, 1, vcc
	s_mov_b64 s[16:17], -1
	s_mov_b64 s[0:1], 0
	global_store_byte v[0:1], v3, off
.LBB159_386:
	s_mov_b64 s[18:19], 0
.LBB159_387:
	s_and_b64 vcc, exec, s[18:19]
	s_cbranch_vccz .LBB159_426
; %bb.388:
	s_and_b32 s18, 0xffff, s22
	s_cmp_lt_i32 s18, 5
	s_mov_b64 s[16:17], -1
	s_cbranch_scc1 .LBB159_409
; %bb.389:
	s_cmp_lt_i32 s18, 8
	s_cbranch_scc1 .LBB159_399
; %bb.390:
	s_cmp_lt_i32 s18, 9
	s_cbranch_scc1 .LBB159_396
; %bb.391:
	s_cmp_gt_i32 s18, 9
	s_cbranch_scc0 .LBB159_393
; %bb.392:
	v_cvt_f64_f32_e32 v[3:4], v2
	v_mov_b32_e32 v5, 0
	v_mov_b32_e32 v6, v5
	s_mov_b64 s[16:17], 0
	global_store_dwordx4 v[0:1], v[3:6], off
.LBB159_393:
	s_andn2_b64 vcc, exec, s[16:17]
	s_cbranch_vccnz .LBB159_395
; %bb.394:
	v_mov_b32_e32 v3, 0
	global_store_dwordx2 v[0:1], v[2:3], off
.LBB159_395:
	s_mov_b64 s[16:17], 0
.LBB159_396:
	s_andn2_b64 vcc, exec, s[16:17]
	s_cbranch_vccnz .LBB159_398
; %bb.397:
	v_cvt_f16_f32_e32 v3, v2
	global_store_dword v[0:1], v3, off
.LBB159_398:
	s_mov_b64 s[16:17], 0
.LBB159_399:
	s_andn2_b64 vcc, exec, s[16:17]
	s_cbranch_vccnz .LBB159_408
; %bb.400:
	s_cmp_lt_i32 s18, 6
	s_mov_b64 s[16:17], -1
	s_cbranch_scc1 .LBB159_406
; %bb.401:
	s_cmp_gt_i32 s18, 6
	s_cbranch_scc0 .LBB159_403
; %bb.402:
	v_cvt_f64_f32_e32 v[3:4], v2
	s_mov_b64 s[16:17], 0
	global_store_dwordx2 v[0:1], v[3:4], off
.LBB159_403:
	s_andn2_b64 vcc, exec, s[16:17]
	s_cbranch_vccnz .LBB159_405
; %bb.404:
	global_store_dword v[0:1], v2, off
.LBB159_405:
	s_mov_b64 s[16:17], 0
.LBB159_406:
	s_andn2_b64 vcc, exec, s[16:17]
	s_cbranch_vccnz .LBB159_408
; %bb.407:
	v_cvt_f16_f32_e32 v3, v2
	global_store_short v[0:1], v3, off
.LBB159_408:
	s_mov_b64 s[16:17], 0
.LBB159_409:
	s_andn2_b64 vcc, exec, s[16:17]
	s_cbranch_vccnz .LBB159_425
; %bb.410:
	s_cmp_lt_i32 s18, 2
	s_mov_b64 s[16:17], -1
	s_cbranch_scc1 .LBB159_420
; %bb.411:
	s_cmp_lt_i32 s18, 3
	s_cbranch_scc1 .LBB159_417
; %bb.412:
	s_cmp_gt_i32 s18, 3
	s_cbranch_scc0 .LBB159_414
; %bb.413:
	v_trunc_f32_e32 v3, v2
	s_mov_b32 s16, 0x2f800000
	v_mul_f32_e64 v4, |v3|, s16
	v_floor_f32_e32 v4, v4
	s_mov_b32 s16, 0xcf800000
	v_cvt_u32_f32_e32 v5, v4
	v_fma_f32 v4, v4, s16, |v3|
	v_cvt_u32_f32_e32 v4, v4
	v_ashrrev_i32_e32 v6, 31, v3
	v_xor_b32_e32 v5, v5, v6
	s_mov_b64 s[16:17], 0
	v_xor_b32_e32 v3, v4, v6
	v_sub_co_u32_e32 v3, vcc, v3, v6
	v_subb_co_u32_e32 v4, vcc, v5, v6, vcc
	global_store_dwordx2 v[0:1], v[3:4], off
.LBB159_414:
	s_andn2_b64 vcc, exec, s[16:17]
	s_cbranch_vccnz .LBB159_416
; %bb.415:
	v_cvt_i32_f32_e32 v3, v2
	global_store_dword v[0:1], v3, off
.LBB159_416:
	s_mov_b64 s[16:17], 0
.LBB159_417:
	s_andn2_b64 vcc, exec, s[16:17]
	s_cbranch_vccnz .LBB159_419
; %bb.418:
	v_cvt_i32_f32_e32 v3, v2
	global_store_short v[0:1], v3, off
.LBB159_419:
	s_mov_b64 s[16:17], 0
.LBB159_420:
	s_andn2_b64 vcc, exec, s[16:17]
	s_cbranch_vccnz .LBB159_425
; %bb.421:
	s_cmp_gt_i32 s18, 0
	s_mov_b64 s[16:17], -1
	s_cbranch_scc0 .LBB159_423
; %bb.422:
	v_cvt_i32_f32_e32 v3, v2
	s_mov_b64 s[16:17], 0
	global_store_byte v[0:1], v3, off
.LBB159_423:
	s_andn2_b64 vcc, exec, s[16:17]
	s_cbranch_vccnz .LBB159_425
; %bb.424:
	v_trunc_f32_e32 v2, v2
	s_mov_b32 s16, 0x2f800000
	v_mul_f32_e64 v3, |v2|, s16
	v_floor_f32_e32 v3, v3
	s_mov_b32 s16, 0xcf800000
	v_fma_f32 v3, v3, s16, |v2|
	v_cvt_u32_f32_e32 v3, v3
	v_ashrrev_i32_e32 v2, 31, v2
	v_xor_b32_e32 v3, v3, v2
	v_sub_u32_e32 v2, v3, v2
	global_store_byte v[0:1], v2, off
.LBB159_425:
	s_mov_b64 s[16:17], -1
.LBB159_426:
	s_andn2_b64 vcc, exec, s[16:17]
	s_cbranch_vccnz .LBB159_428
; %bb.427:
	v_add_u32_e32 v8, 0x80, v8
	s_mov_b64 s[16:17], -1
	s_branch .LBB159_541
.LBB159_428:
	s_mov_b64 s[16:17], 0
	s_branch .LBB159_540
.LBB159_429:
	s_mov_b64 s[2:3], -1
                                        ; implicit-def: $vgpr3
.LBB159_430:
	s_mov_b64 s[16:17], 0
.LBB159_431:
	s_and_b64 vcc, exec, s[16:17]
	s_cbranch_vccz .LBB159_435
; %bb.432:
	s_cmp_eq_u32 s20, 29
	s_cbranch_scc0 .LBB159_434
; %bb.433:
	global_load_dwordx2 v[3:4], v[1:2], off
	s_mov_b64 s[0:1], -1
	s_mov_b64 s[2:3], 0
	s_mov_b64 s[16:17], 0
	s_waitcnt vmcnt(0)
	v_ffbh_u32_e32 v5, v4
	v_min_u32_e32 v5, 32, v5
	v_lshlrev_b64 v[3:4], v5, v[3:4]
	v_min_u32_e32 v3, 1, v3
	v_or_b32_e32 v3, v4, v3
	v_cvt_f32_u32_e32 v3, v3
	v_sub_u32_e32 v4, 32, v5
	v_ldexp_f32 v3, v3, v4
	s_branch .LBB159_436
.LBB159_434:
	s_mov_b64 s[2:3], -1
                                        ; implicit-def: $vgpr3
.LBB159_435:
	s_mov_b64 s[16:17], 0
.LBB159_436:
	s_and_b64 vcc, exec, s[16:17]
	s_cbranch_vccz .LBB159_454
; %bb.437:
	s_cmp_lt_i32 s20, 27
	s_cbranch_scc1 .LBB159_440
; %bb.438:
	s_cmp_gt_i32 s20, 27
	s_cbranch_scc0 .LBB159_441
; %bb.439:
	global_load_dword v3, v[1:2], off
	s_mov_b64 s[0:1], 0
	s_waitcnt vmcnt(0)
	v_cvt_f32_u32_e32 v3, v3
	s_branch .LBB159_442
.LBB159_440:
	s_mov_b64 s[0:1], -1
                                        ; implicit-def: $vgpr3
	s_branch .LBB159_445
.LBB159_441:
	s_mov_b64 s[0:1], -1
                                        ; implicit-def: $vgpr3
.LBB159_442:
	s_andn2_b64 vcc, exec, s[0:1]
	s_cbranch_vccnz .LBB159_444
; %bb.443:
	global_load_ushort v3, v[1:2], off
	s_waitcnt vmcnt(0)
	v_cvt_f32_u32_e32 v3, v3
.LBB159_444:
	s_mov_b64 s[0:1], 0
.LBB159_445:
	s_andn2_b64 vcc, exec, s[0:1]
	s_cbranch_vccnz .LBB159_453
; %bb.446:
	global_load_ubyte v4, v[1:2], off
	s_movk_i32 s0, 0x7f
	s_waitcnt vmcnt(0)
	v_cmp_lt_i16_e32 vcc, s0, v4
	s_mov_b64 s[0:1], 0
	s_and_saveexec_b64 s[16:17], vcc
	s_xor_b64 s[16:17], exec, s[16:17]
	s_cbranch_execz .LBB159_467
; %bb.447:
	s_movk_i32 s0, 0x80
	v_cmp_eq_u16_e32 vcc, s0, v4
	s_mov_b64 s[0:1], -1
	s_and_saveexec_b64 s[18:19], vcc
; %bb.448:
	s_xor_b64 s[0:1], exec, -1
; %bb.449:
	s_or_b64 exec, exec, s[18:19]
	s_and_b64 s[0:1], s[0:1], exec
	s_or_saveexec_b64 s[16:17], s[16:17]
	v_mov_b32_e32 v3, 0x7f800001
	s_xor_b64 exec, exec, s[16:17]
	s_cbranch_execnz .LBB159_468
.LBB159_450:
	s_or_b64 exec, exec, s[16:17]
	s_and_saveexec_b64 s[16:17], s[0:1]
	s_cbranch_execz .LBB159_452
.LBB159_451:
	v_lshlrev_b32_e32 v3, 24, v4
	v_and_b32_e32 v4, 0xffff, v4
	v_and_b32_e32 v5, 7, v4
	v_ffbh_u32_e32 v7, v5
	v_min_u32_e32 v7, 32, v7
	v_subrev_u32_e32 v9, 28, v7
	v_bfe_u32 v6, v4, 3, 4
	v_lshlrev_b32_e32 v4, v9, v4
	v_sub_u32_e32 v7, 29, v7
	v_and_b32_e32 v4, 7, v4
	v_cmp_eq_u32_e32 vcc, 0, v6
	v_cndmask_b32_e32 v6, v6, v7, vcc
	v_cndmask_b32_e32 v4, v5, v4, vcc
	v_mov_b32_e32 v5, 0x3b800000
	v_lshlrev_b32_e32 v4, 20, v4
	v_and_b32_e32 v3, 0x80000000, v3
	v_lshl_add_u32 v5, v6, 23, v5
	v_or3_b32 v3, v3, v5, v4
.LBB159_452:
	s_or_b64 exec, exec, s[16:17]
.LBB159_453:
	s_mov_b64 s[0:1], -1
.LBB159_454:
	s_mov_b64 s[16:17], 0
.LBB159_455:
	s_and_b64 vcc, exec, s[16:17]
	s_cbranch_vccz .LBB159_490
; %bb.456:
	s_cmp_gt_i32 s20, 22
	s_cbranch_scc0 .LBB159_466
; %bb.457:
	s_cmp_lt_i32 s20, 24
	s_cbranch_scc1 .LBB159_469
; %bb.458:
	s_cmp_gt_i32 s20, 24
	s_cbranch_scc0 .LBB159_470
; %bb.459:
	global_load_ubyte v4, v[1:2], off
	s_movk_i32 s0, 0x7f
	s_waitcnt vmcnt(0)
	v_cmp_lt_i16_e32 vcc, s0, v4
	s_mov_b64 s[0:1], 0
	s_and_saveexec_b64 s[16:17], vcc
	s_xor_b64 s[16:17], exec, s[16:17]
	s_cbranch_execz .LBB159_482
; %bb.460:
	s_movk_i32 s0, 0x80
	v_cmp_eq_u16_e32 vcc, s0, v4
	s_mov_b64 s[0:1], -1
	s_and_saveexec_b64 s[18:19], vcc
; %bb.461:
	s_xor_b64 s[0:1], exec, -1
; %bb.462:
	s_or_b64 exec, exec, s[18:19]
	s_and_b64 s[0:1], s[0:1], exec
	s_or_saveexec_b64 s[16:17], s[16:17]
	v_mov_b32_e32 v3, 0x7f800001
	s_xor_b64 exec, exec, s[16:17]
	s_cbranch_execnz .LBB159_483
.LBB159_463:
	s_or_b64 exec, exec, s[16:17]
	s_and_saveexec_b64 s[16:17], s[0:1]
	s_cbranch_execz .LBB159_465
.LBB159_464:
	v_lshlrev_b32_e32 v3, 24, v4
	v_and_b32_e32 v4, 0xffff, v4
	v_and_b32_e32 v5, 3, v4
	v_ffbh_u32_e32 v7, v5
	v_min_u32_e32 v7, 32, v7
	v_subrev_u32_e32 v9, 29, v7
	v_bfe_u32 v6, v4, 2, 5
	v_lshlrev_b32_e32 v4, v9, v4
	v_sub_u32_e32 v7, 30, v7
	v_and_b32_e32 v4, 3, v4
	v_cmp_eq_u32_e32 vcc, 0, v6
	v_cndmask_b32_e32 v6, v6, v7, vcc
	v_cndmask_b32_e32 v4, v5, v4, vcc
	v_mov_b32_e32 v5, 0x37800000
	v_lshlrev_b32_e32 v4, 21, v4
	v_and_b32_e32 v3, 0x80000000, v3
	v_lshl_add_u32 v5, v6, 23, v5
	v_or3_b32 v3, v3, v5, v4
.LBB159_465:
	s_or_b64 exec, exec, s[16:17]
	s_mov_b64 s[0:1], 0
	s_branch .LBB159_471
.LBB159_466:
	s_mov_b64 s[16:17], -1
                                        ; implicit-def: $vgpr3
	s_branch .LBB159_477
.LBB159_467:
	s_or_saveexec_b64 s[16:17], s[16:17]
	v_mov_b32_e32 v3, 0x7f800001
	s_xor_b64 exec, exec, s[16:17]
	s_cbranch_execz .LBB159_450
.LBB159_468:
	v_cmp_ne_u16_e32 vcc, 0, v4
	s_andn2_b64 s[0:1], s[0:1], exec
	s_and_b64 s[18:19], vcc, exec
	v_mov_b32_e32 v3, 0
	s_or_b64 s[0:1], s[0:1], s[18:19]
	s_or_b64 exec, exec, s[16:17]
	s_and_saveexec_b64 s[16:17], s[0:1]
	s_cbranch_execnz .LBB159_451
	s_branch .LBB159_452
.LBB159_469:
	s_mov_b64 s[0:1], -1
                                        ; implicit-def: $vgpr3
	s_branch .LBB159_474
.LBB159_470:
	s_mov_b64 s[0:1], -1
                                        ; implicit-def: $vgpr3
.LBB159_471:
	s_and_b64 vcc, exec, s[0:1]
	s_cbranch_vccz .LBB159_473
; %bb.472:
	global_load_ubyte v3, v[1:2], off
	s_mov_b32 s0, 0x7f800000
	s_waitcnt vmcnt(0)
	v_lshlrev_b32_e32 v3, 24, v3
	v_and_b32_e32 v4, 0x7f000000, v3
	v_ffbh_u32_e32 v5, v4
	v_min_u32_e32 v5, 32, v5
	v_sub_u32_e64 v5, v5, 4 clamp
	v_lshlrev_b32_e32 v7, v5, v4
	v_lshlrev_b32_e32 v5, 23, v5
	v_lshrrev_b32_e32 v7, 4, v7
	v_add_u32_e32 v6, 0x1000000, v4
	v_sub_u32_e32 v5, v7, v5
	v_ashrrev_i32_e32 v6, 8, v6
	v_add_u32_e32 v5, 0x3c000000, v5
	v_and_or_b32 v5, v6, s0, v5
	v_cmp_ne_u32_e32 vcc, 0, v4
	v_cndmask_b32_e32 v4, 0, v5, vcc
	s_brev_b32 s0, 1
	v_and_or_b32 v3, v3, s0, v4
.LBB159_473:
	s_mov_b64 s[0:1], 0
.LBB159_474:
	s_andn2_b64 vcc, exec, s[0:1]
	s_cbranch_vccnz .LBB159_476
; %bb.475:
	global_load_ubyte v3, v[1:2], off
	s_movk_i32 s0, 0x7f00
	s_brev_b32 s1, 16
	s_waitcnt vmcnt(0)
	v_lshlrev_b16_e32 v4, 8, v3
	v_lshlrev_b32_e32 v3, 25, v3
	v_lshrrev_b32_e32 v5, 4, v3
	v_and_or_b32 v6, v4, s0, 0.5
	v_or_b32_e32 v5, 0x70000000, v5
	v_add_f32_e32 v6, -0.5, v6
	v_mul_f32_e32 v5, 0x7800000, v5
	v_cmp_gt_u32_e32 vcc, s1, v3
	v_bfe_i32 v4, v4, 0, 16
	v_cndmask_b32_e32 v3, v5, v6, vcc
	s_brev_b32 s0, 1
	v_and_or_b32 v3, v4, s0, v3
.LBB159_476:
	s_mov_b64 s[16:17], 0
	s_mov_b64 s[0:1], -1
.LBB159_477:
	s_andn2_b64 vcc, exec, s[16:17]
	s_cbranch_vccnz .LBB159_490
; %bb.478:
	s_cmp_gt_i32 s20, 14
	s_cbranch_scc0 .LBB159_481
; %bb.479:
	s_cmp_eq_u32 s20, 15
	s_cbranch_scc0 .LBB159_484
; %bb.480:
	global_load_ushort v3, v[1:2], off
	s_mov_b64 s[0:1], -1
	s_mov_b64 s[2:3], 0
	s_waitcnt vmcnt(0)
	v_lshlrev_b32_e32 v3, 16, v3
	s_branch .LBB159_485
.LBB159_481:
	s_mov_b64 s[16:17], -1
                                        ; implicit-def: $vgpr3
	s_branch .LBB159_486
.LBB159_482:
	s_or_saveexec_b64 s[16:17], s[16:17]
	v_mov_b32_e32 v3, 0x7f800001
	s_xor_b64 exec, exec, s[16:17]
	s_cbranch_execz .LBB159_463
.LBB159_483:
	v_cmp_ne_u16_e32 vcc, 0, v4
	s_andn2_b64 s[0:1], s[0:1], exec
	s_and_b64 s[18:19], vcc, exec
	v_mov_b32_e32 v3, 0
	s_or_b64 s[0:1], s[0:1], s[18:19]
	s_or_b64 exec, exec, s[16:17]
	s_and_saveexec_b64 s[16:17], s[0:1]
	s_cbranch_execnz .LBB159_464
	s_branch .LBB159_465
.LBB159_484:
	s_mov_b64 s[2:3], -1
                                        ; implicit-def: $vgpr3
.LBB159_485:
	s_mov_b64 s[16:17], 0
.LBB159_486:
	s_and_b64 vcc, exec, s[16:17]
	s_cbranch_vccz .LBB159_490
; %bb.487:
	s_cmp_eq_u32 s20, 11
	s_cbranch_scc0 .LBB159_489
; %bb.488:
	global_load_ubyte v3, v[1:2], off
	s_mov_b64 s[0:1], -1
	s_mov_b64 s[2:3], 0
	s_waitcnt vmcnt(0)
	v_cmp_ne_u16_e32 vcc, 0, v3
	v_cndmask_b32_e64 v3, 0, 1.0, vcc
	s_branch .LBB159_490
.LBB159_489:
	s_mov_b64 s[2:3], -1
                                        ; implicit-def: $vgpr3
.LBB159_490:
	s_branch .LBB159_293
.LBB159_491:
	s_cmp_lt_i32 s20, 5
	s_cbranch_scc1 .LBB159_496
; %bb.492:
	s_cmp_lt_i32 s20, 8
	s_cbranch_scc1 .LBB159_497
; %bb.493:
	;; [unrolled: 3-line block ×3, first 2 shown]
	s_cmp_gt_i32 s20, 9
	s_cbranch_scc0 .LBB159_499
; %bb.495:
	global_load_dwordx2 v[3:4], v[1:2], off
	s_mov_b64 s[0:1], 0
	s_waitcnt vmcnt(0)
	v_cvt_f32_f64_e32 v3, v[3:4]
	s_branch .LBB159_500
.LBB159_496:
	s_mov_b64 s[0:1], -1
                                        ; implicit-def: $vgpr3
	s_branch .LBB159_518
.LBB159_497:
	s_mov_b64 s[0:1], -1
                                        ; implicit-def: $vgpr3
	s_branch .LBB159_506
.LBB159_498:
	s_mov_b64 s[0:1], -1
                                        ; implicit-def: $vgpr3
	s_branch .LBB159_503
.LBB159_499:
	s_mov_b64 s[0:1], -1
                                        ; implicit-def: $vgpr3
.LBB159_500:
	s_andn2_b64 vcc, exec, s[0:1]
	s_cbranch_vccnz .LBB159_502
; %bb.501:
	global_load_dword v3, v[1:2], off
.LBB159_502:
	s_mov_b64 s[0:1], 0
.LBB159_503:
	s_andn2_b64 vcc, exec, s[0:1]
	s_cbranch_vccnz .LBB159_505
; %bb.504:
	global_load_dword v3, v[1:2], off
	s_waitcnt vmcnt(0)
	v_cvt_f32_f16_e32 v3, v3
.LBB159_505:
	s_mov_b64 s[0:1], 0
.LBB159_506:
	s_andn2_b64 vcc, exec, s[0:1]
	s_cbranch_vccnz .LBB159_517
; %bb.507:
	s_cmp_lt_i32 s20, 6
	s_cbranch_scc1 .LBB159_510
; %bb.508:
	s_cmp_gt_i32 s20, 6
	s_cbranch_scc0 .LBB159_511
; %bb.509:
	global_load_dwordx2 v[3:4], v[1:2], off
	s_mov_b64 s[0:1], 0
	s_waitcnt vmcnt(0)
	v_cvt_f32_f64_e32 v3, v[3:4]
	s_branch .LBB159_512
.LBB159_510:
	s_mov_b64 s[0:1], -1
                                        ; implicit-def: $vgpr3
	s_branch .LBB159_515
.LBB159_511:
	s_mov_b64 s[0:1], -1
                                        ; implicit-def: $vgpr3
.LBB159_512:
	s_andn2_b64 vcc, exec, s[0:1]
	s_cbranch_vccnz .LBB159_514
; %bb.513:
	global_load_dword v3, v[1:2], off
.LBB159_514:
	s_mov_b64 s[0:1], 0
.LBB159_515:
	s_andn2_b64 vcc, exec, s[0:1]
	s_cbranch_vccnz .LBB159_517
; %bb.516:
	global_load_ushort v3, v[1:2], off
	s_waitcnt vmcnt(0)
	v_cvt_f32_f16_e32 v3, v3
.LBB159_517:
	s_mov_b64 s[0:1], 0
.LBB159_518:
	s_andn2_b64 vcc, exec, s[0:1]
	s_cbranch_vccnz .LBB159_538
; %bb.519:
	s_cmp_lt_i32 s20, 2
	s_cbranch_scc1 .LBB159_523
; %bb.520:
	s_cmp_lt_i32 s20, 3
	s_cbranch_scc1 .LBB159_524
; %bb.521:
	s_cmp_gt_i32 s20, 3
	s_cbranch_scc0 .LBB159_525
; %bb.522:
	global_load_dwordx2 v[3:4], v[1:2], off
	s_mov_b64 s[0:1], 0
	s_waitcnt vmcnt(0)
	v_xor_b32_e32 v6, v3, v4
	v_ffbh_i32_e32 v5, v4
	v_ashrrev_i32_e32 v6, 31, v6
	v_add_u32_e32 v5, -1, v5
	v_add_u32_e32 v6, 32, v6
	v_min_u32_e32 v5, v5, v6
	v_lshlrev_b64 v[3:4], v5, v[3:4]
	v_min_u32_e32 v3, 1, v3
	v_or_b32_e32 v3, v4, v3
	v_cvt_f32_i32_e32 v3, v3
	v_sub_u32_e32 v4, 32, v5
	v_ldexp_f32 v3, v3, v4
	s_branch .LBB159_526
.LBB159_523:
	s_mov_b64 s[0:1], -1
                                        ; implicit-def: $vgpr3
	s_branch .LBB159_532
.LBB159_524:
	s_mov_b64 s[0:1], -1
                                        ; implicit-def: $vgpr3
	s_branch .LBB159_529
.LBB159_525:
	s_mov_b64 s[0:1], -1
                                        ; implicit-def: $vgpr3
.LBB159_526:
	s_andn2_b64 vcc, exec, s[0:1]
	s_cbranch_vccnz .LBB159_528
; %bb.527:
	global_load_dword v3, v[1:2], off
	s_waitcnt vmcnt(0)
	v_cvt_f32_i32_e32 v3, v3
.LBB159_528:
	s_mov_b64 s[0:1], 0
.LBB159_529:
	s_andn2_b64 vcc, exec, s[0:1]
	s_cbranch_vccnz .LBB159_531
; %bb.530:
	global_load_sshort v3, v[1:2], off
	s_waitcnt vmcnt(0)
	v_cvt_f32_i32_e32 v3, v3
.LBB159_531:
	s_mov_b64 s[0:1], 0
.LBB159_532:
	s_andn2_b64 vcc, exec, s[0:1]
	s_cbranch_vccnz .LBB159_538
; %bb.533:
	s_cmp_gt_i32 s20, 0
	s_cbranch_scc0 .LBB159_535
; %bb.534:
	global_load_sbyte v3, v[1:2], off
	s_mov_b64 s[0:1], 0
	s_waitcnt vmcnt(0)
	v_cvt_f32_i32_e32 v3, v3
	s_branch .LBB159_536
.LBB159_535:
	s_mov_b64 s[0:1], -1
                                        ; implicit-def: $vgpr3
.LBB159_536:
	s_andn2_b64 vcc, exec, s[0:1]
	s_cbranch_vccnz .LBB159_538
; %bb.537:
	global_load_ubyte v1, v[1:2], off
	s_waitcnt vmcnt(0)
	v_cvt_f32_ubyte0_e32 v3, v1
.LBB159_538:
	s_branch .LBB159_294
.LBB159_539:
	s_mov_b64 s[16:17], 0
	s_mov_b64 s[0:1], s[56:57]
.LBB159_540:
                                        ; implicit-def: $vgpr8
.LBB159_541:
	s_andn2_b64 s[18:19], s[56:57], exec
	s_and_b64 s[0:1], s[0:1], exec
	s_or_b64 s[64:65], s[18:19], s[0:1]
	s_andn2_b64 s[0:1], s[58:59], exec
	s_and_b64 s[2:3], s[2:3], exec
	s_or_b64 s[62:63], s[0:1], s[2:3]
	s_orn2_b64 s[0:1], s[16:17], exec
.LBB159_542:
	s_or_b64 exec, exec, s[66:67]
	s_mov_b64 s[2:3], 0
	s_mov_b64 s[16:17], 0
	;; [unrolled: 1-line block ×3, first 2 shown]
                                        ; implicit-def: $vgpr1_vgpr2
                                        ; implicit-def: $vgpr0
                                        ; implicit-def: $vgpr4
	s_and_saveexec_b64 s[66:67], s[0:1]
	s_cbranch_execz .LBB159_917
; %bb.543:
	v_cmp_gt_i32_e32 vcc, s74, v8
	s_mov_b64 s[2:3], -1
	s_mov_b64 s[70:71], s[62:63]
	s_mov_b64 s[72:73], s[64:65]
	s_and_saveexec_b64 s[68:69], vcc
	s_cbranch_execz .LBB159_817
; %bb.544:
	s_andn2_b64 vcc, exec, s[44:45]
	s_cbranch_vccnz .LBB159_549
; %bb.545:
	s_andn2_b64 vcc, exec, s[54:55]
	s_cbranch_vccnz .LBB159_550
; %bb.546:
	s_add_i32 s79, s78, 1
	s_cmp_eq_u32 s76, 2
	s_cbranch_scc1 .LBB159_551
; %bb.547:
	s_and_b32 s75, s79, 28
	v_mov_b32_e32 v2, 0
	s_mov_b32 s80, 0
	s_mov_b64 s[70:71], s[34:35]
	s_mov_b64 s[72:73], s[52:53]
	v_mov_b32_e32 v0, 0
	v_mov_b32_e32 v1, v8
.LBB159_548:                            ; =>This Inner Loop Header: Depth=1
	s_load_dwordx8 s[24:31], s[70:71], 0x4
	s_load_dwordx4 s[0:3], s[70:71], 0x24
	s_load_dwordx8 s[16:23], s[72:73], 0x0
	s_add_u32 s70, s70, 48
	s_addc_u32 s71, s71, 0
	s_waitcnt vmcnt(0) lgkmcnt(0)
	v_mul_hi_u32 v3, s25, v1
	s_add_i32 s80, s80, 4
	s_add_u32 s72, s72, 32
	s_addc_u32 s73, s73, 0
	v_add_u32_e32 v3, v1, v3
	v_lshrrev_b32_e32 v3, s26, v3
	v_mul_lo_u32 v4, v3, s24
	v_mul_hi_u32 v5, s28, v3
	s_cmp_eq_u32 s75, s80
	v_sub_u32_e32 v1, v1, v4
	v_add_u32_e32 v4, v3, v5
	v_mul_lo_u32 v5, v1, s16
	v_mul_lo_u32 v6, v1, s17
	v_lshrrev_b32_e32 v1, s29, v4
	v_mul_lo_u32 v4, v1, s27
	v_mul_hi_u32 v7, s31, v1
	v_sub_u32_e32 v3, v3, v4
	v_add_u32_e32 v4, v1, v7
	v_lshrrev_b32_e32 v4, s0, v4
	v_mul_hi_u32 v9, s2, v4
	v_mul_lo_u32 v10, v4, s30
	v_mul_lo_u32 v7, v3, s18
	;; [unrolled: 1-line block ×3, first 2 shown]
	v_sub_u32_e32 v10, v1, v10
	v_add_u32_e32 v1, v4, v9
	v_lshrrev_b32_e32 v1, s3, v1
	v_mul_lo_u32 v9, v1, s1
	v_mul_lo_u32 v11, v10, s20
	;; [unrolled: 1-line block ×3, first 2 shown]
	v_add3_u32 v0, v5, v0, v7
	v_sub_u32_e32 v4, v4, v9
	v_mul_lo_u32 v9, v4, s22
	v_mul_lo_u32 v4, v4, s23
	v_add3_u32 v2, v6, v2, v3
	v_add3_u32 v0, v11, v0, v9
	;; [unrolled: 1-line block ×3, first 2 shown]
	s_cbranch_scc0 .LBB159_548
	s_branch .LBB159_552
.LBB159_549:
	s_mov_b64 s[0:1], -1
                                        ; implicit-def: $vgpr0
                                        ; implicit-def: $vgpr2
	s_branch .LBB159_556
.LBB159_550:
	v_mov_b32_e32 v0, 0
	v_mov_b32_e32 v2, 0
	s_branch .LBB159_555
.LBB159_551:
	s_mov_b32 s75, 0
	v_mov_b32_e32 v0, 0
	v_mov_b32_e32 v2, 0
	;; [unrolled: 1-line block ×3, first 2 shown]
.LBB159_552:
	s_and_b32 s16, s79, 3
	s_cmp_eq_u32 s16, 0
	s_cbranch_scc1 .LBB159_555
; %bb.553:
	s_lshl_b32 s0, s75, 3
	s_add_u32 s0, s34, s0
	s_addc_u32 s1, s35, 0
	s_add_u32 s0, s0, 0xc4
	s_addc_u32 s1, s1, 0
	s_mul_i32 s2, s75, 12
	s_add_u32 s2, s34, s2
	s_addc_u32 s3, s35, 0
.LBB159_554:                            ; =>This Inner Loop Header: Depth=1
	s_load_dwordx2 s[18:19], s[2:3], 0x4
	s_load_dword s17, s[2:3], 0xc
	s_load_dwordx2 s[20:21], s[0:1], 0x0
	s_add_u32 s2, s2, 12
	s_addc_u32 s3, s3, 0
	s_waitcnt vmcnt(0) lgkmcnt(0)
	v_mul_hi_u32 v3, s19, v1
	s_add_u32 s0, s0, 8
	s_addc_u32 s1, s1, 0
	s_add_i32 s16, s16, -1
	v_add_u32_e32 v3, v1, v3
	v_lshrrev_b32_e32 v4, s17, v3
	v_mul_lo_u32 v3, v4, s18
	s_cmp_lg_u32 s16, 0
	v_sub_u32_e32 v3, v1, v3
	v_mad_u64_u32 v[0:1], s[18:19], v3, s20, v[0:1]
	v_mad_u64_u32 v[2:3], s[18:19], v3, s21, v[2:3]
	v_mov_b32_e32 v1, v4
	s_cbranch_scc1 .LBB159_554
.LBB159_555:
	s_mov_b64 s[0:1], 0
.LBB159_556:
	s_andn2_b64 vcc, exec, s[0:1]
	s_cbranch_vccnz .LBB159_559
; %bb.557:
	v_mul_hi_u32 v0, s37, v8
	s_andn2_b64 vcc, exec, s[50:51]
	v_add_u32_e32 v0, v8, v0
	v_lshrrev_b32_e32 v1, s38, v0
	v_mul_lo_u32 v0, v1, s36
	v_sub_u32_e32 v2, v8, v0
	v_mul_lo_u32 v0, v2, s40
	v_mul_lo_u32 v2, v2, s41
	s_cbranch_vccnz .LBB159_559
; %bb.558:
	s_waitcnt vmcnt(0)
	v_mul_hi_u32 v3, s48, v1
	v_add_u32_e32 v3, v1, v3
	v_lshrrev_b32_e32 v3, s49, v3
	v_mul_lo_u32 v3, v3, s39
	v_sub_u32_e32 v3, v1, v3
	v_mad_u64_u32 v[0:1], s[0:1], v3, s42, v[0:1]
	v_mad_u64_u32 v[2:3], s[0:1], v3, s43, v[2:3]
.LBB159_559:
	s_waitcnt vmcnt(0)
	v_mov_b32_e32 v3, s11
	s_and_b32 s20, 0xffff, s15
	v_add_co_u32_e32 v1, vcc, s10, v2
	s_cmp_lt_i32 s20, 11
	v_addc_co_u32_e32 v2, vcc, 0, v3, vcc
	s_cbranch_scc1 .LBB159_566
; %bb.560:
	s_cmp_gt_i32 s20, 25
	s_cbranch_scc0 .LBB159_567
; %bb.561:
	s_cmp_gt_i32 s20, 28
	s_cbranch_scc0 .LBB159_568
; %bb.562:
	s_cmp_gt_i32 s20, 43
	s_cbranch_scc0 .LBB159_569
; %bb.563:
	s_cmp_gt_i32 s20, 45
	s_cbranch_scc0 .LBB159_572
; %bb.564:
	s_cmp_eq_u32 s20, 46
	s_mov_b64 s[16:17], 0
	s_cbranch_scc0 .LBB159_575
; %bb.565:
	global_load_dword v3, v[1:2], off
	s_mov_b64 s[0:1], -1
	s_mov_b64 s[2:3], 0
	s_waitcnt vmcnt(0)
	v_lshlrev_b32_e32 v3, 16, v3
	s_branch .LBB159_576
.LBB159_566:
	s_mov_b64 s[16:17], -1
	s_mov_b64 s[0:1], 0
                                        ; implicit-def: $vgpr3
	s_mov_b64 s[2:3], s[62:63]
	s_branch .LBB159_641
.LBB159_567:
	s_mov_b64 s[16:17], -1
	s_mov_b64 s[0:1], 0
	s_mov_b64 s[2:3], s[62:63]
                                        ; implicit-def: $vgpr3
	s_branch .LBB159_605
.LBB159_568:
	s_mov_b64 s[16:17], -1
	s_mov_b64 s[0:1], 0
	s_mov_b64 s[2:3], s[62:63]
                                        ; implicit-def: $vgpr3
	s_branch .LBB159_586
.LBB159_569:
	s_mov_b64 s[16:17], -1
	s_mov_b64 s[0:1], 0
	s_mov_b64 s[2:3], s[62:63]
                                        ; implicit-def: $vgpr3
	s_branch .LBB159_581
.LBB159_570:
	s_andn2_saveexec_b64 s[20:21], s[20:21]
	s_cbranch_execz .LBB159_339
.LBB159_571:
	s_mov_b32 s24, 0x46000000
	v_add_f32_e64 v3, |v2|, s24
	v_and_b32_e32 v3, 0xff, v3
	v_cmp_ne_u32_e32 vcc, 0, v3
	s_andn2_b64 s[18:19], s[18:19], exec
	s_and_b64 s[24:25], vcc, exec
	s_or_b64 s[18:19], s[18:19], s[24:25]
	s_or_b64 exec, exec, s[20:21]
	v_mov_b32_e32 v4, 0
	s_and_saveexec_b64 s[20:21], s[18:19]
	s_cbranch_execnz .LBB159_340
	s_branch .LBB159_341
.LBB159_572:
	s_mov_b64 s[16:17], -1
	s_mov_b64 s[0:1], 0
	s_mov_b64 s[2:3], s[62:63]
                                        ; implicit-def: $vgpr3
	s_branch .LBB159_576
.LBB159_573:
	s_andn2_saveexec_b64 s[20:21], s[20:21]
	s_cbranch_execz .LBB159_352
.LBB159_574:
	s_mov_b32 s24, 0x42800000
	v_add_f32_e64 v3, |v2|, s24
	v_and_b32_e32 v3, 0xff, v3
	v_cmp_ne_u32_e32 vcc, 0, v3
	s_andn2_b64 s[18:19], s[18:19], exec
	s_and_b64 s[24:25], vcc, exec
	s_or_b64 s[18:19], s[18:19], s[24:25]
	s_or_b64 exec, exec, s[20:21]
	v_mov_b32_e32 v4, 0
	s_and_saveexec_b64 s[20:21], s[18:19]
	s_cbranch_execnz .LBB159_353
	s_branch .LBB159_354
.LBB159_575:
	s_mov_b64 s[2:3], -1
                                        ; implicit-def: $vgpr3
	s_mov_b64 s[0:1], 0
.LBB159_576:
	s_and_b64 vcc, exec, s[16:17]
	s_cbranch_vccz .LBB159_580
; %bb.577:
	s_cmp_eq_u32 s20, 44
	s_cbranch_scc0 .LBB159_579
; %bb.578:
	global_load_ubyte v3, v[1:2], off
	s_movk_i32 s2, 0xff
	v_mov_b32_e32 v4, 0x7f800001
	v_mov_b32_e32 v5, 0x400000
	s_mov_b64 s[0:1], -1
	s_waitcnt vmcnt(0)
	v_lshlrev_b32_e32 v6, 23, v3
	v_cmp_ne_u32_e32 vcc, s2, v3
	v_cndmask_b32_e32 v4, v4, v6, vcc
	v_cmp_ne_u32_e32 vcc, 0, v3
	v_cndmask_b32_e32 v3, v5, v4, vcc
	s_mov_b64 s[2:3], 0
	s_branch .LBB159_580
.LBB159_579:
	s_mov_b64 s[2:3], -1
                                        ; implicit-def: $vgpr3
.LBB159_580:
	s_mov_b64 s[16:17], 0
.LBB159_581:
	s_and_b64 vcc, exec, s[16:17]
	s_cbranch_vccz .LBB159_585
; %bb.582:
	s_cmp_eq_u32 s20, 29
	s_cbranch_scc0 .LBB159_584
; %bb.583:
	global_load_dwordx2 v[3:4], v[1:2], off
	s_mov_b64 s[0:1], -1
	s_mov_b64 s[2:3], 0
	s_mov_b64 s[16:17], 0
	s_waitcnt vmcnt(0)
	v_ffbh_u32_e32 v5, v4
	v_min_u32_e32 v5, 32, v5
	v_lshlrev_b64 v[3:4], v5, v[3:4]
	v_min_u32_e32 v3, 1, v3
	v_or_b32_e32 v3, v4, v3
	v_cvt_f32_u32_e32 v3, v3
	v_sub_u32_e32 v4, 32, v5
	v_ldexp_f32 v3, v3, v4
	s_branch .LBB159_586
.LBB159_584:
	s_mov_b64 s[2:3], -1
                                        ; implicit-def: $vgpr3
.LBB159_585:
	s_mov_b64 s[16:17], 0
.LBB159_586:
	s_and_b64 vcc, exec, s[16:17]
	s_cbranch_vccz .LBB159_604
; %bb.587:
	s_cmp_lt_i32 s20, 27
	s_cbranch_scc1 .LBB159_590
; %bb.588:
	s_cmp_gt_i32 s20, 27
	s_cbranch_scc0 .LBB159_591
; %bb.589:
	global_load_dword v3, v[1:2], off
	s_mov_b64 s[0:1], 0
	s_waitcnt vmcnt(0)
	v_cvt_f32_u32_e32 v3, v3
	s_branch .LBB159_592
.LBB159_590:
	s_mov_b64 s[0:1], -1
                                        ; implicit-def: $vgpr3
	s_branch .LBB159_595
.LBB159_591:
	s_mov_b64 s[0:1], -1
                                        ; implicit-def: $vgpr3
.LBB159_592:
	s_andn2_b64 vcc, exec, s[0:1]
	s_cbranch_vccnz .LBB159_594
; %bb.593:
	global_load_ushort v3, v[1:2], off
	s_waitcnt vmcnt(0)
	v_cvt_f32_u32_e32 v3, v3
.LBB159_594:
	s_mov_b64 s[0:1], 0
.LBB159_595:
	s_andn2_b64 vcc, exec, s[0:1]
	s_cbranch_vccnz .LBB159_603
; %bb.596:
	global_load_ubyte v4, v[1:2], off
	s_movk_i32 s0, 0x7f
	s_waitcnt vmcnt(0)
	v_cmp_lt_i16_e32 vcc, s0, v4
	s_mov_b64 s[0:1], 0
	s_and_saveexec_b64 s[16:17], vcc
	s_xor_b64 s[16:17], exec, s[16:17]
	s_cbranch_execz .LBB159_617
; %bb.597:
	s_movk_i32 s0, 0x80
	v_cmp_eq_u16_e32 vcc, s0, v4
	s_mov_b64 s[0:1], -1
	s_and_saveexec_b64 s[18:19], vcc
; %bb.598:
	s_xor_b64 s[0:1], exec, -1
; %bb.599:
	s_or_b64 exec, exec, s[18:19]
	s_and_b64 s[0:1], s[0:1], exec
	s_or_saveexec_b64 s[16:17], s[16:17]
	v_mov_b32_e32 v3, 0x7f800001
	s_xor_b64 exec, exec, s[16:17]
	s_cbranch_execnz .LBB159_618
.LBB159_600:
	s_or_b64 exec, exec, s[16:17]
	s_and_saveexec_b64 s[16:17], s[0:1]
	s_cbranch_execz .LBB159_602
.LBB159_601:
	v_lshlrev_b32_e32 v3, 24, v4
	v_and_b32_e32 v4, 0xffff, v4
	v_and_b32_e32 v5, 7, v4
	v_ffbh_u32_e32 v7, v5
	v_min_u32_e32 v7, 32, v7
	v_subrev_u32_e32 v9, 28, v7
	v_bfe_u32 v6, v4, 3, 4
	v_lshlrev_b32_e32 v4, v9, v4
	v_sub_u32_e32 v7, 29, v7
	v_and_b32_e32 v4, 7, v4
	v_cmp_eq_u32_e32 vcc, 0, v6
	v_cndmask_b32_e32 v6, v6, v7, vcc
	v_cndmask_b32_e32 v4, v5, v4, vcc
	v_mov_b32_e32 v5, 0x3b800000
	v_lshlrev_b32_e32 v4, 20, v4
	v_and_b32_e32 v3, 0x80000000, v3
	v_lshl_add_u32 v5, v6, 23, v5
	v_or3_b32 v3, v3, v5, v4
.LBB159_602:
	s_or_b64 exec, exec, s[16:17]
.LBB159_603:
	s_mov_b64 s[0:1], -1
.LBB159_604:
	s_mov_b64 s[16:17], 0
.LBB159_605:
	s_and_b64 vcc, exec, s[16:17]
	s_cbranch_vccz .LBB159_640
; %bb.606:
	s_cmp_gt_i32 s20, 22
	s_cbranch_scc0 .LBB159_616
; %bb.607:
	s_cmp_lt_i32 s20, 24
	s_cbranch_scc1 .LBB159_619
; %bb.608:
	s_cmp_gt_i32 s20, 24
	s_cbranch_scc0 .LBB159_620
; %bb.609:
	global_load_ubyte v4, v[1:2], off
	s_movk_i32 s0, 0x7f
	s_waitcnt vmcnt(0)
	v_cmp_lt_i16_e32 vcc, s0, v4
	s_mov_b64 s[0:1], 0
	s_and_saveexec_b64 s[16:17], vcc
	s_xor_b64 s[16:17], exec, s[16:17]
	s_cbranch_execz .LBB159_632
; %bb.610:
	s_movk_i32 s0, 0x80
	v_cmp_eq_u16_e32 vcc, s0, v4
	s_mov_b64 s[0:1], -1
	s_and_saveexec_b64 s[18:19], vcc
; %bb.611:
	s_xor_b64 s[0:1], exec, -1
; %bb.612:
	s_or_b64 exec, exec, s[18:19]
	s_and_b64 s[0:1], s[0:1], exec
	s_or_saveexec_b64 s[16:17], s[16:17]
	v_mov_b32_e32 v3, 0x7f800001
	s_xor_b64 exec, exec, s[16:17]
	s_cbranch_execnz .LBB159_633
.LBB159_613:
	s_or_b64 exec, exec, s[16:17]
	s_and_saveexec_b64 s[16:17], s[0:1]
	s_cbranch_execz .LBB159_615
.LBB159_614:
	v_lshlrev_b32_e32 v3, 24, v4
	v_and_b32_e32 v4, 0xffff, v4
	v_and_b32_e32 v5, 3, v4
	v_ffbh_u32_e32 v7, v5
	v_min_u32_e32 v7, 32, v7
	v_subrev_u32_e32 v9, 29, v7
	v_bfe_u32 v6, v4, 2, 5
	v_lshlrev_b32_e32 v4, v9, v4
	v_sub_u32_e32 v7, 30, v7
	v_and_b32_e32 v4, 3, v4
	v_cmp_eq_u32_e32 vcc, 0, v6
	v_cndmask_b32_e32 v6, v6, v7, vcc
	v_cndmask_b32_e32 v4, v5, v4, vcc
	v_mov_b32_e32 v5, 0x37800000
	v_lshlrev_b32_e32 v4, 21, v4
	v_and_b32_e32 v3, 0x80000000, v3
	v_lshl_add_u32 v5, v6, 23, v5
	v_or3_b32 v3, v3, v5, v4
.LBB159_615:
	s_or_b64 exec, exec, s[16:17]
	s_mov_b64 s[0:1], 0
	s_branch .LBB159_621
.LBB159_616:
	s_mov_b64 s[16:17], -1
                                        ; implicit-def: $vgpr3
	s_branch .LBB159_627
.LBB159_617:
	s_or_saveexec_b64 s[16:17], s[16:17]
	v_mov_b32_e32 v3, 0x7f800001
	s_xor_b64 exec, exec, s[16:17]
	s_cbranch_execz .LBB159_600
.LBB159_618:
	v_cmp_ne_u16_e32 vcc, 0, v4
	s_andn2_b64 s[0:1], s[0:1], exec
	s_and_b64 s[18:19], vcc, exec
	v_mov_b32_e32 v3, 0
	s_or_b64 s[0:1], s[0:1], s[18:19]
	s_or_b64 exec, exec, s[16:17]
	s_and_saveexec_b64 s[16:17], s[0:1]
	s_cbranch_execnz .LBB159_601
	s_branch .LBB159_602
.LBB159_619:
	s_mov_b64 s[0:1], -1
                                        ; implicit-def: $vgpr3
	s_branch .LBB159_624
.LBB159_620:
	s_mov_b64 s[0:1], -1
                                        ; implicit-def: $vgpr3
.LBB159_621:
	s_and_b64 vcc, exec, s[0:1]
	s_cbranch_vccz .LBB159_623
; %bb.622:
	global_load_ubyte v3, v[1:2], off
	s_mov_b32 s0, 0x7f800000
	s_waitcnt vmcnt(0)
	v_lshlrev_b32_e32 v3, 24, v3
	v_and_b32_e32 v4, 0x7f000000, v3
	v_ffbh_u32_e32 v5, v4
	v_min_u32_e32 v5, 32, v5
	v_sub_u32_e64 v5, v5, 4 clamp
	v_lshlrev_b32_e32 v7, v5, v4
	v_lshlrev_b32_e32 v5, 23, v5
	v_lshrrev_b32_e32 v7, 4, v7
	v_add_u32_e32 v6, 0x1000000, v4
	v_sub_u32_e32 v5, v7, v5
	v_ashrrev_i32_e32 v6, 8, v6
	v_add_u32_e32 v5, 0x3c000000, v5
	v_and_or_b32 v5, v6, s0, v5
	v_cmp_ne_u32_e32 vcc, 0, v4
	v_cndmask_b32_e32 v4, 0, v5, vcc
	s_brev_b32 s0, 1
	v_and_or_b32 v3, v3, s0, v4
.LBB159_623:
	s_mov_b64 s[0:1], 0
.LBB159_624:
	s_andn2_b64 vcc, exec, s[0:1]
	s_cbranch_vccnz .LBB159_626
; %bb.625:
	global_load_ubyte v3, v[1:2], off
	s_movk_i32 s0, 0x7f00
	s_brev_b32 s1, 16
	s_waitcnt vmcnt(0)
	v_lshlrev_b16_e32 v4, 8, v3
	v_lshlrev_b32_e32 v3, 25, v3
	v_lshrrev_b32_e32 v5, 4, v3
	v_and_or_b32 v6, v4, s0, 0.5
	v_or_b32_e32 v5, 0x70000000, v5
	v_add_f32_e32 v6, -0.5, v6
	v_mul_f32_e32 v5, 0x7800000, v5
	v_cmp_gt_u32_e32 vcc, s1, v3
	v_bfe_i32 v4, v4, 0, 16
	v_cndmask_b32_e32 v3, v5, v6, vcc
	s_brev_b32 s0, 1
	v_and_or_b32 v3, v4, s0, v3
.LBB159_626:
	s_mov_b64 s[16:17], 0
	s_mov_b64 s[0:1], -1
.LBB159_627:
	s_andn2_b64 vcc, exec, s[16:17]
	s_cbranch_vccnz .LBB159_640
; %bb.628:
	s_cmp_gt_i32 s20, 14
	s_cbranch_scc0 .LBB159_631
; %bb.629:
	s_cmp_eq_u32 s20, 15
	s_cbranch_scc0 .LBB159_634
; %bb.630:
	global_load_ushort v3, v[1:2], off
	s_mov_b64 s[0:1], -1
	s_mov_b64 s[2:3], 0
	s_waitcnt vmcnt(0)
	v_lshlrev_b32_e32 v3, 16, v3
	s_branch .LBB159_635
.LBB159_631:
	s_mov_b64 s[16:17], -1
                                        ; implicit-def: $vgpr3
	s_branch .LBB159_636
.LBB159_632:
	s_or_saveexec_b64 s[16:17], s[16:17]
	v_mov_b32_e32 v3, 0x7f800001
	s_xor_b64 exec, exec, s[16:17]
	s_cbranch_execz .LBB159_613
.LBB159_633:
	v_cmp_ne_u16_e32 vcc, 0, v4
	s_andn2_b64 s[0:1], s[0:1], exec
	s_and_b64 s[18:19], vcc, exec
	v_mov_b32_e32 v3, 0
	s_or_b64 s[0:1], s[0:1], s[18:19]
	s_or_b64 exec, exec, s[16:17]
	s_and_saveexec_b64 s[16:17], s[0:1]
	s_cbranch_execnz .LBB159_614
	s_branch .LBB159_615
.LBB159_634:
	s_mov_b64 s[2:3], -1
                                        ; implicit-def: $vgpr3
.LBB159_635:
	s_mov_b64 s[16:17], 0
.LBB159_636:
	s_and_b64 vcc, exec, s[16:17]
	s_cbranch_vccz .LBB159_640
; %bb.637:
	s_cmp_eq_u32 s20, 11
	s_cbranch_scc0 .LBB159_639
; %bb.638:
	global_load_ubyte v3, v[1:2], off
	s_mov_b64 s[0:1], -1
	s_mov_b64 s[2:3], 0
	s_waitcnt vmcnt(0)
	v_cmp_ne_u16_e32 vcc, 0, v3
	v_cndmask_b32_e64 v3, 0, 1.0, vcc
	s_branch .LBB159_640
.LBB159_639:
	s_mov_b64 s[2:3], -1
                                        ; implicit-def: $vgpr3
.LBB159_640:
	s_mov_b64 s[16:17], 0
.LBB159_641:
	s_and_b64 vcc, exec, s[16:17]
	s_cbranch_vccz .LBB159_690
; %bb.642:
	s_cmp_lt_i32 s20, 5
	s_cbranch_scc1 .LBB159_647
; %bb.643:
	s_cmp_lt_i32 s20, 8
	s_cbranch_scc1 .LBB159_648
	;; [unrolled: 3-line block ×3, first 2 shown]
; %bb.645:
	s_cmp_gt_i32 s20, 9
	s_cbranch_scc0 .LBB159_650
; %bb.646:
	global_load_dwordx2 v[3:4], v[1:2], off
	s_mov_b64 s[0:1], 0
	s_waitcnt vmcnt(0)
	v_cvt_f32_f64_e32 v3, v[3:4]
	s_branch .LBB159_651
.LBB159_647:
	s_mov_b64 s[0:1], -1
                                        ; implicit-def: $vgpr3
	s_branch .LBB159_669
.LBB159_648:
	s_mov_b64 s[0:1], -1
                                        ; implicit-def: $vgpr3
	s_branch .LBB159_657
.LBB159_649:
	s_mov_b64 s[0:1], -1
                                        ; implicit-def: $vgpr3
	s_branch .LBB159_654
.LBB159_650:
	s_mov_b64 s[0:1], -1
                                        ; implicit-def: $vgpr3
.LBB159_651:
	s_andn2_b64 vcc, exec, s[0:1]
	s_cbranch_vccnz .LBB159_653
; %bb.652:
	global_load_dword v3, v[1:2], off
.LBB159_653:
	s_mov_b64 s[0:1], 0
.LBB159_654:
	s_andn2_b64 vcc, exec, s[0:1]
	s_cbranch_vccnz .LBB159_656
; %bb.655:
	global_load_dword v3, v[1:2], off
	s_waitcnt vmcnt(0)
	v_cvt_f32_f16_e32 v3, v3
.LBB159_656:
	s_mov_b64 s[0:1], 0
.LBB159_657:
	s_andn2_b64 vcc, exec, s[0:1]
	s_cbranch_vccnz .LBB159_668
; %bb.658:
	s_cmp_lt_i32 s20, 6
	s_cbranch_scc1 .LBB159_661
; %bb.659:
	s_cmp_gt_i32 s20, 6
	s_cbranch_scc0 .LBB159_662
; %bb.660:
	global_load_dwordx2 v[3:4], v[1:2], off
	s_mov_b64 s[0:1], 0
	s_waitcnt vmcnt(0)
	v_cvt_f32_f64_e32 v3, v[3:4]
	s_branch .LBB159_663
.LBB159_661:
	s_mov_b64 s[0:1], -1
                                        ; implicit-def: $vgpr3
	s_branch .LBB159_666
.LBB159_662:
	s_mov_b64 s[0:1], -1
                                        ; implicit-def: $vgpr3
.LBB159_663:
	s_andn2_b64 vcc, exec, s[0:1]
	s_cbranch_vccnz .LBB159_665
; %bb.664:
	global_load_dword v3, v[1:2], off
.LBB159_665:
	s_mov_b64 s[0:1], 0
.LBB159_666:
	s_andn2_b64 vcc, exec, s[0:1]
	s_cbranch_vccnz .LBB159_668
; %bb.667:
	global_load_ushort v3, v[1:2], off
	s_waitcnt vmcnt(0)
	v_cvt_f32_f16_e32 v3, v3
.LBB159_668:
	s_mov_b64 s[0:1], 0
.LBB159_669:
	s_andn2_b64 vcc, exec, s[0:1]
	s_cbranch_vccnz .LBB159_689
; %bb.670:
	s_cmp_lt_i32 s20, 2
	s_cbranch_scc1 .LBB159_674
; %bb.671:
	s_cmp_lt_i32 s20, 3
	s_cbranch_scc1 .LBB159_675
; %bb.672:
	s_cmp_gt_i32 s20, 3
	s_cbranch_scc0 .LBB159_676
; %bb.673:
	global_load_dwordx2 v[3:4], v[1:2], off
	s_mov_b64 s[0:1], 0
	s_waitcnt vmcnt(0)
	v_xor_b32_e32 v6, v3, v4
	v_ffbh_i32_e32 v5, v4
	v_ashrrev_i32_e32 v6, 31, v6
	v_add_u32_e32 v5, -1, v5
	v_add_u32_e32 v6, 32, v6
	v_min_u32_e32 v5, v5, v6
	v_lshlrev_b64 v[3:4], v5, v[3:4]
	v_min_u32_e32 v3, 1, v3
	v_or_b32_e32 v3, v4, v3
	v_cvt_f32_i32_e32 v3, v3
	v_sub_u32_e32 v4, 32, v5
	v_ldexp_f32 v3, v3, v4
	s_branch .LBB159_677
.LBB159_674:
	s_mov_b64 s[0:1], -1
                                        ; implicit-def: $vgpr3
	s_branch .LBB159_683
.LBB159_675:
	s_mov_b64 s[0:1], -1
                                        ; implicit-def: $vgpr3
	s_branch .LBB159_680
.LBB159_676:
	s_mov_b64 s[0:1], -1
                                        ; implicit-def: $vgpr3
.LBB159_677:
	s_andn2_b64 vcc, exec, s[0:1]
	s_cbranch_vccnz .LBB159_679
; %bb.678:
	global_load_dword v3, v[1:2], off
	s_waitcnt vmcnt(0)
	v_cvt_f32_i32_e32 v3, v3
.LBB159_679:
	s_mov_b64 s[0:1], 0
.LBB159_680:
	s_andn2_b64 vcc, exec, s[0:1]
	s_cbranch_vccnz .LBB159_682
; %bb.681:
	global_load_sshort v3, v[1:2], off
	s_waitcnt vmcnt(0)
	v_cvt_f32_i32_e32 v3, v3
.LBB159_682:
	s_mov_b64 s[0:1], 0
.LBB159_683:
	s_andn2_b64 vcc, exec, s[0:1]
	s_cbranch_vccnz .LBB159_689
; %bb.684:
	s_cmp_gt_i32 s20, 0
	s_cbranch_scc0 .LBB159_686
; %bb.685:
	global_load_sbyte v3, v[1:2], off
	s_mov_b64 s[0:1], 0
	s_waitcnt vmcnt(0)
	v_cvt_f32_i32_e32 v3, v3
	s_branch .LBB159_687
.LBB159_686:
	s_mov_b64 s[0:1], -1
                                        ; implicit-def: $vgpr3
.LBB159_687:
	s_andn2_b64 vcc, exec, s[0:1]
	s_cbranch_vccnz .LBB159_689
; %bb.688:
	global_load_ubyte v1, v[1:2], off
	s_waitcnt vmcnt(0)
	v_cvt_f32_ubyte0_e32 v3, v1
.LBB159_689:
	s_mov_b64 s[0:1], -1
.LBB159_690:
	s_andn2_b64 vcc, exec, s[0:1]
	s_cbranch_vccnz .LBB159_698
; %bb.691:
	v_mov_b32_e32 v1, s13
	v_mov_b32_e32 v2, s14
	s_waitcnt vmcnt(0)
	v_cmp_nge_f32_e32 vcc, s12, v3
	v_cndmask_b32_e32 v2, v1, v2, vcc
	v_mov_b32_e32 v1, s9
	s_and_b32 s22, s77, 0xff
	v_add_co_u32_e32 v0, vcc, s8, v0
	s_cmp_lt_i32 s22, 11
	v_addc_co_u32_e32 v1, vcc, 0, v1, vcc
	s_cbranch_scc1 .LBB159_699
; %bb.692:
	s_and_b32 s23, 0xffff, s22
	s_cmp_gt_i32 s23, 25
	s_cbranch_scc0 .LBB159_700
; %bb.693:
	s_cmp_gt_i32 s23, 28
	s_cbranch_scc0 .LBB159_701
; %bb.694:
	s_cmp_gt_i32 s23, 43
	s_cbranch_scc0 .LBB159_702
; %bb.695:
	s_cmp_gt_i32 s23, 45
	s_cbranch_scc0 .LBB159_703
; %bb.696:
	s_mov_b64 s[18:19], 0
	s_mov_b64 s[0:1], -1
	s_cmp_eq_u32 s23, 46
	s_mov_b64 s[16:17], 0
	s_cbranch_scc0 .LBB159_704
; %bb.697:
	v_bfe_u32 v3, v2, 16, 1
	s_movk_i32 s0, 0x7fff
	v_add3_u32 v3, v2, v3, s0
	v_cmp_o_f32_e32 vcc, v2, v2
	v_mov_b32_e32 v4, 0x7fc0
	v_cndmask_b32_sdwa v3, v4, v3, vcc dst_sel:DWORD dst_unused:UNUSED_PAD src0_sel:DWORD src1_sel:WORD_1
	global_store_dword v[0:1], v3, off
	s_mov_b64 s[16:17], -1
	s_mov_b64 s[0:1], 0
	s_branch .LBB159_704
.LBB159_698:
	s_mov_b64 s[16:17], 0
	s_mov_b64 s[0:1], s[64:65]
	s_branch .LBB159_815
.LBB159_699:
	s_mov_b64 s[18:19], -1
	s_mov_b64 s[16:17], 0
	s_mov_b64 s[0:1], s[64:65]
	s_branch .LBB159_773
.LBB159_700:
	s_mov_b64 s[18:19], -1
	s_mov_b64 s[16:17], 0
	s_mov_b64 s[0:1], s[64:65]
	s_branch .LBB159_731
.LBB159_701:
	s_mov_b64 s[18:19], -1
	s_mov_b64 s[16:17], 0
	s_mov_b64 s[0:1], s[64:65]
	s_branch .LBB159_714
.LBB159_702:
	s_mov_b64 s[18:19], -1
	s_mov_b64 s[16:17], 0
	s_mov_b64 s[0:1], s[64:65]
	s_branch .LBB159_710
.LBB159_703:
	s_mov_b64 s[18:19], -1
	s_mov_b64 s[16:17], 0
	s_mov_b64 s[0:1], s[64:65]
.LBB159_704:
	s_and_b64 vcc, exec, s[18:19]
	s_cbranch_vccz .LBB159_709
; %bb.705:
	s_cmp_eq_u32 s23, 44
	s_mov_b64 s[0:1], -1
	s_cbranch_scc0 .LBB159_709
; %bb.706:
	v_bfe_u32 v3, v2, 23, 8
	s_movk_i32 s0, 0xff
	v_cmp_ne_u32_e32 vcc, s0, v3
	v_mov_b32_e32 v4, 0xff
	s_and_saveexec_b64 s[16:17], vcc
; %bb.707:
	s_mov_b32 s0, 0x3fffff
	v_and_b32_e32 v5, 0x400000, v2
	v_and_or_b32 v3, v2, s0, v3
	v_cmp_ne_u32_e32 vcc, 0, v5
	v_cmp_ne_u32_e64 s[0:1], 0, v3
	s_and_b64 s[0:1], vcc, s[0:1]
	v_lshrrev_b32_e32 v4, 23, v2
	v_cndmask_b32_e64 v3, 0, 1, s[0:1]
	v_add_u32_e32 v4, v4, v3
; %bb.708:
	s_or_b64 exec, exec, s[16:17]
	s_mov_b64 s[16:17], -1
	s_mov_b64 s[0:1], 0
	global_store_byte v[0:1], v4, off
.LBB159_709:
	s_mov_b64 s[18:19], 0
.LBB159_710:
	s_and_b64 vcc, exec, s[18:19]
	s_cbranch_vccz .LBB159_713
; %bb.711:
	s_cmp_eq_u32 s23, 29
	s_mov_b64 s[0:1], -1
	s_cbranch_scc0 .LBB159_713
; %bb.712:
	v_trunc_f32_e32 v3, v2
	v_mul_f32_e32 v4, 0x2f800000, v3
	v_floor_f32_e32 v5, v4
	v_fmac_f32_e32 v3, 0xcf800000, v5
	v_cvt_u32_f32_e32 v4, v5
	v_cvt_u32_f32_e32 v3, v3
	s_mov_b64 s[16:17], -1
	s_mov_b64 s[0:1], 0
	s_mov_b64 s[18:19], 0
	global_store_dwordx2 v[0:1], v[3:4], off
	s_branch .LBB159_714
.LBB159_713:
	s_mov_b64 s[18:19], 0
.LBB159_714:
	s_and_b64 vcc, exec, s[18:19]
	s_cbranch_vccz .LBB159_730
; %bb.715:
	s_cmp_lt_i32 s23, 27
	s_mov_b64 s[16:17], -1
	s_cbranch_scc1 .LBB159_721
; %bb.716:
	v_cvt_u32_f32_e32 v3, v2
	s_cmp_gt_i32 s23, 27
	s_cbranch_scc0 .LBB159_718
; %bb.717:
	s_mov_b64 s[16:17], 0
	global_store_dword v[0:1], v3, off
.LBB159_718:
	s_andn2_b64 vcc, exec, s[16:17]
	s_cbranch_vccnz .LBB159_720
; %bb.719:
	global_store_short v[0:1], v3, off
.LBB159_720:
	s_mov_b64 s[16:17], 0
.LBB159_721:
	s_andn2_b64 vcc, exec, s[16:17]
	s_cbranch_vccnz .LBB159_729
; %bb.722:
	v_and_b32_e32 v3, 0x7fffffff, v2
	s_mov_b32 s16, 0x43800000
	v_cmp_gt_u32_e32 vcc, s16, v3
	v_mov_b32_e32 v4, 0x80
	s_and_saveexec_b64 s[16:17], vcc
	s_cbranch_execz .LBB159_728
; %bb.723:
	s_mov_b32 s18, 0x3bffffff
	v_cmp_lt_u32_e32 vcc, s18, v3
	s_mov_b64 s[18:19], 0
                                        ; implicit-def: $vgpr3
	s_and_saveexec_b64 s[20:21], vcc
	s_xor_b64 s[20:21], exec, s[20:21]
	s_cbranch_execz .LBB159_845
; %bb.724:
	v_bfe_u32 v3, v2, 20, 1
	s_mov_b32 s24, 0x487ffff
	v_add3_u32 v3, v2, v3, s24
	s_mov_b64 s[18:19], exec
	v_lshrrev_b32_e32 v3, 20, v3
	s_andn2_saveexec_b64 s[20:21], s[20:21]
	s_cbranch_execnz .LBB159_846
.LBB159_725:
	s_or_b64 exec, exec, s[20:21]
	v_mov_b32_e32 v4, 0
	s_and_saveexec_b64 s[20:21], s[18:19]
.LBB159_726:
	v_lshrrev_b32_e32 v4, 24, v2
	s_movk_i32 s18, 0x80
	v_and_or_b32 v4, v4, s18, v3
.LBB159_727:
	s_or_b64 exec, exec, s[20:21]
.LBB159_728:
	s_or_b64 exec, exec, s[16:17]
	global_store_byte v[0:1], v4, off
.LBB159_729:
	s_mov_b64 s[16:17], -1
.LBB159_730:
	s_mov_b64 s[18:19], 0
.LBB159_731:
	s_and_b64 vcc, exec, s[18:19]
	s_cbranch_vccz .LBB159_772
; %bb.732:
	s_cmp_gt_i32 s23, 22
	s_mov_b64 s[18:19], -1
	s_cbranch_scc0 .LBB159_764
; %bb.733:
	s_cmp_lt_i32 s23, 24
	s_mov_b64 s[16:17], -1
	s_cbranch_scc1 .LBB159_753
; %bb.734:
	s_cmp_gt_i32 s23, 24
	s_cbranch_scc0 .LBB159_742
; %bb.735:
	v_and_b32_e32 v3, 0x7fffffff, v2
	s_mov_b32 s16, 0x47800000
	v_cmp_gt_u32_e32 vcc, s16, v3
	v_mov_b32_e32 v4, 0x80
	s_and_saveexec_b64 s[16:17], vcc
	s_cbranch_execz .LBB159_741
; %bb.736:
	s_mov_b32 s18, 0x37ffffff
	v_cmp_lt_u32_e32 vcc, s18, v3
	s_mov_b64 s[18:19], 0
                                        ; implicit-def: $vgpr3
	s_and_saveexec_b64 s[20:21], vcc
	s_xor_b64 s[20:21], exec, s[20:21]
	s_cbranch_execz .LBB159_848
; %bb.737:
	v_bfe_u32 v3, v2, 21, 1
	s_mov_b32 s24, 0x88fffff
	v_add3_u32 v3, v2, v3, s24
	s_mov_b64 s[18:19], exec
	v_lshrrev_b32_e32 v3, 21, v3
	s_andn2_saveexec_b64 s[20:21], s[20:21]
	s_cbranch_execnz .LBB159_849
.LBB159_738:
	s_or_b64 exec, exec, s[20:21]
	v_mov_b32_e32 v4, 0
	s_and_saveexec_b64 s[20:21], s[18:19]
.LBB159_739:
	v_lshrrev_b32_e32 v4, 24, v2
	s_movk_i32 s18, 0x80
	v_and_or_b32 v4, v4, s18, v3
.LBB159_740:
	s_or_b64 exec, exec, s[20:21]
.LBB159_741:
	s_or_b64 exec, exec, s[16:17]
	s_mov_b64 s[16:17], 0
	global_store_byte v[0:1], v4, off
.LBB159_742:
	s_and_b64 vcc, exec, s[16:17]
	s_cbranch_vccz .LBB159_752
; %bb.743:
	v_and_b32_e32 v4, 0x7fffffff, v2
	s_mov_b32 s16, 0x43f00000
	v_cmp_gt_u32_e32 vcc, s16, v4
                                        ; implicit-def: $vgpr3
	s_and_saveexec_b64 s[16:17], vcc
	s_xor_b64 s[16:17], exec, s[16:17]
	s_cbranch_execz .LBB159_749
; %bb.744:
	s_mov_b32 s18, 0x3c7fffff
	v_cmp_lt_u32_e32 vcc, s18, v4
                                        ; implicit-def: $vgpr3
	s_and_saveexec_b64 s[18:19], vcc
	s_xor_b64 s[18:19], exec, s[18:19]
; %bb.745:
	v_bfe_u32 v3, v2, 20, 1
	s_mov_b32 s20, 0x407ffff
	v_add3_u32 v3, v2, v3, s20
	v_lshrrev_b32_e32 v4, 20, v3
	v_and_b32_e32 v3, 0xff00000, v3
	s_mov_b32 s20, 0x7f00000
	v_mov_b32_e32 v5, 0x7e
	v_cmp_ne_u32_e32 vcc, s20, v3
	v_cndmask_b32_e32 v3, v5, v4, vcc
; %bb.746:
	s_andn2_saveexec_b64 s[18:19], s[18:19]
; %bb.747:
	s_mov_b32 s20, 0x46800000
	v_add_f32_e64 v3, |v2|, s20
; %bb.748:
	s_or_b64 exec, exec, s[18:19]
                                        ; implicit-def: $vgpr4
.LBB159_749:
	s_andn2_saveexec_b64 s[16:17], s[16:17]
; %bb.750:
	s_mov_b32 s18, 0x7f800000
	v_mov_b32_e32 v3, 0x7e
	v_mov_b32_e32 v5, 0x7f
	v_cmp_lt_u32_e32 vcc, s18, v4
	v_cndmask_b32_e32 v3, v3, v5, vcc
; %bb.751:
	s_or_b64 exec, exec, s[16:17]
	v_lshrrev_b32_e32 v4, 24, v2
	s_movk_i32 s16, 0x80
	v_and_or_b32 v3, v4, s16, v3
	global_store_byte v[0:1], v3, off
.LBB159_752:
	s_mov_b64 s[16:17], 0
.LBB159_753:
	s_andn2_b64 vcc, exec, s[16:17]
	s_cbranch_vccnz .LBB159_763
; %bb.754:
	v_and_b32_e32 v4, 0x7fffffff, v2
	s_mov_b32 s16, 0x47800000
	v_cmp_gt_u32_e32 vcc, s16, v4
                                        ; implicit-def: $vgpr3
	s_and_saveexec_b64 s[16:17], vcc
	s_xor_b64 s[16:17], exec, s[16:17]
	s_cbranch_execz .LBB159_760
; %bb.755:
	s_mov_b32 s18, 0x387fffff
	v_cmp_lt_u32_e32 vcc, s18, v4
                                        ; implicit-def: $vgpr3
	s_and_saveexec_b64 s[18:19], vcc
	s_xor_b64 s[18:19], exec, s[18:19]
; %bb.756:
	v_bfe_u32 v3, v2, 21, 1
	s_mov_b32 s20, 0x80fffff
	v_add3_u32 v3, v2, v3, s20
	v_lshrrev_b32_e32 v3, 21, v3
; %bb.757:
	s_andn2_saveexec_b64 s[18:19], s[18:19]
; %bb.758:
	s_mov_b32 s20, 0x43000000
	v_add_f32_e64 v3, |v2|, s20
; %bb.759:
	s_or_b64 exec, exec, s[18:19]
                                        ; implicit-def: $vgpr4
.LBB159_760:
	s_andn2_saveexec_b64 s[16:17], s[16:17]
; %bb.761:
	s_mov_b32 s18, 0x7f800000
	v_mov_b32_e32 v3, 0x7c
	v_mov_b32_e32 v5, 0x7f
	v_cmp_lt_u32_e32 vcc, s18, v4
	v_cndmask_b32_e32 v3, v3, v5, vcc
; %bb.762:
	s_or_b64 exec, exec, s[16:17]
	v_lshrrev_b32_e32 v4, 24, v2
	s_movk_i32 s16, 0x80
	v_and_or_b32 v3, v4, s16, v3
	global_store_byte v[0:1], v3, off
.LBB159_763:
	s_mov_b64 s[18:19], 0
	s_mov_b64 s[16:17], -1
.LBB159_764:
	s_andn2_b64 vcc, exec, s[18:19]
	s_cbranch_vccnz .LBB159_772
; %bb.765:
	s_cmp_gt_i32 s23, 14
	s_mov_b64 s[18:19], -1
	s_cbranch_scc0 .LBB159_769
; %bb.766:
	s_cmp_eq_u32 s23, 15
	s_mov_b64 s[0:1], -1
	s_cbranch_scc0 .LBB159_768
; %bb.767:
	v_bfe_u32 v3, v2, 16, 1
	s_movk_i32 s0, 0x7fff
	v_add3_u32 v3, v2, v3, s0
	v_cmp_o_f32_e32 vcc, v2, v2
	v_mov_b32_e32 v4, 0x7fc0
	v_cndmask_b32_sdwa v3, v4, v3, vcc dst_sel:DWORD dst_unused:UNUSED_PAD src0_sel:DWORD src1_sel:WORD_1
	global_store_short v[0:1], v3, off
	s_mov_b64 s[16:17], -1
	s_mov_b64 s[0:1], 0
.LBB159_768:
	s_mov_b64 s[18:19], 0
.LBB159_769:
	s_and_b64 vcc, exec, s[18:19]
	s_cbranch_vccz .LBB159_772
; %bb.770:
	s_cmp_eq_u32 s23, 11
	s_mov_b64 s[0:1], -1
	s_cbranch_scc0 .LBB159_772
; %bb.771:
	v_cmp_neq_f32_e32 vcc, 0, v2
	v_cndmask_b32_e64 v3, 0, 1, vcc
	s_mov_b64 s[16:17], -1
	s_mov_b64 s[0:1], 0
	global_store_byte v[0:1], v3, off
.LBB159_772:
	s_mov_b64 s[18:19], 0
.LBB159_773:
	s_and_b64 vcc, exec, s[18:19]
	s_cbranch_vccz .LBB159_812
; %bb.774:
	s_and_b32 s18, 0xffff, s22
	s_cmp_lt_i32 s18, 5
	s_mov_b64 s[16:17], -1
	s_cbranch_scc1 .LBB159_795
; %bb.775:
	s_cmp_lt_i32 s18, 8
	s_cbranch_scc1 .LBB159_785
; %bb.776:
	s_cmp_lt_i32 s18, 9
	s_cbranch_scc1 .LBB159_782
; %bb.777:
	s_cmp_gt_i32 s18, 9
	s_cbranch_scc0 .LBB159_779
; %bb.778:
	v_cvt_f64_f32_e32 v[3:4], v2
	v_mov_b32_e32 v5, 0
	v_mov_b32_e32 v6, v5
	s_mov_b64 s[16:17], 0
	global_store_dwordx4 v[0:1], v[3:6], off
.LBB159_779:
	s_andn2_b64 vcc, exec, s[16:17]
	s_cbranch_vccnz .LBB159_781
; %bb.780:
	v_mov_b32_e32 v3, 0
	global_store_dwordx2 v[0:1], v[2:3], off
.LBB159_781:
	s_mov_b64 s[16:17], 0
.LBB159_782:
	s_andn2_b64 vcc, exec, s[16:17]
	s_cbranch_vccnz .LBB159_784
; %bb.783:
	v_cvt_f16_f32_e32 v3, v2
	global_store_dword v[0:1], v3, off
.LBB159_784:
	s_mov_b64 s[16:17], 0
.LBB159_785:
	s_andn2_b64 vcc, exec, s[16:17]
	s_cbranch_vccnz .LBB159_794
; %bb.786:
	s_cmp_lt_i32 s18, 6
	s_mov_b64 s[16:17], -1
	s_cbranch_scc1 .LBB159_792
; %bb.787:
	s_cmp_gt_i32 s18, 6
	s_cbranch_scc0 .LBB159_789
; %bb.788:
	v_cvt_f64_f32_e32 v[3:4], v2
	s_mov_b64 s[16:17], 0
	global_store_dwordx2 v[0:1], v[3:4], off
.LBB159_789:
	s_andn2_b64 vcc, exec, s[16:17]
	s_cbranch_vccnz .LBB159_791
; %bb.790:
	global_store_dword v[0:1], v2, off
.LBB159_791:
	s_mov_b64 s[16:17], 0
.LBB159_792:
	s_andn2_b64 vcc, exec, s[16:17]
	s_cbranch_vccnz .LBB159_794
; %bb.793:
	v_cvt_f16_f32_e32 v3, v2
	global_store_short v[0:1], v3, off
.LBB159_794:
	s_mov_b64 s[16:17], 0
.LBB159_795:
	s_andn2_b64 vcc, exec, s[16:17]
	s_cbranch_vccnz .LBB159_811
; %bb.796:
	s_cmp_lt_i32 s18, 2
	s_mov_b64 s[16:17], -1
	s_cbranch_scc1 .LBB159_806
; %bb.797:
	s_cmp_lt_i32 s18, 3
	s_cbranch_scc1 .LBB159_803
; %bb.798:
	s_cmp_gt_i32 s18, 3
	s_cbranch_scc0 .LBB159_800
; %bb.799:
	v_trunc_f32_e32 v3, v2
	s_mov_b32 s16, 0x2f800000
	v_mul_f32_e64 v4, |v3|, s16
	v_floor_f32_e32 v4, v4
	s_mov_b32 s16, 0xcf800000
	v_cvt_u32_f32_e32 v5, v4
	v_fma_f32 v4, v4, s16, |v3|
	v_cvt_u32_f32_e32 v4, v4
	v_ashrrev_i32_e32 v6, 31, v3
	v_xor_b32_e32 v5, v5, v6
	s_mov_b64 s[16:17], 0
	v_xor_b32_e32 v3, v4, v6
	v_sub_co_u32_e32 v3, vcc, v3, v6
	v_subb_co_u32_e32 v4, vcc, v5, v6, vcc
	global_store_dwordx2 v[0:1], v[3:4], off
.LBB159_800:
	s_andn2_b64 vcc, exec, s[16:17]
	s_cbranch_vccnz .LBB159_802
; %bb.801:
	v_cvt_i32_f32_e32 v3, v2
	global_store_dword v[0:1], v3, off
.LBB159_802:
	s_mov_b64 s[16:17], 0
.LBB159_803:
	s_andn2_b64 vcc, exec, s[16:17]
	s_cbranch_vccnz .LBB159_805
; %bb.804:
	v_cvt_i32_f32_e32 v3, v2
	global_store_short v[0:1], v3, off
.LBB159_805:
	s_mov_b64 s[16:17], 0
.LBB159_806:
	s_andn2_b64 vcc, exec, s[16:17]
	s_cbranch_vccnz .LBB159_811
; %bb.807:
	s_cmp_gt_i32 s18, 0
	s_mov_b64 s[16:17], -1
	s_cbranch_scc0 .LBB159_809
; %bb.808:
	v_cvt_i32_f32_e32 v3, v2
	s_mov_b64 s[16:17], 0
	global_store_byte v[0:1], v3, off
.LBB159_809:
	s_andn2_b64 vcc, exec, s[16:17]
	s_cbranch_vccnz .LBB159_811
; %bb.810:
	v_trunc_f32_e32 v2, v2
	s_mov_b32 s16, 0x2f800000
	v_mul_f32_e64 v3, |v2|, s16
	v_floor_f32_e32 v3, v3
	s_mov_b32 s16, 0xcf800000
	v_fma_f32 v3, v3, s16, |v2|
	v_cvt_u32_f32_e32 v3, v3
	v_ashrrev_i32_e32 v2, 31, v2
	v_xor_b32_e32 v3, v3, v2
	v_sub_u32_e32 v2, v3, v2
	global_store_byte v[0:1], v2, off
.LBB159_811:
	s_mov_b64 s[16:17], -1
.LBB159_812:
	s_andn2_b64 vcc, exec, s[16:17]
	s_cbranch_vccnz .LBB159_814
; %bb.813:
	v_add_u32_e32 v8, 0x80, v8
	s_mov_b64 s[16:17], -1
	s_branch .LBB159_816
.LBB159_814:
	s_mov_b64 s[16:17], 0
.LBB159_815:
                                        ; implicit-def: $vgpr8
.LBB159_816:
	s_andn2_b64 s[18:19], s[64:65], exec
	s_and_b64 s[0:1], s[0:1], exec
	s_or_b64 s[72:73], s[18:19], s[0:1]
	s_andn2_b64 s[0:1], s[62:63], exec
	s_and_b64 s[2:3], s[2:3], exec
	s_or_b64 s[70:71], s[0:1], s[2:3]
	s_orn2_b64 s[2:3], s[16:17], exec
.LBB159_817:
	s_or_b64 exec, exec, s[68:69]
	s_mov_b64 s[0:1], 0
	s_mov_b64 s[16:17], 0
	;; [unrolled: 1-line block ×3, first 2 shown]
                                        ; implicit-def: $vgpr1_vgpr2
                                        ; implicit-def: $vgpr0
                                        ; implicit-def: $vgpr4
	s_and_saveexec_b64 s[68:69], s[2:3]
	s_cbranch_execz .LBB159_916
; %bb.818:
	v_cmp_gt_i32_e32 vcc, s74, v8
	s_mov_b64 s[2:3], 0
	s_mov_b64 s[20:21], s[70:71]
                                        ; implicit-def: $vgpr1_vgpr2
                                        ; implicit-def: $vgpr0
                                        ; implicit-def: $vgpr4
	s_and_saveexec_b64 s[74:75], vcc
	s_cbranch_execz .LBB159_915
; %bb.819:
	s_andn2_b64 vcc, exec, s[44:45]
	s_cbranch_vccnz .LBB159_824
; %bb.820:
	s_andn2_b64 vcc, exec, s[54:55]
	s_cbranch_vccnz .LBB159_825
; %bb.821:
	s_add_i32 s79, s78, 1
	s_cmp_eq_u32 s76, 2
	s_cbranch_scc1 .LBB159_826
; %bb.822:
	s_and_b32 s78, s79, 28
	v_mov_b32_e32 v2, 0
	s_mov_b32 s80, 0
	s_mov_b64 s[54:55], s[34:35]
	v_mov_b32_e32 v0, 0
	v_mov_b32_e32 v1, v8
.LBB159_823:                            ; =>This Inner Loop Header: Depth=1
	s_load_dwordx8 s[24:31], s[54:55], 0x4
	s_load_dwordx4 s[0:3], s[54:55], 0x24
	s_load_dwordx8 s[16:23], s[52:53], 0x0
	s_add_u32 s54, s54, 48
	s_addc_u32 s55, s55, 0
	s_waitcnt vmcnt(0) lgkmcnt(0)
	v_mul_hi_u32 v3, s25, v1
	s_add_i32 s80, s80, 4
	s_add_u32 s52, s52, 32
	s_addc_u32 s53, s53, 0
	v_add_u32_e32 v3, v1, v3
	v_lshrrev_b32_e32 v3, s26, v3
	v_mul_lo_u32 v4, v3, s24
	v_mul_hi_u32 v5, s28, v3
	s_cmp_eq_u32 s78, s80
	v_sub_u32_e32 v1, v1, v4
	v_add_u32_e32 v4, v3, v5
	v_mul_lo_u32 v5, v1, s16
	v_mul_lo_u32 v6, v1, s17
	v_lshrrev_b32_e32 v1, s29, v4
	v_mul_lo_u32 v4, v1, s27
	v_mul_hi_u32 v7, s31, v1
	v_sub_u32_e32 v3, v3, v4
	v_add_u32_e32 v4, v1, v7
	v_lshrrev_b32_e32 v4, s0, v4
	v_mul_hi_u32 v9, s2, v4
	v_mul_lo_u32 v10, v4, s30
	v_mul_lo_u32 v7, v3, s18
	;; [unrolled: 1-line block ×3, first 2 shown]
	v_sub_u32_e32 v10, v1, v10
	v_add_u32_e32 v1, v4, v9
	v_lshrrev_b32_e32 v1, s3, v1
	v_mul_lo_u32 v9, v1, s1
	v_mul_lo_u32 v11, v10, s20
	;; [unrolled: 1-line block ×3, first 2 shown]
	v_add3_u32 v0, v5, v0, v7
	v_sub_u32_e32 v4, v4, v9
	v_mul_lo_u32 v9, v4, s22
	v_mul_lo_u32 v4, v4, s23
	v_add3_u32 v2, v6, v2, v3
	v_add3_u32 v0, v11, v0, v9
	;; [unrolled: 1-line block ×3, first 2 shown]
	s_cbranch_scc0 .LBB159_823
	s_branch .LBB159_827
.LBB159_824:
	s_mov_b64 s[0:1], -1
                                        ; implicit-def: $vgpr0
                                        ; implicit-def: $vgpr2
	s_branch .LBB159_831
.LBB159_825:
	v_mov_b32_e32 v0, 0
	v_mov_b32_e32 v2, 0
	s_branch .LBB159_830
.LBB159_826:
	s_mov_b32 s78, 0
	v_mov_b32_e32 v0, 0
	v_mov_b32_e32 v2, 0
	v_mov_b32_e32 v1, v8
.LBB159_827:
	s_and_b32 s16, s79, 3
	s_cmp_eq_u32 s16, 0
	s_cbranch_scc1 .LBB159_830
; %bb.828:
	s_lshl_b32 s0, s78, 3
	s_add_u32 s0, s34, s0
	s_addc_u32 s1, s35, 0
	s_add_u32 s0, s0, 0xc4
	s_addc_u32 s1, s1, 0
	s_mul_i32 s2, s78, 12
	s_add_u32 s2, s34, s2
	s_addc_u32 s3, s35, 0
.LBB159_829:                            ; =>This Inner Loop Header: Depth=1
	s_load_dwordx2 s[18:19], s[2:3], 0x4
	s_load_dword s17, s[2:3], 0xc
	s_load_dwordx2 s[20:21], s[0:1], 0x0
	s_add_u32 s2, s2, 12
	s_addc_u32 s3, s3, 0
	s_waitcnt vmcnt(0) lgkmcnt(0)
	v_mul_hi_u32 v3, s19, v1
	s_add_u32 s0, s0, 8
	s_addc_u32 s1, s1, 0
	s_add_i32 s16, s16, -1
	v_add_u32_e32 v3, v1, v3
	v_lshrrev_b32_e32 v4, s17, v3
	v_mul_lo_u32 v3, v4, s18
	s_cmp_lg_u32 s16, 0
	v_sub_u32_e32 v3, v1, v3
	v_mad_u64_u32 v[0:1], s[18:19], v3, s20, v[0:1]
	v_mad_u64_u32 v[2:3], s[18:19], v3, s21, v[2:3]
	v_mov_b32_e32 v1, v4
	s_cbranch_scc1 .LBB159_829
.LBB159_830:
	s_mov_b64 s[0:1], 0
.LBB159_831:
	s_andn2_b64 vcc, exec, s[0:1]
	s_cbranch_vccnz .LBB159_834
; %bb.832:
	v_mul_hi_u32 v0, s37, v8
	s_andn2_b64 vcc, exec, s[50:51]
	v_add_u32_e32 v0, v8, v0
	v_lshrrev_b32_e32 v1, s38, v0
	v_mul_lo_u32 v0, v1, s36
	v_sub_u32_e32 v2, v8, v0
	v_mul_lo_u32 v0, v2, s40
	v_mul_lo_u32 v2, v2, s41
	s_cbranch_vccnz .LBB159_834
; %bb.833:
	s_waitcnt vmcnt(0)
	v_mul_hi_u32 v3, s48, v1
	v_add_u32_e32 v3, v1, v3
	v_lshrrev_b32_e32 v3, s49, v3
	v_mul_lo_u32 v3, v3, s39
	v_sub_u32_e32 v3, v1, v3
	v_mad_u64_u32 v[0:1], s[0:1], v3, s42, v[0:1]
	v_mad_u64_u32 v[2:3], s[0:1], v3, s43, v[2:3]
.LBB159_834:
	s_waitcnt vmcnt(0)
	v_mov_b32_e32 v3, s11
	s_and_b32 s20, 0xffff, s15
	v_add_co_u32_e32 v1, vcc, s10, v2
	s_cmp_lt_i32 s20, 11
	v_addc_co_u32_e32 v2, vcc, 0, v3, vcc
	s_cbranch_scc1 .LBB159_841
; %bb.835:
	s_cmp_gt_i32 s20, 25
	s_mov_b64 s[2:3], 0
	s_cbranch_scc0 .LBB159_842
; %bb.836:
	s_cmp_gt_i32 s20, 28
	s_cbranch_scc0 .LBB159_843
; %bb.837:
	s_cmp_gt_i32 s20, 43
	;; [unrolled: 3-line block ×3, first 2 shown]
	s_cbranch_scc0 .LBB159_847
; %bb.839:
	s_cmp_eq_u32 s20, 46
	s_mov_b64 s[16:17], 0
	s_cbranch_scc0 .LBB159_850
; %bb.840:
	global_load_dword v3, v[1:2], off
	s_mov_b64 s[0:1], 0
	s_mov_b64 s[10:11], -1
	s_waitcnt vmcnt(0)
	v_lshlrev_b32_e32 v4, 16, v3
	s_branch .LBB159_851
.LBB159_841:
	s_mov_b64 s[16:17], -1
	s_mov_b64 s[10:11], 0
	s_mov_b64 s[2:3], 0
	;; [unrolled: 1-line block ×3, first 2 shown]
                                        ; implicit-def: $vgpr4
	s_branch .LBB159_914
.LBB159_842:
	s_mov_b64 s[16:17], -1
	s_mov_b64 s[10:11], 0
	s_mov_b64 s[0:1], s[70:71]
                                        ; implicit-def: $vgpr4
	s_branch .LBB159_880
.LBB159_843:
	s_mov_b64 s[16:17], -1
	s_mov_b64 s[10:11], 0
	s_mov_b64 s[0:1], s[70:71]
                                        ; implicit-def: $vgpr4
	s_branch .LBB159_861
.LBB159_844:
	s_mov_b64 s[16:17], -1
	s_mov_b64 s[10:11], 0
	s_mov_b64 s[0:1], s[70:71]
                                        ; implicit-def: $vgpr4
	s_branch .LBB159_856
.LBB159_845:
	s_andn2_saveexec_b64 s[20:21], s[20:21]
	s_cbranch_execz .LBB159_725
.LBB159_846:
	s_mov_b32 s24, 0x46000000
	v_add_f32_e64 v3, |v2|, s24
	v_and_b32_e32 v3, 0xff, v3
	v_cmp_ne_u32_e32 vcc, 0, v3
	s_andn2_b64 s[18:19], s[18:19], exec
	s_and_b64 s[24:25], vcc, exec
	s_or_b64 s[18:19], s[18:19], s[24:25]
	s_or_b64 exec, exec, s[20:21]
	v_mov_b32_e32 v4, 0
	s_and_saveexec_b64 s[20:21], s[18:19]
	s_cbranch_execnz .LBB159_726
	s_branch .LBB159_727
.LBB159_847:
	s_mov_b64 s[16:17], -1
	s_mov_b64 s[10:11], 0
	s_mov_b64 s[0:1], s[70:71]
                                        ; implicit-def: $vgpr4
	s_branch .LBB159_851
.LBB159_848:
	s_andn2_saveexec_b64 s[20:21], s[20:21]
	s_cbranch_execz .LBB159_738
.LBB159_849:
	s_mov_b32 s24, 0x42800000
	v_add_f32_e64 v3, |v2|, s24
	v_and_b32_e32 v3, 0xff, v3
	v_cmp_ne_u32_e32 vcc, 0, v3
	s_andn2_b64 s[18:19], s[18:19], exec
	s_and_b64 s[24:25], vcc, exec
	s_or_b64 s[18:19], s[18:19], s[24:25]
	s_or_b64 exec, exec, s[20:21]
	v_mov_b32_e32 v4, 0
	s_and_saveexec_b64 s[20:21], s[18:19]
	s_cbranch_execnz .LBB159_739
	s_branch .LBB159_740
.LBB159_850:
	s_mov_b64 s[0:1], -1
                                        ; implicit-def: $vgpr4
	s_mov_b64 s[10:11], 0
.LBB159_851:
	s_and_b64 vcc, exec, s[16:17]
	s_cbranch_vccz .LBB159_855
; %bb.852:
	s_cmp_eq_u32 s20, 44
	s_cbranch_scc0 .LBB159_854
; %bb.853:
	global_load_ubyte v3, v[1:2], off
	s_movk_i32 s10, 0xff
	v_mov_b32_e32 v4, 0x7f800001
	v_mov_b32_e32 v5, 0x400000
	s_mov_b64 s[0:1], 0
	s_waitcnt vmcnt(0)
	v_lshlrev_b32_e32 v6, 23, v3
	v_cmp_ne_u32_e32 vcc, s10, v3
	v_cndmask_b32_e32 v4, v4, v6, vcc
	v_cmp_ne_u32_e32 vcc, 0, v3
	v_cndmask_b32_e32 v4, v5, v4, vcc
	s_mov_b64 s[10:11], -1
	s_branch .LBB159_855
.LBB159_854:
	s_mov_b64 s[0:1], -1
                                        ; implicit-def: $vgpr4
.LBB159_855:
	s_mov_b64 s[16:17], 0
.LBB159_856:
	s_and_b64 vcc, exec, s[16:17]
	s_cbranch_vccz .LBB159_860
; %bb.857:
	s_cmp_eq_u32 s20, 29
	s_cbranch_scc0 .LBB159_859
; %bb.858:
	global_load_dwordx2 v[3:4], v[1:2], off
	s_mov_b64 s[0:1], 0
	s_mov_b64 s[10:11], -1
	s_mov_b64 s[16:17], 0
	s_waitcnt vmcnt(0)
	v_ffbh_u32_e32 v5, v4
	v_min_u32_e32 v5, 32, v5
	v_lshlrev_b64 v[3:4], v5, v[3:4]
	v_min_u32_e32 v3, 1, v3
	v_or_b32_e32 v3, v4, v3
	v_cvt_f32_u32_e32 v3, v3
	v_sub_u32_e32 v4, 32, v5
	v_ldexp_f32 v4, v3, v4
	s_branch .LBB159_861
.LBB159_859:
	s_mov_b64 s[0:1], -1
                                        ; implicit-def: $vgpr4
.LBB159_860:
	s_mov_b64 s[16:17], 0
.LBB159_861:
	s_and_b64 vcc, exec, s[16:17]
	s_cbranch_vccz .LBB159_879
; %bb.862:
	s_cmp_lt_i32 s20, 27
	s_cbranch_scc1 .LBB159_865
; %bb.863:
	s_cmp_gt_i32 s20, 27
	s_cbranch_scc0 .LBB159_866
; %bb.864:
	global_load_dword v3, v[1:2], off
	s_mov_b64 s[10:11], 0
	s_waitcnt vmcnt(0)
	v_cvt_f32_u32_e32 v4, v3
	s_branch .LBB159_867
.LBB159_865:
	s_mov_b64 s[10:11], -1
                                        ; implicit-def: $vgpr4
	s_branch .LBB159_870
.LBB159_866:
	s_mov_b64 s[10:11], -1
                                        ; implicit-def: $vgpr4
.LBB159_867:
	s_andn2_b64 vcc, exec, s[10:11]
	s_cbranch_vccnz .LBB159_869
; %bb.868:
	global_load_ushort v3, v[1:2], off
	s_waitcnt vmcnt(0)
	v_cvt_f32_u32_e32 v4, v3
.LBB159_869:
	s_mov_b64 s[10:11], 0
.LBB159_870:
	s_andn2_b64 vcc, exec, s[10:11]
	s_cbranch_vccnz .LBB159_878
; %bb.871:
	global_load_ubyte v3, v[1:2], off
	s_movk_i32 s10, 0x7f
	s_waitcnt vmcnt(0)
	v_cmp_lt_i16_e32 vcc, s10, v3
	s_mov_b64 s[10:11], 0
	s_and_saveexec_b64 s[16:17], vcc
	s_xor_b64 s[16:17], exec, s[16:17]
	s_cbranch_execz .LBB159_892
; %bb.872:
	s_movk_i32 s10, 0x80
	v_cmp_eq_u16_e32 vcc, s10, v3
	s_mov_b64 s[10:11], -1
	s_and_saveexec_b64 s[18:19], vcc
; %bb.873:
	s_xor_b64 s[10:11], exec, -1
; %bb.874:
	s_or_b64 exec, exec, s[18:19]
	s_and_b64 s[10:11], s[10:11], exec
	s_or_saveexec_b64 s[16:17], s[16:17]
	v_mov_b32_e32 v4, 0x7f800001
	s_xor_b64 exec, exec, s[16:17]
	s_cbranch_execnz .LBB159_893
.LBB159_875:
	s_or_b64 exec, exec, s[16:17]
	s_and_saveexec_b64 s[16:17], s[10:11]
	s_cbranch_execz .LBB159_877
.LBB159_876:
	v_lshlrev_b32_e32 v4, 24, v3
	v_and_b32_e32 v3, 0xffff, v3
	v_and_b32_e32 v5, 7, v3
	v_ffbh_u32_e32 v7, v5
	v_min_u32_e32 v7, 32, v7
	v_subrev_u32_e32 v8, 28, v7
	v_bfe_u32 v6, v3, 3, 4
	v_lshlrev_b32_e32 v3, v8, v3
	v_sub_u32_e32 v7, 29, v7
	v_and_b32_e32 v3, 7, v3
	v_cmp_eq_u32_e32 vcc, 0, v6
	v_cndmask_b32_e32 v6, v6, v7, vcc
	v_cndmask_b32_e32 v3, v5, v3, vcc
	v_mov_b32_e32 v5, 0x3b800000
	v_lshlrev_b32_e32 v3, 20, v3
	v_and_b32_e32 v4, 0x80000000, v4
	v_lshl_add_u32 v5, v6, 23, v5
	v_or3_b32 v4, v4, v5, v3
.LBB159_877:
	s_or_b64 exec, exec, s[16:17]
.LBB159_878:
	s_mov_b64 s[10:11], -1
.LBB159_879:
	s_mov_b64 s[16:17], 0
.LBB159_880:
	s_and_b64 vcc, exec, s[16:17]
	s_cbranch_vccz .LBB159_913
; %bb.881:
	s_cmp_gt_i32 s20, 22
	s_cbranch_scc0 .LBB159_891
; %bb.882:
	s_cmp_lt_i32 s20, 24
	s_cbranch_scc1 .LBB159_894
; %bb.883:
	s_cmp_gt_i32 s20, 24
	s_cbranch_scc0 .LBB159_895
; %bb.884:
	global_load_ubyte v3, v[1:2], off
	s_movk_i32 s2, 0x7f
	s_waitcnt vmcnt(0)
	v_cmp_lt_i16_e32 vcc, s2, v3
	s_mov_b64 s[2:3], 0
	s_and_saveexec_b64 s[10:11], vcc
	s_xor_b64 s[10:11], exec, s[10:11]
	s_cbranch_execz .LBB159_907
; %bb.885:
	s_movk_i32 s2, 0x80
	v_cmp_eq_u16_e32 vcc, s2, v3
	s_mov_b64 s[2:3], -1
	s_and_saveexec_b64 s[16:17], vcc
; %bb.886:
	s_xor_b64 s[2:3], exec, -1
; %bb.887:
	s_or_b64 exec, exec, s[16:17]
	s_and_b64 s[2:3], s[2:3], exec
	s_or_saveexec_b64 s[10:11], s[10:11]
	v_mov_b32_e32 v4, 0x7f800001
	s_xor_b64 exec, exec, s[10:11]
	s_cbranch_execnz .LBB159_908
.LBB159_888:
	s_or_b64 exec, exec, s[10:11]
	s_and_saveexec_b64 s[10:11], s[2:3]
	s_cbranch_execz .LBB159_890
.LBB159_889:
	v_lshlrev_b32_e32 v4, 24, v3
	v_and_b32_e32 v3, 0xffff, v3
	v_and_b32_e32 v5, 3, v3
	v_ffbh_u32_e32 v7, v5
	v_min_u32_e32 v7, 32, v7
	v_subrev_u32_e32 v8, 29, v7
	v_bfe_u32 v6, v3, 2, 5
	v_lshlrev_b32_e32 v3, v8, v3
	v_sub_u32_e32 v7, 30, v7
	v_and_b32_e32 v3, 3, v3
	v_cmp_eq_u32_e32 vcc, 0, v6
	v_cndmask_b32_e32 v6, v6, v7, vcc
	v_cndmask_b32_e32 v3, v5, v3, vcc
	v_mov_b32_e32 v5, 0x37800000
	v_lshlrev_b32_e32 v3, 21, v3
	v_and_b32_e32 v4, 0x80000000, v4
	v_lshl_add_u32 v5, v6, 23, v5
	v_or3_b32 v4, v4, v5, v3
.LBB159_890:
	s_or_b64 exec, exec, s[10:11]
	s_mov_b64 s[2:3], 0
	s_branch .LBB159_896
.LBB159_891:
	s_mov_b64 s[2:3], -1
                                        ; implicit-def: $vgpr4
	s_branch .LBB159_902
.LBB159_892:
	s_or_saveexec_b64 s[16:17], s[16:17]
	v_mov_b32_e32 v4, 0x7f800001
	s_xor_b64 exec, exec, s[16:17]
	s_cbranch_execz .LBB159_875
.LBB159_893:
	v_cmp_ne_u16_e32 vcc, 0, v3
	s_andn2_b64 s[10:11], s[10:11], exec
	s_and_b64 s[18:19], vcc, exec
	v_mov_b32_e32 v4, 0
	s_or_b64 s[10:11], s[10:11], s[18:19]
	s_or_b64 exec, exec, s[16:17]
	s_and_saveexec_b64 s[16:17], s[10:11]
	s_cbranch_execnz .LBB159_876
	s_branch .LBB159_877
.LBB159_894:
	s_mov_b64 s[2:3], -1
                                        ; implicit-def: $vgpr4
	s_branch .LBB159_899
.LBB159_895:
	s_mov_b64 s[2:3], -1
                                        ; implicit-def: $vgpr4
.LBB159_896:
	s_and_b64 vcc, exec, s[2:3]
	s_cbranch_vccz .LBB159_898
; %bb.897:
	global_load_ubyte v3, v[1:2], off
	s_mov_b32 s2, 0x7f800000
	s_waitcnt vmcnt(0)
	v_lshlrev_b32_e32 v3, 24, v3
	v_and_b32_e32 v4, 0x7f000000, v3
	v_ffbh_u32_e32 v5, v4
	v_min_u32_e32 v5, 32, v5
	v_sub_u32_e64 v5, v5, 4 clamp
	v_lshlrev_b32_e32 v7, v5, v4
	v_lshlrev_b32_e32 v5, 23, v5
	v_lshrrev_b32_e32 v7, 4, v7
	v_add_u32_e32 v6, 0x1000000, v4
	v_sub_u32_e32 v5, v7, v5
	v_ashrrev_i32_e32 v6, 8, v6
	v_add_u32_e32 v5, 0x3c000000, v5
	v_and_or_b32 v5, v6, s2, v5
	v_cmp_ne_u32_e32 vcc, 0, v4
	v_cndmask_b32_e32 v4, 0, v5, vcc
	s_brev_b32 s2, 1
	v_and_or_b32 v4, v3, s2, v4
.LBB159_898:
	s_mov_b64 s[2:3], 0
.LBB159_899:
	s_andn2_b64 vcc, exec, s[2:3]
	s_cbranch_vccnz .LBB159_901
; %bb.900:
	global_load_ubyte v3, v[1:2], off
	s_movk_i32 s2, 0x7f00
	s_brev_b32 s3, 16
	s_waitcnt vmcnt(0)
	v_lshlrev_b16_e32 v4, 8, v3
	v_lshlrev_b32_e32 v3, 25, v3
	v_lshrrev_b32_e32 v5, 4, v3
	v_and_or_b32 v6, v4, s2, 0.5
	v_or_b32_e32 v5, 0x70000000, v5
	v_add_f32_e32 v6, -0.5, v6
	v_mul_f32_e32 v5, 0x7800000, v5
	v_cmp_gt_u32_e32 vcc, s3, v3
	v_bfe_i32 v4, v4, 0, 16
	v_cndmask_b32_e32 v3, v5, v6, vcc
	s_brev_b32 s2, 1
	v_and_or_b32 v4, v4, s2, v3
.LBB159_901:
	s_mov_b64 s[2:3], 0
	s_mov_b64 s[10:11], -1
.LBB159_902:
	s_andn2_b64 vcc, exec, s[2:3]
	s_mov_b64 s[2:3], 0
	s_cbranch_vccnz .LBB159_913
; %bb.903:
	s_cmp_gt_i32 s20, 14
	s_cbranch_scc0 .LBB159_906
; %bb.904:
	s_cmp_eq_u32 s20, 15
	s_cbranch_scc0 .LBB159_909
; %bb.905:
	global_load_ushort v3, v[1:2], off
	s_mov_b64 s[0:1], 0
	s_mov_b64 s[10:11], -1
	s_waitcnt vmcnt(0)
	v_lshlrev_b32_e32 v4, 16, v3
	s_branch .LBB159_910
.LBB159_906:
	s_mov_b64 s[16:17], -1
                                        ; implicit-def: $vgpr4
	s_branch .LBB159_911
.LBB159_907:
	s_or_saveexec_b64 s[10:11], s[10:11]
	v_mov_b32_e32 v4, 0x7f800001
	s_xor_b64 exec, exec, s[10:11]
	s_cbranch_execz .LBB159_888
.LBB159_908:
	v_cmp_ne_u16_e32 vcc, 0, v3
	s_andn2_b64 s[2:3], s[2:3], exec
	s_and_b64 s[16:17], vcc, exec
	v_mov_b32_e32 v4, 0
	s_or_b64 s[2:3], s[2:3], s[16:17]
	s_or_b64 exec, exec, s[10:11]
	s_and_saveexec_b64 s[10:11], s[2:3]
	s_cbranch_execnz .LBB159_889
	s_branch .LBB159_890
.LBB159_909:
	s_mov_b64 s[0:1], -1
                                        ; implicit-def: $vgpr4
.LBB159_910:
	s_mov_b64 s[16:17], 0
.LBB159_911:
	s_and_b64 vcc, exec, s[16:17]
	s_cbranch_vccz .LBB159_913
; %bb.912:
	s_cmp_lg_u32 s20, 11
	s_cselect_b64 s[16:17], -1, 0
	s_andn2_b64 s[0:1], s[0:1], exec
	s_and_b64 s[16:17], s[16:17], exec
	s_mov_b64 s[2:3], -1
	s_or_b64 s[0:1], s[0:1], s[16:17]
.LBB159_913:
	s_mov_b64 s[16:17], 0
.LBB159_914:
	s_and_b64 s[18:19], s[10:11], exec
	s_andn2_b64 s[10:11], s[70:71], exec
	s_and_b64 s[0:1], s[0:1], exec
	s_and_b64 s[16:17], s[16:17], exec
	;; [unrolled: 1-line block ×3, first 2 shown]
	s_or_b64 s[20:21], s[10:11], s[0:1]
.LBB159_915:
	s_or_b64 exec, exec, s[74:75]
	s_and_b64 s[0:1], s[2:3], exec
	s_andn2_b64 s[2:3], s[70:71], exec
	s_and_b64 s[10:11], s[20:21], exec
	s_and_b64 s[18:19], s[18:19], exec
	;; [unrolled: 1-line block ×3, first 2 shown]
	s_or_b64 s[70:71], s[2:3], s[10:11]
.LBB159_916:
	s_or_b64 exec, exec, s[68:69]
	s_andn2_b64 s[2:3], s[64:65], exec
	s_and_b64 s[10:11], s[72:73], exec
	s_or_b64 s[64:65], s[2:3], s[10:11]
	s_and_b64 s[2:3], s[0:1], exec
	s_andn2_b64 s[0:1], s[62:63], exec
	s_and_b64 s[10:11], s[70:71], exec
	s_and_b64 s[18:19], s[18:19], exec
	;; [unrolled: 1-line block ×3, first 2 shown]
	s_or_b64 s[62:63], s[0:1], s[10:11]
.LBB159_917:
	s_or_b64 exec, exec, s[66:67]
	s_andn2_b64 s[0:1], s[56:57], exec
	s_and_b64 s[10:11], s[64:65], exec
	s_or_b64 s[56:57], s[0:1], s[10:11]
	s_and_b64 s[64:65], s[2:3], exec
	s_andn2_b64 s[2:3], s[58:59], exec
	s_and_b64 s[10:11], s[62:63], exec
	s_and_b64 s[0:1], s[18:19], exec
	;; [unrolled: 1-line block ×3, first 2 shown]
	s_or_b64 s[58:59], s[2:3], s[10:11]
	s_or_b64 exec, exec, s[60:61]
	s_mov_b64 s[2:3], 0
	s_and_saveexec_b64 s[10:11], s[58:59]
	s_cbranch_execz .LBB159_274
.LBB159_918:
	s_mov_b64 s[2:3], exec
	s_andn2_b64 s[64:65], s[64:65], exec
	s_trap 2
	s_or_b64 exec, exec, s[10:11]
	s_and_saveexec_b64 s[10:11], s[64:65]
	s_xor_b64 s[10:11], exec, s[10:11]
	s_cbranch_execnz .LBB159_275
.LBB159_919:
	s_or_b64 exec, exec, s[10:11]
	s_and_saveexec_b64 s[10:11], s[16:17]
	s_cbranch_execz .LBB159_965
.LBB159_920:
	s_sext_i32_i16 s16, s15
	s_cmp_lt_i32 s16, 5
	s_cbranch_scc1 .LBB159_925
; %bb.921:
	s_cmp_lt_i32 s16, 8
	s_cbranch_scc1 .LBB159_926
; %bb.922:
	;; [unrolled: 3-line block ×3, first 2 shown]
	s_cmp_gt_i32 s16, 9
	s_cbranch_scc0 .LBB159_928
; %bb.924:
	global_load_dwordx2 v[3:4], v[1:2], off
	s_mov_b64 s[16:17], 0
	s_waitcnt vmcnt(0)
	v_cvt_f32_f64_e32 v4, v[3:4]
	s_branch .LBB159_929
.LBB159_925:
                                        ; implicit-def: $vgpr4
	s_branch .LBB159_946
.LBB159_926:
                                        ; implicit-def: $vgpr4
	s_branch .LBB159_935
.LBB159_927:
	s_mov_b64 s[16:17], -1
                                        ; implicit-def: $vgpr4
	s_branch .LBB159_932
.LBB159_928:
	s_mov_b64 s[16:17], -1
                                        ; implicit-def: $vgpr4
.LBB159_929:
	s_andn2_b64 vcc, exec, s[16:17]
	s_cbranch_vccnz .LBB159_931
; %bb.930:
	global_load_dword v4, v[1:2], off
.LBB159_931:
	s_mov_b64 s[16:17], 0
.LBB159_932:
	s_andn2_b64 vcc, exec, s[16:17]
	s_cbranch_vccnz .LBB159_934
; %bb.933:
	global_load_dword v3, v[1:2], off
	s_waitcnt vmcnt(0)
	v_cvt_f32_f16_e32 v4, v3
.LBB159_934:
	s_cbranch_execnz .LBB159_945
.LBB159_935:
	s_sext_i32_i16 s16, s15
	s_cmp_lt_i32 s16, 6
	s_cbranch_scc1 .LBB159_938
; %bb.936:
	s_cmp_gt_i32 s16, 6
	s_cbranch_scc0 .LBB159_939
; %bb.937:
	global_load_dwordx2 v[3:4], v[1:2], off
	s_mov_b64 s[16:17], 0
	s_waitcnt vmcnt(0)
	v_cvt_f32_f64_e32 v4, v[3:4]
	s_branch .LBB159_940
.LBB159_938:
	s_mov_b64 s[16:17], -1
                                        ; implicit-def: $vgpr4
	s_branch .LBB159_943
.LBB159_939:
	s_mov_b64 s[16:17], -1
                                        ; implicit-def: $vgpr4
.LBB159_940:
	s_andn2_b64 vcc, exec, s[16:17]
	s_cbranch_vccnz .LBB159_942
; %bb.941:
	global_load_dword v4, v[1:2], off
.LBB159_942:
	s_mov_b64 s[16:17], 0
.LBB159_943:
	s_andn2_b64 vcc, exec, s[16:17]
	s_cbranch_vccnz .LBB159_945
; %bb.944:
	global_load_ushort v3, v[1:2], off
	s_waitcnt vmcnt(0)
	v_cvt_f32_f16_e32 v4, v3
.LBB159_945:
	s_cbranch_execnz .LBB159_964
.LBB159_946:
	s_sext_i32_i16 s16, s15
	s_cmp_lt_i32 s16, 2
	s_cbranch_scc1 .LBB159_950
; %bb.947:
	s_cmp_lt_i32 s16, 3
	s_cbranch_scc1 .LBB159_951
; %bb.948:
	s_cmp_gt_i32 s16, 3
	s_cbranch_scc0 .LBB159_952
; %bb.949:
	global_load_dwordx2 v[3:4], v[1:2], off
	s_mov_b64 s[16:17], 0
	s_waitcnt vmcnt(0)
	v_xor_b32_e32 v6, v3, v4
	v_ffbh_i32_e32 v5, v4
	v_ashrrev_i32_e32 v6, 31, v6
	v_add_u32_e32 v5, -1, v5
	v_add_u32_e32 v6, 32, v6
	v_min_u32_e32 v5, v5, v6
	v_lshlrev_b64 v[3:4], v5, v[3:4]
	v_min_u32_e32 v3, 1, v3
	v_or_b32_e32 v3, v4, v3
	v_cvt_f32_i32_e32 v3, v3
	v_sub_u32_e32 v4, 32, v5
	v_ldexp_f32 v4, v3, v4
	s_branch .LBB159_953
.LBB159_950:
                                        ; implicit-def: $vgpr4
	s_branch .LBB159_959
.LBB159_951:
	s_mov_b64 s[16:17], -1
                                        ; implicit-def: $vgpr4
	s_branch .LBB159_956
.LBB159_952:
	s_mov_b64 s[16:17], -1
                                        ; implicit-def: $vgpr4
.LBB159_953:
	s_andn2_b64 vcc, exec, s[16:17]
	s_cbranch_vccnz .LBB159_955
; %bb.954:
	global_load_dword v3, v[1:2], off
	s_waitcnt vmcnt(0)
	v_cvt_f32_i32_e32 v4, v3
.LBB159_955:
	s_mov_b64 s[16:17], 0
.LBB159_956:
	s_andn2_b64 vcc, exec, s[16:17]
	s_cbranch_vccnz .LBB159_958
; %bb.957:
	global_load_sshort v3, v[1:2], off
	s_waitcnt vmcnt(0)
	v_cvt_f32_i32_e32 v4, v3
.LBB159_958:
	s_cbranch_execnz .LBB159_964
.LBB159_959:
	s_sext_i32_i16 s15, s15
	s_cmp_gt_i32 s15, 0
	s_cbranch_scc0 .LBB159_961
; %bb.960:
	global_load_sbyte v3, v[1:2], off
	s_mov_b64 s[16:17], 0
	s_waitcnt vmcnt(0)
	v_cvt_f32_i32_e32 v4, v3
	s_branch .LBB159_962
.LBB159_961:
	s_mov_b64 s[16:17], -1
                                        ; implicit-def: $vgpr4
.LBB159_962:
	s_andn2_b64 vcc, exec, s[16:17]
	s_cbranch_vccnz .LBB159_964
; %bb.963:
	global_load_ubyte v1, v[1:2], off
	s_waitcnt vmcnt(0)
	v_cvt_f32_ubyte0_e32 v4, v1
.LBB159_964:
	s_or_b64 s[0:1], s[0:1], exec
.LBB159_965:
	s_or_b64 exec, exec, s[10:11]
	s_mov_b64 s[18:19], 0
	s_mov_b64 s[16:17], 0
                                        ; implicit-def: $sgpr20
                                        ; implicit-def: $vgpr1_vgpr2
                                        ; implicit-def: $vgpr3
	s_and_saveexec_b64 s[10:11], s[0:1]
	s_cbranch_execz .LBB159_983
; %bb.966:
	v_mov_b32_e32 v1, s13
	v_mov_b32_e32 v2, s14
	s_waitcnt vmcnt(0)
	v_cmp_nge_f32_e32 vcc, s12, v4
	v_cndmask_b32_e32 v3, v1, v2, vcc
	v_mov_b32_e32 v2, s9
	s_and_b32 s20, s77, 0xff
	v_add_co_u32_e32 v1, vcc, s8, v0
	s_cmp_lt_i32 s20, 11
	v_addc_co_u32_e32 v2, vcc, 0, v2, vcc
	s_cbranch_scc1 .LBB159_986
; %bb.967:
	s_and_b32 s18, 0xffff, s20
	s_mov_b64 s[12:13], -1
	s_cmp_gt_i32 s18, 25
	s_mov_b64 s[0:1], s[56:57]
	s_cbranch_scc0 .LBB159_1004
; %bb.968:
	s_mov_b64 s[8:9], -1
	s_cmp_gt_i32 s18, 28
	s_mov_b64 s[0:1], s[56:57]
	s_cbranch_scc0 .LBB159_988
; %bb.969:
	s_cmp_gt_i32 s18, 43
	s_mov_b64 s[0:1], s[56:57]
	s_cbranch_scc0 .LBB159_980
; %bb.970:
	;; [unrolled: 4-line block ×3, first 2 shown]
	s_cmp_eq_u32 s18, 46
	s_mov_b64 s[0:1], -1
	s_cbranch_scc0 .LBB159_973
; %bb.972:
	v_bfe_u32 v0, v3, 16, 1
	s_movk_i32 s0, 0x7fff
	v_add3_u32 v0, v3, v0, s0
	v_cmp_o_f32_e32 vcc, v3, v3
	v_mov_b32_e32 v4, 0x7fc0
	v_cndmask_b32_sdwa v0, v4, v0, vcc dst_sel:DWORD dst_unused:UNUSED_PAD src0_sel:DWORD src1_sel:WORD_1
	global_store_dword v[1:2], v0, off
	s_mov_b64 s[0:1], 0
.LBB159_973:
	s_mov_b64 s[8:9], 0
.LBB159_974:
	s_and_b64 vcc, exec, s[8:9]
	s_cbranch_vccz .LBB159_979
; %bb.975:
	s_cmp_eq_u32 s18, 44
	s_mov_b64 s[0:1], -1
	s_cbranch_scc0 .LBB159_979
; %bb.976:
	v_bfe_u32 v0, v3, 23, 8
	s_movk_i32 s0, 0xff
	v_cmp_ne_u32_e32 vcc, s0, v0
	v_mov_b32_e32 v4, 0xff
	s_and_saveexec_b64 s[8:9], vcc
; %bb.977:
	s_mov_b32 s0, 0x3fffff
	v_and_b32_e32 v5, 0x400000, v3
	v_and_or_b32 v0, v3, s0, v0
	v_cmp_ne_u32_e32 vcc, 0, v5
	v_cmp_ne_u32_e64 s[0:1], 0, v0
	s_and_b64 s[0:1], vcc, s[0:1]
	v_lshrrev_b32_e32 v4, 23, v3
	v_cndmask_b32_e64 v0, 0, 1, s[0:1]
	v_add_u32_e32 v4, v4, v0
; %bb.978:
	s_or_b64 exec, exec, s[8:9]
	s_mov_b64 s[0:1], 0
	global_store_byte v[1:2], v4, off
.LBB159_979:
	s_mov_b64 s[8:9], 0
.LBB159_980:
	s_and_b64 vcc, exec, s[8:9]
	s_cbranch_vccz .LBB159_987
; %bb.981:
	s_cmp_eq_u32 s18, 29
	s_mov_b64 s[0:1], -1
	s_cbranch_scc0 .LBB159_987
; %bb.982:
	v_trunc_f32_e32 v0, v3
	v_mul_f32_e32 v4, 0x2f800000, v0
	v_floor_f32_e32 v4, v4
	v_fmac_f32_e32 v0, 0xcf800000, v4
	v_cvt_u32_f32_e32 v5, v4
	v_cvt_u32_f32_e32 v4, v0
	s_mov_b64 s[0:1], 0
	s_mov_b64 s[8:9], 0
	global_store_dwordx2 v[1:2], v[4:5], off
	s_branch .LBB159_988
.LBB159_983:
	s_or_b64 exec, exec, s[10:11]
	s_and_saveexec_b64 s[0:1], s[56:57]
	s_cbranch_execnz .LBB159_1046
.LBB159_984:
	s_or_b64 exec, exec, s[0:1]
	s_and_saveexec_b64 s[0:1], s[18:19]
	s_xor_b64 s[0:1], exec, s[0:1]
	s_cbranch_execz .LBB159_1047
.LBB159_985:
	s_waitcnt vmcnt(0)
	v_cmp_neq_f32_e32 vcc, 0, v3
	v_cndmask_b32_e64 v0, 0, 1, vcc
	global_store_byte v[1:2], v0, off
	s_or_b64 exec, exec, s[0:1]
	s_and_saveexec_b64 s[0:1], s[16:17]
	s_xor_b64 s[0:1], exec, s[0:1]
	s_cbranch_execz .LBB159_1085
	s_branch .LBB159_1048
.LBB159_986:
	s_mov_b64 s[12:13], 0
	s_mov_b64 s[8:9], -1
	s_mov_b64 s[0:1], s[56:57]
	s_branch .LBB159_1045
.LBB159_987:
	s_mov_b64 s[8:9], 0
.LBB159_988:
	s_and_b64 vcc, exec, s[8:9]
	s_cbranch_vccz .LBB159_1003
; %bb.989:
	s_cmp_lt_i32 s18, 27
	s_mov_b64 s[8:9], -1
	s_cbranch_scc1 .LBB159_995
; %bb.990:
	s_cmp_gt_i32 s18, 27
	s_cbranch_scc0 .LBB159_992
; %bb.991:
	v_cvt_u32_f32_e32 v0, v3
	s_mov_b64 s[8:9], 0
	global_store_dword v[1:2], v0, off
.LBB159_992:
	s_andn2_b64 vcc, exec, s[8:9]
	s_cbranch_vccnz .LBB159_994
; %bb.993:
	v_cvt_u32_f32_e32 v0, v3
	global_store_short v[1:2], v0, off
.LBB159_994:
	s_mov_b64 s[8:9], 0
.LBB159_995:
	s_andn2_b64 vcc, exec, s[8:9]
	s_cbranch_vccnz .LBB159_1003
; %bb.996:
	v_and_b32_e32 v0, 0x7fffffff, v3
	s_mov_b32 s8, 0x43800000
	v_cmp_gt_u32_e32 vcc, s8, v0
	v_mov_b32_e32 v4, 0x80
	s_and_saveexec_b64 s[8:9], vcc
	s_cbranch_execz .LBB159_1002
; %bb.997:
	s_mov_b32 s12, 0x3bffffff
	v_cmp_lt_u32_e32 vcc, s12, v0
	s_mov_b64 s[12:13], 0
                                        ; implicit-def: $vgpr0
	s_and_saveexec_b64 s[14:15], vcc
	s_xor_b64 s[14:15], exec, s[14:15]
	s_cbranch_execz .LBB159_1156
; %bb.998:
	v_bfe_u32 v0, v3, 20, 1
	s_mov_b32 s16, 0x487ffff
	v_add3_u32 v0, v3, v0, s16
	s_mov_b64 s[12:13], exec
	v_lshrrev_b32_e32 v0, 20, v0
	s_andn2_saveexec_b64 s[14:15], s[14:15]
	s_cbranch_execnz .LBB159_1157
.LBB159_999:
	s_or_b64 exec, exec, s[14:15]
	v_mov_b32_e32 v4, 0
	s_and_saveexec_b64 s[14:15], s[12:13]
.LBB159_1000:
	v_lshrrev_b32_e32 v4, 24, v3
	s_movk_i32 s12, 0x80
	v_and_or_b32 v4, v4, s12, v0
.LBB159_1001:
	s_or_b64 exec, exec, s[14:15]
.LBB159_1002:
	s_or_b64 exec, exec, s[8:9]
	global_store_byte v[1:2], v4, off
.LBB159_1003:
	s_mov_b64 s[12:13], 0
.LBB159_1004:
	s_mov_b64 s[8:9], 0
	s_and_b64 vcc, exec, s[12:13]
	s_cbranch_vccz .LBB159_1044
; %bb.1005:
	s_cmp_gt_i32 s18, 22
	s_mov_b64 s[12:13], -1
	s_cbranch_scc0 .LBB159_1037
; %bb.1006:
	s_cmp_lt_i32 s18, 24
	s_cbranch_scc1 .LBB159_1026
; %bb.1007:
	s_cmp_gt_i32 s18, 24
	s_cbranch_scc0 .LBB159_1015
; %bb.1008:
	v_and_b32_e32 v0, 0x7fffffff, v3
	s_mov_b32 s12, 0x47800000
	v_cmp_gt_u32_e32 vcc, s12, v0
	v_mov_b32_e32 v4, 0x80
	s_and_saveexec_b64 s[12:13], vcc
	s_cbranch_execz .LBB159_1014
; %bb.1009:
	s_mov_b32 s14, 0x37ffffff
	v_cmp_lt_u32_e32 vcc, s14, v0
	s_mov_b64 s[14:15], 0
                                        ; implicit-def: $vgpr0
	s_and_saveexec_b64 s[16:17], vcc
	s_xor_b64 s[16:17], exec, s[16:17]
	s_cbranch_execz .LBB159_1281
; %bb.1010:
	v_bfe_u32 v0, v3, 21, 1
	s_mov_b32 s19, 0x88fffff
	v_add3_u32 v0, v3, v0, s19
	s_mov_b64 s[14:15], exec
	v_lshrrev_b32_e32 v0, 21, v0
	s_andn2_saveexec_b64 s[16:17], s[16:17]
	s_cbranch_execnz .LBB159_1282
.LBB159_1011:
	s_or_b64 exec, exec, s[16:17]
	v_mov_b32_e32 v4, 0
	s_and_saveexec_b64 s[16:17], s[14:15]
.LBB159_1012:
	v_lshrrev_b32_e32 v4, 24, v3
	s_movk_i32 s14, 0x80
	v_and_or_b32 v4, v4, s14, v0
.LBB159_1013:
	s_or_b64 exec, exec, s[16:17]
.LBB159_1014:
	s_or_b64 exec, exec, s[12:13]
	s_mov_b64 s[12:13], 0
	global_store_byte v[1:2], v4, off
.LBB159_1015:
	s_and_b64 vcc, exec, s[12:13]
	s_cbranch_vccz .LBB159_1025
; %bb.1016:
	v_and_b32_e32 v4, 0x7fffffff, v3
	s_mov_b32 s12, 0x43f00000
	v_cmp_gt_u32_e32 vcc, s12, v4
                                        ; implicit-def: $vgpr0
	s_and_saveexec_b64 s[12:13], vcc
	s_xor_b64 s[12:13], exec, s[12:13]
	s_cbranch_execz .LBB159_1022
; %bb.1017:
	s_mov_b32 s14, 0x3c7fffff
	v_cmp_lt_u32_e32 vcc, s14, v4
                                        ; implicit-def: $vgpr0
	s_and_saveexec_b64 s[14:15], vcc
	s_xor_b64 s[14:15], exec, s[14:15]
; %bb.1018:
	v_bfe_u32 v0, v3, 20, 1
	s_mov_b32 s16, 0x407ffff
	v_add3_u32 v0, v3, v0, s16
	v_lshrrev_b32_e32 v4, 20, v0
	v_and_b32_e32 v0, 0xff00000, v0
	s_mov_b32 s16, 0x7f00000
	v_mov_b32_e32 v5, 0x7e
	v_cmp_ne_u32_e32 vcc, s16, v0
	v_cndmask_b32_e32 v0, v5, v4, vcc
; %bb.1019:
	s_andn2_saveexec_b64 s[14:15], s[14:15]
; %bb.1020:
	s_mov_b32 s16, 0x46800000
	v_add_f32_e64 v0, |v3|, s16
; %bb.1021:
	s_or_b64 exec, exec, s[14:15]
                                        ; implicit-def: $vgpr4
.LBB159_1022:
	s_andn2_saveexec_b64 s[12:13], s[12:13]
; %bb.1023:
	s_mov_b32 s14, 0x7f800000
	v_mov_b32_e32 v0, 0x7e
	v_mov_b32_e32 v5, 0x7f
	v_cmp_lt_u32_e32 vcc, s14, v4
	v_cndmask_b32_e32 v0, v0, v5, vcc
; %bb.1024:
	s_or_b64 exec, exec, s[12:13]
	v_lshrrev_b32_e32 v4, 24, v3
	s_movk_i32 s12, 0x80
	v_and_or_b32 v0, v4, s12, v0
	global_store_byte v[1:2], v0, off
.LBB159_1025:
	s_mov_b64 s[12:13], 0
.LBB159_1026:
	s_andn2_b64 vcc, exec, s[12:13]
	s_cbranch_vccnz .LBB159_1036
; %bb.1027:
	v_and_b32_e32 v4, 0x7fffffff, v3
	s_mov_b32 s12, 0x47800000
	v_cmp_gt_u32_e32 vcc, s12, v4
                                        ; implicit-def: $vgpr0
	s_and_saveexec_b64 s[12:13], vcc
	s_xor_b64 s[12:13], exec, s[12:13]
	s_cbranch_execz .LBB159_1033
; %bb.1028:
	s_mov_b32 s14, 0x387fffff
	v_cmp_lt_u32_e32 vcc, s14, v4
                                        ; implicit-def: $vgpr0
	s_and_saveexec_b64 s[14:15], vcc
	s_xor_b64 s[14:15], exec, s[14:15]
; %bb.1029:
	v_bfe_u32 v0, v3, 21, 1
	s_mov_b32 s16, 0x80fffff
	v_add3_u32 v0, v3, v0, s16
	v_lshrrev_b32_e32 v0, 21, v0
; %bb.1030:
	s_andn2_saveexec_b64 s[14:15], s[14:15]
; %bb.1031:
	s_mov_b32 s16, 0x43000000
	v_add_f32_e64 v0, |v3|, s16
; %bb.1032:
	s_or_b64 exec, exec, s[14:15]
                                        ; implicit-def: $vgpr4
.LBB159_1033:
	s_andn2_saveexec_b64 s[12:13], s[12:13]
; %bb.1034:
	s_mov_b32 s14, 0x7f800000
	v_mov_b32_e32 v0, 0x7c
	v_mov_b32_e32 v5, 0x7f
	v_cmp_lt_u32_e32 vcc, s14, v4
	v_cndmask_b32_e32 v0, v0, v5, vcc
; %bb.1035:
	s_or_b64 exec, exec, s[12:13]
	v_lshrrev_b32_e32 v4, 24, v3
	s_movk_i32 s12, 0x80
	v_and_or_b32 v0, v4, s12, v0
	global_store_byte v[1:2], v0, off
.LBB159_1036:
	s_mov_b64 s[12:13], 0
.LBB159_1037:
	s_andn2_b64 vcc, exec, s[12:13]
	s_mov_b64 s[12:13], 0
	s_cbranch_vccnz .LBB159_1045
; %bb.1038:
	s_cmp_gt_i32 s18, 14
	s_mov_b64 s[14:15], -1
	s_cbranch_scc0 .LBB159_1042
; %bb.1039:
	s_cmp_eq_u32 s18, 15
	s_mov_b64 s[0:1], -1
	s_cbranch_scc0 .LBB159_1041
; %bb.1040:
	v_bfe_u32 v0, v3, 16, 1
	s_movk_i32 s0, 0x7fff
	v_add3_u32 v0, v3, v0, s0
	v_cmp_o_f32_e32 vcc, v3, v3
	v_mov_b32_e32 v4, 0x7fc0
	v_cndmask_b32_sdwa v0, v4, v0, vcc dst_sel:DWORD dst_unused:UNUSED_PAD src0_sel:DWORD src1_sel:WORD_1
	global_store_short v[1:2], v0, off
	s_mov_b64 s[0:1], 0
.LBB159_1041:
	s_mov_b64 s[14:15], 0
.LBB159_1042:
	s_and_b64 vcc, exec, s[14:15]
	s_cbranch_vccz .LBB159_1045
; %bb.1043:
	s_cmp_lg_u32 s18, 11
	s_cselect_b64 s[14:15], -1, 0
	s_andn2_b64 s[0:1], s[0:1], exec
	s_and_b64 s[14:15], s[14:15], exec
	s_mov_b64 s[12:13], -1
	s_or_b64 s[0:1], s[0:1], s[14:15]
	s_branch .LBB159_1045
.LBB159_1044:
	s_mov_b64 s[12:13], 0
.LBB159_1045:
	s_and_b64 s[16:17], s[8:9], exec
	s_andn2_b64 s[8:9], s[56:57], exec
	s_and_b64 s[0:1], s[0:1], exec
	s_and_b64 s[18:19], s[12:13], exec
	s_or_b64 s[56:57], s[8:9], s[0:1]
	s_or_b64 exec, exec, s[10:11]
	s_and_saveexec_b64 s[0:1], s[56:57]
	s_cbranch_execz .LBB159_984
.LBB159_1046:
	s_or_b64 s[2:3], s[2:3], exec
	s_andn2_b64 s[18:19], s[18:19], exec
	s_trap 2
	s_or_b64 exec, exec, s[0:1]
	s_and_saveexec_b64 s[0:1], s[18:19]
	s_xor_b64 s[0:1], exec, s[0:1]
	s_cbranch_execnz .LBB159_985
.LBB159_1047:
	s_or_b64 exec, exec, s[0:1]
	s_and_saveexec_b64 s[0:1], s[16:17]
	s_xor_b64 s[0:1], exec, s[0:1]
	s_cbranch_execz .LBB159_1085
.LBB159_1048:
	s_sext_i32_i16 s10, s20
	s_cmp_lt_i32 s10, 5
	s_mov_b64 s[8:9], -1
	s_cbranch_scc1 .LBB159_1069
; %bb.1049:
	s_cmp_lt_i32 s10, 8
	s_cbranch_scc1 .LBB159_1059
; %bb.1050:
	s_cmp_lt_i32 s10, 9
	s_cbranch_scc1 .LBB159_1056
; %bb.1051:
	s_cmp_gt_i32 s10, 9
	s_cbranch_scc0 .LBB159_1053
; %bb.1052:
	s_waitcnt vmcnt(0)
	v_cvt_f64_f32_e32 v[4:5], v3
	v_mov_b32_e32 v6, 0
	v_mov_b32_e32 v7, v6
	s_mov_b64 s[8:9], 0
	global_store_dwordx4 v[1:2], v[4:7], off
.LBB159_1053:
	s_andn2_b64 vcc, exec, s[8:9]
	s_cbranch_vccnz .LBB159_1055
; %bb.1054:
	s_waitcnt vmcnt(0)
	v_mov_b32_e32 v4, 0
	global_store_dwordx2 v[1:2], v[3:4], off
.LBB159_1055:
	s_mov_b64 s[8:9], 0
.LBB159_1056:
	s_andn2_b64 vcc, exec, s[8:9]
	s_cbranch_vccnz .LBB159_1058
; %bb.1057:
	s_waitcnt vmcnt(0)
	v_cvt_f16_f32_e32 v0, v3
	global_store_dword v[1:2], v0, off
.LBB159_1058:
	s_mov_b64 s[8:9], 0
.LBB159_1059:
	s_andn2_b64 vcc, exec, s[8:9]
	s_cbranch_vccnz .LBB159_1068
; %bb.1060:
	s_sext_i32_i16 s10, s20
	s_cmp_lt_i32 s10, 6
	s_mov_b64 s[8:9], -1
	s_cbranch_scc1 .LBB159_1066
; %bb.1061:
	s_cmp_gt_i32 s10, 6
	s_cbranch_scc0 .LBB159_1063
; %bb.1062:
	s_waitcnt vmcnt(0)
	v_cvt_f64_f32_e32 v[4:5], v3
	s_mov_b64 s[8:9], 0
	global_store_dwordx2 v[1:2], v[4:5], off
.LBB159_1063:
	s_andn2_b64 vcc, exec, s[8:9]
	s_cbranch_vccnz .LBB159_1065
; %bb.1064:
	s_waitcnt vmcnt(0)
	global_store_dword v[1:2], v3, off
.LBB159_1065:
	s_mov_b64 s[8:9], 0
.LBB159_1066:
	s_andn2_b64 vcc, exec, s[8:9]
	s_cbranch_vccnz .LBB159_1068
; %bb.1067:
	s_waitcnt vmcnt(0)
	v_cvt_f16_f32_e32 v0, v3
	global_store_short v[1:2], v0, off
.LBB159_1068:
	s_mov_b64 s[8:9], 0
.LBB159_1069:
	s_andn2_b64 vcc, exec, s[8:9]
	s_cbranch_vccnz .LBB159_1085
; %bb.1070:
	s_sext_i32_i16 s10, s20
	s_cmp_lt_i32 s10, 2
	s_mov_b64 s[8:9], -1
	s_cbranch_scc1 .LBB159_1080
; %bb.1071:
	s_cmp_lt_i32 s10, 3
	s_cbranch_scc1 .LBB159_1077
; %bb.1072:
	s_cmp_gt_i32 s10, 3
	s_cbranch_scc0 .LBB159_1074
; %bb.1073:
	s_waitcnt vmcnt(0)
	v_trunc_f32_e32 v0, v3
	s_mov_b32 s8, 0x2f800000
	v_mul_f32_e64 v4, |v0|, s8
	v_floor_f32_e32 v4, v4
	s_mov_b32 s8, 0xcf800000
	v_cvt_u32_f32_e32 v5, v4
	v_fma_f32 v4, v4, s8, |v0|
	v_cvt_u32_f32_e32 v4, v4
	v_ashrrev_i32_e32 v0, 31, v0
	v_xor_b32_e32 v5, v5, v0
	s_mov_b64 s[8:9], 0
	v_xor_b32_e32 v4, v4, v0
	v_sub_co_u32_e32 v4, vcc, v4, v0
	v_subb_co_u32_e32 v5, vcc, v5, v0, vcc
	global_store_dwordx2 v[1:2], v[4:5], off
.LBB159_1074:
	s_andn2_b64 vcc, exec, s[8:9]
	s_cbranch_vccnz .LBB159_1076
; %bb.1075:
	s_waitcnt vmcnt(0)
	v_cvt_i32_f32_e32 v0, v3
	global_store_dword v[1:2], v0, off
.LBB159_1076:
	s_mov_b64 s[8:9], 0
.LBB159_1077:
	s_andn2_b64 vcc, exec, s[8:9]
	s_cbranch_vccnz .LBB159_1079
; %bb.1078:
	s_waitcnt vmcnt(0)
	v_cvt_i32_f32_e32 v0, v3
	global_store_short v[1:2], v0, off
.LBB159_1079:
	s_mov_b64 s[8:9], 0
.LBB159_1080:
	s_andn2_b64 vcc, exec, s[8:9]
	s_cbranch_vccnz .LBB159_1085
; %bb.1081:
	s_sext_i32_i16 s8, s20
	s_cmp_gt_i32 s8, 0
	s_mov_b64 s[8:9], -1
	s_cbranch_scc0 .LBB159_1083
; %bb.1082:
	s_waitcnt vmcnt(0)
	v_cvt_i32_f32_e32 v0, v3
	s_mov_b64 s[8:9], 0
	global_store_byte v[1:2], v0, off
.LBB159_1083:
	s_andn2_b64 vcc, exec, s[8:9]
	s_cbranch_vccnz .LBB159_1085
; %bb.1084:
	s_waitcnt vmcnt(0)
	v_trunc_f32_e32 v0, v3
	s_mov_b32 s8, 0x2f800000
	v_mul_f32_e64 v3, |v0|, s8
	v_floor_f32_e32 v3, v3
	s_mov_b32 s8, 0xcf800000
	v_fma_f32 v3, v3, s8, |v0|
	v_cvt_u32_f32_e32 v3, v3
	v_ashrrev_i32_e32 v0, 31, v0
	v_xor_b32_e32 v3, v3, v0
	v_sub_u32_e32 v0, v3, v0
	global_store_byte v[1:2], v0, off
.LBB159_1085:
	s_or_b64 exec, exec, s[0:1]
	s_and_b64 s[28:29], s[2:3], exec
                                        ; implicit-def: $vgpr15
                                        ; implicit-def: $vgpr8
.LBB159_1086:
	s_or_saveexec_b64 s[30:31], s[46:47]
	s_mov_b64 s[0:1], 0
                                        ; implicit-def: $vgpr0_vgpr1
                                        ; implicit-def: $sgpr18
                                        ; implicit-def: $vgpr2
	s_xor_b64 exec, exec, s[30:31]
	s_cbranch_execz .LBB159_2090
; %bb.1087:
	v_cndmask_b32_e64 v0, 0, 1, s[44:45]
	v_cmp_ne_u32_e64 s[0:1], 1, v0
	s_andn2_b64 vcc, exec, s[44:45]
	s_cbranch_vccnz .LBB159_1093
; %bb.1088:
	s_cmp_lg_u32 s33, 0
	s_mov_b32 s36, 0
	s_cbranch_scc0 .LBB159_1094
; %bb.1089:
	s_min_u32 s37, s76, 15
	s_add_i32 s37, s37, 1
	s_cmp_eq_u32 s76, 2
	s_cbranch_scc1 .LBB159_1095
; %bb.1090:
	s_and_b32 s36, s37, 28
	s_add_u32 s2, s34, 0xc4
	s_addc_u32 s3, s35, 0
	v_mov_b32_e32 v13, 0
	s_mov_b32 s38, 0
	s_mov_b64 s[6:7], s[34:35]
	v_mov_b32_e32 v6, 0
	v_mov_b32_e32 v0, v8
.LBB159_1091:                           ; =>This Inner Loop Header: Depth=1
	s_load_dwordx8 s[16:23], s[6:7], 0x4
	s_load_dwordx4 s[24:27], s[6:7], 0x24
	s_load_dwordx8 s[8:15], s[2:3], 0x0
	s_add_u32 s6, s6, 48
	s_addc_u32 s7, s7, 0
	s_waitcnt lgkmcnt(0)
	v_mul_hi_u32 v1, s17, v0
	s_add_i32 s38, s38, 4
	s_add_u32 s2, s2, 32
	s_addc_u32 s3, s3, 0
	v_add_u32_e32 v1, v0, v1
	v_lshrrev_b32_e32 v1, s18, v1
	v_mul_lo_u32 v2, v1, s16
	s_waitcnt vmcnt(0)
	v_mul_hi_u32 v3, s20, v1
	s_cmp_lg_u32 s36, s38
	v_sub_u32_e32 v0, v0, v2
	v_add_u32_e32 v2, v1, v3
	v_mul_lo_u32 v3, v0, s8
	v_mul_lo_u32 v4, v0, s9
	v_lshrrev_b32_e32 v0, s21, v2
	v_mul_lo_u32 v2, v0, s19
	v_mul_hi_u32 v5, s23, v0
	v_sub_u32_e32 v1, v1, v2
	v_add_u32_e32 v2, v0, v5
	v_lshrrev_b32_e32 v2, s24, v2
	v_mul_hi_u32 v7, s26, v2
	v_mul_lo_u32 v9, v2, s22
	v_mul_lo_u32 v5, v1, s10
	;; [unrolled: 1-line block ×3, first 2 shown]
	v_sub_u32_e32 v9, v0, v9
	v_add_u32_e32 v0, v2, v7
	v_lshrrev_b32_e32 v0, s27, v0
	v_mul_lo_u32 v7, v0, s25
	v_mul_lo_u32 v10, v9, s12
	;; [unrolled: 1-line block ×3, first 2 shown]
	v_add3_u32 v3, v3, v6, v5
	v_sub_u32_e32 v2, v2, v7
	v_mul_lo_u32 v7, v2, s14
	v_mul_lo_u32 v2, v2, s15
	v_add3_u32 v1, v4, v13, v1
	v_add3_u32 v6, v10, v3, v7
	;; [unrolled: 1-line block ×3, first 2 shown]
	s_cbranch_scc1 .LBB159_1091
; %bb.1092:
	s_and_b32 s8, s37, 3
	s_cmp_eq_u32 s8, 0
	s_cbranch_scc0 .LBB159_1096
	s_branch .LBB159_1098
.LBB159_1093:
                                        ; implicit-def: $vgpr6
                                        ; implicit-def: $vgpr13
	s_branch .LBB159_1099
.LBB159_1094:
	v_mov_b32_e32 v6, 0
	v_mov_b32_e32 v13, 0
	s_branch .LBB159_1098
.LBB159_1095:
	v_mov_b32_e32 v6, 0
	v_mov_b32_e32 v13, 0
	;; [unrolled: 1-line block ×3, first 2 shown]
	s_and_b32 s8, s37, 3
	s_cmp_eq_u32 s8, 0
	s_cbranch_scc1 .LBB159_1098
.LBB159_1096:
	s_lshl_b32 s2, s36, 3
	s_add_u32 s2, s34, s2
	s_addc_u32 s3, s35, 0
	s_add_u32 s2, s2, 0xc4
	s_addc_u32 s3, s3, 0
	s_mul_i32 s6, s36, 12
	s_add_u32 s6, s34, s6
	s_addc_u32 s7, s35, 0
.LBB159_1097:                           ; =>This Inner Loop Header: Depth=1
	s_load_dwordx2 s[10:11], s[6:7], 0x4
	s_load_dword s9, s[6:7], 0xc
	s_load_dwordx2 s[12:13], s[2:3], 0x0
	s_add_u32 s6, s6, 12
	s_addc_u32 s7, s7, 0
	s_waitcnt lgkmcnt(0)
	v_mul_hi_u32 v1, s11, v0
	s_add_u32 s2, s2, 8
	s_addc_u32 s3, s3, 0
	s_add_i32 s8, s8, -1
	v_add_u32_e32 v1, v0, v1
	v_lshrrev_b32_e32 v1, s9, v1
	v_mul_lo_u32 v2, v1, s10
	s_cmp_lg_u32 s8, 0
	v_sub_u32_e32 v0, v0, v2
	v_mad_u64_u32 v[6:7], s[10:11], v0, s12, v[6:7]
	v_mad_u64_u32 v[13:14], s[10:11], v0, s13, v[13:14]
	v_mov_b32_e32 v0, v1
	s_cbranch_scc1 .LBB159_1097
.LBB159_1098:
	s_cbranch_execnz .LBB159_1101
.LBB159_1099:
	s_load_dwordx4 s[8:11], s[34:35], 0x4
	s_load_dwordx2 s[2:3], s[34:35], 0xc4
	s_cmp_lt_u32 s33, 2
	s_waitcnt lgkmcnt(0)
	v_mul_hi_u32 v0, s9, v8
	v_add_u32_e32 v0, v8, v0
	v_lshrrev_b32_e32 v0, s10, v0
	v_mul_lo_u32 v1, v0, s8
	v_sub_u32_e32 v1, v8, v1
	v_mul_lo_u32 v6, v1, s2
	v_mul_lo_u32 v13, v1, s3
	s_cbranch_scc1 .LBB159_1101
; %bb.1100:
	s_load_dwordx4 s[8:11], s[34:35], 0x10
	s_load_dwordx2 s[2:3], s[34:35], 0xcc
	s_waitcnt lgkmcnt(0)
	v_mul_hi_u32 v1, s9, v0
	v_add_u32_e32 v1, v0, v1
	v_lshrrev_b32_e32 v1, s10, v1
	v_mul_lo_u32 v1, v1, s8
	v_sub_u32_e32 v0, v0, v1
	v_mad_u64_u32 v[6:7], s[6:7], v0, s2, v[6:7]
	v_mad_u64_u32 v[13:14], s[2:3], v0, s3, v[13:14]
.LBB159_1101:
	s_and_b64 vcc, exec, s[0:1]
	v_add_u32_e32 v0, 0x80, v8
	s_cbranch_vccnz .LBB159_1107
; %bb.1102:
	s_cmp_lg_u32 s33, 0
	s_mov_b32 s36, 0
	s_cbranch_scc0 .LBB159_1108
; %bb.1103:
	s_min_u32 s37, s76, 15
	s_add_i32 s37, s37, 1
	s_cmp_eq_u32 s76, 2
	s_cbranch_scc1 .LBB159_1109
; %bb.1104:
	s_and_b32 s36, s37, 28
	s_add_u32 s2, s34, 0xc4
	s_addc_u32 s3, s35, 0
	v_mov_b32_e32 v11, 0
	s_mov_b32 s38, 0
	s_mov_b64 s[6:7], s[34:35]
	s_waitcnt vmcnt(0)
	v_mov_b32_e32 v4, 0
	v_mov_b32_e32 v1, v0
.LBB159_1105:                           ; =>This Inner Loop Header: Depth=1
	s_load_dwordx8 s[16:23], s[6:7], 0x4
	s_load_dwordx4 s[24:27], s[6:7], 0x24
	s_load_dwordx8 s[8:15], s[2:3], 0x0
	s_add_u32 s6, s6, 48
	s_addc_u32 s7, s7, 0
	s_waitcnt lgkmcnt(0)
	v_mul_hi_u32 v2, s17, v1
	s_add_i32 s38, s38, 4
	s_add_u32 s2, s2, 32
	s_addc_u32 s3, s3, 0
	v_add_u32_e32 v2, v1, v2
	v_lshrrev_b32_e32 v2, s18, v2
	v_mul_lo_u32 v3, v2, s16
	v_mul_hi_u32 v5, s20, v2
	s_cmp_lg_u32 s36, s38
	v_sub_u32_e32 v1, v1, v3
	v_add_u32_e32 v3, v2, v5
	v_mul_lo_u32 v5, v1, s8
	v_mul_lo_u32 v7, v1, s9
	v_lshrrev_b32_e32 v1, s21, v3
	v_mul_lo_u32 v3, v1, s19
	v_mul_hi_u32 v9, s23, v1
	v_sub_u32_e32 v2, v2, v3
	v_add_u32_e32 v3, v1, v9
	v_lshrrev_b32_e32 v3, s24, v3
	v_mul_hi_u32 v10, s26, v3
	v_mul_lo_u32 v12, v3, s22
	v_mul_lo_u32 v9, v2, s10
	;; [unrolled: 1-line block ×3, first 2 shown]
	v_sub_u32_e32 v12, v1, v12
	v_add_u32_e32 v1, v3, v10
	v_lshrrev_b32_e32 v1, s27, v1
	v_mul_lo_u32 v10, v1, s25
	v_mul_lo_u32 v14, v12, s12
	;; [unrolled: 1-line block ×3, first 2 shown]
	v_add3_u32 v4, v5, v4, v9
	v_sub_u32_e32 v3, v3, v10
	v_mul_lo_u32 v10, v3, s14
	v_mul_lo_u32 v3, v3, s15
	v_add3_u32 v2, v7, v11, v2
	v_add3_u32 v4, v14, v4, v10
	;; [unrolled: 1-line block ×3, first 2 shown]
	s_cbranch_scc1 .LBB159_1105
; %bb.1106:
	s_and_b32 s8, s37, 3
	s_cmp_eq_u32 s8, 0
	s_cbranch_scc0 .LBB159_1110
	s_branch .LBB159_1112
.LBB159_1107:
                                        ; implicit-def: $vgpr4
                                        ; implicit-def: $vgpr11
	s_branch .LBB159_1113
.LBB159_1108:
	s_waitcnt vmcnt(0)
	v_mov_b32_e32 v4, 0
	v_mov_b32_e32 v11, 0
	s_branch .LBB159_1112
.LBB159_1109:
	s_waitcnt vmcnt(0)
	v_mov_b32_e32 v4, 0
	v_mov_b32_e32 v11, 0
	;; [unrolled: 1-line block ×3, first 2 shown]
	s_and_b32 s8, s37, 3
	s_cmp_eq_u32 s8, 0
	s_cbranch_scc1 .LBB159_1112
.LBB159_1110:
	s_lshl_b32 s2, s36, 3
	s_add_u32 s2, s34, s2
	s_addc_u32 s3, s35, 0
	s_add_u32 s2, s2, 0xc4
	s_addc_u32 s3, s3, 0
	s_mul_i32 s6, s36, 12
	s_add_u32 s6, s34, s6
	s_addc_u32 s7, s35, 0
.LBB159_1111:                           ; =>This Inner Loop Header: Depth=1
	s_load_dwordx2 s[10:11], s[6:7], 0x4
	s_load_dword s9, s[6:7], 0xc
	s_load_dwordx2 s[12:13], s[2:3], 0x0
	s_add_u32 s6, s6, 12
	s_addc_u32 s7, s7, 0
	s_waitcnt lgkmcnt(0)
	v_mul_hi_u32 v2, s11, v1
	s_add_u32 s2, s2, 8
	s_addc_u32 s3, s3, 0
	s_add_i32 s8, s8, -1
	v_add_u32_e32 v2, v1, v2
	v_lshrrev_b32_e32 v2, s9, v2
	v_mul_lo_u32 v3, v2, s10
	s_cmp_lg_u32 s8, 0
	v_sub_u32_e32 v1, v1, v3
	v_mad_u64_u32 v[4:5], s[10:11], v1, s12, v[4:5]
	v_mad_u64_u32 v[11:12], s[10:11], v1, s13, v[11:12]
	v_mov_b32_e32 v1, v2
	s_cbranch_scc1 .LBB159_1111
.LBB159_1112:
	s_cbranch_execnz .LBB159_1115
.LBB159_1113:
	s_load_dwordx4 s[8:11], s[34:35], 0x4
	s_load_dwordx2 s[2:3], s[34:35], 0xc4
	s_cmp_lt_u32 s33, 2
	s_waitcnt lgkmcnt(0)
	v_mul_hi_u32 v1, s9, v0
	v_add_u32_e32 v1, v0, v1
	v_lshrrev_b32_e32 v1, s10, v1
	v_mul_lo_u32 v2, v1, s8
	v_sub_u32_e32 v0, v0, v2
	s_waitcnt vmcnt(0)
	v_mul_lo_u32 v4, v0, s2
	v_mul_lo_u32 v11, v0, s3
	s_cbranch_scc1 .LBB159_1115
; %bb.1114:
	s_load_dwordx4 s[8:11], s[34:35], 0x10
	s_load_dwordx2 s[2:3], s[34:35], 0xcc
	s_waitcnt lgkmcnt(0)
	v_mul_hi_u32 v0, s9, v1
	v_add_u32_e32 v0, v1, v0
	v_lshrrev_b32_e32 v0, s10, v0
	v_mul_lo_u32 v0, v0, s8
	v_sub_u32_e32 v0, v1, v0
	v_mad_u64_u32 v[4:5], s[6:7], v0, s2, v[4:5]
	v_mad_u64_u32 v[11:12], s[2:3], v0, s3, v[11:12]
.LBB159_1115:
	s_and_b64 vcc, exec, s[0:1]
	v_add_u32_e32 v0, 0x100, v8
	s_cbranch_vccnz .LBB159_1121
; %bb.1116:
	s_cmp_lg_u32 s33, 0
	s_mov_b32 s36, 0
	s_cbranch_scc0 .LBB159_1122
; %bb.1117:
	s_min_u32 s37, s76, 15
	s_add_i32 s37, s37, 1
	s_cmp_eq_u32 s76, 2
	s_cbranch_scc1 .LBB159_1123
; %bb.1118:
	s_and_b32 s36, s37, 28
	s_add_u32 s2, s34, 0xc4
	s_addc_u32 s3, s35, 0
	v_mov_b32_e32 v9, 0
	s_mov_b32 s38, 0
	s_mov_b64 s[6:7], s[34:35]
	v_mov_b32_e32 v2, 0
	v_mov_b32_e32 v1, v0
.LBB159_1119:                           ; =>This Inner Loop Header: Depth=1
	s_load_dwordx8 s[16:23], s[6:7], 0x4
	s_load_dwordx4 s[24:27], s[6:7], 0x24
	s_load_dwordx8 s[8:15], s[2:3], 0x0
	s_add_u32 s6, s6, 48
	s_addc_u32 s7, s7, 0
	s_waitcnt vmcnt(0) lgkmcnt(0)
	v_mul_hi_u32 v3, s17, v1
	s_add_i32 s38, s38, 4
	s_add_u32 s2, s2, 32
	s_addc_u32 s3, s3, 0
	v_add_u32_e32 v3, v1, v3
	v_lshrrev_b32_e32 v3, s18, v3
	v_mul_lo_u32 v5, v3, s16
	v_mul_hi_u32 v7, s20, v3
	s_cmp_lg_u32 s36, s38
	v_sub_u32_e32 v1, v1, v5
	v_add_u32_e32 v5, v3, v7
	v_mul_lo_u32 v7, v1, s8
	v_mul_lo_u32 v8, v1, s9
	v_lshrrev_b32_e32 v1, s21, v5
	v_mul_lo_u32 v5, v1, s19
	v_mul_hi_u32 v10, s23, v1
	v_sub_u32_e32 v3, v3, v5
	v_add_u32_e32 v5, v1, v10
	v_lshrrev_b32_e32 v5, s24, v5
	v_mul_hi_u32 v12, s26, v5
	v_mul_lo_u32 v14, v5, s22
	v_mul_lo_u32 v10, v3, s10
	;; [unrolled: 1-line block ×3, first 2 shown]
	v_sub_u32_e32 v14, v1, v14
	v_add_u32_e32 v1, v5, v12
	v_lshrrev_b32_e32 v1, s27, v1
	v_mul_lo_u32 v12, v1, s25
	v_mul_lo_u32 v16, v14, s12
	v_mul_lo_u32 v14, v14, s13
	v_add3_u32 v2, v7, v2, v10
	v_sub_u32_e32 v5, v5, v12
	v_mul_lo_u32 v12, v5, s14
	v_mul_lo_u32 v5, v5, s15
	v_add3_u32 v3, v8, v9, v3
	v_add3_u32 v2, v16, v2, v12
	;; [unrolled: 1-line block ×3, first 2 shown]
	s_cbranch_scc1 .LBB159_1119
; %bb.1120:
	s_and_b32 s8, s37, 3
	s_cmp_eq_u32 s8, 0
	s_cbranch_scc0 .LBB159_1124
	s_branch .LBB159_1126
.LBB159_1121:
                                        ; implicit-def: $vgpr2
                                        ; implicit-def: $vgpr9
	s_branch .LBB159_1127
.LBB159_1122:
	v_mov_b32_e32 v2, 0
	v_mov_b32_e32 v9, 0
	s_branch .LBB159_1126
.LBB159_1123:
	v_mov_b32_e32 v2, 0
	v_mov_b32_e32 v9, 0
	;; [unrolled: 1-line block ×3, first 2 shown]
	s_and_b32 s8, s37, 3
	s_cmp_eq_u32 s8, 0
	s_cbranch_scc1 .LBB159_1126
.LBB159_1124:
	s_lshl_b32 s2, s36, 3
	s_add_u32 s2, s34, s2
	s_addc_u32 s3, s35, 0
	s_add_u32 s2, s2, 0xc4
	s_addc_u32 s3, s3, 0
	s_mul_i32 s6, s36, 12
	s_add_u32 s6, s34, s6
	s_addc_u32 s7, s35, 0
.LBB159_1125:                           ; =>This Inner Loop Header: Depth=1
	s_load_dwordx2 s[10:11], s[6:7], 0x4
	s_load_dword s9, s[6:7], 0xc
	s_load_dwordx2 s[12:13], s[2:3], 0x0
	s_add_u32 s6, s6, 12
	s_addc_u32 s7, s7, 0
	s_waitcnt vmcnt(0) lgkmcnt(0)
	v_mul_hi_u32 v3, s11, v1
	s_add_u32 s2, s2, 8
	s_addc_u32 s3, s3, 0
	s_add_i32 s8, s8, -1
	v_add_u32_e32 v3, v1, v3
	v_lshrrev_b32_e32 v5, s9, v3
	v_mul_lo_u32 v3, v5, s10
	s_cmp_lg_u32 s8, 0
	v_sub_u32_e32 v1, v1, v3
	v_mad_u64_u32 v[2:3], s[10:11], v1, s12, v[2:3]
	v_mad_u64_u32 v[9:10], s[10:11], v1, s13, v[9:10]
	v_mov_b32_e32 v1, v5
	s_cbranch_scc1 .LBB159_1125
.LBB159_1126:
	s_cbranch_execnz .LBB159_1129
.LBB159_1127:
	s_load_dwordx4 s[8:11], s[34:35], 0x4
	s_load_dwordx2 s[2:3], s[34:35], 0xc4
	s_cmp_lt_u32 s33, 2
	s_waitcnt lgkmcnt(0)
	v_mul_hi_u32 v1, s9, v0
	v_add_u32_e32 v1, v0, v1
	v_lshrrev_b32_e32 v1, s10, v1
	v_mul_lo_u32 v2, v1, s8
	v_sub_u32_e32 v0, v0, v2
	v_mul_lo_u32 v2, v0, s2
	v_mul_lo_u32 v9, v0, s3
	s_cbranch_scc1 .LBB159_1129
; %bb.1128:
	s_load_dwordx4 s[8:11], s[34:35], 0x10
	s_load_dwordx2 s[2:3], s[34:35], 0xcc
	s_waitcnt lgkmcnt(0)
	v_mul_hi_u32 v0, s9, v1
	v_add_u32_e32 v0, v1, v0
	v_lshrrev_b32_e32 v0, s10, v0
	v_mul_lo_u32 v0, v0, s8
	v_sub_u32_e32 v0, v1, v0
	s_waitcnt vmcnt(0)
	v_mad_u64_u32 v[2:3], s[6:7], v0, s2, v[2:3]
	v_mad_u64_u32 v[9:10], s[2:3], v0, s3, v[9:10]
.LBB159_1129:
	s_and_b64 vcc, exec, s[0:1]
	s_cbranch_vccnz .LBB159_1135
; %bb.1130:
	s_cmp_lg_u32 s33, 0
	s_mov_b32 s26, 0
	s_cbranch_scc0 .LBB159_1136
; %bb.1131:
	s_min_u32 s27, s76, 15
	s_add_i32 s27, s27, 1
	s_cmp_eq_u32 s76, 2
	s_cbranch_scc1 .LBB159_1137
; %bb.1132:
	s_and_b32 s26, s27, 28
	s_add_u32 s6, s34, 0xc4
	s_addc_u32 s7, s35, 0
	v_mov_b32_e32 v7, 0
	s_mov_b32 s36, 0
	s_mov_b64 s[24:25], s[34:35]
	v_mov_b32_e32 v0, 0
	v_mov_b32_e32 v1, v15
.LBB159_1133:                           ; =>This Inner Loop Header: Depth=1
	s_load_dwordx8 s[16:23], s[24:25], 0x4
	s_load_dwordx4 s[0:3], s[24:25], 0x24
	s_load_dwordx8 s[8:15], s[6:7], 0x0
	s_add_u32 s24, s24, 48
	s_addc_u32 s25, s25, 0
	s_waitcnt vmcnt(0) lgkmcnt(0)
	v_mul_hi_u32 v3, s17, v1
	s_add_i32 s36, s36, 4
	s_add_u32 s6, s6, 32
	s_addc_u32 s7, s7, 0
	v_add_u32_e32 v3, v1, v3
	v_lshrrev_b32_e32 v3, s18, v3
	v_mul_lo_u32 v5, v3, s16
	v_mul_hi_u32 v8, s20, v3
	s_cmp_lg_u32 s26, s36
	v_sub_u32_e32 v1, v1, v5
	v_add_u32_e32 v5, v3, v8
	v_mul_lo_u32 v8, v1, s8
	v_mul_lo_u32 v10, v1, s9
	v_lshrrev_b32_e32 v1, s21, v5
	v_mul_lo_u32 v5, v1, s19
	v_mul_hi_u32 v12, s23, v1
	v_sub_u32_e32 v3, v3, v5
	v_add_u32_e32 v5, v1, v12
	v_lshrrev_b32_e32 v5, s0, v5
	v_mul_hi_u32 v14, s2, v5
	v_mul_lo_u32 v16, v5, s22
	v_mul_lo_u32 v12, v3, s10
	;; [unrolled: 1-line block ×3, first 2 shown]
	v_sub_u32_e32 v16, v1, v16
	v_add_u32_e32 v1, v5, v14
	v_lshrrev_b32_e32 v1, s3, v1
	v_mul_lo_u32 v14, v1, s1
	v_mul_lo_u32 v17, v16, s12
	;; [unrolled: 1-line block ×3, first 2 shown]
	v_add3_u32 v0, v8, v0, v12
	v_sub_u32_e32 v5, v5, v14
	v_mul_lo_u32 v14, v5, s14
	v_mul_lo_u32 v5, v5, s15
	v_add3_u32 v3, v10, v7, v3
	v_add3_u32 v0, v17, v0, v14
	;; [unrolled: 1-line block ×3, first 2 shown]
	s_cbranch_scc1 .LBB159_1133
; %bb.1134:
	s_and_b32 s6, s27, 3
	s_cmp_eq_u32 s6, 0
	s_cbranch_scc0 .LBB159_1138
	s_branch .LBB159_1140
.LBB159_1135:
                                        ; implicit-def: $vgpr0
                                        ; implicit-def: $vgpr7
	s_branch .LBB159_1141
.LBB159_1136:
	v_mov_b32_e32 v0, 0
	v_mov_b32_e32 v7, 0
	s_branch .LBB159_1140
.LBB159_1137:
	v_mov_b32_e32 v0, 0
	v_mov_b32_e32 v7, 0
	;; [unrolled: 1-line block ×3, first 2 shown]
	s_and_b32 s6, s27, 3
	s_cmp_eq_u32 s6, 0
	s_cbranch_scc1 .LBB159_1140
.LBB159_1138:
	s_lshl_b32 s0, s26, 3
	s_add_u32 s0, s34, s0
	s_addc_u32 s1, s35, 0
	s_add_u32 s0, s0, 0xc4
	s_addc_u32 s1, s1, 0
	s_mul_i32 s2, s26, 12
	s_add_u32 s2, s34, s2
	s_addc_u32 s3, s35, 0
.LBB159_1139:                           ; =>This Inner Loop Header: Depth=1
	s_load_dwordx2 s[8:9], s[2:3], 0x4
	s_load_dword s7, s[2:3], 0xc
	s_load_dwordx2 s[10:11], s[0:1], 0x0
	s_add_u32 s2, s2, 12
	s_addc_u32 s3, s3, 0
	s_waitcnt vmcnt(0) lgkmcnt(0)
	v_mul_hi_u32 v3, s9, v1
	s_add_u32 s0, s0, 8
	s_addc_u32 s1, s1, 0
	s_add_i32 s6, s6, -1
	v_add_u32_e32 v3, v1, v3
	v_lshrrev_b32_e32 v3, s7, v3
	v_mul_lo_u32 v5, v3, s8
	s_cmp_lg_u32 s6, 0
	v_sub_u32_e32 v5, v1, v5
	v_mad_u64_u32 v[0:1], s[8:9], v5, s10, v[0:1]
	v_mad_u64_u32 v[7:8], s[8:9], v5, s11, v[7:8]
	v_mov_b32_e32 v1, v3
	s_cbranch_scc1 .LBB159_1139
.LBB159_1140:
	s_cbranch_execnz .LBB159_1143
.LBB159_1141:
	s_load_dwordx4 s[0:3], s[34:35], 0x4
	s_load_dwordx2 s[6:7], s[34:35], 0xc4
	s_cmp_lt_u32 s33, 2
	s_waitcnt lgkmcnt(0)
	v_mul_hi_u32 v0, s1, v15
	v_add_u32_e32 v0, v15, v0
	v_lshrrev_b32_e32 v1, s2, v0
	v_mul_lo_u32 v0, v1, s0
	s_waitcnt vmcnt(0)
	v_sub_u32_e32 v3, v15, v0
	v_mul_lo_u32 v0, v3, s6
	v_mul_lo_u32 v7, v3, s7
	s_cbranch_scc1 .LBB159_1143
; %bb.1142:
	s_load_dwordx4 s[0:3], s[34:35], 0x10
	s_load_dwordx2 s[6:7], s[34:35], 0xcc
	s_waitcnt lgkmcnt(0)
	v_mul_hi_u32 v3, s1, v1
	v_add_u32_e32 v3, v1, v3
	v_lshrrev_b32_e32 v3, s2, v3
	v_mul_lo_u32 v3, v3, s0
	v_sub_u32_e32 v3, v1, v3
	v_mad_u64_u32 v[0:1], s[0:1], v3, s6, v[0:1]
	v_mad_u64_u32 v[7:8], s[0:1], v3, s7, v[7:8]
.LBB159_1143:
	s_load_dwordx4 s[8:11], s[34:35], 0x148
	s_load_dword s14, s[4:5], 0x16c
	s_waitcnt lgkmcnt(0)
	v_mov_b32_e32 v1, s11
	s_bfe_u32 s15, s14, 0x80008
	v_add_co_u32_e32 v12, vcc, s10, v13
	s_cmp_lt_i32 s15, 11
	v_addc_co_u32_e32 v13, vcc, 0, v1, vcc
	s_cbranch_scc1 .LBB159_1150
; %bb.1144:
	s_and_b32 s16, 0xffff, s15
	s_cmp_gt_i32 s16, 25
	s_mov_b64 s[4:5], 0
	s_cbranch_scc0 .LBB159_1152
; %bb.1145:
	s_cmp_gt_i32 s16, 28
	s_cbranch_scc0 .LBB159_1153
; %bb.1146:
	s_cmp_gt_i32 s16, 43
	;; [unrolled: 3-line block ×3, first 2 shown]
	s_cbranch_scc0 .LBB159_1155
; %bb.1148:
	s_cmp_eq_u32 s16, 46
	s_mov_b64 s[2:3], 0
	s_cbranch_scc0 .LBB159_1158
; %bb.1149:
	global_load_dword v1, v[12:13], off
	s_mov_b64 s[0:1], 0
	s_mov_b64 s[6:7], -1
	s_waitcnt vmcnt(0)
	v_lshlrev_b32_e32 v1, 16, v1
	s_branch .LBB159_1159
.LBB159_1150:
	s_mov_b64 s[6:7], 0
                                        ; implicit-def: $vgpr1
	s_mov_b64 s[2:3], s[28:29]
	s_cbranch_execnz .LBB159_1222
.LBB159_1151:
	s_andn2_b64 vcc, exec, s[6:7]
	s_cbranch_vccz .LBB159_1267
	s_branch .LBB159_2088
.LBB159_1152:
	s_mov_b64 s[6:7], 0
	s_mov_b64 s[0:1], 0
                                        ; implicit-def: $vgpr1
	s_cbranch_execnz .LBB159_1187
	s_branch .LBB159_1218
.LBB159_1153:
	s_mov_b64 s[2:3], -1
	s_mov_b64 s[6:7], 0
	s_mov_b64 s[0:1], 0
                                        ; implicit-def: $vgpr1
	s_branch .LBB159_1168
.LBB159_1154:
	s_mov_b64 s[6:7], 0
	s_mov_b64 s[0:1], 0
                                        ; implicit-def: $vgpr1
	s_cbranch_execnz .LBB159_1164
	s_branch .LBB159_1167
.LBB159_1155:
	s_mov_b64 s[2:3], -1
	s_mov_b64 s[6:7], 0
	s_mov_b64 s[0:1], 0
                                        ; implicit-def: $vgpr1
	s_branch .LBB159_1159
.LBB159_1156:
	s_andn2_saveexec_b64 s[14:15], s[14:15]
	s_cbranch_execz .LBB159_999
.LBB159_1157:
	s_mov_b32 s16, 0x46000000
	v_add_f32_e64 v0, |v3|, s16
	v_and_b32_e32 v0, 0xff, v0
	v_cmp_ne_u32_e32 vcc, 0, v0
	s_andn2_b64 s[12:13], s[12:13], exec
	s_and_b64 s[16:17], vcc, exec
	s_or_b64 s[12:13], s[12:13], s[16:17]
	s_or_b64 exec, exec, s[14:15]
	v_mov_b32_e32 v4, 0
	s_and_saveexec_b64 s[14:15], s[12:13]
	s_cbranch_execnz .LBB159_1000
	s_branch .LBB159_1001
.LBB159_1158:
	s_mov_b64 s[0:1], -1
                                        ; implicit-def: $vgpr1
	s_mov_b64 s[6:7], 0
.LBB159_1159:
	s_and_b64 vcc, exec, s[2:3]
	s_cbranch_vccz .LBB159_1162
; %bb.1160:
	s_cmp_eq_u32 s16, 44
	s_cbranch_scc0 .LBB159_1163
; %bb.1161:
	global_load_ubyte v1, v[12:13], off
	s_movk_i32 s2, 0xff
	s_waitcnt vmcnt(1)
	v_mov_b32_e32 v3, 0x7f800001
	v_mov_b32_e32 v5, 0x400000
	s_mov_b64 s[0:1], 0
	s_mov_b64 s[6:7], -1
	s_waitcnt vmcnt(0)
	v_lshlrev_b32_e32 v8, 23, v1
	v_cmp_ne_u32_e32 vcc, s2, v1
	v_cndmask_b32_e32 v3, v3, v8, vcc
	v_cmp_ne_u32_e32 vcc, 0, v1
	v_cndmask_b32_e32 v1, v5, v3, vcc
.LBB159_1162:
	s_branch .LBB159_1167
.LBB159_1163:
	s_mov_b64 s[0:1], -1
                                        ; implicit-def: $vgpr1
	s_branch .LBB159_1167
.LBB159_1164:
	s_cmp_eq_u32 s16, 29
	s_cbranch_scc0 .LBB159_1166
; %bb.1165:
	global_load_dwordx2 v[14:15], v[12:13], off
	s_mov_b64 s[0:1], 0
	s_mov_b64 s[6:7], -1
	s_mov_b64 s[2:3], 0
	s_waitcnt vmcnt(0)
	v_ffbh_u32_e32 v1, v15
	v_min_u32_e32 v1, 32, v1
	v_lshlrev_b64 v[14:15], v1, v[14:15]
	v_sub_u32_e32 v1, 32, v1
	v_min_u32_e32 v3, 1, v14
	v_or_b32_e32 v3, v15, v3
	v_cvt_f32_u32_e32 v3, v3
	v_ldexp_f32 v1, v3, v1
	s_branch .LBB159_1168
.LBB159_1166:
	s_mov_b64 s[0:1], -1
                                        ; implicit-def: $vgpr1
.LBB159_1167:
	s_mov_b64 s[2:3], 0
.LBB159_1168:
	s_and_b64 vcc, exec, s[2:3]
	s_cbranch_vccz .LBB159_1186
; %bb.1169:
	s_cmp_lt_i32 s16, 27
	s_cbranch_scc1 .LBB159_1172
; %bb.1170:
	s_cmp_gt_i32 s16, 27
	s_cbranch_scc0 .LBB159_1173
; %bb.1171:
	global_load_dword v1, v[12:13], off
	s_mov_b64 s[2:3], 0
	s_waitcnt vmcnt(0)
	v_cvt_f32_u32_e32 v1, v1
	s_branch .LBB159_1174
.LBB159_1172:
	s_mov_b64 s[2:3], -1
                                        ; implicit-def: $vgpr1
	s_branch .LBB159_1177
.LBB159_1173:
	s_mov_b64 s[2:3], -1
                                        ; implicit-def: $vgpr1
.LBB159_1174:
	s_andn2_b64 vcc, exec, s[2:3]
	s_cbranch_vccnz .LBB159_1176
; %bb.1175:
	global_load_ushort v1, v[12:13], off
	s_waitcnt vmcnt(0)
	v_cvt_f32_u32_e32 v1, v1
.LBB159_1176:
	s_mov_b64 s[2:3], 0
.LBB159_1177:
	s_andn2_b64 vcc, exec, s[2:3]
	s_cbranch_vccnz .LBB159_1185
; %bb.1178:
	global_load_ubyte v3, v[12:13], off
	s_movk_i32 s2, 0x7f
	s_waitcnt vmcnt(0)
	v_cmp_lt_i16_e32 vcc, s2, v3
	s_mov_b64 s[2:3], 0
	s_and_saveexec_b64 s[6:7], vcc
	s_xor_b64 s[6:7], exec, s[6:7]
	s_cbranch_execz .LBB159_1198
; %bb.1179:
	s_movk_i32 s2, 0x80
	v_cmp_eq_u16_e32 vcc, s2, v3
	s_mov_b64 s[2:3], -1
	s_and_saveexec_b64 s[12:13], vcc
; %bb.1180:
	s_xor_b64 s[2:3], exec, -1
; %bb.1181:
	s_or_b64 exec, exec, s[12:13]
	s_and_b64 s[2:3], s[2:3], exec
	s_or_saveexec_b64 s[6:7], s[6:7]
	v_mov_b32_e32 v1, 0x7f800001
	s_xor_b64 exec, exec, s[6:7]
	s_cbranch_execnz .LBB159_1199
.LBB159_1182:
	s_or_b64 exec, exec, s[6:7]
	s_and_saveexec_b64 s[6:7], s[2:3]
	s_cbranch_execz .LBB159_1184
.LBB159_1183:
	v_lshlrev_b32_e32 v1, 24, v3
	v_and_b32_e32 v3, 0xffff, v3
	v_and_b32_e32 v5, 7, v3
	v_ffbh_u32_e32 v10, v5
	v_min_u32_e32 v10, 32, v10
	v_subrev_u32_e32 v14, 28, v10
	v_bfe_u32 v8, v3, 3, 4
	v_lshlrev_b32_e32 v3, v14, v3
	v_sub_u32_e32 v10, 29, v10
	v_and_b32_e32 v3, 7, v3
	v_cmp_eq_u32_e32 vcc, 0, v8
	v_cndmask_b32_e32 v8, v8, v10, vcc
	v_cndmask_b32_e32 v3, v5, v3, vcc
	v_mov_b32_e32 v5, 0x3b800000
	v_lshlrev_b32_e32 v3, 20, v3
	v_and_b32_e32 v1, 0x80000000, v1
	v_lshl_add_u32 v5, v8, 23, v5
	v_or3_b32 v1, v1, v5, v3
.LBB159_1184:
	s_or_b64 exec, exec, s[6:7]
.LBB159_1185:
	s_mov_b64 s[6:7], -1
.LBB159_1186:
	s_branch .LBB159_1218
.LBB159_1187:
	s_cmp_gt_i32 s16, 22
	s_cbranch_scc0 .LBB159_1197
; %bb.1188:
	s_cmp_lt_i32 s16, 24
	s_cbranch_scc1 .LBB159_1200
; %bb.1189:
	s_cmp_gt_i32 s16, 24
	s_cbranch_scc0 .LBB159_1201
; %bb.1190:
	global_load_ubyte v3, v[12:13], off
	s_movk_i32 s2, 0x7f
	s_waitcnt vmcnt(0)
	v_cmp_lt_i16_e32 vcc, s2, v3
	s_mov_b64 s[2:3], 0
	s_and_saveexec_b64 s[4:5], vcc
	s_xor_b64 s[4:5], exec, s[4:5]
	s_cbranch_execz .LBB159_1212
; %bb.1191:
	s_movk_i32 s2, 0x80
	v_cmp_eq_u16_e32 vcc, s2, v3
	s_mov_b64 s[2:3], -1
	s_and_saveexec_b64 s[6:7], vcc
; %bb.1192:
	s_xor_b64 s[2:3], exec, -1
; %bb.1193:
	s_or_b64 exec, exec, s[6:7]
	s_and_b64 s[2:3], s[2:3], exec
	s_or_saveexec_b64 s[4:5], s[4:5]
	v_mov_b32_e32 v1, 0x7f800001
	s_xor_b64 exec, exec, s[4:5]
	s_cbranch_execnz .LBB159_1213
.LBB159_1194:
	s_or_b64 exec, exec, s[4:5]
	s_and_saveexec_b64 s[4:5], s[2:3]
	s_cbranch_execz .LBB159_1196
.LBB159_1195:
	v_lshlrev_b32_e32 v1, 24, v3
	v_and_b32_e32 v3, 0xffff, v3
	v_and_b32_e32 v5, 3, v3
	v_ffbh_u32_e32 v10, v5
	v_min_u32_e32 v10, 32, v10
	v_subrev_u32_e32 v14, 29, v10
	v_bfe_u32 v8, v3, 2, 5
	v_lshlrev_b32_e32 v3, v14, v3
	v_sub_u32_e32 v10, 30, v10
	v_and_b32_e32 v3, 3, v3
	v_cmp_eq_u32_e32 vcc, 0, v8
	v_cndmask_b32_e32 v8, v8, v10, vcc
	v_cndmask_b32_e32 v3, v5, v3, vcc
	v_mov_b32_e32 v5, 0x37800000
	v_lshlrev_b32_e32 v3, 21, v3
	v_and_b32_e32 v1, 0x80000000, v1
	v_lshl_add_u32 v5, v8, 23, v5
	v_or3_b32 v1, v1, v5, v3
.LBB159_1196:
	s_or_b64 exec, exec, s[4:5]
	s_mov_b64 s[2:3], 0
	s_branch .LBB159_1202
.LBB159_1197:
                                        ; implicit-def: $vgpr1
	s_mov_b64 s[4:5], 0
	s_branch .LBB159_1208
.LBB159_1198:
	s_or_saveexec_b64 s[6:7], s[6:7]
	v_mov_b32_e32 v1, 0x7f800001
	s_xor_b64 exec, exec, s[6:7]
	s_cbranch_execz .LBB159_1182
.LBB159_1199:
	v_cmp_ne_u16_e32 vcc, 0, v3
	s_andn2_b64 s[2:3], s[2:3], exec
	s_and_b64 s[12:13], vcc, exec
	v_mov_b32_e32 v1, 0
	s_or_b64 s[2:3], s[2:3], s[12:13]
	s_or_b64 exec, exec, s[6:7]
	s_and_saveexec_b64 s[6:7], s[2:3]
	s_cbranch_execnz .LBB159_1183
	s_branch .LBB159_1184
.LBB159_1200:
	s_mov_b64 s[2:3], -1
                                        ; implicit-def: $vgpr1
	s_branch .LBB159_1205
.LBB159_1201:
	s_mov_b64 s[2:3], -1
                                        ; implicit-def: $vgpr1
.LBB159_1202:
	s_and_b64 vcc, exec, s[2:3]
	s_cbranch_vccz .LBB159_1204
; %bb.1203:
	global_load_ubyte v1, v[12:13], off
	s_mov_b32 s2, 0x7f800000
	s_waitcnt vmcnt(0)
	v_lshlrev_b32_e32 v1, 24, v1
	v_and_b32_e32 v3, 0x7f000000, v1
	v_ffbh_u32_e32 v5, v3
	v_min_u32_e32 v5, 32, v5
	v_sub_u32_e64 v5, v5, 4 clamp
	v_lshlrev_b32_e32 v10, v5, v3
	v_lshlrev_b32_e32 v5, 23, v5
	v_lshrrev_b32_e32 v10, 4, v10
	v_add_u32_e32 v8, 0x1000000, v3
	v_sub_u32_e32 v5, v10, v5
	v_ashrrev_i32_e32 v8, 8, v8
	v_add_u32_e32 v5, 0x3c000000, v5
	v_and_or_b32 v5, v8, s2, v5
	v_cmp_ne_u32_e32 vcc, 0, v3
	v_cndmask_b32_e32 v3, 0, v5, vcc
	s_brev_b32 s2, 1
	v_and_or_b32 v1, v1, s2, v3
.LBB159_1204:
	s_mov_b64 s[2:3], 0
.LBB159_1205:
	s_andn2_b64 vcc, exec, s[2:3]
	s_cbranch_vccnz .LBB159_1207
; %bb.1206:
	global_load_ubyte v1, v[12:13], off
	s_movk_i32 s2, 0x7f00
	s_brev_b32 s3, 16
	s_waitcnt vmcnt(0)
	v_lshlrev_b16_e32 v3, 8, v1
	v_lshlrev_b32_e32 v1, 25, v1
	v_lshrrev_b32_e32 v5, 4, v1
	v_and_or_b32 v8, v3, s2, 0.5
	v_or_b32_e32 v5, 0x70000000, v5
	v_add_f32_e32 v8, -0.5, v8
	v_mul_f32_e32 v5, 0x7800000, v5
	v_cmp_gt_u32_e32 vcc, s3, v1
	v_bfe_i32 v3, v3, 0, 16
	v_cndmask_b32_e32 v1, v5, v8, vcc
	s_brev_b32 s2, 1
	v_and_or_b32 v1, v3, s2, v1
.LBB159_1207:
	s_mov_b64 s[6:7], -1
	s_mov_b64 s[4:5], 0
	s_cbranch_execnz .LBB159_1218
.LBB159_1208:
	s_cmp_gt_i32 s16, 14
	s_cbranch_scc0 .LBB159_1211
; %bb.1209:
	s_cmp_eq_u32 s16, 15
	s_cbranch_scc0 .LBB159_1214
; %bb.1210:
	global_load_ushort v1, v[12:13], off
	s_mov_b64 s[0:1], 0
	s_mov_b64 s[6:7], -1
	s_waitcnt vmcnt(0)
	v_lshlrev_b32_e32 v1, 16, v1
	s_branch .LBB159_1215
.LBB159_1211:
	s_mov_b64 s[2:3], -1
                                        ; implicit-def: $vgpr1
	s_branch .LBB159_1216
.LBB159_1212:
	s_or_saveexec_b64 s[4:5], s[4:5]
	v_mov_b32_e32 v1, 0x7f800001
	s_xor_b64 exec, exec, s[4:5]
	s_cbranch_execz .LBB159_1194
.LBB159_1213:
	v_cmp_ne_u16_e32 vcc, 0, v3
	s_andn2_b64 s[2:3], s[2:3], exec
	s_and_b64 s[6:7], vcc, exec
	v_mov_b32_e32 v1, 0
	s_or_b64 s[2:3], s[2:3], s[6:7]
	s_or_b64 exec, exec, s[4:5]
	s_and_saveexec_b64 s[4:5], s[2:3]
	s_cbranch_execnz .LBB159_1195
	s_branch .LBB159_1196
.LBB159_1214:
	s_mov_b64 s[0:1], -1
                                        ; implicit-def: $vgpr1
.LBB159_1215:
	s_mov_b64 s[2:3], 0
.LBB159_1216:
	s_and_b64 vcc, exec, s[2:3]
	s_cbranch_vccz .LBB159_1218
; %bb.1217:
	s_cmp_lg_u32 s16, 11
	s_mov_b64 s[4:5], -1
	s_cselect_b64 s[0:1], -1, 0
.LBB159_1218:
	s_and_b64 vcc, exec, s[0:1]
	s_mov_b64 s[2:3], s[28:29]
	s_cbranch_vccnz .LBB159_1279
; %bb.1219:
	s_andn2_b64 vcc, exec, s[4:5]
	s_cbranch_vccnz .LBB159_1221
.LBB159_1220:
	global_load_ubyte v1, v[12:13], off
	s_mov_b64 s[6:7], -1
	s_waitcnt vmcnt(0)
	v_cmp_ne_u16_e32 vcc, 0, v1
	v_cndmask_b32_e64 v1, 0, 1.0, vcc
.LBB159_1221:
	s_branch .LBB159_1151
.LBB159_1222:
	s_and_b32 s4, 0xffff, s15
	s_cmp_lt_i32 s4, 5
	s_cbranch_scc1 .LBB159_1227
; %bb.1223:
	s_cmp_lt_i32 s4, 8
	s_cbranch_scc1 .LBB159_1228
; %bb.1224:
	;; [unrolled: 3-line block ×3, first 2 shown]
	s_cmp_gt_i32 s4, 9
	s_cbranch_scc0 .LBB159_1230
; %bb.1226:
	global_load_dwordx2 v[14:15], v[12:13], off
	s_mov_b64 s[0:1], 0
	s_waitcnt vmcnt(0)
	v_cvt_f32_f64_e32 v1, v[14:15]
	s_branch .LBB159_1231
.LBB159_1227:
                                        ; implicit-def: $vgpr1
	s_branch .LBB159_1248
.LBB159_1228:
                                        ; implicit-def: $vgpr1
	s_branch .LBB159_1237
.LBB159_1229:
	s_mov_b64 s[0:1], -1
                                        ; implicit-def: $vgpr1
	s_branch .LBB159_1234
.LBB159_1230:
	s_mov_b64 s[0:1], -1
                                        ; implicit-def: $vgpr1
.LBB159_1231:
	s_andn2_b64 vcc, exec, s[0:1]
	s_cbranch_vccnz .LBB159_1233
; %bb.1232:
	global_load_dword v1, v[12:13], off
.LBB159_1233:
	s_mov_b64 s[0:1], 0
.LBB159_1234:
	s_andn2_b64 vcc, exec, s[0:1]
	s_cbranch_vccnz .LBB159_1236
; %bb.1235:
	global_load_dword v1, v[12:13], off
	s_waitcnt vmcnt(0)
	v_cvt_f32_f16_e32 v1, v1
.LBB159_1236:
	s_cbranch_execnz .LBB159_1247
.LBB159_1237:
	s_cmp_lt_i32 s4, 6
	s_cbranch_scc1 .LBB159_1240
; %bb.1238:
	s_cmp_gt_i32 s4, 6
	s_cbranch_scc0 .LBB159_1241
; %bb.1239:
	global_load_dwordx2 v[14:15], v[12:13], off
	s_mov_b64 s[0:1], 0
	s_waitcnt vmcnt(0)
	v_cvt_f32_f64_e32 v1, v[14:15]
	s_branch .LBB159_1242
.LBB159_1240:
	s_mov_b64 s[0:1], -1
                                        ; implicit-def: $vgpr1
	s_branch .LBB159_1245
.LBB159_1241:
	s_mov_b64 s[0:1], -1
                                        ; implicit-def: $vgpr1
.LBB159_1242:
	s_andn2_b64 vcc, exec, s[0:1]
	s_cbranch_vccnz .LBB159_1244
; %bb.1243:
	global_load_dword v1, v[12:13], off
.LBB159_1244:
	s_mov_b64 s[0:1], 0
.LBB159_1245:
	s_andn2_b64 vcc, exec, s[0:1]
	s_cbranch_vccnz .LBB159_1247
; %bb.1246:
	global_load_ushort v1, v[12:13], off
	s_waitcnt vmcnt(0)
	v_cvt_f32_f16_e32 v1, v1
.LBB159_1247:
	s_cbranch_execnz .LBB159_1266
.LBB159_1248:
	s_cmp_lt_i32 s4, 2
	s_cbranch_scc1 .LBB159_1252
; %bb.1249:
	s_cmp_lt_i32 s4, 3
	s_cbranch_scc1 .LBB159_1253
; %bb.1250:
	s_cmp_gt_i32 s4, 3
	s_cbranch_scc0 .LBB159_1254
; %bb.1251:
	global_load_dwordx2 v[14:15], v[12:13], off
	s_mov_b64 s[0:1], 0
	s_waitcnt vmcnt(0)
	v_xor_b32_e32 v3, v14, v15
	v_ffbh_i32_e32 v1, v15
	v_ashrrev_i32_e32 v3, 31, v3
	v_add_u32_e32 v1, -1, v1
	v_add_u32_e32 v3, 32, v3
	v_min_u32_e32 v1, v1, v3
	v_lshlrev_b64 v[14:15], v1, v[14:15]
	v_sub_u32_e32 v1, 32, v1
	v_min_u32_e32 v3, 1, v14
	v_or_b32_e32 v3, v15, v3
	v_cvt_f32_i32_e32 v3, v3
	v_ldexp_f32 v1, v3, v1
	s_branch .LBB159_1255
.LBB159_1252:
                                        ; implicit-def: $vgpr1
	s_branch .LBB159_1261
.LBB159_1253:
	s_mov_b64 s[0:1], -1
                                        ; implicit-def: $vgpr1
	s_branch .LBB159_1258
.LBB159_1254:
	s_mov_b64 s[0:1], -1
                                        ; implicit-def: $vgpr1
.LBB159_1255:
	s_andn2_b64 vcc, exec, s[0:1]
	s_cbranch_vccnz .LBB159_1257
; %bb.1256:
	global_load_dword v1, v[12:13], off
	s_waitcnt vmcnt(0)
	v_cvt_f32_i32_e32 v1, v1
.LBB159_1257:
	s_mov_b64 s[0:1], 0
.LBB159_1258:
	s_andn2_b64 vcc, exec, s[0:1]
	s_cbranch_vccnz .LBB159_1260
; %bb.1259:
	global_load_sshort v1, v[12:13], off
	s_waitcnt vmcnt(0)
	v_cvt_f32_i32_e32 v1, v1
.LBB159_1260:
	s_cbranch_execnz .LBB159_1266
.LBB159_1261:
	s_cmp_gt_i32 s4, 0
	s_cbranch_scc0 .LBB159_1263
; %bb.1262:
	global_load_sbyte v1, v[12:13], off
	s_mov_b64 s[0:1], 0
	s_waitcnt vmcnt(0)
	v_cvt_f32_i32_e32 v1, v1
	s_branch .LBB159_1264
.LBB159_1263:
	s_mov_b64 s[0:1], -1
                                        ; implicit-def: $vgpr1
.LBB159_1264:
	s_andn2_b64 vcc, exec, s[0:1]
	s_cbranch_vccnz .LBB159_1266
; %bb.1265:
	global_load_ubyte v1, v[12:13], off
	s_waitcnt vmcnt(0)
	v_cvt_f32_ubyte0_e32 v1, v1
.LBB159_1266:
.LBB159_1267:
	s_lshr_b32 s0, s14, 8
	s_waitcnt vmcnt(0)
	v_mov_b32_e32 v3, s11
	s_and_b32 s16, s0, 0xff
	v_add_co_u32_e32 v10, vcc, s10, v11
	s_cmp_lt_i32 s16, 11
	v_addc_co_u32_e32 v11, vcc, 0, v3, vcc
	s_cbranch_scc1 .LBB159_1274
; %bb.1268:
	s_and_b32 s17, 0xffff, s16
	s_cmp_gt_i32 s17, 25
	s_mov_b64 s[4:5], 0
	s_cbranch_scc0 .LBB159_1276
; %bb.1269:
	s_cmp_gt_i32 s17, 28
	s_cbranch_scc0 .LBB159_1277
; %bb.1270:
	s_cmp_gt_i32 s17, 43
	;; [unrolled: 3-line block ×3, first 2 shown]
	s_cbranch_scc0 .LBB159_1280
; %bb.1272:
	s_cmp_eq_u32 s17, 46
	s_mov_b64 s[12:13], 0
	s_cbranch_scc0 .LBB159_1283
; %bb.1273:
	global_load_dword v3, v[10:11], off
	s_mov_b64 s[0:1], 0
	s_mov_b64 s[6:7], -1
	s_waitcnt vmcnt(0)
	v_lshlrev_b32_e32 v3, 16, v3
	s_branch .LBB159_1284
.LBB159_1274:
	s_mov_b64 s[6:7], 0
                                        ; implicit-def: $vgpr3
	s_cbranch_execnz .LBB159_1349
.LBB159_1275:
	s_andn2_b64 vcc, exec, s[6:7]
	s_cbranch_vccnz .LBB159_2088
	s_branch .LBB159_1396
.LBB159_1276:
	s_mov_b64 s[6:7], 0
	s_mov_b64 s[0:1], 0
                                        ; implicit-def: $vgpr3
	s_cbranch_execnz .LBB159_1313
	s_branch .LBB159_1345
.LBB159_1277:
	s_mov_b64 s[12:13], -1
	s_mov_b64 s[6:7], 0
	s_mov_b64 s[0:1], 0
                                        ; implicit-def: $vgpr3
	s_branch .LBB159_1294
.LBB159_1278:
	s_mov_b64 s[12:13], -1
	s_mov_b64 s[6:7], 0
	s_mov_b64 s[0:1], 0
                                        ; implicit-def: $vgpr3
	s_branch .LBB159_1289
.LBB159_1279:
	s_or_b64 s[2:3], s[28:29], exec
	s_trap 2
	s_cbranch_execz .LBB159_1220
	s_branch .LBB159_1221
.LBB159_1280:
	s_mov_b64 s[12:13], -1
	s_mov_b64 s[6:7], 0
	s_mov_b64 s[0:1], 0
                                        ; implicit-def: $vgpr3
	s_branch .LBB159_1284
.LBB159_1281:
	s_andn2_saveexec_b64 s[16:17], s[16:17]
	s_cbranch_execz .LBB159_1011
.LBB159_1282:
	s_mov_b32 s19, 0x42800000
	v_add_f32_e64 v0, |v3|, s19
	v_and_b32_e32 v0, 0xff, v0
	v_cmp_ne_u32_e32 vcc, 0, v0
	s_andn2_b64 s[14:15], s[14:15], exec
	s_and_b64 s[22:23], vcc, exec
	s_or_b64 s[14:15], s[14:15], s[22:23]
	s_or_b64 exec, exec, s[16:17]
	v_mov_b32_e32 v4, 0
	s_and_saveexec_b64 s[16:17], s[14:15]
	s_cbranch_execnz .LBB159_1012
	s_branch .LBB159_1013
.LBB159_1283:
	s_mov_b64 s[0:1], -1
                                        ; implicit-def: $vgpr3
	s_mov_b64 s[6:7], 0
.LBB159_1284:
	s_and_b64 vcc, exec, s[12:13]
	s_cbranch_vccz .LBB159_1288
; %bb.1285:
	s_cmp_eq_u32 s17, 44
	s_cbranch_scc0 .LBB159_1287
; %bb.1286:
	global_load_ubyte v3, v[10:11], off
	s_movk_i32 s6, 0xff
	v_mov_b32_e32 v5, 0x7f800001
	v_mov_b32_e32 v8, 0x400000
	s_mov_b64 s[0:1], 0
	s_waitcnt vmcnt(0)
	v_lshlrev_b32_e32 v12, 23, v3
	v_cmp_ne_u32_e32 vcc, s6, v3
	v_cndmask_b32_e32 v5, v5, v12, vcc
	v_cmp_ne_u32_e32 vcc, 0, v3
	v_cndmask_b32_e32 v3, v8, v5, vcc
	s_mov_b64 s[6:7], -1
	s_branch .LBB159_1288
.LBB159_1287:
	s_mov_b64 s[0:1], -1
                                        ; implicit-def: $vgpr3
.LBB159_1288:
	s_mov_b64 s[12:13], 0
.LBB159_1289:
	s_and_b64 vcc, exec, s[12:13]
	s_cbranch_vccz .LBB159_1293
; %bb.1290:
	s_cmp_eq_u32 s17, 29
	s_cbranch_scc0 .LBB159_1292
; %bb.1291:
	global_load_dwordx2 v[12:13], v[10:11], off
	s_mov_b64 s[0:1], 0
	s_mov_b64 s[6:7], -1
	s_mov_b64 s[12:13], 0
	s_waitcnt vmcnt(0)
	v_ffbh_u32_e32 v3, v13
	v_min_u32_e32 v3, 32, v3
	v_lshlrev_b64 v[12:13], v3, v[12:13]
	v_sub_u32_e32 v3, 32, v3
	v_min_u32_e32 v5, 1, v12
	v_or_b32_e32 v5, v13, v5
	v_cvt_f32_u32_e32 v5, v5
	v_ldexp_f32 v3, v5, v3
	s_branch .LBB159_1294
.LBB159_1292:
	s_mov_b64 s[0:1], -1
                                        ; implicit-def: $vgpr3
.LBB159_1293:
	s_mov_b64 s[12:13], 0
.LBB159_1294:
	s_and_b64 vcc, exec, s[12:13]
	s_cbranch_vccz .LBB159_1312
; %bb.1295:
	s_cmp_lt_i32 s17, 27
	s_cbranch_scc1 .LBB159_1298
; %bb.1296:
	s_cmp_gt_i32 s17, 27
	s_cbranch_scc0 .LBB159_1299
; %bb.1297:
	global_load_dword v3, v[10:11], off
	s_mov_b64 s[6:7], 0
	s_waitcnt vmcnt(0)
	v_cvt_f32_u32_e32 v3, v3
	s_branch .LBB159_1300
.LBB159_1298:
	s_mov_b64 s[6:7], -1
                                        ; implicit-def: $vgpr3
	s_branch .LBB159_1303
.LBB159_1299:
	s_mov_b64 s[6:7], -1
                                        ; implicit-def: $vgpr3
.LBB159_1300:
	s_andn2_b64 vcc, exec, s[6:7]
	s_cbranch_vccnz .LBB159_1302
; %bb.1301:
	global_load_ushort v3, v[10:11], off
	s_waitcnt vmcnt(0)
	v_cvt_f32_u32_e32 v3, v3
.LBB159_1302:
	s_mov_b64 s[6:7], 0
.LBB159_1303:
	s_andn2_b64 vcc, exec, s[6:7]
	s_cbranch_vccnz .LBB159_1311
; %bb.1304:
	global_load_ubyte v5, v[10:11], off
	s_movk_i32 s6, 0x7f
	s_waitcnt vmcnt(0)
	v_cmp_lt_i16_e32 vcc, s6, v5
	s_mov_b64 s[6:7], 0
	s_and_saveexec_b64 s[12:13], vcc
	s_xor_b64 s[12:13], exec, s[12:13]
	s_cbranch_execz .LBB159_1324
; %bb.1305:
	s_movk_i32 s6, 0x80
	v_cmp_eq_u16_e32 vcc, s6, v5
	s_mov_b64 s[6:7], -1
	s_and_saveexec_b64 s[14:15], vcc
; %bb.1306:
	s_xor_b64 s[6:7], exec, -1
; %bb.1307:
	s_or_b64 exec, exec, s[14:15]
	s_and_b64 s[6:7], s[6:7], exec
	s_or_saveexec_b64 s[12:13], s[12:13]
	v_mov_b32_e32 v3, 0x7f800001
	s_xor_b64 exec, exec, s[12:13]
	s_cbranch_execnz .LBB159_1325
.LBB159_1308:
	s_or_b64 exec, exec, s[12:13]
	s_and_saveexec_b64 s[12:13], s[6:7]
	s_cbranch_execz .LBB159_1310
.LBB159_1309:
	v_lshlrev_b32_e32 v3, 24, v5
	v_and_b32_e32 v5, 0xffff, v5
	v_and_b32_e32 v8, 7, v5
	v_ffbh_u32_e32 v13, v8
	v_min_u32_e32 v13, 32, v13
	v_subrev_u32_e32 v14, 28, v13
	v_bfe_u32 v12, v5, 3, 4
	v_lshlrev_b32_e32 v5, v14, v5
	v_sub_u32_e32 v13, 29, v13
	v_and_b32_e32 v5, 7, v5
	v_cmp_eq_u32_e32 vcc, 0, v12
	v_cndmask_b32_e32 v12, v12, v13, vcc
	v_cndmask_b32_e32 v5, v8, v5, vcc
	v_mov_b32_e32 v8, 0x3b800000
	v_lshlrev_b32_e32 v5, 20, v5
	v_and_b32_e32 v3, 0x80000000, v3
	v_lshl_add_u32 v8, v12, 23, v8
	v_or3_b32 v3, v3, v8, v5
.LBB159_1310:
	s_or_b64 exec, exec, s[12:13]
.LBB159_1311:
	s_mov_b64 s[6:7], -1
.LBB159_1312:
	s_branch .LBB159_1345
.LBB159_1313:
	s_cmp_gt_i32 s17, 22
	s_cbranch_scc0 .LBB159_1323
; %bb.1314:
	s_cmp_lt_i32 s17, 24
	s_cbranch_scc1 .LBB159_1326
; %bb.1315:
	s_cmp_gt_i32 s17, 24
	s_cbranch_scc0 .LBB159_1327
; %bb.1316:
	global_load_ubyte v5, v[10:11], off
	s_movk_i32 s4, 0x7f
	s_waitcnt vmcnt(0)
	v_cmp_lt_i16_e32 vcc, s4, v5
	s_mov_b64 s[4:5], 0
	s_and_saveexec_b64 s[6:7], vcc
	s_xor_b64 s[6:7], exec, s[6:7]
	s_cbranch_execz .LBB159_1339
; %bb.1317:
	s_movk_i32 s4, 0x80
	v_cmp_eq_u16_e32 vcc, s4, v5
	s_mov_b64 s[4:5], -1
	s_and_saveexec_b64 s[12:13], vcc
; %bb.1318:
	s_xor_b64 s[4:5], exec, -1
; %bb.1319:
	s_or_b64 exec, exec, s[12:13]
	s_and_b64 s[4:5], s[4:5], exec
	s_or_saveexec_b64 s[6:7], s[6:7]
	v_mov_b32_e32 v3, 0x7f800001
	s_xor_b64 exec, exec, s[6:7]
	s_cbranch_execnz .LBB159_1340
.LBB159_1320:
	s_or_b64 exec, exec, s[6:7]
	s_and_saveexec_b64 s[6:7], s[4:5]
	s_cbranch_execz .LBB159_1322
.LBB159_1321:
	v_lshlrev_b32_e32 v3, 24, v5
	v_and_b32_e32 v5, 0xffff, v5
	v_and_b32_e32 v8, 3, v5
	v_ffbh_u32_e32 v13, v8
	v_min_u32_e32 v13, 32, v13
	v_subrev_u32_e32 v14, 29, v13
	v_bfe_u32 v12, v5, 2, 5
	v_lshlrev_b32_e32 v5, v14, v5
	v_sub_u32_e32 v13, 30, v13
	v_and_b32_e32 v5, 3, v5
	v_cmp_eq_u32_e32 vcc, 0, v12
	v_cndmask_b32_e32 v12, v12, v13, vcc
	v_cndmask_b32_e32 v5, v8, v5, vcc
	v_mov_b32_e32 v8, 0x37800000
	v_lshlrev_b32_e32 v5, 21, v5
	v_and_b32_e32 v3, 0x80000000, v3
	v_lshl_add_u32 v8, v12, 23, v8
	v_or3_b32 v3, v3, v8, v5
.LBB159_1322:
	s_or_b64 exec, exec, s[6:7]
	s_mov_b64 s[4:5], 0
	s_branch .LBB159_1328
.LBB159_1323:
	s_mov_b64 s[4:5], -1
                                        ; implicit-def: $vgpr3
	s_branch .LBB159_1334
.LBB159_1324:
	s_or_saveexec_b64 s[12:13], s[12:13]
	v_mov_b32_e32 v3, 0x7f800001
	s_xor_b64 exec, exec, s[12:13]
	s_cbranch_execz .LBB159_1308
.LBB159_1325:
	v_cmp_ne_u16_e32 vcc, 0, v5
	s_andn2_b64 s[6:7], s[6:7], exec
	s_and_b64 s[14:15], vcc, exec
	v_mov_b32_e32 v3, 0
	s_or_b64 s[6:7], s[6:7], s[14:15]
	s_or_b64 exec, exec, s[12:13]
	s_and_saveexec_b64 s[12:13], s[6:7]
	s_cbranch_execnz .LBB159_1309
	s_branch .LBB159_1310
.LBB159_1326:
	s_mov_b64 s[4:5], -1
                                        ; implicit-def: $vgpr3
	s_branch .LBB159_1331
.LBB159_1327:
	s_mov_b64 s[4:5], -1
                                        ; implicit-def: $vgpr3
.LBB159_1328:
	s_and_b64 vcc, exec, s[4:5]
	s_cbranch_vccz .LBB159_1330
; %bb.1329:
	global_load_ubyte v3, v[10:11], off
	s_mov_b32 s4, 0x7f800000
	s_waitcnt vmcnt(0)
	v_lshlrev_b32_e32 v3, 24, v3
	v_and_b32_e32 v5, 0x7f000000, v3
	v_ffbh_u32_e32 v8, v5
	v_min_u32_e32 v8, 32, v8
	v_sub_u32_e64 v8, v8, 4 clamp
	v_lshlrev_b32_e32 v13, v8, v5
	v_lshlrev_b32_e32 v8, 23, v8
	v_lshrrev_b32_e32 v13, 4, v13
	v_add_u32_e32 v12, 0x1000000, v5
	v_sub_u32_e32 v8, v13, v8
	v_ashrrev_i32_e32 v12, 8, v12
	v_add_u32_e32 v8, 0x3c000000, v8
	v_and_or_b32 v8, v12, s4, v8
	v_cmp_ne_u32_e32 vcc, 0, v5
	v_cndmask_b32_e32 v5, 0, v8, vcc
	s_brev_b32 s4, 1
	v_and_or_b32 v3, v3, s4, v5
.LBB159_1330:
	s_mov_b64 s[4:5], 0
.LBB159_1331:
	s_andn2_b64 vcc, exec, s[4:5]
	s_cbranch_vccnz .LBB159_1333
; %bb.1332:
	global_load_ubyte v3, v[10:11], off
	s_movk_i32 s4, 0x7f00
	s_brev_b32 s5, 16
	s_waitcnt vmcnt(0)
	v_lshlrev_b16_e32 v5, 8, v3
	v_lshlrev_b32_e32 v3, 25, v3
	v_lshrrev_b32_e32 v8, 4, v3
	v_and_or_b32 v12, v5, s4, 0.5
	v_or_b32_e32 v8, 0x70000000, v8
	v_add_f32_e32 v12, -0.5, v12
	v_mul_f32_e32 v8, 0x7800000, v8
	v_cmp_gt_u32_e32 vcc, s5, v3
	v_bfe_i32 v5, v5, 0, 16
	v_cndmask_b32_e32 v3, v8, v12, vcc
	s_brev_b32 s4, 1
	v_and_or_b32 v3, v5, s4, v3
.LBB159_1333:
	s_mov_b64 s[4:5], 0
	s_mov_b64 s[6:7], -1
.LBB159_1334:
	s_andn2_b64 vcc, exec, s[4:5]
	s_mov_b64 s[4:5], 0
	s_cbranch_vccnz .LBB159_1345
; %bb.1335:
	s_cmp_gt_i32 s17, 14
	s_cbranch_scc0 .LBB159_1338
; %bb.1336:
	s_cmp_eq_u32 s17, 15
	s_cbranch_scc0 .LBB159_1341
; %bb.1337:
	global_load_ushort v3, v[10:11], off
	s_mov_b64 s[0:1], 0
	s_mov_b64 s[6:7], -1
	s_waitcnt vmcnt(0)
	v_lshlrev_b32_e32 v3, 16, v3
	s_branch .LBB159_1342
.LBB159_1338:
	s_mov_b64 s[12:13], -1
                                        ; implicit-def: $vgpr3
	s_branch .LBB159_1343
.LBB159_1339:
	s_or_saveexec_b64 s[6:7], s[6:7]
	v_mov_b32_e32 v3, 0x7f800001
	s_xor_b64 exec, exec, s[6:7]
	s_cbranch_execz .LBB159_1320
.LBB159_1340:
	v_cmp_ne_u16_e32 vcc, 0, v5
	s_andn2_b64 s[4:5], s[4:5], exec
	s_and_b64 s[12:13], vcc, exec
	v_mov_b32_e32 v3, 0
	s_or_b64 s[4:5], s[4:5], s[12:13]
	s_or_b64 exec, exec, s[6:7]
	s_and_saveexec_b64 s[6:7], s[4:5]
	s_cbranch_execnz .LBB159_1321
	s_branch .LBB159_1322
.LBB159_1341:
	s_mov_b64 s[0:1], -1
                                        ; implicit-def: $vgpr3
.LBB159_1342:
	s_mov_b64 s[12:13], 0
.LBB159_1343:
	s_and_b64 vcc, exec, s[12:13]
	s_cbranch_vccz .LBB159_1345
; %bb.1344:
	s_cmp_lg_u32 s17, 11
	s_mov_b64 s[4:5], -1
	s_cselect_b64 s[0:1], -1, 0
.LBB159_1345:
	s_and_b64 vcc, exec, s[0:1]
	s_cbranch_vccnz .LBB159_1408
; %bb.1346:
	s_andn2_b64 vcc, exec, s[4:5]
	s_cbranch_vccnz .LBB159_1348
.LBB159_1347:
	global_load_ubyte v3, v[10:11], off
	s_mov_b64 s[6:7], -1
	s_waitcnt vmcnt(0)
	v_cmp_ne_u16_e32 vcc, 0, v3
	v_cndmask_b32_e64 v3, 0, 1.0, vcc
.LBB159_1348:
	s_branch .LBB159_1275
.LBB159_1349:
	s_and_b32 s4, 0xffff, s16
	s_cmp_lt_i32 s4, 5
	s_cbranch_scc1 .LBB159_1354
; %bb.1350:
	s_cmp_lt_i32 s4, 8
	s_cbranch_scc1 .LBB159_1355
; %bb.1351:
	;; [unrolled: 3-line block ×3, first 2 shown]
	s_cmp_gt_i32 s4, 9
	s_cbranch_scc0 .LBB159_1357
; %bb.1353:
	global_load_dwordx2 v[12:13], v[10:11], off
	s_mov_b64 s[0:1], 0
	s_waitcnt vmcnt(0)
	v_cvt_f32_f64_e32 v3, v[12:13]
	s_branch .LBB159_1358
.LBB159_1354:
                                        ; implicit-def: $vgpr3
	s_branch .LBB159_1376
.LBB159_1355:
	s_mov_b64 s[0:1], -1
                                        ; implicit-def: $vgpr3
	s_branch .LBB159_1364
.LBB159_1356:
	s_mov_b64 s[0:1], -1
                                        ; implicit-def: $vgpr3
	s_branch .LBB159_1361
.LBB159_1357:
	s_mov_b64 s[0:1], -1
                                        ; implicit-def: $vgpr3
.LBB159_1358:
	s_andn2_b64 vcc, exec, s[0:1]
	s_cbranch_vccnz .LBB159_1360
; %bb.1359:
	global_load_dword v3, v[10:11], off
.LBB159_1360:
	s_mov_b64 s[0:1], 0
.LBB159_1361:
	s_andn2_b64 vcc, exec, s[0:1]
	s_cbranch_vccnz .LBB159_1363
; %bb.1362:
	global_load_dword v3, v[10:11], off
	s_waitcnt vmcnt(0)
	v_cvt_f32_f16_e32 v3, v3
.LBB159_1363:
	s_mov_b64 s[0:1], 0
.LBB159_1364:
	s_andn2_b64 vcc, exec, s[0:1]
	s_cbranch_vccnz .LBB159_1375
; %bb.1365:
	s_cmp_lt_i32 s4, 6
	s_cbranch_scc1 .LBB159_1368
; %bb.1366:
	s_cmp_gt_i32 s4, 6
	s_cbranch_scc0 .LBB159_1369
; %bb.1367:
	global_load_dwordx2 v[12:13], v[10:11], off
	s_mov_b64 s[0:1], 0
	s_waitcnt vmcnt(0)
	v_cvt_f32_f64_e32 v3, v[12:13]
	s_branch .LBB159_1370
.LBB159_1368:
	s_mov_b64 s[0:1], -1
                                        ; implicit-def: $vgpr3
	s_branch .LBB159_1373
.LBB159_1369:
	s_mov_b64 s[0:1], -1
                                        ; implicit-def: $vgpr3
.LBB159_1370:
	s_andn2_b64 vcc, exec, s[0:1]
	s_cbranch_vccnz .LBB159_1372
; %bb.1371:
	global_load_dword v3, v[10:11], off
.LBB159_1372:
	s_mov_b64 s[0:1], 0
.LBB159_1373:
	s_andn2_b64 vcc, exec, s[0:1]
	s_cbranch_vccnz .LBB159_1375
; %bb.1374:
	global_load_ushort v3, v[10:11], off
	s_waitcnt vmcnt(0)
	v_cvt_f32_f16_e32 v3, v3
.LBB159_1375:
	s_cbranch_execnz .LBB159_1395
.LBB159_1376:
	s_cmp_lt_i32 s4, 2
	s_cbranch_scc1 .LBB159_1380
; %bb.1377:
	s_cmp_lt_i32 s4, 3
	s_cbranch_scc1 .LBB159_1381
; %bb.1378:
	s_cmp_gt_i32 s4, 3
	s_cbranch_scc0 .LBB159_1382
; %bb.1379:
	global_load_dwordx2 v[12:13], v[10:11], off
	s_mov_b64 s[0:1], 0
	s_waitcnt vmcnt(0)
	v_xor_b32_e32 v5, v12, v13
	v_ffbh_i32_e32 v3, v13
	v_ashrrev_i32_e32 v5, 31, v5
	v_add_u32_e32 v3, -1, v3
	v_add_u32_e32 v5, 32, v5
	v_min_u32_e32 v3, v3, v5
	v_lshlrev_b64 v[12:13], v3, v[12:13]
	v_sub_u32_e32 v3, 32, v3
	v_min_u32_e32 v5, 1, v12
	v_or_b32_e32 v5, v13, v5
	v_cvt_f32_i32_e32 v5, v5
	v_ldexp_f32 v3, v5, v3
	s_branch .LBB159_1383
.LBB159_1380:
	s_mov_b64 s[0:1], -1
                                        ; implicit-def: $vgpr3
	s_branch .LBB159_1389
.LBB159_1381:
	s_mov_b64 s[0:1], -1
                                        ; implicit-def: $vgpr3
	s_branch .LBB159_1386
.LBB159_1382:
	s_mov_b64 s[0:1], -1
                                        ; implicit-def: $vgpr3
.LBB159_1383:
	s_andn2_b64 vcc, exec, s[0:1]
	s_cbranch_vccnz .LBB159_1385
; %bb.1384:
	global_load_dword v3, v[10:11], off
	s_waitcnt vmcnt(0)
	v_cvt_f32_i32_e32 v3, v3
.LBB159_1385:
	s_mov_b64 s[0:1], 0
.LBB159_1386:
	s_andn2_b64 vcc, exec, s[0:1]
	s_cbranch_vccnz .LBB159_1388
; %bb.1387:
	global_load_sshort v3, v[10:11], off
	s_waitcnt vmcnt(0)
	v_cvt_f32_i32_e32 v3, v3
.LBB159_1388:
	s_mov_b64 s[0:1], 0
.LBB159_1389:
	s_andn2_b64 vcc, exec, s[0:1]
	s_cbranch_vccnz .LBB159_1395
; %bb.1390:
	s_cmp_gt_i32 s4, 0
	s_cbranch_scc0 .LBB159_1392
; %bb.1391:
	global_load_sbyte v3, v[10:11], off
	s_mov_b64 s[0:1], 0
	s_waitcnt vmcnt(0)
	v_cvt_f32_i32_e32 v3, v3
	s_branch .LBB159_1393
.LBB159_1392:
	s_mov_b64 s[0:1], -1
                                        ; implicit-def: $vgpr3
.LBB159_1393:
	s_andn2_b64 vcc, exec, s[0:1]
	s_cbranch_vccnz .LBB159_1395
; %bb.1394:
	global_load_ubyte v3, v[10:11], off
	s_waitcnt vmcnt(0)
	v_cvt_f32_ubyte0_e32 v3, v3
.LBB159_1395:
.LBB159_1396:
	v_mov_b32_e32 v5, s11
	v_add_co_u32_e32 v8, vcc, s10, v9
	s_cmp_lt_i32 s16, 11
	v_addc_co_u32_e32 v9, vcc, 0, v5, vcc
	s_cbranch_scc1 .LBB159_1403
; %bb.1397:
	s_and_b32 s17, 0xffff, s16
	s_cmp_gt_i32 s17, 25
	s_mov_b64 s[4:5], 0
	s_cbranch_scc0 .LBB159_1405
; %bb.1398:
	s_cmp_gt_i32 s17, 28
	s_cbranch_scc0 .LBB159_1406
; %bb.1399:
	s_cmp_gt_i32 s17, 43
	;; [unrolled: 3-line block ×3, first 2 shown]
	s_cbranch_scc0 .LBB159_1409
; %bb.1401:
	s_cmp_eq_u32 s17, 46
	s_mov_b64 s[12:13], 0
	s_cbranch_scc0 .LBB159_1410
; %bb.1402:
	global_load_dword v5, v[8:9], off
	s_mov_b64 s[0:1], 0
	s_mov_b64 s[6:7], -1
	s_waitcnt vmcnt(0)
	v_lshlrev_b32_e32 v10, 16, v5
	s_branch .LBB159_1411
.LBB159_1403:
	s_mov_b64 s[6:7], 0
                                        ; implicit-def: $vgpr10
	s_cbranch_execnz .LBB159_1477
.LBB159_1404:
	s_andn2_b64 vcc, exec, s[6:7]
	s_cbranch_vccnz .LBB159_2088
	s_branch .LBB159_1525
.LBB159_1405:
	s_mov_b64 s[12:13], -1
	s_mov_b64 s[6:7], 0
	s_mov_b64 s[0:1], 0
                                        ; implicit-def: $vgpr10
	s_branch .LBB159_1440
.LBB159_1406:
	s_mov_b64 s[12:13], -1
	s_mov_b64 s[6:7], 0
	s_mov_b64 s[0:1], 0
                                        ; implicit-def: $vgpr10
	s_branch .LBB159_1421
.LBB159_1407:
	s_mov_b64 s[12:13], -1
	s_mov_b64 s[6:7], 0
	s_mov_b64 s[0:1], 0
                                        ; implicit-def: $vgpr10
	s_branch .LBB159_1416
.LBB159_1408:
	s_trap 2
	s_or_b64 s[2:3], s[2:3], exec
	s_cbranch_execz .LBB159_1347
	s_branch .LBB159_1348
.LBB159_1409:
	s_mov_b64 s[12:13], -1
	s_mov_b64 s[6:7], 0
	s_mov_b64 s[0:1], 0
                                        ; implicit-def: $vgpr10
	s_branch .LBB159_1411
.LBB159_1410:
	s_mov_b64 s[0:1], -1
                                        ; implicit-def: $vgpr10
	s_mov_b64 s[6:7], 0
.LBB159_1411:
	s_and_b64 vcc, exec, s[12:13]
	s_cbranch_vccz .LBB159_1415
; %bb.1412:
	s_cmp_eq_u32 s17, 44
	s_cbranch_scc0 .LBB159_1414
; %bb.1413:
	global_load_ubyte v5, v[8:9], off
	s_movk_i32 s6, 0xff
	v_mov_b32_e32 v10, 0x7f800001
	v_mov_b32_e32 v11, 0x400000
	s_mov_b64 s[0:1], 0
	s_waitcnt vmcnt(0)
	v_lshlrev_b32_e32 v12, 23, v5
	v_cmp_ne_u32_e32 vcc, s6, v5
	v_cndmask_b32_e32 v10, v10, v12, vcc
	v_cmp_ne_u32_e32 vcc, 0, v5
	v_cndmask_b32_e32 v10, v11, v10, vcc
	s_mov_b64 s[6:7], -1
	s_branch .LBB159_1415
.LBB159_1414:
	s_mov_b64 s[0:1], -1
                                        ; implicit-def: $vgpr10
.LBB159_1415:
	s_mov_b64 s[12:13], 0
.LBB159_1416:
	s_and_b64 vcc, exec, s[12:13]
	s_cbranch_vccz .LBB159_1420
; %bb.1417:
	s_cmp_eq_u32 s17, 29
	s_cbranch_scc0 .LBB159_1419
; %bb.1418:
	global_load_dwordx2 v[10:11], v[8:9], off
	s_mov_b64 s[0:1], 0
	s_mov_b64 s[6:7], -1
	s_mov_b64 s[12:13], 0
	s_waitcnt vmcnt(0)
	v_ffbh_u32_e32 v5, v11
	v_min_u32_e32 v5, 32, v5
	v_lshlrev_b64 v[10:11], v5, v[10:11]
	v_sub_u32_e32 v5, 32, v5
	v_min_u32_e32 v10, 1, v10
	v_or_b32_e32 v10, v11, v10
	v_cvt_f32_u32_e32 v10, v10
	v_ldexp_f32 v10, v10, v5
	s_branch .LBB159_1421
.LBB159_1419:
	s_mov_b64 s[0:1], -1
                                        ; implicit-def: $vgpr10
.LBB159_1420:
	s_mov_b64 s[12:13], 0
.LBB159_1421:
	s_and_b64 vcc, exec, s[12:13]
	s_cbranch_vccz .LBB159_1439
; %bb.1422:
	s_cmp_lt_i32 s17, 27
	s_cbranch_scc1 .LBB159_1425
; %bb.1423:
	s_cmp_gt_i32 s17, 27
	s_cbranch_scc0 .LBB159_1426
; %bb.1424:
	global_load_dword v5, v[8:9], off
	s_mov_b64 s[6:7], 0
	s_waitcnt vmcnt(0)
	v_cvt_f32_u32_e32 v10, v5
	s_branch .LBB159_1427
.LBB159_1425:
	s_mov_b64 s[6:7], -1
                                        ; implicit-def: $vgpr10
	s_branch .LBB159_1430
.LBB159_1426:
	s_mov_b64 s[6:7], -1
                                        ; implicit-def: $vgpr10
.LBB159_1427:
	s_andn2_b64 vcc, exec, s[6:7]
	s_cbranch_vccnz .LBB159_1429
; %bb.1428:
	global_load_ushort v5, v[8:9], off
	s_waitcnt vmcnt(0)
	v_cvt_f32_u32_e32 v10, v5
.LBB159_1429:
	s_mov_b64 s[6:7], 0
.LBB159_1430:
	s_andn2_b64 vcc, exec, s[6:7]
	s_cbranch_vccnz .LBB159_1438
; %bb.1431:
	global_load_ubyte v5, v[8:9], off
	s_movk_i32 s6, 0x7f
	s_waitcnt vmcnt(0)
	v_cmp_lt_i16_e32 vcc, s6, v5
	s_mov_b64 s[6:7], 0
	s_and_saveexec_b64 s[12:13], vcc
	s_xor_b64 s[12:13], exec, s[12:13]
	s_cbranch_execz .LBB159_1452
; %bb.1432:
	s_movk_i32 s6, 0x80
	v_cmp_eq_u16_e32 vcc, s6, v5
	s_mov_b64 s[6:7], -1
	s_and_saveexec_b64 s[14:15], vcc
; %bb.1433:
	s_xor_b64 s[6:7], exec, -1
; %bb.1434:
	s_or_b64 exec, exec, s[14:15]
	s_and_b64 s[6:7], s[6:7], exec
	s_or_saveexec_b64 s[12:13], s[12:13]
	v_mov_b32_e32 v10, 0x7f800001
	s_xor_b64 exec, exec, s[12:13]
	s_cbranch_execnz .LBB159_1453
.LBB159_1435:
	s_or_b64 exec, exec, s[12:13]
	s_and_saveexec_b64 s[12:13], s[6:7]
	s_cbranch_execz .LBB159_1437
.LBB159_1436:
	v_lshlrev_b32_e32 v10, 24, v5
	v_and_b32_e32 v5, 0xffff, v5
	v_and_b32_e32 v11, 7, v5
	v_ffbh_u32_e32 v13, v11
	v_min_u32_e32 v13, 32, v13
	v_subrev_u32_e32 v14, 28, v13
	v_bfe_u32 v12, v5, 3, 4
	v_lshlrev_b32_e32 v5, v14, v5
	v_sub_u32_e32 v13, 29, v13
	v_and_b32_e32 v5, 7, v5
	v_cmp_eq_u32_e32 vcc, 0, v12
	v_cndmask_b32_e32 v12, v12, v13, vcc
	v_cndmask_b32_e32 v5, v11, v5, vcc
	v_mov_b32_e32 v11, 0x3b800000
	v_lshlrev_b32_e32 v5, 20, v5
	v_and_b32_e32 v10, 0x80000000, v10
	v_lshl_add_u32 v11, v12, 23, v11
	v_or3_b32 v10, v10, v11, v5
.LBB159_1437:
	s_or_b64 exec, exec, s[12:13]
.LBB159_1438:
	s_mov_b64 s[6:7], -1
.LBB159_1439:
	s_mov_b64 s[12:13], 0
.LBB159_1440:
	s_and_b64 vcc, exec, s[12:13]
	s_cbranch_vccz .LBB159_1473
; %bb.1441:
	s_cmp_gt_i32 s17, 22
	s_cbranch_scc0 .LBB159_1451
; %bb.1442:
	s_cmp_lt_i32 s17, 24
	s_cbranch_scc1 .LBB159_1454
; %bb.1443:
	s_cmp_gt_i32 s17, 24
	s_cbranch_scc0 .LBB159_1455
; %bb.1444:
	global_load_ubyte v5, v[8:9], off
	s_movk_i32 s4, 0x7f
	s_waitcnt vmcnt(0)
	v_cmp_lt_i16_e32 vcc, s4, v5
	s_mov_b64 s[4:5], 0
	s_and_saveexec_b64 s[6:7], vcc
	s_xor_b64 s[6:7], exec, s[6:7]
	s_cbranch_execz .LBB159_1467
; %bb.1445:
	s_movk_i32 s4, 0x80
	v_cmp_eq_u16_e32 vcc, s4, v5
	s_mov_b64 s[4:5], -1
	s_and_saveexec_b64 s[12:13], vcc
; %bb.1446:
	s_xor_b64 s[4:5], exec, -1
; %bb.1447:
	s_or_b64 exec, exec, s[12:13]
	s_and_b64 s[4:5], s[4:5], exec
	s_or_saveexec_b64 s[6:7], s[6:7]
	v_mov_b32_e32 v10, 0x7f800001
	s_xor_b64 exec, exec, s[6:7]
	s_cbranch_execnz .LBB159_1468
.LBB159_1448:
	s_or_b64 exec, exec, s[6:7]
	s_and_saveexec_b64 s[6:7], s[4:5]
	s_cbranch_execz .LBB159_1450
.LBB159_1449:
	v_lshlrev_b32_e32 v10, 24, v5
	v_and_b32_e32 v5, 0xffff, v5
	v_and_b32_e32 v11, 3, v5
	v_ffbh_u32_e32 v13, v11
	v_min_u32_e32 v13, 32, v13
	v_subrev_u32_e32 v14, 29, v13
	v_bfe_u32 v12, v5, 2, 5
	v_lshlrev_b32_e32 v5, v14, v5
	v_sub_u32_e32 v13, 30, v13
	v_and_b32_e32 v5, 3, v5
	v_cmp_eq_u32_e32 vcc, 0, v12
	v_cndmask_b32_e32 v12, v12, v13, vcc
	v_cndmask_b32_e32 v5, v11, v5, vcc
	v_mov_b32_e32 v11, 0x37800000
	v_lshlrev_b32_e32 v5, 21, v5
	v_and_b32_e32 v10, 0x80000000, v10
	v_lshl_add_u32 v11, v12, 23, v11
	v_or3_b32 v10, v10, v11, v5
.LBB159_1450:
	s_or_b64 exec, exec, s[6:7]
	s_mov_b64 s[4:5], 0
	s_branch .LBB159_1456
.LBB159_1451:
	s_mov_b64 s[4:5], -1
                                        ; implicit-def: $vgpr10
	s_branch .LBB159_1462
.LBB159_1452:
	s_or_saveexec_b64 s[12:13], s[12:13]
	v_mov_b32_e32 v10, 0x7f800001
	s_xor_b64 exec, exec, s[12:13]
	s_cbranch_execz .LBB159_1435
.LBB159_1453:
	v_cmp_ne_u16_e32 vcc, 0, v5
	s_andn2_b64 s[6:7], s[6:7], exec
	s_and_b64 s[14:15], vcc, exec
	v_mov_b32_e32 v10, 0
	s_or_b64 s[6:7], s[6:7], s[14:15]
	s_or_b64 exec, exec, s[12:13]
	s_and_saveexec_b64 s[12:13], s[6:7]
	s_cbranch_execnz .LBB159_1436
	s_branch .LBB159_1437
.LBB159_1454:
	s_mov_b64 s[4:5], -1
                                        ; implicit-def: $vgpr10
	s_branch .LBB159_1459
.LBB159_1455:
	s_mov_b64 s[4:5], -1
                                        ; implicit-def: $vgpr10
.LBB159_1456:
	s_and_b64 vcc, exec, s[4:5]
	s_cbranch_vccz .LBB159_1458
; %bb.1457:
	global_load_ubyte v5, v[8:9], off
	s_mov_b32 s4, 0x7f800000
	s_waitcnt vmcnt(0)
	v_lshlrev_b32_e32 v5, 24, v5
	v_and_b32_e32 v10, 0x7f000000, v5
	v_ffbh_u32_e32 v11, v10
	v_min_u32_e32 v11, 32, v11
	v_sub_u32_e64 v11, v11, 4 clamp
	v_lshlrev_b32_e32 v13, v11, v10
	v_lshlrev_b32_e32 v11, 23, v11
	v_lshrrev_b32_e32 v13, 4, v13
	v_add_u32_e32 v12, 0x1000000, v10
	v_sub_u32_e32 v11, v13, v11
	v_ashrrev_i32_e32 v12, 8, v12
	v_add_u32_e32 v11, 0x3c000000, v11
	v_and_or_b32 v11, v12, s4, v11
	v_cmp_ne_u32_e32 vcc, 0, v10
	v_cndmask_b32_e32 v10, 0, v11, vcc
	s_brev_b32 s4, 1
	v_and_or_b32 v10, v5, s4, v10
.LBB159_1458:
	s_mov_b64 s[4:5], 0
.LBB159_1459:
	s_andn2_b64 vcc, exec, s[4:5]
	s_cbranch_vccnz .LBB159_1461
; %bb.1460:
	global_load_ubyte v5, v[8:9], off
	s_movk_i32 s4, 0x7f00
	s_brev_b32 s5, 16
	s_waitcnt vmcnt(0)
	v_lshlrev_b16_e32 v10, 8, v5
	v_lshlrev_b32_e32 v5, 25, v5
	v_lshrrev_b32_e32 v11, 4, v5
	v_and_or_b32 v12, v10, s4, 0.5
	v_or_b32_e32 v11, 0x70000000, v11
	v_add_f32_e32 v12, -0.5, v12
	v_mul_f32_e32 v11, 0x7800000, v11
	v_cmp_gt_u32_e32 vcc, s5, v5
	v_bfe_i32 v10, v10, 0, 16
	v_cndmask_b32_e32 v5, v11, v12, vcc
	s_brev_b32 s4, 1
	v_and_or_b32 v10, v10, s4, v5
.LBB159_1461:
	s_mov_b64 s[4:5], 0
	s_mov_b64 s[6:7], -1
.LBB159_1462:
	s_andn2_b64 vcc, exec, s[4:5]
	s_mov_b64 s[4:5], 0
	s_cbranch_vccnz .LBB159_1473
; %bb.1463:
	s_cmp_gt_i32 s17, 14
	s_cbranch_scc0 .LBB159_1466
; %bb.1464:
	s_cmp_eq_u32 s17, 15
	s_cbranch_scc0 .LBB159_1469
; %bb.1465:
	global_load_ushort v5, v[8:9], off
	s_mov_b64 s[0:1], 0
	s_mov_b64 s[6:7], -1
	s_waitcnt vmcnt(0)
	v_lshlrev_b32_e32 v10, 16, v5
	s_branch .LBB159_1470
.LBB159_1466:
	s_mov_b64 s[12:13], -1
                                        ; implicit-def: $vgpr10
	s_branch .LBB159_1471
.LBB159_1467:
	s_or_saveexec_b64 s[6:7], s[6:7]
	v_mov_b32_e32 v10, 0x7f800001
	s_xor_b64 exec, exec, s[6:7]
	s_cbranch_execz .LBB159_1448
.LBB159_1468:
	v_cmp_ne_u16_e32 vcc, 0, v5
	s_andn2_b64 s[4:5], s[4:5], exec
	s_and_b64 s[12:13], vcc, exec
	v_mov_b32_e32 v10, 0
	s_or_b64 s[4:5], s[4:5], s[12:13]
	s_or_b64 exec, exec, s[6:7]
	s_and_saveexec_b64 s[6:7], s[4:5]
	s_cbranch_execnz .LBB159_1449
	s_branch .LBB159_1450
.LBB159_1469:
	s_mov_b64 s[0:1], -1
                                        ; implicit-def: $vgpr10
.LBB159_1470:
	s_mov_b64 s[12:13], 0
.LBB159_1471:
	s_and_b64 vcc, exec, s[12:13]
	s_cbranch_vccz .LBB159_1473
; %bb.1472:
	s_cmp_lg_u32 s17, 11
	s_mov_b64 s[4:5], -1
	s_cselect_b64 s[0:1], -1, 0
.LBB159_1473:
	s_and_b64 vcc, exec, s[0:1]
	s_cbranch_vccnz .LBB159_1536
; %bb.1474:
	s_andn2_b64 vcc, exec, s[4:5]
	s_cbranch_vccnz .LBB159_1476
.LBB159_1475:
	global_load_ubyte v5, v[8:9], off
	s_mov_b64 s[6:7], -1
	s_waitcnt vmcnt(0)
	v_cmp_ne_u16_e32 vcc, 0, v5
	v_cndmask_b32_e64 v10, 0, 1.0, vcc
.LBB159_1476:
	s_branch .LBB159_1404
.LBB159_1477:
	s_and_b32 s4, 0xffff, s16
	s_cmp_lt_i32 s4, 5
	s_cbranch_scc1 .LBB159_1482
; %bb.1478:
	s_cmp_lt_i32 s4, 8
	s_cbranch_scc1 .LBB159_1483
; %bb.1479:
	;; [unrolled: 3-line block ×3, first 2 shown]
	s_cmp_gt_i32 s4, 9
	s_cbranch_scc0 .LBB159_1485
; %bb.1481:
	global_load_dwordx2 v[10:11], v[8:9], off
	s_mov_b64 s[0:1], 0
	s_waitcnt vmcnt(0)
	v_cvt_f32_f64_e32 v10, v[10:11]
	s_branch .LBB159_1486
.LBB159_1482:
	s_mov_b64 s[0:1], -1
                                        ; implicit-def: $vgpr10
	s_branch .LBB159_1504
.LBB159_1483:
	s_mov_b64 s[0:1], -1
                                        ; implicit-def: $vgpr10
	s_branch .LBB159_1492
.LBB159_1484:
	s_mov_b64 s[0:1], -1
                                        ; implicit-def: $vgpr10
	s_branch .LBB159_1489
.LBB159_1485:
	s_mov_b64 s[0:1], -1
                                        ; implicit-def: $vgpr10
.LBB159_1486:
	s_andn2_b64 vcc, exec, s[0:1]
	s_cbranch_vccnz .LBB159_1488
; %bb.1487:
	global_load_dword v10, v[8:9], off
.LBB159_1488:
	s_mov_b64 s[0:1], 0
.LBB159_1489:
	s_andn2_b64 vcc, exec, s[0:1]
	s_cbranch_vccnz .LBB159_1491
; %bb.1490:
	global_load_dword v5, v[8:9], off
	s_waitcnt vmcnt(0)
	v_cvt_f32_f16_e32 v10, v5
.LBB159_1491:
	s_mov_b64 s[0:1], 0
.LBB159_1492:
	s_andn2_b64 vcc, exec, s[0:1]
	s_cbranch_vccnz .LBB159_1503
; %bb.1493:
	s_cmp_lt_i32 s4, 6
	s_cbranch_scc1 .LBB159_1496
; %bb.1494:
	s_cmp_gt_i32 s4, 6
	s_cbranch_scc0 .LBB159_1497
; %bb.1495:
	global_load_dwordx2 v[10:11], v[8:9], off
	s_mov_b64 s[0:1], 0
	s_waitcnt vmcnt(0)
	v_cvt_f32_f64_e32 v10, v[10:11]
	s_branch .LBB159_1498
.LBB159_1496:
	s_mov_b64 s[0:1], -1
                                        ; implicit-def: $vgpr10
	s_branch .LBB159_1501
.LBB159_1497:
	s_mov_b64 s[0:1], -1
                                        ; implicit-def: $vgpr10
.LBB159_1498:
	s_andn2_b64 vcc, exec, s[0:1]
	s_cbranch_vccnz .LBB159_1500
; %bb.1499:
	global_load_dword v10, v[8:9], off
.LBB159_1500:
	s_mov_b64 s[0:1], 0
.LBB159_1501:
	s_andn2_b64 vcc, exec, s[0:1]
	s_cbranch_vccnz .LBB159_1503
; %bb.1502:
	global_load_ushort v5, v[8:9], off
	s_waitcnt vmcnt(0)
	v_cvt_f32_f16_e32 v10, v5
.LBB159_1503:
	s_mov_b64 s[0:1], 0
.LBB159_1504:
	s_andn2_b64 vcc, exec, s[0:1]
	s_cbranch_vccnz .LBB159_1524
; %bb.1505:
	s_cmp_lt_i32 s4, 2
	s_cbranch_scc1 .LBB159_1509
; %bb.1506:
	s_cmp_lt_i32 s4, 3
	s_cbranch_scc1 .LBB159_1510
; %bb.1507:
	s_cmp_gt_i32 s4, 3
	s_cbranch_scc0 .LBB159_1511
; %bb.1508:
	global_load_dwordx2 v[10:11], v[8:9], off
	s_mov_b64 s[0:1], 0
	s_waitcnt vmcnt(0)
	v_xor_b32_e32 v12, v10, v11
	v_ffbh_i32_e32 v5, v11
	v_ashrrev_i32_e32 v12, 31, v12
	v_add_u32_e32 v5, -1, v5
	v_add_u32_e32 v12, 32, v12
	v_min_u32_e32 v5, v5, v12
	v_lshlrev_b64 v[10:11], v5, v[10:11]
	v_sub_u32_e32 v5, 32, v5
	v_min_u32_e32 v10, 1, v10
	v_or_b32_e32 v10, v11, v10
	v_cvt_f32_i32_e32 v10, v10
	v_ldexp_f32 v10, v10, v5
	s_branch .LBB159_1512
.LBB159_1509:
	s_mov_b64 s[0:1], -1
                                        ; implicit-def: $vgpr10
	s_branch .LBB159_1518
.LBB159_1510:
	s_mov_b64 s[0:1], -1
                                        ; implicit-def: $vgpr10
	s_branch .LBB159_1515
.LBB159_1511:
	s_mov_b64 s[0:1], -1
                                        ; implicit-def: $vgpr10
.LBB159_1512:
	s_andn2_b64 vcc, exec, s[0:1]
	s_cbranch_vccnz .LBB159_1514
; %bb.1513:
	global_load_dword v5, v[8:9], off
	s_waitcnt vmcnt(0)
	v_cvt_f32_i32_e32 v10, v5
.LBB159_1514:
	s_mov_b64 s[0:1], 0
.LBB159_1515:
	s_andn2_b64 vcc, exec, s[0:1]
	s_cbranch_vccnz .LBB159_1517
; %bb.1516:
	global_load_sshort v5, v[8:9], off
	s_waitcnt vmcnt(0)
	v_cvt_f32_i32_e32 v10, v5
.LBB159_1517:
	s_mov_b64 s[0:1], 0
.LBB159_1518:
	s_andn2_b64 vcc, exec, s[0:1]
	s_cbranch_vccnz .LBB159_1524
; %bb.1519:
	s_cmp_gt_i32 s4, 0
	s_cbranch_scc0 .LBB159_1521
; %bb.1520:
	global_load_sbyte v5, v[8:9], off
	s_mov_b64 s[0:1], 0
	s_waitcnt vmcnt(0)
	v_cvt_f32_i32_e32 v10, v5
	s_branch .LBB159_1522
.LBB159_1521:
	s_mov_b64 s[0:1], -1
                                        ; implicit-def: $vgpr10
.LBB159_1522:
	s_andn2_b64 vcc, exec, s[0:1]
	s_cbranch_vccnz .LBB159_1524
; %bb.1523:
	global_load_ubyte v5, v[8:9], off
	s_waitcnt vmcnt(0)
	v_cvt_f32_ubyte0_e32 v10, v5
.LBB159_1524:
.LBB159_1525:
	v_mov_b32_e32 v5, s11
	v_add_co_u32_e32 v7, vcc, s10, v7
	s_cmp_lt_i32 s16, 11
	v_addc_co_u32_e32 v8, vcc, 0, v5, vcc
	s_cbranch_scc1 .LBB159_1532
; %bb.1526:
	s_and_b32 s14, 0xffff, s16
	s_cmp_gt_i32 s14, 25
	s_mov_b64 s[4:5], 0
	s_cbranch_scc0 .LBB159_1533
; %bb.1527:
	s_cmp_gt_i32 s14, 28
	s_cbranch_scc0 .LBB159_1534
; %bb.1528:
	s_cmp_gt_i32 s14, 43
	;; [unrolled: 3-line block ×3, first 2 shown]
	s_cbranch_scc0 .LBB159_1537
; %bb.1530:
	s_cmp_eq_u32 s14, 46
	s_mov_b64 s[10:11], 0
	s_cbranch_scc0 .LBB159_1538
; %bb.1531:
	global_load_dword v5, v[7:8], off
	s_mov_b64 s[0:1], 0
	s_mov_b64 s[6:7], -1
	s_waitcnt vmcnt(0)
	v_lshlrev_b32_e32 v9, 16, v5
	s_branch .LBB159_1539
.LBB159_1532:
	s_mov_b64 s[0:1], -1
	s_mov_b64 s[6:7], 0
                                        ; implicit-def: $vgpr9
	s_branch .LBB159_1605
.LBB159_1533:
	s_mov_b64 s[10:11], -1
	s_mov_b64 s[6:7], 0
	s_mov_b64 s[0:1], 0
                                        ; implicit-def: $vgpr9
	s_branch .LBB159_1568
.LBB159_1534:
	s_mov_b64 s[10:11], -1
	s_mov_b64 s[6:7], 0
	s_mov_b64 s[0:1], 0
                                        ; implicit-def: $vgpr9
	s_branch .LBB159_1549
.LBB159_1535:
	s_mov_b64 s[10:11], -1
	s_mov_b64 s[6:7], 0
	s_mov_b64 s[0:1], 0
                                        ; implicit-def: $vgpr9
	s_branch .LBB159_1544
.LBB159_1536:
	s_trap 2
	s_or_b64 s[2:3], s[2:3], exec
	s_cbranch_execz .LBB159_1475
	s_branch .LBB159_1476
.LBB159_1537:
	s_mov_b64 s[10:11], -1
	s_mov_b64 s[6:7], 0
	s_mov_b64 s[0:1], 0
                                        ; implicit-def: $vgpr9
	s_branch .LBB159_1539
.LBB159_1538:
	s_mov_b64 s[0:1], -1
                                        ; implicit-def: $vgpr9
	s_mov_b64 s[6:7], 0
.LBB159_1539:
	s_and_b64 vcc, exec, s[10:11]
	s_cbranch_vccz .LBB159_1543
; %bb.1540:
	s_cmp_eq_u32 s14, 44
	s_cbranch_scc0 .LBB159_1542
; %bb.1541:
	global_load_ubyte v5, v[7:8], off
	s_movk_i32 s6, 0xff
	v_mov_b32_e32 v9, 0x7f800001
	v_mov_b32_e32 v11, 0x400000
	s_mov_b64 s[0:1], 0
	s_waitcnt vmcnt(0)
	v_lshlrev_b32_e32 v12, 23, v5
	v_cmp_ne_u32_e32 vcc, s6, v5
	v_cndmask_b32_e32 v9, v9, v12, vcc
	v_cmp_ne_u32_e32 vcc, 0, v5
	v_cndmask_b32_e32 v9, v11, v9, vcc
	s_mov_b64 s[6:7], -1
	s_branch .LBB159_1543
.LBB159_1542:
	s_mov_b64 s[0:1], -1
                                        ; implicit-def: $vgpr9
.LBB159_1543:
	s_mov_b64 s[10:11], 0
.LBB159_1544:
	s_and_b64 vcc, exec, s[10:11]
	s_cbranch_vccz .LBB159_1548
; %bb.1545:
	s_cmp_eq_u32 s14, 29
	s_cbranch_scc0 .LBB159_1547
; %bb.1546:
	global_load_dwordx2 v[11:12], v[7:8], off
	s_mov_b64 s[0:1], 0
	s_mov_b64 s[6:7], -1
	s_mov_b64 s[10:11], 0
	s_waitcnt vmcnt(0)
	v_ffbh_u32_e32 v5, v12
	v_min_u32_e32 v5, 32, v5
	v_lshlrev_b64 v[11:12], v5, v[11:12]
	v_sub_u32_e32 v5, 32, v5
	v_min_u32_e32 v9, 1, v11
	v_or_b32_e32 v9, v12, v9
	v_cvt_f32_u32_e32 v9, v9
	v_ldexp_f32 v9, v9, v5
	s_branch .LBB159_1549
.LBB159_1547:
	s_mov_b64 s[0:1], -1
                                        ; implicit-def: $vgpr9
.LBB159_1548:
	s_mov_b64 s[10:11], 0
.LBB159_1549:
	s_and_b64 vcc, exec, s[10:11]
	s_cbranch_vccz .LBB159_1567
; %bb.1550:
	s_cmp_lt_i32 s14, 27
	s_cbranch_scc1 .LBB159_1553
; %bb.1551:
	s_cmp_gt_i32 s14, 27
	s_cbranch_scc0 .LBB159_1554
; %bb.1552:
	global_load_dword v5, v[7:8], off
	s_mov_b64 s[6:7], 0
	s_waitcnt vmcnt(0)
	v_cvt_f32_u32_e32 v9, v5
	s_branch .LBB159_1555
.LBB159_1553:
	s_mov_b64 s[6:7], -1
                                        ; implicit-def: $vgpr9
	s_branch .LBB159_1558
.LBB159_1554:
	s_mov_b64 s[6:7], -1
                                        ; implicit-def: $vgpr9
.LBB159_1555:
	s_andn2_b64 vcc, exec, s[6:7]
	s_cbranch_vccnz .LBB159_1557
; %bb.1556:
	global_load_ushort v5, v[7:8], off
	s_waitcnt vmcnt(0)
	v_cvt_f32_u32_e32 v9, v5
.LBB159_1557:
	s_mov_b64 s[6:7], 0
.LBB159_1558:
	s_andn2_b64 vcc, exec, s[6:7]
	s_cbranch_vccnz .LBB159_1566
; %bb.1559:
	global_load_ubyte v5, v[7:8], off
	s_movk_i32 s6, 0x7f
	s_waitcnt vmcnt(0)
	v_cmp_lt_i16_e32 vcc, s6, v5
	s_mov_b64 s[6:7], 0
	s_and_saveexec_b64 s[10:11], vcc
	s_xor_b64 s[10:11], exec, s[10:11]
	s_cbranch_execz .LBB159_1580
; %bb.1560:
	s_movk_i32 s6, 0x80
	v_cmp_eq_u16_e32 vcc, s6, v5
	s_mov_b64 s[6:7], -1
	s_and_saveexec_b64 s[12:13], vcc
; %bb.1561:
	s_xor_b64 s[6:7], exec, -1
; %bb.1562:
	s_or_b64 exec, exec, s[12:13]
	s_and_b64 s[6:7], s[6:7], exec
	s_or_saveexec_b64 s[10:11], s[10:11]
	v_mov_b32_e32 v9, 0x7f800001
	s_xor_b64 exec, exec, s[10:11]
	s_cbranch_execnz .LBB159_1581
.LBB159_1563:
	s_or_b64 exec, exec, s[10:11]
	s_and_saveexec_b64 s[10:11], s[6:7]
	s_cbranch_execz .LBB159_1565
.LBB159_1564:
	v_lshlrev_b32_e32 v9, 24, v5
	v_and_b32_e32 v5, 0xffff, v5
	v_and_b32_e32 v11, 7, v5
	v_ffbh_u32_e32 v13, v11
	v_min_u32_e32 v13, 32, v13
	v_subrev_u32_e32 v14, 28, v13
	v_bfe_u32 v12, v5, 3, 4
	v_lshlrev_b32_e32 v5, v14, v5
	v_sub_u32_e32 v13, 29, v13
	v_and_b32_e32 v5, 7, v5
	v_cmp_eq_u32_e32 vcc, 0, v12
	v_cndmask_b32_e32 v12, v12, v13, vcc
	v_cndmask_b32_e32 v5, v11, v5, vcc
	v_mov_b32_e32 v11, 0x3b800000
	v_lshlrev_b32_e32 v5, 20, v5
	v_and_b32_e32 v9, 0x80000000, v9
	v_lshl_add_u32 v11, v12, 23, v11
	v_or3_b32 v9, v9, v11, v5
.LBB159_1565:
	s_or_b64 exec, exec, s[10:11]
.LBB159_1566:
	s_mov_b64 s[6:7], -1
.LBB159_1567:
	s_mov_b64 s[10:11], 0
.LBB159_1568:
	s_and_b64 vcc, exec, s[10:11]
	s_cbranch_vccz .LBB159_1601
; %bb.1569:
	s_cmp_gt_i32 s14, 22
	s_cbranch_scc0 .LBB159_1579
; %bb.1570:
	s_cmp_lt_i32 s14, 24
	s_cbranch_scc1 .LBB159_1582
; %bb.1571:
	s_cmp_gt_i32 s14, 24
	s_cbranch_scc0 .LBB159_1583
; %bb.1572:
	global_load_ubyte v5, v[7:8], off
	s_movk_i32 s4, 0x7f
	s_waitcnt vmcnt(0)
	v_cmp_lt_i16_e32 vcc, s4, v5
	s_mov_b64 s[4:5], 0
	s_and_saveexec_b64 s[6:7], vcc
	s_xor_b64 s[6:7], exec, s[6:7]
	s_cbranch_execz .LBB159_1595
; %bb.1573:
	s_movk_i32 s4, 0x80
	v_cmp_eq_u16_e32 vcc, s4, v5
	s_mov_b64 s[4:5], -1
	s_and_saveexec_b64 s[10:11], vcc
; %bb.1574:
	s_xor_b64 s[4:5], exec, -1
; %bb.1575:
	s_or_b64 exec, exec, s[10:11]
	s_and_b64 s[4:5], s[4:5], exec
	s_or_saveexec_b64 s[6:7], s[6:7]
	v_mov_b32_e32 v9, 0x7f800001
	s_xor_b64 exec, exec, s[6:7]
	s_cbranch_execnz .LBB159_1596
.LBB159_1576:
	s_or_b64 exec, exec, s[6:7]
	s_and_saveexec_b64 s[6:7], s[4:5]
	s_cbranch_execz .LBB159_1578
.LBB159_1577:
	v_lshlrev_b32_e32 v9, 24, v5
	v_and_b32_e32 v5, 0xffff, v5
	v_and_b32_e32 v11, 3, v5
	v_ffbh_u32_e32 v13, v11
	v_min_u32_e32 v13, 32, v13
	v_subrev_u32_e32 v14, 29, v13
	v_bfe_u32 v12, v5, 2, 5
	v_lshlrev_b32_e32 v5, v14, v5
	v_sub_u32_e32 v13, 30, v13
	v_and_b32_e32 v5, 3, v5
	v_cmp_eq_u32_e32 vcc, 0, v12
	v_cndmask_b32_e32 v12, v12, v13, vcc
	v_cndmask_b32_e32 v5, v11, v5, vcc
	v_mov_b32_e32 v11, 0x37800000
	v_lshlrev_b32_e32 v5, 21, v5
	v_and_b32_e32 v9, 0x80000000, v9
	v_lshl_add_u32 v11, v12, 23, v11
	v_or3_b32 v9, v9, v11, v5
.LBB159_1578:
	s_or_b64 exec, exec, s[6:7]
	s_mov_b64 s[4:5], 0
	s_branch .LBB159_1584
.LBB159_1579:
	s_mov_b64 s[4:5], -1
                                        ; implicit-def: $vgpr9
	s_branch .LBB159_1590
.LBB159_1580:
	s_or_saveexec_b64 s[10:11], s[10:11]
	v_mov_b32_e32 v9, 0x7f800001
	s_xor_b64 exec, exec, s[10:11]
	s_cbranch_execz .LBB159_1563
.LBB159_1581:
	v_cmp_ne_u16_e32 vcc, 0, v5
	s_andn2_b64 s[6:7], s[6:7], exec
	s_and_b64 s[12:13], vcc, exec
	v_mov_b32_e32 v9, 0
	s_or_b64 s[6:7], s[6:7], s[12:13]
	s_or_b64 exec, exec, s[10:11]
	s_and_saveexec_b64 s[10:11], s[6:7]
	s_cbranch_execnz .LBB159_1564
	s_branch .LBB159_1565
.LBB159_1582:
	s_mov_b64 s[4:5], -1
                                        ; implicit-def: $vgpr9
	s_branch .LBB159_1587
.LBB159_1583:
	s_mov_b64 s[4:5], -1
                                        ; implicit-def: $vgpr9
.LBB159_1584:
	s_and_b64 vcc, exec, s[4:5]
	s_cbranch_vccz .LBB159_1586
; %bb.1585:
	global_load_ubyte v5, v[7:8], off
	s_mov_b32 s4, 0x7f800000
	s_waitcnt vmcnt(0)
	v_lshlrev_b32_e32 v5, 24, v5
	v_and_b32_e32 v9, 0x7f000000, v5
	v_ffbh_u32_e32 v11, v9
	v_min_u32_e32 v11, 32, v11
	v_sub_u32_e64 v11, v11, 4 clamp
	v_lshlrev_b32_e32 v13, v11, v9
	v_lshlrev_b32_e32 v11, 23, v11
	v_lshrrev_b32_e32 v13, 4, v13
	v_add_u32_e32 v12, 0x1000000, v9
	v_sub_u32_e32 v11, v13, v11
	v_ashrrev_i32_e32 v12, 8, v12
	v_add_u32_e32 v11, 0x3c000000, v11
	v_and_or_b32 v11, v12, s4, v11
	v_cmp_ne_u32_e32 vcc, 0, v9
	v_cndmask_b32_e32 v9, 0, v11, vcc
	s_brev_b32 s4, 1
	v_and_or_b32 v9, v5, s4, v9
.LBB159_1586:
	s_mov_b64 s[4:5], 0
.LBB159_1587:
	s_andn2_b64 vcc, exec, s[4:5]
	s_cbranch_vccnz .LBB159_1589
; %bb.1588:
	global_load_ubyte v5, v[7:8], off
	s_movk_i32 s4, 0x7f00
	s_brev_b32 s5, 16
	s_waitcnt vmcnt(0)
	v_lshlrev_b16_e32 v9, 8, v5
	v_lshlrev_b32_e32 v5, 25, v5
	v_lshrrev_b32_e32 v11, 4, v5
	v_and_or_b32 v12, v9, s4, 0.5
	v_or_b32_e32 v11, 0x70000000, v11
	v_add_f32_e32 v12, -0.5, v12
	v_mul_f32_e32 v11, 0x7800000, v11
	v_cmp_gt_u32_e32 vcc, s5, v5
	v_bfe_i32 v9, v9, 0, 16
	v_cndmask_b32_e32 v5, v11, v12, vcc
	s_brev_b32 s4, 1
	v_and_or_b32 v9, v9, s4, v5
.LBB159_1589:
	s_mov_b64 s[4:5], 0
	s_mov_b64 s[6:7], -1
.LBB159_1590:
	s_andn2_b64 vcc, exec, s[4:5]
	s_mov_b64 s[4:5], 0
	s_cbranch_vccnz .LBB159_1601
; %bb.1591:
	s_cmp_gt_i32 s14, 14
	s_cbranch_scc0 .LBB159_1594
; %bb.1592:
	s_cmp_eq_u32 s14, 15
	s_cbranch_scc0 .LBB159_1597
; %bb.1593:
	global_load_ushort v5, v[7:8], off
	s_mov_b64 s[0:1], 0
	s_mov_b64 s[6:7], -1
	s_waitcnt vmcnt(0)
	v_lshlrev_b32_e32 v9, 16, v5
	s_branch .LBB159_1598
.LBB159_1594:
	s_mov_b64 s[10:11], -1
                                        ; implicit-def: $vgpr9
	s_branch .LBB159_1599
.LBB159_1595:
	s_or_saveexec_b64 s[6:7], s[6:7]
	v_mov_b32_e32 v9, 0x7f800001
	s_xor_b64 exec, exec, s[6:7]
	s_cbranch_execz .LBB159_1576
.LBB159_1596:
	v_cmp_ne_u16_e32 vcc, 0, v5
	s_andn2_b64 s[4:5], s[4:5], exec
	s_and_b64 s[10:11], vcc, exec
	v_mov_b32_e32 v9, 0
	s_or_b64 s[4:5], s[4:5], s[10:11]
	s_or_b64 exec, exec, s[6:7]
	s_and_saveexec_b64 s[6:7], s[4:5]
	s_cbranch_execnz .LBB159_1577
	s_branch .LBB159_1578
.LBB159_1597:
	s_mov_b64 s[0:1], -1
                                        ; implicit-def: $vgpr9
.LBB159_1598:
	s_mov_b64 s[10:11], 0
.LBB159_1599:
	s_and_b64 vcc, exec, s[10:11]
	s_cbranch_vccz .LBB159_1601
; %bb.1600:
	s_cmp_lg_u32 s14, 11
	s_mov_b64 s[4:5], -1
	s_cselect_b64 s[0:1], -1, 0
.LBB159_1601:
	s_and_b64 vcc, exec, s[0:1]
	s_cbranch_vccnz .LBB159_2134
; %bb.1602:
	s_andn2_b64 vcc, exec, s[4:5]
	s_cbranch_vccnz .LBB159_1604
.LBB159_1603:
	global_load_ubyte v5, v[7:8], off
	s_mov_b64 s[6:7], -1
	s_waitcnt vmcnt(0)
	v_cmp_ne_u16_e32 vcc, 0, v5
	v_cndmask_b32_e64 v9, 0, 1.0, vcc
.LBB159_1604:
	s_mov_b64 s[0:1], 0
.LBB159_1605:
	s_and_b64 vcc, exec, s[0:1]
	s_cbranch_vccz .LBB159_1654
; %bb.1606:
	s_and_b32 s4, 0xffff, s16
	s_cmp_lt_i32 s4, 5
	s_cbranch_scc1 .LBB159_1611
; %bb.1607:
	s_cmp_lt_i32 s4, 8
	s_cbranch_scc1 .LBB159_1612
; %bb.1608:
	;; [unrolled: 3-line block ×3, first 2 shown]
	s_cmp_gt_i32 s4, 9
	s_cbranch_scc0 .LBB159_1614
; %bb.1610:
	global_load_dwordx2 v[11:12], v[7:8], off
	s_mov_b64 s[0:1], 0
	s_waitcnt vmcnt(0)
	v_cvt_f32_f64_e32 v9, v[11:12]
	s_branch .LBB159_1615
.LBB159_1611:
	s_mov_b64 s[0:1], -1
                                        ; implicit-def: $vgpr9
	s_branch .LBB159_1633
.LBB159_1612:
	s_mov_b64 s[0:1], -1
                                        ; implicit-def: $vgpr9
	s_branch .LBB159_1621
.LBB159_1613:
	s_mov_b64 s[0:1], -1
                                        ; implicit-def: $vgpr9
	s_branch .LBB159_1618
.LBB159_1614:
	s_mov_b64 s[0:1], -1
                                        ; implicit-def: $vgpr9
.LBB159_1615:
	s_andn2_b64 vcc, exec, s[0:1]
	s_cbranch_vccnz .LBB159_1617
; %bb.1616:
	global_load_dword v9, v[7:8], off
.LBB159_1617:
	s_mov_b64 s[0:1], 0
.LBB159_1618:
	s_andn2_b64 vcc, exec, s[0:1]
	s_cbranch_vccnz .LBB159_1620
; %bb.1619:
	global_load_dword v5, v[7:8], off
	s_waitcnt vmcnt(0)
	v_cvt_f32_f16_e32 v9, v5
.LBB159_1620:
	s_mov_b64 s[0:1], 0
.LBB159_1621:
	s_andn2_b64 vcc, exec, s[0:1]
	s_cbranch_vccnz .LBB159_1632
; %bb.1622:
	s_cmp_lt_i32 s4, 6
	s_cbranch_scc1 .LBB159_1625
; %bb.1623:
	s_cmp_gt_i32 s4, 6
	s_cbranch_scc0 .LBB159_1626
; %bb.1624:
	global_load_dwordx2 v[11:12], v[7:8], off
	s_mov_b64 s[0:1], 0
	s_waitcnt vmcnt(0)
	v_cvt_f32_f64_e32 v9, v[11:12]
	s_branch .LBB159_1627
.LBB159_1625:
	s_mov_b64 s[0:1], -1
                                        ; implicit-def: $vgpr9
	s_branch .LBB159_1630
.LBB159_1626:
	s_mov_b64 s[0:1], -1
                                        ; implicit-def: $vgpr9
.LBB159_1627:
	s_andn2_b64 vcc, exec, s[0:1]
	s_cbranch_vccnz .LBB159_1629
; %bb.1628:
	global_load_dword v9, v[7:8], off
.LBB159_1629:
	s_mov_b64 s[0:1], 0
.LBB159_1630:
	s_andn2_b64 vcc, exec, s[0:1]
	s_cbranch_vccnz .LBB159_1632
; %bb.1631:
	global_load_ushort v5, v[7:8], off
	s_waitcnt vmcnt(0)
	v_cvt_f32_f16_e32 v9, v5
.LBB159_1632:
	s_mov_b64 s[0:1], 0
.LBB159_1633:
	s_andn2_b64 vcc, exec, s[0:1]
	s_cbranch_vccnz .LBB159_1653
; %bb.1634:
	s_cmp_lt_i32 s4, 2
	s_cbranch_scc1 .LBB159_1638
; %bb.1635:
	s_cmp_lt_i32 s4, 3
	s_cbranch_scc1 .LBB159_1639
; %bb.1636:
	s_cmp_gt_i32 s4, 3
	s_cbranch_scc0 .LBB159_1640
; %bb.1637:
	global_load_dwordx2 v[11:12], v[7:8], off
	s_mov_b64 s[0:1], 0
	s_waitcnt vmcnt(0)
	v_xor_b32_e32 v9, v11, v12
	v_ffbh_i32_e32 v5, v12
	v_ashrrev_i32_e32 v9, 31, v9
	v_add_u32_e32 v5, -1, v5
	v_add_u32_e32 v9, 32, v9
	v_min_u32_e32 v5, v5, v9
	v_lshlrev_b64 v[11:12], v5, v[11:12]
	v_sub_u32_e32 v5, 32, v5
	v_min_u32_e32 v9, 1, v11
	v_or_b32_e32 v9, v12, v9
	v_cvt_f32_i32_e32 v9, v9
	v_ldexp_f32 v9, v9, v5
	s_branch .LBB159_1641
.LBB159_1638:
	s_mov_b64 s[0:1], -1
                                        ; implicit-def: $vgpr9
	s_branch .LBB159_1647
.LBB159_1639:
	s_mov_b64 s[0:1], -1
                                        ; implicit-def: $vgpr9
	s_branch .LBB159_1644
.LBB159_1640:
	s_mov_b64 s[0:1], -1
                                        ; implicit-def: $vgpr9
.LBB159_1641:
	s_andn2_b64 vcc, exec, s[0:1]
	s_cbranch_vccnz .LBB159_1643
; %bb.1642:
	global_load_dword v5, v[7:8], off
	s_waitcnt vmcnt(0)
	v_cvt_f32_i32_e32 v9, v5
.LBB159_1643:
	s_mov_b64 s[0:1], 0
.LBB159_1644:
	s_andn2_b64 vcc, exec, s[0:1]
	s_cbranch_vccnz .LBB159_1646
; %bb.1645:
	global_load_sshort v5, v[7:8], off
	s_waitcnt vmcnt(0)
	v_cvt_f32_i32_e32 v9, v5
.LBB159_1646:
	s_mov_b64 s[0:1], 0
.LBB159_1647:
	s_andn2_b64 vcc, exec, s[0:1]
	s_cbranch_vccnz .LBB159_1653
; %bb.1648:
	s_cmp_gt_i32 s4, 0
	s_cbranch_scc0 .LBB159_1650
; %bb.1649:
	global_load_sbyte v5, v[7:8], off
	s_mov_b64 s[0:1], 0
	s_waitcnt vmcnt(0)
	v_cvt_f32_i32_e32 v9, v5
	s_branch .LBB159_1651
.LBB159_1650:
	s_mov_b64 s[0:1], -1
                                        ; implicit-def: $vgpr9
.LBB159_1651:
	s_andn2_b64 vcc, exec, s[0:1]
	s_cbranch_vccnz .LBB159_1653
; %bb.1652:
	global_load_ubyte v5, v[7:8], off
	s_waitcnt vmcnt(0)
	v_cvt_f32_ubyte0_e32 v9, v5
.LBB159_1653:
	s_mov_b64 s[6:7], -1
.LBB159_1654:
	s_andn2_b64 vcc, exec, s[6:7]
	s_cbranch_vccnz .LBB159_2088
; %bb.1655:
	s_load_dword s0, s[34:35], 0x164
	s_load_dwordx4 s[4:7], s[34:35], 0x158
	s_waitcnt lgkmcnt(0)
	s_and_b32 s18, s0, 0xff
	v_mov_b32_e32 v5, s5
	v_mov_b32_e32 v7, s6
	v_cmp_nge_f32_e32 vcc, s4, v1
	v_cndmask_b32_e32 v7, v5, v7, vcc
	v_mov_b32_e32 v1, s9
	v_add_co_u32_e32 v5, vcc, s8, v6
	s_cmp_lt_i32 s18, 11
	v_addc_co_u32_e32 v6, vcc, 0, v1, vcc
	s_cbranch_scc1 .LBB159_1733
; %bb.1656:
	s_and_b32 s7, 0xffff, s18
	s_mov_b64 s[14:15], -1
	s_mov_b64 s[10:11], 0
	s_cmp_gt_i32 s7, 25
	s_mov_b64 s[12:13], 0
	s_mov_b64 s[0:1], 0
	s_cbranch_scc0 .LBB159_1689
; %bb.1657:
	s_cmp_gt_i32 s7, 28
	s_cbranch_scc0 .LBB159_1672
; %bb.1658:
	s_cmp_gt_i32 s7, 43
	;; [unrolled: 3-line block ×3, first 2 shown]
	s_cbranch_scc0 .LBB159_1662
; %bb.1660:
	s_mov_b64 s[0:1], -1
	s_mov_b64 s[14:15], 0
	s_cmp_eq_u32 s7, 46
	s_cbranch_scc0 .LBB159_1662
; %bb.1661:
	v_bfe_u32 v1, v7, 16, 1
	s_movk_i32 s0, 0x7fff
	v_add3_u32 v1, v7, v1, s0
	v_cmp_o_f32_e32 vcc, v7, v7
	v_mov_b32_e32 v8, 0x7fc0
	v_cndmask_b32_sdwa v1, v8, v1, vcc dst_sel:DWORD dst_unused:UNUSED_PAD src0_sel:DWORD src1_sel:WORD_1
	global_store_dword v[5:6], v1, off
	s_mov_b64 s[0:1], 0
	s_mov_b64 s[12:13], -1
.LBB159_1662:
	s_and_b64 vcc, exec, s[14:15]
	s_cbranch_vccz .LBB159_1667
; %bb.1663:
	s_cmp_eq_u32 s7, 44
	s_mov_b64 s[0:1], -1
	s_cbranch_scc0 .LBB159_1667
; %bb.1664:
	v_bfe_u32 v1, v7, 23, 8
	s_movk_i32 s0, 0xff
	v_cmp_ne_u32_e32 vcc, s0, v1
	v_mov_b32_e32 v8, 0xff
	s_and_saveexec_b64 s[12:13], vcc
; %bb.1665:
	s_mov_b32 s0, 0x3fffff
	v_and_b32_e32 v11, 0x400000, v7
	v_and_or_b32 v1, v7, s0, v1
	v_cmp_ne_u32_e32 vcc, 0, v11
	v_cmp_ne_u32_e64 s[0:1], 0, v1
	s_and_b64 s[0:1], vcc, s[0:1]
	v_lshrrev_b32_e32 v8, 23, v7
	v_cndmask_b32_e64 v1, 0, 1, s[0:1]
	v_add_u32_e32 v8, v8, v1
; %bb.1666:
	s_or_b64 exec, exec, s[12:13]
	s_mov_b64 s[0:1], 0
	s_mov_b64 s[12:13], -1
	global_store_byte v[5:6], v8, off
.LBB159_1667:
	s_mov_b64 s[14:15], 0
.LBB159_1668:
	s_and_b64 vcc, exec, s[14:15]
	s_cbranch_vccz .LBB159_1671
; %bb.1669:
	s_cmp_eq_u32 s7, 29
	s_mov_b64 s[0:1], -1
	s_cbranch_scc0 .LBB159_1671
; %bb.1670:
	v_trunc_f32_e32 v1, v7
	v_mul_f32_e32 v8, 0x2f800000, v1
	v_floor_f32_e32 v8, v8
	v_fmac_f32_e32 v1, 0xcf800000, v8
	v_cvt_u32_f32_e32 v12, v8
	v_cvt_u32_f32_e32 v11, v1
	s_mov_b64 s[0:1], 0
	s_mov_b64 s[12:13], -1
	global_store_dwordx2 v[5:6], v[11:12], off
.LBB159_1671:
	s_mov_b64 s[14:15], 0
.LBB159_1672:
	s_and_b64 vcc, exec, s[14:15]
	s_cbranch_vccz .LBB159_1688
; %bb.1673:
	s_cmp_lt_i32 s7, 27
	s_mov_b64 s[12:13], -1
	s_cbranch_scc1 .LBB159_1679
; %bb.1674:
	v_cvt_u32_f32_e32 v1, v7
	s_cmp_gt_i32 s7, 27
	s_cbranch_scc0 .LBB159_1676
; %bb.1675:
	s_mov_b64 s[12:13], 0
	global_store_dword v[5:6], v1, off
.LBB159_1676:
	s_andn2_b64 vcc, exec, s[12:13]
	s_cbranch_vccnz .LBB159_1678
; %bb.1677:
	global_store_short v[5:6], v1, off
.LBB159_1678:
	s_mov_b64 s[12:13], 0
.LBB159_1679:
	s_andn2_b64 vcc, exec, s[12:13]
	s_cbranch_vccnz .LBB159_1687
; %bb.1680:
	v_and_b32_e32 v1, 0x7fffffff, v7
	s_mov_b32 s12, 0x43800000
	v_cmp_gt_u32_e32 vcc, s12, v1
	v_mov_b32_e32 v8, 0x80
	s_and_saveexec_b64 s[12:13], vcc
	s_cbranch_execz .LBB159_1686
; %bb.1681:
	s_mov_b32 s14, 0x3bffffff
	v_cmp_lt_u32_e32 vcc, s14, v1
	s_mov_b64 s[14:15], 0
                                        ; implicit-def: $vgpr1
	s_and_saveexec_b64 s[16:17], vcc
	s_xor_b64 s[16:17], exec, s[16:17]
	s_cbranch_execz .LBB159_2135
; %bb.1682:
	v_bfe_u32 v1, v7, 20, 1
	s_mov_b32 s19, 0x487ffff
	v_add3_u32 v1, v7, v1, s19
	s_mov_b64 s[14:15], exec
	v_lshrrev_b32_e32 v1, 20, v1
	s_andn2_saveexec_b64 s[16:17], s[16:17]
	s_cbranch_execnz .LBB159_2136
.LBB159_1683:
	s_or_b64 exec, exec, s[16:17]
	v_mov_b32_e32 v8, 0
	s_and_saveexec_b64 s[16:17], s[14:15]
.LBB159_1684:
	v_lshrrev_b32_e32 v8, 24, v7
	s_movk_i32 s14, 0x80
	v_and_or_b32 v8, v8, s14, v1
.LBB159_1685:
	s_or_b64 exec, exec, s[16:17]
.LBB159_1686:
	s_or_b64 exec, exec, s[12:13]
	global_store_byte v[5:6], v8, off
.LBB159_1687:
	s_mov_b64 s[12:13], -1
.LBB159_1688:
	s_mov_b64 s[14:15], 0
.LBB159_1689:
	s_and_b64 vcc, exec, s[14:15]
	s_cbranch_vccz .LBB159_1729
; %bb.1690:
	s_cmp_gt_i32 s7, 22
	s_mov_b64 s[10:11], -1
	s_cbranch_scc0 .LBB159_1722
; %bb.1691:
	s_cmp_lt_i32 s7, 24
	s_cbranch_scc1 .LBB159_1711
; %bb.1692:
	s_cmp_gt_i32 s7, 24
	s_cbranch_scc0 .LBB159_1700
; %bb.1693:
	v_and_b32_e32 v1, 0x7fffffff, v7
	s_mov_b32 s10, 0x47800000
	v_cmp_gt_u32_e32 vcc, s10, v1
	v_mov_b32_e32 v8, 0x80
	s_and_saveexec_b64 s[10:11], vcc
	s_cbranch_execz .LBB159_1699
; %bb.1694:
	s_mov_b32 s12, 0x37ffffff
	v_cmp_lt_u32_e32 vcc, s12, v1
	s_mov_b64 s[12:13], 0
                                        ; implicit-def: $vgpr1
	s_and_saveexec_b64 s[14:15], vcc
	s_xor_b64 s[14:15], exec, s[14:15]
	s_cbranch_execz .LBB159_2138
; %bb.1695:
	v_bfe_u32 v1, v7, 21, 1
	s_mov_b32 s16, 0x88fffff
	v_add3_u32 v1, v7, v1, s16
	s_mov_b64 s[12:13], exec
	v_lshrrev_b32_e32 v1, 21, v1
	s_andn2_saveexec_b64 s[14:15], s[14:15]
	s_cbranch_execnz .LBB159_2139
.LBB159_1696:
	s_or_b64 exec, exec, s[14:15]
	v_mov_b32_e32 v8, 0
	s_and_saveexec_b64 s[14:15], s[12:13]
.LBB159_1697:
	v_lshrrev_b32_e32 v8, 24, v7
	s_movk_i32 s12, 0x80
	v_and_or_b32 v8, v8, s12, v1
.LBB159_1698:
	s_or_b64 exec, exec, s[14:15]
.LBB159_1699:
	s_or_b64 exec, exec, s[10:11]
	s_mov_b64 s[10:11], 0
	global_store_byte v[5:6], v8, off
.LBB159_1700:
	s_and_b64 vcc, exec, s[10:11]
	s_cbranch_vccz .LBB159_1710
; %bb.1701:
	v_and_b32_e32 v8, 0x7fffffff, v7
	s_mov_b32 s10, 0x43f00000
	v_cmp_gt_u32_e32 vcc, s10, v8
                                        ; implicit-def: $vgpr1
	s_and_saveexec_b64 s[10:11], vcc
	s_xor_b64 s[10:11], exec, s[10:11]
	s_cbranch_execz .LBB159_1707
; %bb.1702:
	s_mov_b32 s12, 0x3c7fffff
	v_cmp_lt_u32_e32 vcc, s12, v8
                                        ; implicit-def: $vgpr1
	s_and_saveexec_b64 s[12:13], vcc
	s_xor_b64 s[12:13], exec, s[12:13]
; %bb.1703:
	v_bfe_u32 v1, v7, 20, 1
	s_mov_b32 s14, 0x407ffff
	v_add3_u32 v1, v7, v1, s14
	v_lshrrev_b32_e32 v8, 20, v1
	v_and_b32_e32 v1, 0xff00000, v1
	s_mov_b32 s14, 0x7f00000
	v_mov_b32_e32 v11, 0x7e
	v_cmp_ne_u32_e32 vcc, s14, v1
	v_cndmask_b32_e32 v1, v11, v8, vcc
; %bb.1704:
	s_andn2_saveexec_b64 s[12:13], s[12:13]
; %bb.1705:
	s_mov_b32 s14, 0x46800000
	v_add_f32_e64 v1, |v7|, s14
; %bb.1706:
	s_or_b64 exec, exec, s[12:13]
                                        ; implicit-def: $vgpr8
.LBB159_1707:
	s_andn2_saveexec_b64 s[10:11], s[10:11]
; %bb.1708:
	s_mov_b32 s12, 0x7f800000
	v_mov_b32_e32 v1, 0x7e
	v_mov_b32_e32 v11, 0x7f
	v_cmp_lt_u32_e32 vcc, s12, v8
	v_cndmask_b32_e32 v1, v1, v11, vcc
; %bb.1709:
	s_or_b64 exec, exec, s[10:11]
	v_lshrrev_b32_e32 v8, 24, v7
	s_movk_i32 s10, 0x80
	v_and_or_b32 v1, v8, s10, v1
	global_store_byte v[5:6], v1, off
.LBB159_1710:
	s_mov_b64 s[10:11], 0
.LBB159_1711:
	s_andn2_b64 vcc, exec, s[10:11]
	s_cbranch_vccnz .LBB159_1721
; %bb.1712:
	v_and_b32_e32 v8, 0x7fffffff, v7
	s_mov_b32 s10, 0x47800000
	v_cmp_gt_u32_e32 vcc, s10, v8
                                        ; implicit-def: $vgpr1
	s_and_saveexec_b64 s[10:11], vcc
	s_xor_b64 s[10:11], exec, s[10:11]
	s_cbranch_execz .LBB159_1718
; %bb.1713:
	s_mov_b32 s12, 0x387fffff
	v_cmp_lt_u32_e32 vcc, s12, v8
                                        ; implicit-def: $vgpr1
	s_and_saveexec_b64 s[12:13], vcc
	s_xor_b64 s[12:13], exec, s[12:13]
; %bb.1714:
	v_bfe_u32 v1, v7, 21, 1
	s_mov_b32 s14, 0x80fffff
	v_add3_u32 v1, v7, v1, s14
	v_lshrrev_b32_e32 v1, 21, v1
; %bb.1715:
	s_andn2_saveexec_b64 s[12:13], s[12:13]
; %bb.1716:
	s_mov_b32 s14, 0x43000000
	v_add_f32_e64 v1, |v7|, s14
; %bb.1717:
	s_or_b64 exec, exec, s[12:13]
                                        ; implicit-def: $vgpr8
.LBB159_1718:
	s_andn2_saveexec_b64 s[10:11], s[10:11]
; %bb.1719:
	s_mov_b32 s12, 0x7f800000
	v_mov_b32_e32 v1, 0x7c
	v_mov_b32_e32 v11, 0x7f
	v_cmp_lt_u32_e32 vcc, s12, v8
	v_cndmask_b32_e32 v1, v1, v11, vcc
; %bb.1720:
	s_or_b64 exec, exec, s[10:11]
	v_lshrrev_b32_e32 v8, 24, v7
	s_movk_i32 s10, 0x80
	v_and_or_b32 v1, v8, s10, v1
	global_store_byte v[5:6], v1, off
.LBB159_1721:
	s_mov_b64 s[10:11], 0
	s_mov_b64 s[12:13], -1
.LBB159_1722:
	s_andn2_b64 vcc, exec, s[10:11]
	s_mov_b64 s[10:11], 0
	s_cbranch_vccnz .LBB159_1729
; %bb.1723:
	s_cmp_gt_i32 s7, 14
	s_mov_b64 s[14:15], -1
	s_cbranch_scc0 .LBB159_1727
; %bb.1724:
	s_cmp_eq_u32 s7, 15
	s_mov_b64 s[0:1], -1
	s_cbranch_scc0 .LBB159_1726
; %bb.1725:
	v_bfe_u32 v1, v7, 16, 1
	s_movk_i32 s0, 0x7fff
	v_add3_u32 v1, v7, v1, s0
	v_cmp_o_f32_e32 vcc, v7, v7
	v_mov_b32_e32 v8, 0x7fc0
	v_cndmask_b32_sdwa v1, v8, v1, vcc dst_sel:DWORD dst_unused:UNUSED_PAD src0_sel:DWORD src1_sel:WORD_1
	global_store_short v[5:6], v1, off
	s_mov_b64 s[0:1], 0
	s_mov_b64 s[12:13], -1
.LBB159_1726:
	s_mov_b64 s[14:15], 0
.LBB159_1727:
	s_and_b64 vcc, exec, s[14:15]
	s_cbranch_vccz .LBB159_1729
; %bb.1728:
	s_cmp_lg_u32 s7, 11
	s_mov_b64 s[10:11], -1
	s_cselect_b64 s[0:1], -1, 0
.LBB159_1729:
	s_and_b64 vcc, exec, s[0:1]
	s_cbranch_vccnz .LBB159_2137
; %bb.1730:
	s_andn2_b64 vcc, exec, s[10:11]
	s_cbranch_vccnz .LBB159_1732
.LBB159_1731:
	v_cmp_neq_f32_e32 vcc, 0, v7
	v_cndmask_b32_e64 v1, 0, 1, vcc
	s_mov_b64 s[12:13], -1
	global_store_byte v[5:6], v1, off
.LBB159_1732:
	s_mov_b64 s[0:1], 0
	s_branch .LBB159_1734
.LBB159_1733:
	s_mov_b64 s[0:1], -1
	s_mov_b64 s[12:13], 0
.LBB159_1734:
	s_and_b64 vcc, exec, s[0:1]
	s_cbranch_vccz .LBB159_1773
; %bb.1735:
	s_and_b32 s7, 0xffff, s18
	s_cmp_lt_i32 s7, 5
	s_mov_b64 s[0:1], -1
	s_cbranch_scc1 .LBB159_1756
; %bb.1736:
	s_cmp_lt_i32 s7, 8
	s_cbranch_scc1 .LBB159_1746
; %bb.1737:
	s_cmp_lt_i32 s7, 9
	s_cbranch_scc1 .LBB159_1743
; %bb.1738:
	s_cmp_gt_i32 s7, 9
	s_cbranch_scc0 .LBB159_1740
; %bb.1739:
	v_cvt_f64_f32_e32 v[11:12], v7
	v_mov_b32_e32 v13, 0
	v_mov_b32_e32 v14, v13
	s_mov_b64 s[0:1], 0
	global_store_dwordx4 v[5:6], v[11:14], off
.LBB159_1740:
	s_andn2_b64 vcc, exec, s[0:1]
	s_cbranch_vccnz .LBB159_1742
; %bb.1741:
	v_mov_b32_e32 v8, 0
	global_store_dwordx2 v[5:6], v[7:8], off
.LBB159_1742:
	s_mov_b64 s[0:1], 0
.LBB159_1743:
	s_andn2_b64 vcc, exec, s[0:1]
	s_cbranch_vccnz .LBB159_1745
; %bb.1744:
	v_cvt_f16_f32_e32 v1, v7
	global_store_dword v[5:6], v1, off
.LBB159_1745:
	s_mov_b64 s[0:1], 0
.LBB159_1746:
	s_andn2_b64 vcc, exec, s[0:1]
	s_cbranch_vccnz .LBB159_1755
; %bb.1747:
	s_cmp_lt_i32 s7, 6
	s_mov_b64 s[0:1], -1
	s_cbranch_scc1 .LBB159_1753
; %bb.1748:
	s_cmp_gt_i32 s7, 6
	s_cbranch_scc0 .LBB159_1750
; %bb.1749:
	v_cvt_f64_f32_e32 v[11:12], v7
	s_mov_b64 s[0:1], 0
	global_store_dwordx2 v[5:6], v[11:12], off
.LBB159_1750:
	s_andn2_b64 vcc, exec, s[0:1]
	s_cbranch_vccnz .LBB159_1752
; %bb.1751:
	global_store_dword v[5:6], v7, off
.LBB159_1752:
	s_mov_b64 s[0:1], 0
.LBB159_1753:
	s_andn2_b64 vcc, exec, s[0:1]
	s_cbranch_vccnz .LBB159_1755
; %bb.1754:
	v_cvt_f16_f32_e32 v1, v7
	global_store_short v[5:6], v1, off
.LBB159_1755:
	s_mov_b64 s[0:1], 0
.LBB159_1756:
	s_andn2_b64 vcc, exec, s[0:1]
	s_cbranch_vccnz .LBB159_1772
; %bb.1757:
	s_cmp_lt_i32 s7, 2
	s_mov_b64 s[0:1], -1
	s_cbranch_scc1 .LBB159_1767
; %bb.1758:
	s_cmp_lt_i32 s7, 3
	s_cbranch_scc1 .LBB159_1764
; %bb.1759:
	s_cmp_gt_i32 s7, 3
	s_cbranch_scc0 .LBB159_1761
; %bb.1760:
	v_trunc_f32_e32 v1, v7
	s_mov_b32 s0, 0x2f800000
	v_mul_f32_e64 v8, |v1|, s0
	v_floor_f32_e32 v8, v8
	s_mov_b32 s0, 0xcf800000
	v_cvt_u32_f32_e32 v11, v8
	v_fma_f32 v8, v8, s0, |v1|
	v_cvt_u32_f32_e32 v8, v8
	v_ashrrev_i32_e32 v1, 31, v1
	v_xor_b32_e32 v12, v11, v1
	s_mov_b64 s[0:1], 0
	v_xor_b32_e32 v8, v8, v1
	v_sub_co_u32_e32 v11, vcc, v8, v1
	v_subb_co_u32_e32 v12, vcc, v12, v1, vcc
	global_store_dwordx2 v[5:6], v[11:12], off
.LBB159_1761:
	s_andn2_b64 vcc, exec, s[0:1]
	s_cbranch_vccnz .LBB159_1763
; %bb.1762:
	v_cvt_i32_f32_e32 v1, v7
	global_store_dword v[5:6], v1, off
.LBB159_1763:
	s_mov_b64 s[0:1], 0
.LBB159_1764:
	s_andn2_b64 vcc, exec, s[0:1]
	s_cbranch_vccnz .LBB159_1766
; %bb.1765:
	v_cvt_i32_f32_e32 v1, v7
	global_store_short v[5:6], v1, off
.LBB159_1766:
	s_mov_b64 s[0:1], 0
.LBB159_1767:
	s_andn2_b64 vcc, exec, s[0:1]
	s_cbranch_vccnz .LBB159_1772
; %bb.1768:
	s_cmp_gt_i32 s7, 0
	s_mov_b64 s[0:1], -1
	s_cbranch_scc0 .LBB159_1770
; %bb.1769:
	v_cvt_i32_f32_e32 v1, v7
	s_mov_b64 s[0:1], 0
	global_store_byte v[5:6], v1, off
.LBB159_1770:
	s_andn2_b64 vcc, exec, s[0:1]
	s_cbranch_vccnz .LBB159_1772
; %bb.1771:
	v_trunc_f32_e32 v1, v7
	s_mov_b32 s0, 0x2f800000
	v_mul_f32_e64 v7, |v1|, s0
	v_floor_f32_e32 v7, v7
	s_mov_b32 s0, 0xcf800000
	v_fma_f32 v7, v7, s0, |v1|
	v_cvt_u32_f32_e32 v7, v7
	v_ashrrev_i32_e32 v1, 31, v1
	v_xor_b32_e32 v7, v7, v1
	v_sub_u32_e32 v1, v7, v1
	global_store_byte v[5:6], v1, off
.LBB159_1772:
	s_mov_b64 s[12:13], -1
.LBB159_1773:
	s_andn2_b64 vcc, exec, s[12:13]
	s_cbranch_vccnz .LBB159_2088
; %bb.1774:
	v_mov_b32_e32 v1, s5
	v_mov_b32_e32 v5, s6
	s_waitcnt vmcnt(0)
	v_cmp_nge_f32_e32 vcc, s4, v3
	v_cndmask_b32_e32 v5, v1, v5, vcc
	v_mov_b32_e32 v1, s9
	s_and_b32 s19, 0xffff, s18
	v_add_co_u32_e32 v3, vcc, s8, v4
	s_cmp_lt_i32 s19, 11
	v_addc_co_u32_e32 v4, vcc, 0, v1, vcc
	s_cbranch_scc1 .LBB159_1852
; %bb.1775:
	s_mov_b64 s[14:15], -1
	s_mov_b64 s[10:11], 0
	s_cmp_gt_i32 s19, 25
	s_mov_b64 s[12:13], 0
	s_mov_b64 s[0:1], 0
	s_cbranch_scc0 .LBB159_1808
; %bb.1776:
	s_cmp_gt_i32 s19, 28
	s_cbranch_scc0 .LBB159_1791
; %bb.1777:
	s_cmp_gt_i32 s19, 43
	s_cbranch_scc0 .LBB159_1787
; %bb.1778:
	s_cmp_gt_i32 s19, 45
	s_cbranch_scc0 .LBB159_1781
; %bb.1779:
	s_mov_b64 s[0:1], -1
	s_mov_b64 s[14:15], 0
	s_cmp_eq_u32 s19, 46
	s_cbranch_scc0 .LBB159_1781
; %bb.1780:
	v_bfe_u32 v1, v5, 16, 1
	s_movk_i32 s0, 0x7fff
	v_add3_u32 v1, v5, v1, s0
	v_cmp_o_f32_e32 vcc, v5, v5
	v_mov_b32_e32 v6, 0x7fc0
	v_cndmask_b32_sdwa v1, v6, v1, vcc dst_sel:DWORD dst_unused:UNUSED_PAD src0_sel:DWORD src1_sel:WORD_1
	global_store_dword v[3:4], v1, off
	s_mov_b64 s[0:1], 0
	s_mov_b64 s[12:13], -1
.LBB159_1781:
	s_and_b64 vcc, exec, s[14:15]
	s_cbranch_vccz .LBB159_1786
; %bb.1782:
	s_cmp_eq_u32 s19, 44
	s_mov_b64 s[0:1], -1
	s_cbranch_scc0 .LBB159_1786
; %bb.1783:
	v_bfe_u32 v1, v5, 23, 8
	s_movk_i32 s0, 0xff
	v_cmp_ne_u32_e32 vcc, s0, v1
	v_mov_b32_e32 v6, 0xff
	s_and_saveexec_b64 s[12:13], vcc
; %bb.1784:
	s_mov_b32 s0, 0x3fffff
	v_and_b32_e32 v7, 0x400000, v5
	v_and_or_b32 v1, v5, s0, v1
	v_cmp_ne_u32_e32 vcc, 0, v7
	v_cmp_ne_u32_e64 s[0:1], 0, v1
	s_and_b64 s[0:1], vcc, s[0:1]
	v_lshrrev_b32_e32 v6, 23, v5
	v_cndmask_b32_e64 v1, 0, 1, s[0:1]
	v_add_u32_e32 v6, v6, v1
; %bb.1785:
	s_or_b64 exec, exec, s[12:13]
	s_mov_b64 s[0:1], 0
	s_mov_b64 s[12:13], -1
	global_store_byte v[3:4], v6, off
.LBB159_1786:
	s_mov_b64 s[14:15], 0
.LBB159_1787:
	s_and_b64 vcc, exec, s[14:15]
	s_cbranch_vccz .LBB159_1790
; %bb.1788:
	s_cmp_eq_u32 s19, 29
	s_mov_b64 s[0:1], -1
	s_cbranch_scc0 .LBB159_1790
; %bb.1789:
	v_trunc_f32_e32 v1, v5
	v_mul_f32_e32 v6, 0x2f800000, v1
	v_floor_f32_e32 v6, v6
	v_fmac_f32_e32 v1, 0xcf800000, v6
	v_cvt_u32_f32_e32 v7, v6
	v_cvt_u32_f32_e32 v6, v1
	s_mov_b64 s[0:1], 0
	s_mov_b64 s[12:13], -1
	global_store_dwordx2 v[3:4], v[6:7], off
.LBB159_1790:
	s_mov_b64 s[14:15], 0
.LBB159_1791:
	s_and_b64 vcc, exec, s[14:15]
	s_cbranch_vccz .LBB159_1807
; %bb.1792:
	s_cmp_lt_i32 s19, 27
	s_mov_b64 s[12:13], -1
	s_cbranch_scc1 .LBB159_1798
; %bb.1793:
	s_cmp_gt_i32 s19, 27
	s_cbranch_scc0 .LBB159_1795
; %bb.1794:
	v_cvt_u32_f32_e32 v1, v5
	s_mov_b64 s[12:13], 0
	global_store_dword v[3:4], v1, off
.LBB159_1795:
	s_andn2_b64 vcc, exec, s[12:13]
	s_cbranch_vccnz .LBB159_1797
; %bb.1796:
	v_cvt_u32_f32_e32 v1, v5
	global_store_short v[3:4], v1, off
.LBB159_1797:
	s_mov_b64 s[12:13], 0
.LBB159_1798:
	s_andn2_b64 vcc, exec, s[12:13]
	s_cbranch_vccnz .LBB159_1806
; %bb.1799:
	v_and_b32_e32 v1, 0x7fffffff, v5
	s_mov_b32 s7, 0x43800000
	v_cmp_gt_u32_e32 vcc, s7, v1
	v_mov_b32_e32 v6, 0x80
	s_and_saveexec_b64 s[12:13], vcc
	s_cbranch_execz .LBB159_1805
; %bb.1800:
	s_mov_b32 s7, 0x3bffffff
	v_cmp_lt_u32_e32 vcc, s7, v1
	s_mov_b64 s[14:15], 0
                                        ; implicit-def: $vgpr1
	s_and_saveexec_b64 s[16:17], vcc
	s_xor_b64 s[16:17], exec, s[16:17]
	s_cbranch_execz .LBB159_2140
; %bb.1801:
	v_bfe_u32 v1, v5, 20, 1
	s_mov_b32 s7, 0x487ffff
	v_add3_u32 v1, v5, v1, s7
	s_mov_b64 s[14:15], exec
	v_lshrrev_b32_e32 v1, 20, v1
	s_andn2_saveexec_b64 s[16:17], s[16:17]
	s_cbranch_execnz .LBB159_2141
.LBB159_1802:
	s_or_b64 exec, exec, s[16:17]
	v_mov_b32_e32 v6, 0
	s_and_saveexec_b64 s[16:17], s[14:15]
.LBB159_1803:
	v_lshrrev_b32_e32 v6, 24, v5
	s_movk_i32 s7, 0x80
	v_and_or_b32 v6, v6, s7, v1
.LBB159_1804:
	s_or_b64 exec, exec, s[16:17]
.LBB159_1805:
	s_or_b64 exec, exec, s[12:13]
	global_store_byte v[3:4], v6, off
.LBB159_1806:
	s_mov_b64 s[12:13], -1
.LBB159_1807:
	s_mov_b64 s[14:15], 0
.LBB159_1808:
	s_and_b64 vcc, exec, s[14:15]
	s_cbranch_vccz .LBB159_1848
; %bb.1809:
	s_cmp_gt_i32 s19, 22
	s_mov_b64 s[10:11], -1
	s_cbranch_scc0 .LBB159_1841
; %bb.1810:
	s_cmp_lt_i32 s19, 24
	s_cbranch_scc1 .LBB159_1830
; %bb.1811:
	s_cmp_gt_i32 s19, 24
	s_cbranch_scc0 .LBB159_1819
; %bb.1812:
	v_and_b32_e32 v1, 0x7fffffff, v5
	s_mov_b32 s7, 0x47800000
	v_cmp_gt_u32_e32 vcc, s7, v1
	v_mov_b32_e32 v6, 0x80
	s_and_saveexec_b64 s[10:11], vcc
	s_cbranch_execz .LBB159_1818
; %bb.1813:
	s_mov_b32 s7, 0x37ffffff
	v_cmp_lt_u32_e32 vcc, s7, v1
	s_mov_b64 s[12:13], 0
                                        ; implicit-def: $vgpr1
	s_and_saveexec_b64 s[14:15], vcc
	s_xor_b64 s[14:15], exec, s[14:15]
	s_cbranch_execz .LBB159_2143
; %bb.1814:
	v_bfe_u32 v1, v5, 21, 1
	s_mov_b32 s7, 0x88fffff
	v_add3_u32 v1, v5, v1, s7
	s_mov_b64 s[12:13], exec
	v_lshrrev_b32_e32 v1, 21, v1
	s_andn2_saveexec_b64 s[14:15], s[14:15]
	s_cbranch_execnz .LBB159_2144
.LBB159_1815:
	s_or_b64 exec, exec, s[14:15]
	v_mov_b32_e32 v6, 0
	s_and_saveexec_b64 s[14:15], s[12:13]
.LBB159_1816:
	v_lshrrev_b32_e32 v6, 24, v5
	s_movk_i32 s7, 0x80
	v_and_or_b32 v6, v6, s7, v1
.LBB159_1817:
	s_or_b64 exec, exec, s[14:15]
.LBB159_1818:
	s_or_b64 exec, exec, s[10:11]
	s_mov_b64 s[10:11], 0
	global_store_byte v[3:4], v6, off
.LBB159_1819:
	s_and_b64 vcc, exec, s[10:11]
	s_cbranch_vccz .LBB159_1829
; %bb.1820:
	v_and_b32_e32 v6, 0x7fffffff, v5
	s_mov_b32 s7, 0x43f00000
	v_cmp_gt_u32_e32 vcc, s7, v6
                                        ; implicit-def: $vgpr1
	s_and_saveexec_b64 s[10:11], vcc
	s_xor_b64 s[10:11], exec, s[10:11]
	s_cbranch_execz .LBB159_1826
; %bb.1821:
	s_mov_b32 s7, 0x3c7fffff
	v_cmp_lt_u32_e32 vcc, s7, v6
                                        ; implicit-def: $vgpr1
	s_and_saveexec_b64 s[12:13], vcc
	s_xor_b64 s[12:13], exec, s[12:13]
; %bb.1822:
	v_bfe_u32 v1, v5, 20, 1
	s_mov_b32 s7, 0x407ffff
	v_add3_u32 v1, v5, v1, s7
	v_lshrrev_b32_e32 v6, 20, v1
	v_and_b32_e32 v1, 0xff00000, v1
	s_mov_b32 s7, 0x7f00000
	v_mov_b32_e32 v7, 0x7e
	v_cmp_ne_u32_e32 vcc, s7, v1
	v_cndmask_b32_e32 v1, v7, v6, vcc
; %bb.1823:
	s_andn2_saveexec_b64 s[12:13], s[12:13]
; %bb.1824:
	s_mov_b32 s7, 0x46800000
	v_add_f32_e64 v1, |v5|, s7
; %bb.1825:
	s_or_b64 exec, exec, s[12:13]
                                        ; implicit-def: $vgpr6
.LBB159_1826:
	s_andn2_saveexec_b64 s[10:11], s[10:11]
; %bb.1827:
	s_mov_b32 s7, 0x7f800000
	v_mov_b32_e32 v1, 0x7e
	v_mov_b32_e32 v7, 0x7f
	v_cmp_lt_u32_e32 vcc, s7, v6
	v_cndmask_b32_e32 v1, v1, v7, vcc
; %bb.1828:
	s_or_b64 exec, exec, s[10:11]
	v_lshrrev_b32_e32 v6, 24, v5
	s_movk_i32 s7, 0x80
	v_and_or_b32 v1, v6, s7, v1
	global_store_byte v[3:4], v1, off
.LBB159_1829:
	s_mov_b64 s[10:11], 0
.LBB159_1830:
	s_andn2_b64 vcc, exec, s[10:11]
	s_cbranch_vccnz .LBB159_1840
; %bb.1831:
	v_and_b32_e32 v6, 0x7fffffff, v5
	s_mov_b32 s7, 0x47800000
	v_cmp_gt_u32_e32 vcc, s7, v6
                                        ; implicit-def: $vgpr1
	s_and_saveexec_b64 s[10:11], vcc
	s_xor_b64 s[10:11], exec, s[10:11]
	s_cbranch_execz .LBB159_1837
; %bb.1832:
	s_mov_b32 s7, 0x387fffff
	v_cmp_lt_u32_e32 vcc, s7, v6
                                        ; implicit-def: $vgpr1
	s_and_saveexec_b64 s[12:13], vcc
	s_xor_b64 s[12:13], exec, s[12:13]
; %bb.1833:
	v_bfe_u32 v1, v5, 21, 1
	s_mov_b32 s7, 0x80fffff
	v_add3_u32 v1, v5, v1, s7
	v_lshrrev_b32_e32 v1, 21, v1
; %bb.1834:
	s_andn2_saveexec_b64 s[12:13], s[12:13]
; %bb.1835:
	s_mov_b32 s7, 0x43000000
	v_add_f32_e64 v1, |v5|, s7
; %bb.1836:
	s_or_b64 exec, exec, s[12:13]
                                        ; implicit-def: $vgpr6
.LBB159_1837:
	s_andn2_saveexec_b64 s[10:11], s[10:11]
; %bb.1838:
	s_mov_b32 s7, 0x7f800000
	v_mov_b32_e32 v1, 0x7c
	v_mov_b32_e32 v7, 0x7f
	v_cmp_lt_u32_e32 vcc, s7, v6
	v_cndmask_b32_e32 v1, v1, v7, vcc
; %bb.1839:
	s_or_b64 exec, exec, s[10:11]
	v_lshrrev_b32_e32 v6, 24, v5
	s_movk_i32 s7, 0x80
	v_and_or_b32 v1, v6, s7, v1
	global_store_byte v[3:4], v1, off
.LBB159_1840:
	s_mov_b64 s[10:11], 0
	s_mov_b64 s[12:13], -1
.LBB159_1841:
	s_andn2_b64 vcc, exec, s[10:11]
	s_mov_b64 s[10:11], 0
	s_cbranch_vccnz .LBB159_1848
; %bb.1842:
	s_cmp_gt_i32 s19, 14
	s_mov_b64 s[14:15], -1
	s_cbranch_scc0 .LBB159_1846
; %bb.1843:
	s_cmp_eq_u32 s19, 15
	s_mov_b64 s[0:1], -1
	s_cbranch_scc0 .LBB159_1845
; %bb.1844:
	v_bfe_u32 v1, v5, 16, 1
	s_movk_i32 s0, 0x7fff
	v_add3_u32 v1, v5, v1, s0
	v_cmp_o_f32_e32 vcc, v5, v5
	v_mov_b32_e32 v6, 0x7fc0
	v_cndmask_b32_sdwa v1, v6, v1, vcc dst_sel:DWORD dst_unused:UNUSED_PAD src0_sel:DWORD src1_sel:WORD_1
	global_store_short v[3:4], v1, off
	s_mov_b64 s[0:1], 0
	s_mov_b64 s[12:13], -1
.LBB159_1845:
	s_mov_b64 s[14:15], 0
.LBB159_1846:
	s_and_b64 vcc, exec, s[14:15]
	s_cbranch_vccz .LBB159_1848
; %bb.1847:
	s_cmp_lg_u32 s19, 11
	s_mov_b64 s[10:11], -1
	s_cselect_b64 s[0:1], -1, 0
.LBB159_1848:
	s_and_b64 vcc, exec, s[0:1]
	s_cbranch_vccnz .LBB159_2142
; %bb.1849:
	s_andn2_b64 vcc, exec, s[10:11]
	s_cbranch_vccnz .LBB159_1851
.LBB159_1850:
	v_cmp_neq_f32_e32 vcc, 0, v5
	v_cndmask_b32_e64 v1, 0, 1, vcc
	s_mov_b64 s[12:13], -1
	global_store_byte v[3:4], v1, off
.LBB159_1851:
	s_mov_b64 s[0:1], 0
	s_branch .LBB159_1853
.LBB159_1852:
	s_mov_b64 s[0:1], -1
	s_mov_b64 s[12:13], 0
.LBB159_1853:
	s_and_b64 vcc, exec, s[0:1]
	s_cbranch_vccz .LBB159_1892
; %bb.1854:
	s_cmp_lt_i32 s19, 5
	s_mov_b64 s[0:1], -1
	s_cbranch_scc1 .LBB159_1875
; %bb.1855:
	s_cmp_lt_i32 s19, 8
	s_cbranch_scc1 .LBB159_1865
; %bb.1856:
	s_cmp_lt_i32 s19, 9
	s_cbranch_scc1 .LBB159_1862
; %bb.1857:
	s_cmp_gt_i32 s19, 9
	s_cbranch_scc0 .LBB159_1859
; %bb.1858:
	v_cvt_f64_f32_e32 v[11:12], v5
	v_mov_b32_e32 v13, 0
	v_mov_b32_e32 v14, v13
	s_mov_b64 s[0:1], 0
	global_store_dwordx4 v[3:4], v[11:14], off
.LBB159_1859:
	s_andn2_b64 vcc, exec, s[0:1]
	s_cbranch_vccnz .LBB159_1861
; %bb.1860:
	v_mov_b32_e32 v6, 0
	global_store_dwordx2 v[3:4], v[5:6], off
.LBB159_1861:
	s_mov_b64 s[0:1], 0
.LBB159_1862:
	s_andn2_b64 vcc, exec, s[0:1]
	s_cbranch_vccnz .LBB159_1864
; %bb.1863:
	v_cvt_f16_f32_e32 v1, v5
	global_store_dword v[3:4], v1, off
.LBB159_1864:
	s_mov_b64 s[0:1], 0
.LBB159_1865:
	s_andn2_b64 vcc, exec, s[0:1]
	s_cbranch_vccnz .LBB159_1874
; %bb.1866:
	s_cmp_lt_i32 s19, 6
	s_mov_b64 s[0:1], -1
	s_cbranch_scc1 .LBB159_1872
; %bb.1867:
	s_cmp_gt_i32 s19, 6
	s_cbranch_scc0 .LBB159_1869
; %bb.1868:
	v_cvt_f64_f32_e32 v[6:7], v5
	s_mov_b64 s[0:1], 0
	global_store_dwordx2 v[3:4], v[6:7], off
.LBB159_1869:
	s_andn2_b64 vcc, exec, s[0:1]
	s_cbranch_vccnz .LBB159_1871
; %bb.1870:
	global_store_dword v[3:4], v5, off
.LBB159_1871:
	s_mov_b64 s[0:1], 0
.LBB159_1872:
	s_andn2_b64 vcc, exec, s[0:1]
	s_cbranch_vccnz .LBB159_1874
; %bb.1873:
	v_cvt_f16_f32_e32 v1, v5
	global_store_short v[3:4], v1, off
.LBB159_1874:
	s_mov_b64 s[0:1], 0
.LBB159_1875:
	s_andn2_b64 vcc, exec, s[0:1]
	s_cbranch_vccnz .LBB159_1891
; %bb.1876:
	s_cmp_lt_i32 s19, 2
	s_mov_b64 s[0:1], -1
	s_cbranch_scc1 .LBB159_1886
; %bb.1877:
	s_cmp_lt_i32 s19, 3
	s_cbranch_scc1 .LBB159_1883
; %bb.1878:
	s_cmp_gt_i32 s19, 3
	s_cbranch_scc0 .LBB159_1880
; %bb.1879:
	v_trunc_f32_e32 v1, v5
	s_mov_b32 s0, 0x2f800000
	v_mul_f32_e64 v6, |v1|, s0
	v_floor_f32_e32 v6, v6
	s_mov_b32 s0, 0xcf800000
	v_cvt_u32_f32_e32 v7, v6
	v_fma_f32 v6, v6, s0, |v1|
	v_cvt_u32_f32_e32 v6, v6
	v_ashrrev_i32_e32 v1, 31, v1
	v_xor_b32_e32 v7, v7, v1
	s_mov_b64 s[0:1], 0
	v_xor_b32_e32 v6, v6, v1
	v_sub_co_u32_e32 v6, vcc, v6, v1
	v_subb_co_u32_e32 v7, vcc, v7, v1, vcc
	global_store_dwordx2 v[3:4], v[6:7], off
.LBB159_1880:
	s_andn2_b64 vcc, exec, s[0:1]
	s_cbranch_vccnz .LBB159_1882
; %bb.1881:
	v_cvt_i32_f32_e32 v1, v5
	global_store_dword v[3:4], v1, off
.LBB159_1882:
	s_mov_b64 s[0:1], 0
.LBB159_1883:
	s_andn2_b64 vcc, exec, s[0:1]
	s_cbranch_vccnz .LBB159_1885
; %bb.1884:
	v_cvt_i32_f32_e32 v1, v5
	global_store_short v[3:4], v1, off
.LBB159_1885:
	s_mov_b64 s[0:1], 0
.LBB159_1886:
	s_andn2_b64 vcc, exec, s[0:1]
	s_cbranch_vccnz .LBB159_1891
; %bb.1887:
	s_cmp_gt_i32 s19, 0
	s_mov_b64 s[0:1], -1
	s_cbranch_scc0 .LBB159_1889
; %bb.1888:
	v_cvt_i32_f32_e32 v1, v5
	s_mov_b64 s[0:1], 0
	global_store_byte v[3:4], v1, off
.LBB159_1889:
	s_andn2_b64 vcc, exec, s[0:1]
	s_cbranch_vccnz .LBB159_1891
; %bb.1890:
	v_trunc_f32_e32 v1, v5
	s_mov_b32 s0, 0x2f800000
	v_mul_f32_e64 v5, |v1|, s0
	v_floor_f32_e32 v5, v5
	s_mov_b32 s0, 0xcf800000
	v_fma_f32 v5, v5, s0, |v1|
	v_cvt_u32_f32_e32 v5, v5
	v_ashrrev_i32_e32 v1, 31, v1
	v_xor_b32_e32 v5, v5, v1
	v_sub_u32_e32 v1, v5, v1
	global_store_byte v[3:4], v1, off
.LBB159_1891:
	s_mov_b64 s[12:13], -1
.LBB159_1892:
	s_andn2_b64 vcc, exec, s[12:13]
	s_cbranch_vccnz .LBB159_2088
; %bb.1893:
	v_mov_b32_e32 v1, s5
	v_mov_b32_e32 v3, s6
	v_cmp_nge_f32_e32 vcc, s4, v10
	v_cndmask_b32_e32 v3, v1, v3, vcc
	v_mov_b32_e32 v4, s9
	v_add_co_u32_e32 v1, vcc, s8, v2
	s_cmp_lt_i32 s19, 11
	v_addc_co_u32_e32 v2, vcc, 0, v4, vcc
	s_cbranch_scc1 .LBB159_1971
; %bb.1894:
	s_mov_b64 s[14:15], -1
	s_mov_b64 s[10:11], 0
	s_cmp_gt_i32 s19, 25
	s_mov_b64 s[12:13], 0
	s_mov_b64 s[0:1], 0
	s_cbranch_scc0 .LBB159_1927
; %bb.1895:
	s_cmp_gt_i32 s19, 28
	s_cbranch_scc0 .LBB159_1910
; %bb.1896:
	s_cmp_gt_i32 s19, 43
	;; [unrolled: 3-line block ×3, first 2 shown]
	s_cbranch_scc0 .LBB159_1900
; %bb.1898:
	s_mov_b64 s[0:1], -1
	s_mov_b64 s[14:15], 0
	s_cmp_eq_u32 s19, 46
	s_cbranch_scc0 .LBB159_1900
; %bb.1899:
	v_bfe_u32 v4, v3, 16, 1
	s_movk_i32 s0, 0x7fff
	v_add3_u32 v4, v3, v4, s0
	v_cmp_o_f32_e32 vcc, v3, v3
	v_mov_b32_e32 v5, 0x7fc0
	v_cndmask_b32_sdwa v4, v5, v4, vcc dst_sel:DWORD dst_unused:UNUSED_PAD src0_sel:DWORD src1_sel:WORD_1
	global_store_dword v[1:2], v4, off
	s_mov_b64 s[0:1], 0
	s_mov_b64 s[12:13], -1
.LBB159_1900:
	s_and_b64 vcc, exec, s[14:15]
	s_cbranch_vccz .LBB159_1905
; %bb.1901:
	s_cmp_eq_u32 s19, 44
	s_mov_b64 s[0:1], -1
	s_cbranch_scc0 .LBB159_1905
; %bb.1902:
	v_bfe_u32 v4, v3, 23, 8
	s_movk_i32 s0, 0xff
	v_cmp_ne_u32_e32 vcc, s0, v4
	v_mov_b32_e32 v5, 0xff
	s_and_saveexec_b64 s[12:13], vcc
; %bb.1903:
	s_mov_b32 s0, 0x3fffff
	v_and_b32_e32 v6, 0x400000, v3
	v_and_or_b32 v4, v3, s0, v4
	v_cmp_ne_u32_e32 vcc, 0, v6
	v_cmp_ne_u32_e64 s[0:1], 0, v4
	s_and_b64 s[0:1], vcc, s[0:1]
	v_lshrrev_b32_e32 v5, 23, v3
	v_cndmask_b32_e64 v4, 0, 1, s[0:1]
	v_add_u32_e32 v5, v5, v4
; %bb.1904:
	s_or_b64 exec, exec, s[12:13]
	s_mov_b64 s[0:1], 0
	s_mov_b64 s[12:13], -1
	global_store_byte v[1:2], v5, off
.LBB159_1905:
	s_mov_b64 s[14:15], 0
.LBB159_1906:
	s_and_b64 vcc, exec, s[14:15]
	s_cbranch_vccz .LBB159_1909
; %bb.1907:
	s_cmp_eq_u32 s19, 29
	s_mov_b64 s[0:1], -1
	s_cbranch_scc0 .LBB159_1909
; %bb.1908:
	v_trunc_f32_e32 v4, v3
	v_mul_f32_e32 v5, 0x2f800000, v4
	v_floor_f32_e32 v6, v5
	v_fmac_f32_e32 v4, 0xcf800000, v6
	v_cvt_u32_f32_e32 v5, v6
	v_cvt_u32_f32_e32 v4, v4
	s_mov_b64 s[0:1], 0
	s_mov_b64 s[12:13], -1
	global_store_dwordx2 v[1:2], v[4:5], off
.LBB159_1909:
	s_mov_b64 s[14:15], 0
.LBB159_1910:
	s_and_b64 vcc, exec, s[14:15]
	s_cbranch_vccz .LBB159_1926
; %bb.1911:
	s_cmp_lt_i32 s19, 27
	s_mov_b64 s[12:13], -1
	s_cbranch_scc1 .LBB159_1917
; %bb.1912:
	v_cvt_u32_f32_e32 v4, v3
	s_cmp_gt_i32 s19, 27
	s_cbranch_scc0 .LBB159_1914
; %bb.1913:
	s_mov_b64 s[12:13], 0
	global_store_dword v[1:2], v4, off
.LBB159_1914:
	s_andn2_b64 vcc, exec, s[12:13]
	s_cbranch_vccnz .LBB159_1916
; %bb.1915:
	global_store_short v[1:2], v4, off
.LBB159_1916:
	s_mov_b64 s[12:13], 0
.LBB159_1917:
	s_andn2_b64 vcc, exec, s[12:13]
	s_cbranch_vccnz .LBB159_1925
; %bb.1918:
	v_and_b32_e32 v4, 0x7fffffff, v3
	s_mov_b32 s7, 0x43800000
	v_cmp_gt_u32_e32 vcc, s7, v4
	v_mov_b32_e32 v5, 0x80
	s_and_saveexec_b64 s[12:13], vcc
	s_cbranch_execz .LBB159_1924
; %bb.1919:
	s_mov_b32 s7, 0x3bffffff
	v_cmp_lt_u32_e32 vcc, s7, v4
	s_mov_b64 s[14:15], 0
                                        ; implicit-def: $vgpr4
	s_and_saveexec_b64 s[16:17], vcc
	s_xor_b64 s[16:17], exec, s[16:17]
	s_cbranch_execz .LBB159_2145
; %bb.1920:
	v_bfe_u32 v4, v3, 20, 1
	s_mov_b32 s7, 0x487ffff
	v_add3_u32 v4, v3, v4, s7
	s_mov_b64 s[14:15], exec
	v_lshrrev_b32_e32 v4, 20, v4
	s_andn2_saveexec_b64 s[16:17], s[16:17]
	s_cbranch_execnz .LBB159_2146
.LBB159_1921:
	s_or_b64 exec, exec, s[16:17]
	v_mov_b32_e32 v5, 0
	s_and_saveexec_b64 s[16:17], s[14:15]
.LBB159_1922:
	v_lshrrev_b32_e32 v5, 24, v3
	s_movk_i32 s7, 0x80
	v_and_or_b32 v5, v5, s7, v4
.LBB159_1923:
	s_or_b64 exec, exec, s[16:17]
.LBB159_1924:
	s_or_b64 exec, exec, s[12:13]
	global_store_byte v[1:2], v5, off
.LBB159_1925:
	s_mov_b64 s[12:13], -1
.LBB159_1926:
	s_mov_b64 s[14:15], 0
.LBB159_1927:
	s_and_b64 vcc, exec, s[14:15]
	s_cbranch_vccz .LBB159_1967
; %bb.1928:
	s_cmp_gt_i32 s19, 22
	s_mov_b64 s[10:11], -1
	s_cbranch_scc0 .LBB159_1960
; %bb.1929:
	s_cmp_lt_i32 s19, 24
	s_cbranch_scc1 .LBB159_1949
; %bb.1930:
	s_cmp_gt_i32 s19, 24
	s_cbranch_scc0 .LBB159_1938
; %bb.1931:
	v_and_b32_e32 v4, 0x7fffffff, v3
	s_mov_b32 s7, 0x47800000
	v_cmp_gt_u32_e32 vcc, s7, v4
	v_mov_b32_e32 v5, 0x80
	s_and_saveexec_b64 s[10:11], vcc
	s_cbranch_execz .LBB159_1937
; %bb.1932:
	s_mov_b32 s7, 0x37ffffff
	v_cmp_lt_u32_e32 vcc, s7, v4
	s_mov_b64 s[12:13], 0
                                        ; implicit-def: $vgpr4
	s_and_saveexec_b64 s[14:15], vcc
	s_xor_b64 s[14:15], exec, s[14:15]
	s_cbranch_execz .LBB159_2148
; %bb.1933:
	v_bfe_u32 v4, v3, 21, 1
	s_mov_b32 s7, 0x88fffff
	v_add3_u32 v4, v3, v4, s7
	s_mov_b64 s[12:13], exec
	v_lshrrev_b32_e32 v4, 21, v4
	s_andn2_saveexec_b64 s[14:15], s[14:15]
	s_cbranch_execnz .LBB159_2149
.LBB159_1934:
	s_or_b64 exec, exec, s[14:15]
	v_mov_b32_e32 v5, 0
	s_and_saveexec_b64 s[14:15], s[12:13]
.LBB159_1935:
	v_lshrrev_b32_e32 v5, 24, v3
	s_movk_i32 s7, 0x80
	v_and_or_b32 v5, v5, s7, v4
.LBB159_1936:
	s_or_b64 exec, exec, s[14:15]
.LBB159_1937:
	s_or_b64 exec, exec, s[10:11]
	s_mov_b64 s[10:11], 0
	global_store_byte v[1:2], v5, off
.LBB159_1938:
	s_and_b64 vcc, exec, s[10:11]
	s_cbranch_vccz .LBB159_1948
; %bb.1939:
	v_and_b32_e32 v5, 0x7fffffff, v3
	s_mov_b32 s7, 0x43f00000
	v_cmp_gt_u32_e32 vcc, s7, v5
                                        ; implicit-def: $vgpr4
	s_and_saveexec_b64 s[10:11], vcc
	s_xor_b64 s[10:11], exec, s[10:11]
	s_cbranch_execz .LBB159_1945
; %bb.1940:
	s_mov_b32 s7, 0x3c7fffff
	v_cmp_lt_u32_e32 vcc, s7, v5
                                        ; implicit-def: $vgpr4
	s_and_saveexec_b64 s[12:13], vcc
	s_xor_b64 s[12:13], exec, s[12:13]
; %bb.1941:
	v_bfe_u32 v4, v3, 20, 1
	s_mov_b32 s7, 0x407ffff
	v_add3_u32 v4, v3, v4, s7
	v_lshrrev_b32_e32 v5, 20, v4
	v_and_b32_e32 v4, 0xff00000, v4
	s_mov_b32 s7, 0x7f00000
	v_mov_b32_e32 v6, 0x7e
	v_cmp_ne_u32_e32 vcc, s7, v4
	v_cndmask_b32_e32 v4, v6, v5, vcc
; %bb.1942:
	s_andn2_saveexec_b64 s[12:13], s[12:13]
; %bb.1943:
	s_mov_b32 s7, 0x46800000
	v_add_f32_e64 v4, |v3|, s7
; %bb.1944:
	s_or_b64 exec, exec, s[12:13]
                                        ; implicit-def: $vgpr5
.LBB159_1945:
	s_andn2_saveexec_b64 s[10:11], s[10:11]
; %bb.1946:
	s_mov_b32 s7, 0x7f800000
	v_mov_b32_e32 v4, 0x7e
	v_mov_b32_e32 v6, 0x7f
	v_cmp_lt_u32_e32 vcc, s7, v5
	v_cndmask_b32_e32 v4, v4, v6, vcc
; %bb.1947:
	s_or_b64 exec, exec, s[10:11]
	v_lshrrev_b32_e32 v5, 24, v3
	s_movk_i32 s7, 0x80
	v_and_or_b32 v4, v5, s7, v4
	global_store_byte v[1:2], v4, off
.LBB159_1948:
	s_mov_b64 s[10:11], 0
.LBB159_1949:
	s_andn2_b64 vcc, exec, s[10:11]
	s_cbranch_vccnz .LBB159_1959
; %bb.1950:
	v_and_b32_e32 v5, 0x7fffffff, v3
	s_mov_b32 s7, 0x47800000
	v_cmp_gt_u32_e32 vcc, s7, v5
                                        ; implicit-def: $vgpr4
	s_and_saveexec_b64 s[10:11], vcc
	s_xor_b64 s[10:11], exec, s[10:11]
	s_cbranch_execz .LBB159_1956
; %bb.1951:
	s_mov_b32 s7, 0x387fffff
	v_cmp_lt_u32_e32 vcc, s7, v5
                                        ; implicit-def: $vgpr4
	s_and_saveexec_b64 s[12:13], vcc
	s_xor_b64 s[12:13], exec, s[12:13]
; %bb.1952:
	v_bfe_u32 v4, v3, 21, 1
	s_mov_b32 s7, 0x80fffff
	v_add3_u32 v4, v3, v4, s7
	v_lshrrev_b32_e32 v4, 21, v4
; %bb.1953:
	s_andn2_saveexec_b64 s[12:13], s[12:13]
; %bb.1954:
	s_mov_b32 s7, 0x43000000
	v_add_f32_e64 v4, |v3|, s7
; %bb.1955:
	s_or_b64 exec, exec, s[12:13]
                                        ; implicit-def: $vgpr5
.LBB159_1956:
	s_andn2_saveexec_b64 s[10:11], s[10:11]
; %bb.1957:
	s_mov_b32 s7, 0x7f800000
	v_mov_b32_e32 v4, 0x7c
	v_mov_b32_e32 v6, 0x7f
	v_cmp_lt_u32_e32 vcc, s7, v5
	v_cndmask_b32_e32 v4, v4, v6, vcc
; %bb.1958:
	s_or_b64 exec, exec, s[10:11]
	v_lshrrev_b32_e32 v5, 24, v3
	s_movk_i32 s7, 0x80
	v_and_or_b32 v4, v5, s7, v4
	global_store_byte v[1:2], v4, off
.LBB159_1959:
	s_mov_b64 s[10:11], 0
	s_mov_b64 s[12:13], -1
.LBB159_1960:
	s_andn2_b64 vcc, exec, s[10:11]
	s_mov_b64 s[10:11], 0
	s_cbranch_vccnz .LBB159_1967
; %bb.1961:
	s_cmp_gt_i32 s19, 14
	s_mov_b64 s[14:15], -1
	s_cbranch_scc0 .LBB159_1965
; %bb.1962:
	s_cmp_eq_u32 s19, 15
	s_mov_b64 s[0:1], -1
	s_cbranch_scc0 .LBB159_1964
; %bb.1963:
	v_bfe_u32 v4, v3, 16, 1
	s_movk_i32 s0, 0x7fff
	v_add3_u32 v4, v3, v4, s0
	v_cmp_o_f32_e32 vcc, v3, v3
	v_mov_b32_e32 v5, 0x7fc0
	v_cndmask_b32_sdwa v4, v5, v4, vcc dst_sel:DWORD dst_unused:UNUSED_PAD src0_sel:DWORD src1_sel:WORD_1
	global_store_short v[1:2], v4, off
	s_mov_b64 s[0:1], 0
	s_mov_b64 s[12:13], -1
.LBB159_1964:
	s_mov_b64 s[14:15], 0
.LBB159_1965:
	s_and_b64 vcc, exec, s[14:15]
	s_cbranch_vccz .LBB159_1967
; %bb.1966:
	s_cmp_lg_u32 s19, 11
	s_mov_b64 s[10:11], -1
	s_cselect_b64 s[0:1], -1, 0
.LBB159_1967:
	s_and_b64 vcc, exec, s[0:1]
	s_cbranch_vccnz .LBB159_2147
; %bb.1968:
	s_andn2_b64 vcc, exec, s[10:11]
	s_cbranch_vccnz .LBB159_1970
.LBB159_1969:
	v_cmp_neq_f32_e32 vcc, 0, v3
	v_cndmask_b32_e64 v4, 0, 1, vcc
	s_mov_b64 s[12:13], -1
	global_store_byte v[1:2], v4, off
.LBB159_1970:
	s_mov_b64 s[0:1], 0
	s_branch .LBB159_1972
.LBB159_1971:
	s_mov_b64 s[0:1], -1
	s_mov_b64 s[12:13], 0
.LBB159_1972:
	s_and_b64 vcc, exec, s[0:1]
	s_cbranch_vccz .LBB159_2011
; %bb.1973:
	s_cmp_lt_i32 s19, 5
	s_mov_b64 s[0:1], -1
	s_cbranch_scc1 .LBB159_1994
; %bb.1974:
	s_cmp_lt_i32 s19, 8
	s_cbranch_scc1 .LBB159_1984
; %bb.1975:
	s_cmp_lt_i32 s19, 9
	s_cbranch_scc1 .LBB159_1981
; %bb.1976:
	s_cmp_gt_i32 s19, 9
	s_cbranch_scc0 .LBB159_1978
; %bb.1977:
	v_cvt_f64_f32_e32 v[4:5], v3
	v_mov_b32_e32 v6, 0
	v_mov_b32_e32 v7, v6
	s_mov_b64 s[0:1], 0
	global_store_dwordx4 v[1:2], v[4:7], off
.LBB159_1978:
	s_andn2_b64 vcc, exec, s[0:1]
	s_cbranch_vccnz .LBB159_1980
; %bb.1979:
	v_mov_b32_e32 v4, 0
	global_store_dwordx2 v[1:2], v[3:4], off
.LBB159_1980:
	s_mov_b64 s[0:1], 0
.LBB159_1981:
	s_andn2_b64 vcc, exec, s[0:1]
	s_cbranch_vccnz .LBB159_1983
; %bb.1982:
	v_cvt_f16_f32_e32 v4, v3
	global_store_dword v[1:2], v4, off
.LBB159_1983:
	s_mov_b64 s[0:1], 0
.LBB159_1984:
	s_andn2_b64 vcc, exec, s[0:1]
	s_cbranch_vccnz .LBB159_1993
; %bb.1985:
	s_cmp_lt_i32 s19, 6
	s_mov_b64 s[0:1], -1
	s_cbranch_scc1 .LBB159_1991
; %bb.1986:
	s_cmp_gt_i32 s19, 6
	s_cbranch_scc0 .LBB159_1988
; %bb.1987:
	v_cvt_f64_f32_e32 v[4:5], v3
	s_mov_b64 s[0:1], 0
	global_store_dwordx2 v[1:2], v[4:5], off
.LBB159_1988:
	s_andn2_b64 vcc, exec, s[0:1]
	s_cbranch_vccnz .LBB159_1990
; %bb.1989:
	global_store_dword v[1:2], v3, off
.LBB159_1990:
	s_mov_b64 s[0:1], 0
.LBB159_1991:
	s_andn2_b64 vcc, exec, s[0:1]
	s_cbranch_vccnz .LBB159_1993
; %bb.1992:
	v_cvt_f16_f32_e32 v4, v3
	global_store_short v[1:2], v4, off
.LBB159_1993:
	s_mov_b64 s[0:1], 0
.LBB159_1994:
	s_andn2_b64 vcc, exec, s[0:1]
	s_cbranch_vccnz .LBB159_2010
; %bb.1995:
	s_cmp_lt_i32 s19, 2
	s_mov_b64 s[0:1], -1
	s_cbranch_scc1 .LBB159_2005
; %bb.1996:
	s_cmp_lt_i32 s19, 3
	s_cbranch_scc1 .LBB159_2002
; %bb.1997:
	s_cmp_gt_i32 s19, 3
	s_cbranch_scc0 .LBB159_1999
; %bb.1998:
	v_trunc_f32_e32 v4, v3
	s_mov_b32 s0, 0x2f800000
	v_mul_f32_e64 v5, |v4|, s0
	v_floor_f32_e32 v5, v5
	s_mov_b32 s0, 0xcf800000
	v_cvt_u32_f32_e32 v6, v5
	v_fma_f32 v5, v5, s0, |v4|
	v_cvt_u32_f32_e32 v5, v5
	v_ashrrev_i32_e32 v7, 31, v4
	v_xor_b32_e32 v6, v6, v7
	s_mov_b64 s[0:1], 0
	v_xor_b32_e32 v4, v5, v7
	v_sub_co_u32_e32 v4, vcc, v4, v7
	v_subb_co_u32_e32 v5, vcc, v6, v7, vcc
	global_store_dwordx2 v[1:2], v[4:5], off
.LBB159_1999:
	s_andn2_b64 vcc, exec, s[0:1]
	s_cbranch_vccnz .LBB159_2001
; %bb.2000:
	v_cvt_i32_f32_e32 v4, v3
	global_store_dword v[1:2], v4, off
.LBB159_2001:
	s_mov_b64 s[0:1], 0
.LBB159_2002:
	s_andn2_b64 vcc, exec, s[0:1]
	s_cbranch_vccnz .LBB159_2004
; %bb.2003:
	v_cvt_i32_f32_e32 v4, v3
	global_store_short v[1:2], v4, off
.LBB159_2004:
	s_mov_b64 s[0:1], 0
.LBB159_2005:
	s_andn2_b64 vcc, exec, s[0:1]
	s_cbranch_vccnz .LBB159_2010
; %bb.2006:
	s_cmp_gt_i32 s19, 0
	s_mov_b64 s[0:1], -1
	s_cbranch_scc0 .LBB159_2008
; %bb.2007:
	v_cvt_i32_f32_e32 v4, v3
	s_mov_b64 s[0:1], 0
	global_store_byte v[1:2], v4, off
.LBB159_2008:
	s_andn2_b64 vcc, exec, s[0:1]
	s_cbranch_vccnz .LBB159_2010
; %bb.2009:
	v_trunc_f32_e32 v3, v3
	s_mov_b32 s0, 0x2f800000
	v_mul_f32_e64 v4, |v3|, s0
	v_floor_f32_e32 v4, v4
	s_mov_b32 s0, 0xcf800000
	v_fma_f32 v4, v4, s0, |v3|
	v_cvt_u32_f32_e32 v4, v4
	v_ashrrev_i32_e32 v3, 31, v3
	v_xor_b32_e32 v4, v4, v3
	v_sub_u32_e32 v3, v4, v3
	global_store_byte v[1:2], v3, off
.LBB159_2010:
	s_mov_b64 s[12:13], -1
.LBB159_2011:
	s_andn2_b64 vcc, exec, s[12:13]
	s_cbranch_vccnz .LBB159_2088
; %bb.2012:
	v_mov_b32_e32 v1, s5
	v_mov_b32_e32 v2, s6
	v_cmp_nge_f32_e32 vcc, s4, v9
	v_cndmask_b32_e32 v2, v1, v2, vcc
	v_mov_b32_e32 v1, s9
	v_add_co_u32_e32 v0, vcc, s8, v0
	s_cmp_lt_i32 s19, 11
	v_addc_co_u32_e32 v1, vcc, 0, v1, vcc
	s_cbranch_scc1 .LBB159_2133
; %bb.2013:
	s_mov_b64 s[6:7], -1
	s_mov_b64 s[4:5], 0
	s_cmp_gt_i32 s19, 25
	s_mov_b64 s[0:1], 0
	s_cbranch_scc0 .LBB159_2046
; %bb.2014:
	s_cmp_gt_i32 s19, 28
	s_cbranch_scc0 .LBB159_2030
; %bb.2015:
	s_cmp_gt_i32 s19, 43
	;; [unrolled: 3-line block ×3, first 2 shown]
	s_cbranch_scc0 .LBB159_2020
; %bb.2017:
	s_cmp_eq_u32 s19, 46
	s_mov_b64 s[0:1], -1
	s_cbranch_scc0 .LBB159_2019
; %bb.2018:
	v_bfe_u32 v3, v2, 16, 1
	s_movk_i32 s0, 0x7fff
	v_add3_u32 v3, v2, v3, s0
	v_cmp_o_f32_e32 vcc, v2, v2
	v_mov_b32_e32 v4, 0x7fc0
	v_cndmask_b32_sdwa v3, v4, v3, vcc dst_sel:DWORD dst_unused:UNUSED_PAD src0_sel:DWORD src1_sel:WORD_1
	global_store_dword v[0:1], v3, off
	s_mov_b64 s[0:1], 0
.LBB159_2019:
	s_mov_b64 s[6:7], 0
.LBB159_2020:
	s_and_b64 vcc, exec, s[6:7]
	s_cbranch_vccz .LBB159_2025
; %bb.2021:
	s_cmp_eq_u32 s19, 44
	s_mov_b64 s[0:1], -1
	s_cbranch_scc0 .LBB159_2025
; %bb.2022:
	v_bfe_u32 v3, v2, 23, 8
	s_movk_i32 s0, 0xff
	v_cmp_ne_u32_e32 vcc, s0, v3
	v_mov_b32_e32 v4, 0xff
	s_and_saveexec_b64 s[6:7], vcc
; %bb.2023:
	s_mov_b32 s0, 0x3fffff
	v_and_b32_e32 v5, 0x400000, v2
	v_and_or_b32 v3, v2, s0, v3
	v_cmp_ne_u32_e32 vcc, 0, v5
	v_cmp_ne_u32_e64 s[0:1], 0, v3
	s_and_b64 s[0:1], vcc, s[0:1]
	v_lshrrev_b32_e32 v4, 23, v2
	v_cndmask_b32_e64 v3, 0, 1, s[0:1]
	v_add_u32_e32 v4, v4, v3
; %bb.2024:
	s_or_b64 exec, exec, s[6:7]
	s_mov_b64 s[0:1], 0
	global_store_byte v[0:1], v4, off
.LBB159_2025:
	s_mov_b64 s[6:7], 0
.LBB159_2026:
	s_and_b64 vcc, exec, s[6:7]
	s_cbranch_vccz .LBB159_2029
; %bb.2027:
	s_cmp_eq_u32 s19, 29
	s_mov_b64 s[0:1], -1
	s_cbranch_scc0 .LBB159_2029
; %bb.2028:
	v_trunc_f32_e32 v3, v2
	v_mul_f32_e32 v4, 0x2f800000, v3
	v_floor_f32_e32 v5, v4
	v_fmac_f32_e32 v3, 0xcf800000, v5
	v_cvt_u32_f32_e32 v4, v5
	v_cvt_u32_f32_e32 v3, v3
	s_mov_b64 s[0:1], 0
	global_store_dwordx2 v[0:1], v[3:4], off
.LBB159_2029:
	s_mov_b64 s[6:7], 0
.LBB159_2030:
	s_and_b64 vcc, exec, s[6:7]
	s_cbranch_vccz .LBB159_2045
; %bb.2031:
	s_cmp_lt_i32 s19, 27
	s_mov_b64 s[6:7], -1
	s_cbranch_scc1 .LBB159_2037
; %bb.2032:
	s_cmp_gt_i32 s19, 27
	s_cbranch_scc0 .LBB159_2034
; %bb.2033:
	v_cvt_u32_f32_e32 v3, v2
	s_mov_b64 s[6:7], 0
	global_store_dword v[0:1], v3, off
.LBB159_2034:
	s_andn2_b64 vcc, exec, s[6:7]
	s_cbranch_vccnz .LBB159_2036
; %bb.2035:
	v_cvt_u32_f32_e32 v3, v2
	global_store_short v[0:1], v3, off
.LBB159_2036:
	s_mov_b64 s[6:7], 0
.LBB159_2037:
	s_andn2_b64 vcc, exec, s[6:7]
	s_cbranch_vccnz .LBB159_2045
; %bb.2038:
	v_and_b32_e32 v3, 0x7fffffff, v2
	s_mov_b32 s6, 0x43800000
	v_cmp_gt_u32_e32 vcc, s6, v3
	v_mov_b32_e32 v4, 0x80
	s_and_saveexec_b64 s[6:7], vcc
	s_cbranch_execz .LBB159_2044
; %bb.2039:
	s_mov_b32 s8, 0x3bffffff
	v_cmp_lt_u32_e32 vcc, s8, v3
	s_mov_b64 s[8:9], 0
                                        ; implicit-def: $vgpr3
	s_and_saveexec_b64 s[10:11], vcc
	s_xor_b64 s[10:11], exec, s[10:11]
	s_cbranch_execz .LBB159_2150
; %bb.2040:
	v_bfe_u32 v3, v2, 20, 1
	s_mov_b32 s12, 0x487ffff
	v_add3_u32 v3, v2, v3, s12
	s_mov_b64 s[8:9], exec
	v_lshrrev_b32_e32 v3, 20, v3
	s_andn2_saveexec_b64 s[10:11], s[10:11]
	s_cbranch_execnz .LBB159_2151
.LBB159_2041:
	s_or_b64 exec, exec, s[10:11]
	v_mov_b32_e32 v4, 0
	s_and_saveexec_b64 s[10:11], s[8:9]
.LBB159_2042:
	v_lshrrev_b32_e32 v4, 24, v2
	s_movk_i32 s8, 0x80
	v_and_or_b32 v4, v4, s8, v3
.LBB159_2043:
	s_or_b64 exec, exec, s[10:11]
.LBB159_2044:
	s_or_b64 exec, exec, s[6:7]
	global_store_byte v[0:1], v4, off
.LBB159_2045:
	s_mov_b64 s[6:7], 0
.LBB159_2046:
	s_and_b64 vcc, exec, s[6:7]
	s_cbranch_vccz .LBB159_2086
; %bb.2047:
	s_cmp_gt_i32 s19, 22
	s_mov_b64 s[4:5], -1
	s_cbranch_scc0 .LBB159_2079
; %bb.2048:
	s_cmp_lt_i32 s19, 24
	s_cbranch_scc1 .LBB159_2068
; %bb.2049:
	s_cmp_gt_i32 s19, 24
	s_cbranch_scc0 .LBB159_2057
; %bb.2050:
	v_and_b32_e32 v3, 0x7fffffff, v2
	s_mov_b32 s4, 0x47800000
	v_cmp_gt_u32_e32 vcc, s4, v3
	v_mov_b32_e32 v4, 0x80
	s_and_saveexec_b64 s[4:5], vcc
	s_cbranch_execz .LBB159_2056
; %bb.2051:
	s_mov_b32 s6, 0x37ffffff
	v_cmp_lt_u32_e32 vcc, s6, v3
	s_mov_b64 s[6:7], 0
                                        ; implicit-def: $vgpr3
	s_and_saveexec_b64 s[8:9], vcc
	s_xor_b64 s[8:9], exec, s[8:9]
	s_cbranch_execz .LBB159_2153
; %bb.2052:
	v_bfe_u32 v3, v2, 21, 1
	s_mov_b32 s10, 0x88fffff
	v_add3_u32 v3, v2, v3, s10
	s_mov_b64 s[6:7], exec
	v_lshrrev_b32_e32 v3, 21, v3
	s_andn2_saveexec_b64 s[8:9], s[8:9]
	s_cbranch_execnz .LBB159_2154
.LBB159_2053:
	s_or_b64 exec, exec, s[8:9]
	v_mov_b32_e32 v4, 0
	s_and_saveexec_b64 s[8:9], s[6:7]
.LBB159_2054:
	v_lshrrev_b32_e32 v4, 24, v2
	s_movk_i32 s6, 0x80
	v_and_or_b32 v4, v4, s6, v3
.LBB159_2055:
	s_or_b64 exec, exec, s[8:9]
.LBB159_2056:
	s_or_b64 exec, exec, s[4:5]
	s_mov_b64 s[4:5], 0
	global_store_byte v[0:1], v4, off
.LBB159_2057:
	s_and_b64 vcc, exec, s[4:5]
	s_cbranch_vccz .LBB159_2067
; %bb.2058:
	v_and_b32_e32 v4, 0x7fffffff, v2
	s_mov_b32 s4, 0x43f00000
	v_cmp_gt_u32_e32 vcc, s4, v4
                                        ; implicit-def: $vgpr3
	s_and_saveexec_b64 s[4:5], vcc
	s_xor_b64 s[4:5], exec, s[4:5]
	s_cbranch_execz .LBB159_2064
; %bb.2059:
	s_mov_b32 s6, 0x3c7fffff
	v_cmp_lt_u32_e32 vcc, s6, v4
                                        ; implicit-def: $vgpr3
	s_and_saveexec_b64 s[6:7], vcc
	s_xor_b64 s[6:7], exec, s[6:7]
; %bb.2060:
	v_bfe_u32 v3, v2, 20, 1
	s_mov_b32 s8, 0x407ffff
	v_add3_u32 v3, v2, v3, s8
	v_lshrrev_b32_e32 v4, 20, v3
	v_and_b32_e32 v3, 0xff00000, v3
	s_mov_b32 s8, 0x7f00000
	v_mov_b32_e32 v5, 0x7e
	v_cmp_ne_u32_e32 vcc, s8, v3
	v_cndmask_b32_e32 v3, v5, v4, vcc
; %bb.2061:
	s_andn2_saveexec_b64 s[6:7], s[6:7]
; %bb.2062:
	s_mov_b32 s8, 0x46800000
	v_add_f32_e64 v3, |v2|, s8
; %bb.2063:
	s_or_b64 exec, exec, s[6:7]
                                        ; implicit-def: $vgpr4
.LBB159_2064:
	s_andn2_saveexec_b64 s[4:5], s[4:5]
; %bb.2065:
	s_mov_b32 s6, 0x7f800000
	v_mov_b32_e32 v3, 0x7e
	v_mov_b32_e32 v5, 0x7f
	v_cmp_lt_u32_e32 vcc, s6, v4
	v_cndmask_b32_e32 v3, v3, v5, vcc
; %bb.2066:
	s_or_b64 exec, exec, s[4:5]
	v_lshrrev_b32_e32 v4, 24, v2
	s_movk_i32 s4, 0x80
	v_and_or_b32 v3, v4, s4, v3
	global_store_byte v[0:1], v3, off
.LBB159_2067:
	s_mov_b64 s[4:5], 0
.LBB159_2068:
	s_andn2_b64 vcc, exec, s[4:5]
	s_cbranch_vccnz .LBB159_2078
; %bb.2069:
	v_and_b32_e32 v4, 0x7fffffff, v2
	s_mov_b32 s4, 0x47800000
	v_cmp_gt_u32_e32 vcc, s4, v4
                                        ; implicit-def: $vgpr3
	s_and_saveexec_b64 s[4:5], vcc
	s_xor_b64 s[4:5], exec, s[4:5]
	s_cbranch_execz .LBB159_2075
; %bb.2070:
	s_mov_b32 s6, 0x387fffff
	v_cmp_lt_u32_e32 vcc, s6, v4
                                        ; implicit-def: $vgpr3
	s_and_saveexec_b64 s[6:7], vcc
	s_xor_b64 s[6:7], exec, s[6:7]
; %bb.2071:
	v_bfe_u32 v3, v2, 21, 1
	s_mov_b32 s8, 0x80fffff
	v_add3_u32 v3, v2, v3, s8
	v_lshrrev_b32_e32 v3, 21, v3
; %bb.2072:
	s_andn2_saveexec_b64 s[6:7], s[6:7]
; %bb.2073:
	s_mov_b32 s8, 0x43000000
	v_add_f32_e64 v3, |v2|, s8
; %bb.2074:
	s_or_b64 exec, exec, s[6:7]
                                        ; implicit-def: $vgpr4
.LBB159_2075:
	s_andn2_saveexec_b64 s[4:5], s[4:5]
; %bb.2076:
	s_mov_b32 s6, 0x7f800000
	v_mov_b32_e32 v3, 0x7c
	v_mov_b32_e32 v5, 0x7f
	v_cmp_lt_u32_e32 vcc, s6, v4
	v_cndmask_b32_e32 v3, v3, v5, vcc
; %bb.2077:
	s_or_b64 exec, exec, s[4:5]
	v_lshrrev_b32_e32 v4, 24, v2
	s_movk_i32 s4, 0x80
	v_and_or_b32 v3, v4, s4, v3
	global_store_byte v[0:1], v3, off
.LBB159_2078:
	s_mov_b64 s[4:5], 0
.LBB159_2079:
	s_andn2_b64 vcc, exec, s[4:5]
	s_mov_b64 s[4:5], 0
	s_cbranch_vccnz .LBB159_2086
; %bb.2080:
	s_cmp_gt_i32 s19, 14
	s_mov_b64 s[6:7], -1
	s_cbranch_scc0 .LBB159_2084
; %bb.2081:
	s_cmp_eq_u32 s19, 15
	s_mov_b64 s[0:1], -1
	s_cbranch_scc0 .LBB159_2083
; %bb.2082:
	v_bfe_u32 v3, v2, 16, 1
	s_movk_i32 s0, 0x7fff
	v_add3_u32 v3, v2, v3, s0
	v_cmp_o_f32_e32 vcc, v2, v2
	v_mov_b32_e32 v4, 0x7fc0
	v_cndmask_b32_sdwa v3, v4, v3, vcc dst_sel:DWORD dst_unused:UNUSED_PAD src0_sel:DWORD src1_sel:WORD_1
	global_store_short v[0:1], v3, off
	s_mov_b64 s[0:1], 0
.LBB159_2083:
	s_mov_b64 s[6:7], 0
.LBB159_2084:
	s_and_b64 vcc, exec, s[6:7]
	s_cbranch_vccz .LBB159_2086
; %bb.2085:
	s_cmp_lg_u32 s19, 11
	s_mov_b64 s[4:5], -1
	s_cselect_b64 s[0:1], -1, 0
.LBB159_2086:
	s_and_b64 vcc, exec, s[0:1]
	s_cbranch_vccnz .LBB159_2152
.LBB159_2087:
	s_mov_b64 s[0:1], 0
	s_branch .LBB159_2089
.LBB159_2088:
	s_mov_b64 s[0:1], 0
	s_mov_b64 s[4:5], 0
                                        ; implicit-def: $vgpr0_vgpr1
                                        ; implicit-def: $sgpr18
                                        ; implicit-def: $vgpr2
.LBB159_2089:
	s_and_b64 s[6:7], s[4:5], exec
	s_andn2_b64 s[4:5], s[28:29], exec
	s_and_b64 s[2:3], s[2:3], exec
	s_and_b64 s[0:1], s[0:1], exec
	s_or_b64 s[28:29], s[4:5], s[2:3]
.LBB159_2090:
	s_or_b64 exec, exec, s[30:31]
	s_and_saveexec_b64 s[2:3], s[28:29]
	s_cbranch_execz .LBB159_2093
; %bb.2091:
	; divergent unreachable
	s_or_b64 exec, exec, s[2:3]
	s_and_saveexec_b64 s[2:3], s[6:7]
	s_xor_b64 s[2:3], exec, s[2:3]
	s_cbranch_execnz .LBB159_2094
.LBB159_2092:
	s_or_b64 exec, exec, s[2:3]
	s_and_saveexec_b64 s[2:3], s[0:1]
	s_cbranch_execnz .LBB159_2095
	s_branch .LBB159_2132
.LBB159_2093:
	s_or_b64 exec, exec, s[2:3]
	s_and_saveexec_b64 s[2:3], s[6:7]
	s_xor_b64 s[2:3], exec, s[2:3]
	s_cbranch_execz .LBB159_2092
.LBB159_2094:
	v_cmp_neq_f32_e32 vcc, 0, v2
	s_waitcnt vmcnt(0)
	v_cndmask_b32_e64 v3, 0, 1, vcc
	global_store_byte v[0:1], v3, off
	s_or_b64 exec, exec, s[2:3]
	s_and_saveexec_b64 s[2:3], s[0:1]
	s_cbranch_execz .LBB159_2132
.LBB159_2095:
	s_sext_i32_i16 s2, s18
	s_cmp_lt_i32 s2, 5
	s_mov_b64 s[0:1], -1
	s_cbranch_scc1 .LBB159_2116
; %bb.2096:
	s_cmp_lt_i32 s2, 8
	s_cbranch_scc1 .LBB159_2106
; %bb.2097:
	s_cmp_lt_i32 s2, 9
	s_cbranch_scc1 .LBB159_2103
; %bb.2098:
	s_cmp_gt_i32 s2, 9
	s_cbranch_scc0 .LBB159_2100
; %bb.2099:
	s_waitcnt vmcnt(0)
	v_cvt_f64_f32_e32 v[3:4], v2
	v_mov_b32_e32 v5, 0
	v_mov_b32_e32 v6, v5
	s_mov_b64 s[0:1], 0
	global_store_dwordx4 v[0:1], v[3:6], off
.LBB159_2100:
	s_andn2_b64 vcc, exec, s[0:1]
	s_cbranch_vccnz .LBB159_2102
; %bb.2101:
	s_waitcnt vmcnt(0)
	v_mov_b32_e32 v3, 0
	global_store_dwordx2 v[0:1], v[2:3], off
.LBB159_2102:
	s_mov_b64 s[0:1], 0
.LBB159_2103:
	s_andn2_b64 vcc, exec, s[0:1]
	s_cbranch_vccnz .LBB159_2105
; %bb.2104:
	s_waitcnt vmcnt(0)
	v_cvt_f16_f32_e32 v3, v2
	global_store_dword v[0:1], v3, off
.LBB159_2105:
	s_mov_b64 s[0:1], 0
.LBB159_2106:
	s_andn2_b64 vcc, exec, s[0:1]
	s_cbranch_vccnz .LBB159_2115
; %bb.2107:
	s_sext_i32_i16 s2, s18
	s_cmp_lt_i32 s2, 6
	s_mov_b64 s[0:1], -1
	s_cbranch_scc1 .LBB159_2113
; %bb.2108:
	s_cmp_gt_i32 s2, 6
	s_cbranch_scc0 .LBB159_2110
; %bb.2109:
	s_waitcnt vmcnt(0)
	v_cvt_f64_f32_e32 v[3:4], v2
	s_mov_b64 s[0:1], 0
	global_store_dwordx2 v[0:1], v[3:4], off
.LBB159_2110:
	s_andn2_b64 vcc, exec, s[0:1]
	s_cbranch_vccnz .LBB159_2112
; %bb.2111:
	s_waitcnt vmcnt(0)
	global_store_dword v[0:1], v2, off
.LBB159_2112:
	s_mov_b64 s[0:1], 0
.LBB159_2113:
	s_andn2_b64 vcc, exec, s[0:1]
	s_cbranch_vccnz .LBB159_2115
; %bb.2114:
	s_waitcnt vmcnt(0)
	v_cvt_f16_f32_e32 v3, v2
	global_store_short v[0:1], v3, off
.LBB159_2115:
	s_mov_b64 s[0:1], 0
.LBB159_2116:
	s_andn2_b64 vcc, exec, s[0:1]
	s_cbranch_vccnz .LBB159_2132
; %bb.2117:
	s_sext_i32_i16 s2, s18
	s_cmp_lt_i32 s2, 2
	s_mov_b64 s[0:1], -1
	s_cbranch_scc1 .LBB159_2127
; %bb.2118:
	s_cmp_lt_i32 s2, 3
	s_cbranch_scc1 .LBB159_2124
; %bb.2119:
	s_cmp_gt_i32 s2, 3
	s_cbranch_scc0 .LBB159_2121
; %bb.2120:
	s_waitcnt vmcnt(0)
	v_trunc_f32_e32 v3, v2
	s_mov_b32 s0, 0x2f800000
	v_mul_f32_e64 v4, |v3|, s0
	v_floor_f32_e32 v4, v4
	s_mov_b32 s0, 0xcf800000
	v_cvt_u32_f32_e32 v5, v4
	v_fma_f32 v4, v4, s0, |v3|
	v_cvt_u32_f32_e32 v4, v4
	v_ashrrev_i32_e32 v6, 31, v3
	v_xor_b32_e32 v5, v5, v6
	s_mov_b64 s[0:1], 0
	v_xor_b32_e32 v3, v4, v6
	v_sub_co_u32_e32 v3, vcc, v3, v6
	v_subb_co_u32_e32 v4, vcc, v5, v6, vcc
	global_store_dwordx2 v[0:1], v[3:4], off
.LBB159_2121:
	s_andn2_b64 vcc, exec, s[0:1]
	s_cbranch_vccnz .LBB159_2123
; %bb.2122:
	s_waitcnt vmcnt(0)
	v_cvt_i32_f32_e32 v3, v2
	global_store_dword v[0:1], v3, off
.LBB159_2123:
	s_mov_b64 s[0:1], 0
.LBB159_2124:
	s_andn2_b64 vcc, exec, s[0:1]
	s_cbranch_vccnz .LBB159_2126
; %bb.2125:
	s_waitcnt vmcnt(0)
	v_cvt_i32_f32_e32 v3, v2
	global_store_short v[0:1], v3, off
.LBB159_2126:
	s_mov_b64 s[0:1], 0
.LBB159_2127:
	s_andn2_b64 vcc, exec, s[0:1]
	s_cbranch_vccnz .LBB159_2132
; %bb.2128:
	s_sext_i32_i16 s0, s18
	s_cmp_gt_i32 s0, 0
	s_mov_b64 s[0:1], -1
	s_cbranch_scc0 .LBB159_2130
; %bb.2129:
	s_waitcnt vmcnt(0)
	v_cvt_i32_f32_e32 v3, v2
	s_mov_b64 s[0:1], 0
	global_store_byte v[0:1], v3, off
.LBB159_2130:
	s_andn2_b64 vcc, exec, s[0:1]
	s_cbranch_vccnz .LBB159_2132
; %bb.2131:
	v_trunc_f32_e32 v2, v2
	s_mov_b32 s0, 0x2f800000
	s_waitcnt vmcnt(0)
	v_mul_f32_e64 v3, |v2|, s0
	v_floor_f32_e32 v3, v3
	s_mov_b32 s0, 0xcf800000
	v_fma_f32 v3, v3, s0, |v2|
	v_cvt_u32_f32_e32 v3, v3
	v_ashrrev_i32_e32 v2, 31, v2
	v_xor_b32_e32 v3, v3, v2
	v_sub_u32_e32 v2, v3, v2
	global_store_byte v[0:1], v2, off
	s_endpgm
.LBB159_2132:
	s_endpgm
.LBB159_2133:
	s_mov_b64 s[4:5], 0
	s_mov_b64 s[0:1], -1
	s_branch .LBB159_2089
.LBB159_2134:
	s_trap 2
	s_or_b64 s[2:3], s[2:3], exec
	s_cbranch_execz .LBB159_1603
	s_branch .LBB159_1604
.LBB159_2135:
	s_andn2_saveexec_b64 s[16:17], s[16:17]
	s_cbranch_execz .LBB159_1683
.LBB159_2136:
	s_mov_b32 s19, 0x46000000
	v_add_f32_e64 v1, |v7|, s19
	v_and_b32_e32 v1, 0xff, v1
	v_cmp_ne_u32_e32 vcc, 0, v1
	s_andn2_b64 s[14:15], s[14:15], exec
	s_and_b64 s[20:21], vcc, exec
	s_or_b64 s[14:15], s[14:15], s[20:21]
	s_or_b64 exec, exec, s[16:17]
	v_mov_b32_e32 v8, 0
	s_and_saveexec_b64 s[16:17], s[14:15]
	s_cbranch_execnz .LBB159_1684
	s_branch .LBB159_1685
.LBB159_2137:
	s_trap 2
	s_or_b64 s[2:3], s[2:3], exec
	s_cbranch_execz .LBB159_1731
	s_branch .LBB159_1732
.LBB159_2138:
	s_andn2_saveexec_b64 s[14:15], s[14:15]
	s_cbranch_execz .LBB159_1696
.LBB159_2139:
	s_mov_b32 s16, 0x42800000
	v_add_f32_e64 v1, |v7|, s16
	v_and_b32_e32 v1, 0xff, v1
	v_cmp_ne_u32_e32 vcc, 0, v1
	s_andn2_b64 s[12:13], s[12:13], exec
	s_and_b64 s[16:17], vcc, exec
	s_or_b64 s[12:13], s[12:13], s[16:17]
	s_or_b64 exec, exec, s[14:15]
	v_mov_b32_e32 v8, 0
	s_and_saveexec_b64 s[14:15], s[12:13]
	s_cbranch_execnz .LBB159_1697
	s_branch .LBB159_1698
.LBB159_2140:
	s_andn2_saveexec_b64 s[16:17], s[16:17]
	s_cbranch_execz .LBB159_1802
.LBB159_2141:
	s_mov_b32 s7, 0x46000000
	v_add_f32_e64 v1, |v5|, s7
	v_and_b32_e32 v1, 0xff, v1
	v_cmp_ne_u32_e32 vcc, 0, v1
	s_andn2_b64 s[14:15], s[14:15], exec
	s_and_b64 s[20:21], vcc, exec
	s_or_b64 s[14:15], s[14:15], s[20:21]
	s_or_b64 exec, exec, s[16:17]
	v_mov_b32_e32 v6, 0
	s_and_saveexec_b64 s[16:17], s[14:15]
	s_cbranch_execnz .LBB159_1803
	s_branch .LBB159_1804
.LBB159_2142:
	s_trap 2
	s_or_b64 s[2:3], s[2:3], exec
	s_cbranch_execz .LBB159_1850
	s_branch .LBB159_1851
.LBB159_2143:
	s_andn2_saveexec_b64 s[14:15], s[14:15]
	s_cbranch_execz .LBB159_1815
.LBB159_2144:
	s_mov_b32 s7, 0x42800000
	v_add_f32_e64 v1, |v5|, s7
	v_and_b32_e32 v1, 0xff, v1
	v_cmp_ne_u32_e32 vcc, 0, v1
	s_andn2_b64 s[12:13], s[12:13], exec
	s_and_b64 s[16:17], vcc, exec
	s_or_b64 s[12:13], s[12:13], s[16:17]
	s_or_b64 exec, exec, s[14:15]
	v_mov_b32_e32 v6, 0
	s_and_saveexec_b64 s[14:15], s[12:13]
	s_cbranch_execnz .LBB159_1816
	s_branch .LBB159_1817
.LBB159_2145:
	s_andn2_saveexec_b64 s[16:17], s[16:17]
	s_cbranch_execz .LBB159_1921
.LBB159_2146:
	s_mov_b32 s7, 0x46000000
	v_add_f32_e64 v4, |v3|, s7
	v_and_b32_e32 v4, 0xff, v4
	v_cmp_ne_u32_e32 vcc, 0, v4
	s_andn2_b64 s[14:15], s[14:15], exec
	s_and_b64 s[20:21], vcc, exec
	s_or_b64 s[14:15], s[14:15], s[20:21]
	s_or_b64 exec, exec, s[16:17]
	v_mov_b32_e32 v5, 0
	s_and_saveexec_b64 s[16:17], s[14:15]
	s_cbranch_execnz .LBB159_1922
	s_branch .LBB159_1923
.LBB159_2147:
	s_trap 2
	s_or_b64 s[2:3], s[2:3], exec
	s_cbranch_execz .LBB159_1969
	s_branch .LBB159_1970
.LBB159_2148:
	s_andn2_saveexec_b64 s[14:15], s[14:15]
	s_cbranch_execz .LBB159_1934
.LBB159_2149:
	s_mov_b32 s7, 0x42800000
	v_add_f32_e64 v4, |v3|, s7
	v_and_b32_e32 v4, 0xff, v4
	v_cmp_ne_u32_e32 vcc, 0, v4
	s_andn2_b64 s[12:13], s[12:13], exec
	s_and_b64 s[16:17], vcc, exec
	s_or_b64 s[12:13], s[12:13], s[16:17]
	s_or_b64 exec, exec, s[14:15]
	v_mov_b32_e32 v5, 0
	s_and_saveexec_b64 s[14:15], s[12:13]
	s_cbranch_execnz .LBB159_1935
	s_branch .LBB159_1936
.LBB159_2150:
	s_andn2_saveexec_b64 s[10:11], s[10:11]
	s_cbranch_execz .LBB159_2041
.LBB159_2151:
	s_mov_b32 s12, 0x46000000
	v_add_f32_e64 v3, |v2|, s12
	v_and_b32_e32 v3, 0xff, v3
	v_cmp_ne_u32_e32 vcc, 0, v3
	s_andn2_b64 s[8:9], s[8:9], exec
	s_and_b64 s[12:13], vcc, exec
	s_or_b64 s[8:9], s[8:9], s[12:13]
	s_or_b64 exec, exec, s[10:11]
	v_mov_b32_e32 v4, 0
	s_and_saveexec_b64 s[10:11], s[8:9]
	s_cbranch_execnz .LBB159_2042
	s_branch .LBB159_2043
.LBB159_2152:
	s_mov_b64 s[4:5], 0
	s_or_b64 s[2:3], s[2:3], exec
	s_trap 2
	s_branch .LBB159_2087
.LBB159_2153:
	s_andn2_saveexec_b64 s[8:9], s[8:9]
	s_cbranch_execz .LBB159_2053
.LBB159_2154:
	s_mov_b32 s10, 0x42800000
	v_add_f32_e64 v3, |v2|, s10
	v_and_b32_e32 v3, 0xff, v3
	v_cmp_ne_u32_e32 vcc, 0, v3
	s_andn2_b64 s[6:7], s[6:7], exec
	s_and_b64 s[10:11], vcc, exec
	s_or_b64 s[6:7], s[6:7], s[10:11]
	s_or_b64 exec, exec, s[8:9]
	v_mov_b32_e32 v4, 0
	s_and_saveexec_b64 s[8:9], s[6:7]
	s_cbranch_execnz .LBB159_2054
	s_branch .LBB159_2055
	.section	.rodata,"a",@progbits
	.p2align	6, 0x0
	.amdhsa_kernel _ZN2at6native32elementwise_kernel_manual_unrollILi128ELi4EZNS0_15gpu_kernel_implINS0_13BUnaryFunctorIfffZNS0_12_GLOBAL__N_121threshold_kernel_implIfEEvRNS_18TensorIteratorBaseET_S8_EUlffE_EEEEvS7_RKS8_EUlibE0_EEviT1_
		.amdhsa_group_segment_fixed_size 0
		.amdhsa_private_segment_fixed_size 0
		.amdhsa_kernarg_size 368
		.amdhsa_user_sgpr_count 6
		.amdhsa_user_sgpr_private_segment_buffer 1
		.amdhsa_user_sgpr_dispatch_ptr 0
		.amdhsa_user_sgpr_queue_ptr 0
		.amdhsa_user_sgpr_kernarg_segment_ptr 1
		.amdhsa_user_sgpr_dispatch_id 0
		.amdhsa_user_sgpr_flat_scratch_init 0
		.amdhsa_user_sgpr_private_segment_size 0
		.amdhsa_uses_dynamic_stack 0
		.amdhsa_system_sgpr_private_segment_wavefront_offset 0
		.amdhsa_system_sgpr_workgroup_id_x 1
		.amdhsa_system_sgpr_workgroup_id_y 0
		.amdhsa_system_sgpr_workgroup_id_z 0
		.amdhsa_system_sgpr_workgroup_info 0
		.amdhsa_system_vgpr_workitem_id 0
		.amdhsa_next_free_vgpr 18
		.amdhsa_next_free_sgpr 81
		.amdhsa_reserve_vcc 1
		.amdhsa_reserve_flat_scratch 0
		.amdhsa_float_round_mode_32 0
		.amdhsa_float_round_mode_16_64 0
		.amdhsa_float_denorm_mode_32 3
		.amdhsa_float_denorm_mode_16_64 3
		.amdhsa_dx10_clamp 1
		.amdhsa_ieee_mode 1
		.amdhsa_fp16_overflow 0
		.amdhsa_exception_fp_ieee_invalid_op 0
		.amdhsa_exception_fp_denorm_src 0
		.amdhsa_exception_fp_ieee_div_zero 0
		.amdhsa_exception_fp_ieee_overflow 0
		.amdhsa_exception_fp_ieee_underflow 0
		.amdhsa_exception_fp_ieee_inexact 0
		.amdhsa_exception_int_div_zero 0
	.end_amdhsa_kernel
	.section	.text._ZN2at6native32elementwise_kernel_manual_unrollILi128ELi4EZNS0_15gpu_kernel_implINS0_13BUnaryFunctorIfffZNS0_12_GLOBAL__N_121threshold_kernel_implIfEEvRNS_18TensorIteratorBaseET_S8_EUlffE_EEEEvS7_RKS8_EUlibE0_EEviT1_,"axG",@progbits,_ZN2at6native32elementwise_kernel_manual_unrollILi128ELi4EZNS0_15gpu_kernel_implINS0_13BUnaryFunctorIfffZNS0_12_GLOBAL__N_121threshold_kernel_implIfEEvRNS_18TensorIteratorBaseET_S8_EUlffE_EEEEvS7_RKS8_EUlibE0_EEviT1_,comdat
.Lfunc_end159:
	.size	_ZN2at6native32elementwise_kernel_manual_unrollILi128ELi4EZNS0_15gpu_kernel_implINS0_13BUnaryFunctorIfffZNS0_12_GLOBAL__N_121threshold_kernel_implIfEEvRNS_18TensorIteratorBaseET_S8_EUlffE_EEEEvS7_RKS8_EUlibE0_EEviT1_, .Lfunc_end159-_ZN2at6native32elementwise_kernel_manual_unrollILi128ELi4EZNS0_15gpu_kernel_implINS0_13BUnaryFunctorIfffZNS0_12_GLOBAL__N_121threshold_kernel_implIfEEvRNS_18TensorIteratorBaseET_S8_EUlffE_EEEEvS7_RKS8_EUlibE0_EEviT1_
                                        ; -- End function
	.set _ZN2at6native32elementwise_kernel_manual_unrollILi128ELi4EZNS0_15gpu_kernel_implINS0_13BUnaryFunctorIfffZNS0_12_GLOBAL__N_121threshold_kernel_implIfEEvRNS_18TensorIteratorBaseET_S8_EUlffE_EEEEvS7_RKS8_EUlibE0_EEviT1_.num_vgpr, 18
	.set _ZN2at6native32elementwise_kernel_manual_unrollILi128ELi4EZNS0_15gpu_kernel_implINS0_13BUnaryFunctorIfffZNS0_12_GLOBAL__N_121threshold_kernel_implIfEEvRNS_18TensorIteratorBaseET_S8_EUlffE_EEEEvS7_RKS8_EUlibE0_EEviT1_.num_agpr, 0
	.set _ZN2at6native32elementwise_kernel_manual_unrollILi128ELi4EZNS0_15gpu_kernel_implINS0_13BUnaryFunctorIfffZNS0_12_GLOBAL__N_121threshold_kernel_implIfEEvRNS_18TensorIteratorBaseET_S8_EUlffE_EEEEvS7_RKS8_EUlibE0_EEviT1_.numbered_sgpr, 81
	.set _ZN2at6native32elementwise_kernel_manual_unrollILi128ELi4EZNS0_15gpu_kernel_implINS0_13BUnaryFunctorIfffZNS0_12_GLOBAL__N_121threshold_kernel_implIfEEvRNS_18TensorIteratorBaseET_S8_EUlffE_EEEEvS7_RKS8_EUlibE0_EEviT1_.num_named_barrier, 0
	.set _ZN2at6native32elementwise_kernel_manual_unrollILi128ELi4EZNS0_15gpu_kernel_implINS0_13BUnaryFunctorIfffZNS0_12_GLOBAL__N_121threshold_kernel_implIfEEvRNS_18TensorIteratorBaseET_S8_EUlffE_EEEEvS7_RKS8_EUlibE0_EEviT1_.private_seg_size, 0
	.set _ZN2at6native32elementwise_kernel_manual_unrollILi128ELi4EZNS0_15gpu_kernel_implINS0_13BUnaryFunctorIfffZNS0_12_GLOBAL__N_121threshold_kernel_implIfEEvRNS_18TensorIteratorBaseET_S8_EUlffE_EEEEvS7_RKS8_EUlibE0_EEviT1_.uses_vcc, 1
	.set _ZN2at6native32elementwise_kernel_manual_unrollILi128ELi4EZNS0_15gpu_kernel_implINS0_13BUnaryFunctorIfffZNS0_12_GLOBAL__N_121threshold_kernel_implIfEEvRNS_18TensorIteratorBaseET_S8_EUlffE_EEEEvS7_RKS8_EUlibE0_EEviT1_.uses_flat_scratch, 0
	.set _ZN2at6native32elementwise_kernel_manual_unrollILi128ELi4EZNS0_15gpu_kernel_implINS0_13BUnaryFunctorIfffZNS0_12_GLOBAL__N_121threshold_kernel_implIfEEvRNS_18TensorIteratorBaseET_S8_EUlffE_EEEEvS7_RKS8_EUlibE0_EEviT1_.has_dyn_sized_stack, 0
	.set _ZN2at6native32elementwise_kernel_manual_unrollILi128ELi4EZNS0_15gpu_kernel_implINS0_13BUnaryFunctorIfffZNS0_12_GLOBAL__N_121threshold_kernel_implIfEEvRNS_18TensorIteratorBaseET_S8_EUlffE_EEEEvS7_RKS8_EUlibE0_EEviT1_.has_recursion, 0
	.set _ZN2at6native32elementwise_kernel_manual_unrollILi128ELi4EZNS0_15gpu_kernel_implINS0_13BUnaryFunctorIfffZNS0_12_GLOBAL__N_121threshold_kernel_implIfEEvRNS_18TensorIteratorBaseET_S8_EUlffE_EEEEvS7_RKS8_EUlibE0_EEviT1_.has_indirect_call, 0
	.section	.AMDGPU.csdata,"",@progbits
; Kernel info:
; codeLenInByte = 37616
; TotalNumSgprs: 85
; NumVgprs: 18
; ScratchSize: 0
; MemoryBound: 1
; FloatMode: 240
; IeeeMode: 1
; LDSByteSize: 0 bytes/workgroup (compile time only)
; SGPRBlocks: 10
; VGPRBlocks: 4
; NumSGPRsForWavesPerEU: 85
; NumVGPRsForWavesPerEU: 18
; Occupancy: 9
; WaveLimiterHint : 1
; COMPUTE_PGM_RSRC2:SCRATCH_EN: 0
; COMPUTE_PGM_RSRC2:USER_SGPR: 6
; COMPUTE_PGM_RSRC2:TRAP_HANDLER: 0
; COMPUTE_PGM_RSRC2:TGID_X_EN: 1
; COMPUTE_PGM_RSRC2:TGID_Y_EN: 0
; COMPUTE_PGM_RSRC2:TGID_Z_EN: 0
; COMPUTE_PGM_RSRC2:TIDIG_COMP_CNT: 0
	.section	.text._ZN2at6native29vectorized_elementwise_kernelILi16ENS0_13BinaryFunctorIfffZNS0_12_GLOBAL__N_121threshold_kernel_implIfEEvRNS_18TensorIteratorBaseET_S7_EUlffE_EESt5arrayIPcLm3EEEEviT0_T1_,"axG",@progbits,_ZN2at6native29vectorized_elementwise_kernelILi16ENS0_13BinaryFunctorIfffZNS0_12_GLOBAL__N_121threshold_kernel_implIfEEvRNS_18TensorIteratorBaseET_S7_EUlffE_EESt5arrayIPcLm3EEEEviT0_T1_,comdat
	.globl	_ZN2at6native29vectorized_elementwise_kernelILi16ENS0_13BinaryFunctorIfffZNS0_12_GLOBAL__N_121threshold_kernel_implIfEEvRNS_18TensorIteratorBaseET_S7_EUlffE_EESt5arrayIPcLm3EEEEviT0_T1_ ; -- Begin function _ZN2at6native29vectorized_elementwise_kernelILi16ENS0_13BinaryFunctorIfffZNS0_12_GLOBAL__N_121threshold_kernel_implIfEEvRNS_18TensorIteratorBaseET_S7_EUlffE_EESt5arrayIPcLm3EEEEviT0_T1_
	.p2align	8
	.type	_ZN2at6native29vectorized_elementwise_kernelILi16ENS0_13BinaryFunctorIfffZNS0_12_GLOBAL__N_121threshold_kernel_implIfEEvRNS_18TensorIteratorBaseET_S7_EUlffE_EESt5arrayIPcLm3EEEEviT0_T1_,@function
_ZN2at6native29vectorized_elementwise_kernelILi16ENS0_13BinaryFunctorIfffZNS0_12_GLOBAL__N_121threshold_kernel_implIfEEvRNS_18TensorIteratorBaseET_S7_EUlffE_EESt5arrayIPcLm3EEEEviT0_T1_: ; @_ZN2at6native29vectorized_elementwise_kernelILi16ENS0_13BinaryFunctorIfffZNS0_12_GLOBAL__N_121threshold_kernel_implIfEEvRNS_18TensorIteratorBaseET_S7_EUlffE_EESt5arrayIPcLm3EEEEviT0_T1_
; %bb.0:
	s_load_dwordx8 s[8:15], s[4:5], 0x0
	s_load_dwordx2 s[16:17], s[4:5], 0x20
	s_lshl_b32 s2, s6, 10
	s_mov_b64 s[0:1], -1
	s_waitcnt lgkmcnt(0)
	s_sub_i32 s6, s8, s2
	s_cmpk_gt_i32 s6, 0x3ff
	s_cbranch_scc0 .LBB160_2
; %bb.1:
	s_ashr_i32 s3, s2, 31
	s_lshl_b64 s[0:1], s[2:3], 2
	s_add_u32 s4, s14, s0
	s_addc_u32 s5, s15, s1
	v_lshlrev_b32_e32 v9, 4, v0
	s_add_u32 s18, s16, s0
	s_addc_u32 s19, s17, s1
	global_load_dwordx4 v[1:4], v9, s[4:5]
	global_load_dwordx4 v[5:8], v9, s[18:19]
	v_mov_b32_e32 v10, s10
	s_add_u32 s0, s12, s0
	s_addc_u32 s1, s13, s1
	s_waitcnt vmcnt(1)
	v_cmp_nge_f32_e32 vcc, s9, v1
	s_waitcnt vmcnt(0)
	v_cndmask_b32_e32 v1, v10, v5, vcc
	v_cmp_nge_f32_e32 vcc, s9, v2
	v_cndmask_b32_e32 v2, v10, v6, vcc
	v_cmp_nge_f32_e32 vcc, s9, v3
	v_cndmask_b32_e32 v3, v10, v7, vcc
	v_cmp_nge_f32_e32 vcc, s9, v4
	v_cndmask_b32_e32 v4, v10, v8, vcc
	global_store_dwordx4 v9, v[1:4], s[0:1]
	s_mov_b64 s[0:1], 0
.LBB160_2:
	s_andn2_b64 vcc, exec, s[0:1]
	s_cbranch_vccnz .LBB160_16
; %bb.3:
	v_cmp_gt_i32_e32 vcc, s6, v0
	v_mov_b32_e32 v3, 0
	v_or_b32_e32 v1, s2, v0
	v_mov_b32_e32 v2, 0
	v_mov_b32_e32 v4, 0
	;; [unrolled: 1-line block ×3, first 2 shown]
	s_and_saveexec_b64 s[4:5], vcc
	s_cbranch_execz .LBB160_5
; %bb.4:
	v_mov_b32_e32 v2, 0
	v_lshlrev_b64 v[4:5], 2, v[1:2]
	v_mov_b32_e32 v2, s17
	v_add_co_u32_e64 v6, s[0:1], s16, v4
	v_addc_co_u32_e64 v7, s[0:1], v2, v5, s[0:1]
	v_mov_b32_e32 v2, s15
	v_add_co_u32_e64 v8, s[0:1], s14, v4
	v_addc_co_u32_e64 v9, s[0:1], v2, v5, s[0:1]
	global_load_dword v2, v[8:9], off
	global_load_dword v4, v[6:7], off
	v_or_b32_e32 v6, 0x100, v0
.LBB160_5:
	s_or_b64 exec, exec, s[4:5]
	v_cmp_gt_i32_e64 s[0:1], s6, v6
	v_mov_b32_e32 v5, 0
	s_and_saveexec_b64 s[4:5], s[0:1]
	s_cbranch_execz .LBB160_7
; %bb.6:
	v_add_u32_e32 v7, s2, v6
	v_mov_b32_e32 v8, 0
	v_lshlrev_b64 v[7:8], 2, v[7:8]
	v_mov_b32_e32 v3, s17
	v_add_co_u32_e64 v9, s[0:1], s16, v7
	v_addc_co_u32_e64 v10, s[0:1], v3, v8, s[0:1]
	v_mov_b32_e32 v3, s15
	v_add_co_u32_e64 v7, s[0:1], s14, v7
	v_addc_co_u32_e64 v8, s[0:1], v3, v8, s[0:1]
	global_load_dword v3, v[7:8], off
	global_load_dword v5, v[9:10], off
	v_add_u32_e32 v6, 0x100, v6
.LBB160_7:
	s_or_b64 exec, exec, s[4:5]
	v_cmp_gt_i32_e64 s[0:1], s6, v6
	v_mov_b32_e32 v7, 0
	v_mov_b32_e32 v8, 0
	;; [unrolled: 1-line block ×3, first 2 shown]
	s_and_saveexec_b64 s[4:5], s[0:1]
	s_cbranch_execz .LBB160_9
; %bb.8:
	v_add_u32_e32 v8, s2, v6
	v_mov_b32_e32 v9, 0
	v_lshlrev_b64 v[8:9], 2, v[8:9]
	v_mov_b32_e32 v11, s17
	v_add_co_u32_e64 v10, s[0:1], s16, v8
	v_addc_co_u32_e64 v11, s[0:1], v11, v9, s[0:1]
	v_mov_b32_e32 v13, s15
	v_add_co_u32_e64 v12, s[0:1], s14, v8
	v_addc_co_u32_e64 v13, s[0:1], v13, v9, s[0:1]
	global_load_dword v8, v[12:13], off
	global_load_dword v9, v[10:11], off
	v_add_u32_e32 v6, 0x100, v6
.LBB160_9:
	s_or_b64 exec, exec, s[4:5]
	v_cmp_gt_i32_e64 s[0:1], s6, v6
	v_mov_b32_e32 v11, 0
	s_and_saveexec_b64 s[4:5], s[0:1]
	s_cbranch_execz .LBB160_11
; %bb.10:
	v_add_u32_e32 v6, s2, v6
	v_mov_b32_e32 v7, 0
	v_lshlrev_b64 v[6:7], 2, v[6:7]
	v_mov_b32_e32 v10, s17
	v_add_co_u32_e64 v12, s[0:1], s16, v6
	v_addc_co_u32_e64 v13, s[0:1], v10, v7, s[0:1]
	v_mov_b32_e32 v10, s15
	v_add_co_u32_e64 v14, s[0:1], s14, v6
	v_addc_co_u32_e64 v15, s[0:1], v10, v7, s[0:1]
	global_load_dword v7, v[14:15], off
	global_load_dword v11, v[12:13], off
.LBB160_11:
	s_or_b64 exec, exec, s[4:5]
	v_mov_b32_e32 v12, s10
	s_waitcnt vmcnt(1)
	v_cmp_nge_f32_e64 s[0:1], s9, v2
	s_waitcnt vmcnt(0)
	v_cndmask_b32_e64 v2, v12, v4, s[0:1]
	v_or_b32_e32 v6, 0x100, v0
	v_cmp_nge_f32_e64 s[0:1], s9, v3
	v_cndmask_b32_e32 v10, 0, v2, vcc
	v_cndmask_b32_e64 v2, v12, v5, s[0:1]
	v_cmp_gt_i32_e64 s[0:1], s6, v6
	v_cndmask_b32_e64 v5, 0, v2, s[0:1]
	v_or_b32_e32 v2, 0x200, v0
	v_cmp_nge_f32_e64 s[0:1], s9, v8
	v_cndmask_b32_e64 v3, v12, v9, s[0:1]
	v_cmp_gt_i32_e64 s[0:1], s6, v2
	v_cndmask_b32_e64 v4, 0, v3, s[0:1]
	v_or_b32_e32 v2, 0x300, v0
	v_cmp_nge_f32_e64 s[0:1], s9, v7
	v_cndmask_b32_e64 v3, v12, v11, s[0:1]
	v_cmp_gt_i32_e64 s[0:1], s6, v2
	v_cndmask_b32_e64 v3, 0, v3, s[0:1]
	s_and_saveexec_b64 s[0:1], vcc
	s_cbranch_execnz .LBB160_17
; %bb.12:
	s_or_b64 exec, exec, s[0:1]
	v_cmp_gt_i32_e32 vcc, s6, v0
	s_and_saveexec_b64 s[0:1], vcc
	s_cbranch_execnz .LBB160_18
.LBB160_13:
	s_or_b64 exec, exec, s[0:1]
	v_cmp_gt_i32_e32 vcc, s6, v0
	s_and_saveexec_b64 s[0:1], vcc
	s_cbranch_execnz .LBB160_19
.LBB160_14:
	s_or_b64 exec, exec, s[0:1]
	v_cmp_gt_i32_e32 vcc, s6, v0
	s_and_saveexec_b64 s[0:1], vcc
	s_cbranch_execz .LBB160_16
.LBB160_15:
	v_add_u32_e32 v0, s2, v0
	v_mov_b32_e32 v1, 0
	v_lshlrev_b64 v[0:1], 2, v[0:1]
	v_mov_b32_e32 v2, s13
	v_add_co_u32_e32 v0, vcc, s12, v0
	v_addc_co_u32_e32 v1, vcc, v2, v1, vcc
	global_store_dword v[0:1], v3, off
.LBB160_16:
	s_endpgm
.LBB160_17:
	v_mov_b32_e32 v2, 0
	v_lshlrev_b64 v[0:1], 2, v[1:2]
	v_mov_b32_e32 v2, s13
	v_add_co_u32_e32 v0, vcc, s12, v0
	v_addc_co_u32_e32 v1, vcc, v2, v1, vcc
	global_store_dword v[0:1], v10, off
	v_mov_b32_e32 v0, v6
	s_or_b64 exec, exec, s[0:1]
	v_cmp_gt_i32_e32 vcc, s6, v0
	s_and_saveexec_b64 s[0:1], vcc
	s_cbranch_execz .LBB160_13
.LBB160_18:
	v_add_u32_e32 v1, s2, v0
	v_mov_b32_e32 v2, 0
	v_lshlrev_b64 v[1:2], 2, v[1:2]
	v_mov_b32_e32 v6, s13
	v_add_co_u32_e32 v1, vcc, s12, v1
	v_addc_co_u32_e32 v2, vcc, v6, v2, vcc
	v_add_u32_e32 v0, 0x100, v0
	global_store_dword v[1:2], v5, off
	s_or_b64 exec, exec, s[0:1]
	v_cmp_gt_i32_e32 vcc, s6, v0
	s_and_saveexec_b64 s[0:1], vcc
	s_cbranch_execz .LBB160_14
.LBB160_19:
	v_add_u32_e32 v1, s2, v0
	v_mov_b32_e32 v2, 0
	v_lshlrev_b64 v[1:2], 2, v[1:2]
	v_mov_b32_e32 v5, s13
	v_add_co_u32_e32 v1, vcc, s12, v1
	v_addc_co_u32_e32 v2, vcc, v5, v2, vcc
	v_add_u32_e32 v0, 0x100, v0
	global_store_dword v[1:2], v4, off
	s_or_b64 exec, exec, s[0:1]
	v_cmp_gt_i32_e32 vcc, s6, v0
	s_and_saveexec_b64 s[0:1], vcc
	s_cbranch_execnz .LBB160_15
	s_branch .LBB160_16
	.section	.rodata,"a",@progbits
	.p2align	6, 0x0
	.amdhsa_kernel _ZN2at6native29vectorized_elementwise_kernelILi16ENS0_13BinaryFunctorIfffZNS0_12_GLOBAL__N_121threshold_kernel_implIfEEvRNS_18TensorIteratorBaseET_S7_EUlffE_EESt5arrayIPcLm3EEEEviT0_T1_
		.amdhsa_group_segment_fixed_size 0
		.amdhsa_private_segment_fixed_size 0
		.amdhsa_kernarg_size 40
		.amdhsa_user_sgpr_count 6
		.amdhsa_user_sgpr_private_segment_buffer 1
		.amdhsa_user_sgpr_dispatch_ptr 0
		.amdhsa_user_sgpr_queue_ptr 0
		.amdhsa_user_sgpr_kernarg_segment_ptr 1
		.amdhsa_user_sgpr_dispatch_id 0
		.amdhsa_user_sgpr_flat_scratch_init 0
		.amdhsa_user_sgpr_private_segment_size 0
		.amdhsa_uses_dynamic_stack 0
		.amdhsa_system_sgpr_private_segment_wavefront_offset 0
		.amdhsa_system_sgpr_workgroup_id_x 1
		.amdhsa_system_sgpr_workgroup_id_y 0
		.amdhsa_system_sgpr_workgroup_id_z 0
		.amdhsa_system_sgpr_workgroup_info 0
		.amdhsa_system_vgpr_workitem_id 0
		.amdhsa_next_free_vgpr 16
		.amdhsa_next_free_sgpr 20
		.amdhsa_reserve_vcc 1
		.amdhsa_reserve_flat_scratch 0
		.amdhsa_float_round_mode_32 0
		.amdhsa_float_round_mode_16_64 0
		.amdhsa_float_denorm_mode_32 3
		.amdhsa_float_denorm_mode_16_64 3
		.amdhsa_dx10_clamp 1
		.amdhsa_ieee_mode 1
		.amdhsa_fp16_overflow 0
		.amdhsa_exception_fp_ieee_invalid_op 0
		.amdhsa_exception_fp_denorm_src 0
		.amdhsa_exception_fp_ieee_div_zero 0
		.amdhsa_exception_fp_ieee_overflow 0
		.amdhsa_exception_fp_ieee_underflow 0
		.amdhsa_exception_fp_ieee_inexact 0
		.amdhsa_exception_int_div_zero 0
	.end_amdhsa_kernel
	.section	.text._ZN2at6native29vectorized_elementwise_kernelILi16ENS0_13BinaryFunctorIfffZNS0_12_GLOBAL__N_121threshold_kernel_implIfEEvRNS_18TensorIteratorBaseET_S7_EUlffE_EESt5arrayIPcLm3EEEEviT0_T1_,"axG",@progbits,_ZN2at6native29vectorized_elementwise_kernelILi16ENS0_13BinaryFunctorIfffZNS0_12_GLOBAL__N_121threshold_kernel_implIfEEvRNS_18TensorIteratorBaseET_S7_EUlffE_EESt5arrayIPcLm3EEEEviT0_T1_,comdat
.Lfunc_end160:
	.size	_ZN2at6native29vectorized_elementwise_kernelILi16ENS0_13BinaryFunctorIfffZNS0_12_GLOBAL__N_121threshold_kernel_implIfEEvRNS_18TensorIteratorBaseET_S7_EUlffE_EESt5arrayIPcLm3EEEEviT0_T1_, .Lfunc_end160-_ZN2at6native29vectorized_elementwise_kernelILi16ENS0_13BinaryFunctorIfffZNS0_12_GLOBAL__N_121threshold_kernel_implIfEEvRNS_18TensorIteratorBaseET_S7_EUlffE_EESt5arrayIPcLm3EEEEviT0_T1_
                                        ; -- End function
	.set _ZN2at6native29vectorized_elementwise_kernelILi16ENS0_13BinaryFunctorIfffZNS0_12_GLOBAL__N_121threshold_kernel_implIfEEvRNS_18TensorIteratorBaseET_S7_EUlffE_EESt5arrayIPcLm3EEEEviT0_T1_.num_vgpr, 16
	.set _ZN2at6native29vectorized_elementwise_kernelILi16ENS0_13BinaryFunctorIfffZNS0_12_GLOBAL__N_121threshold_kernel_implIfEEvRNS_18TensorIteratorBaseET_S7_EUlffE_EESt5arrayIPcLm3EEEEviT0_T1_.num_agpr, 0
	.set _ZN2at6native29vectorized_elementwise_kernelILi16ENS0_13BinaryFunctorIfffZNS0_12_GLOBAL__N_121threshold_kernel_implIfEEvRNS_18TensorIteratorBaseET_S7_EUlffE_EESt5arrayIPcLm3EEEEviT0_T1_.numbered_sgpr, 20
	.set _ZN2at6native29vectorized_elementwise_kernelILi16ENS0_13BinaryFunctorIfffZNS0_12_GLOBAL__N_121threshold_kernel_implIfEEvRNS_18TensorIteratorBaseET_S7_EUlffE_EESt5arrayIPcLm3EEEEviT0_T1_.num_named_barrier, 0
	.set _ZN2at6native29vectorized_elementwise_kernelILi16ENS0_13BinaryFunctorIfffZNS0_12_GLOBAL__N_121threshold_kernel_implIfEEvRNS_18TensorIteratorBaseET_S7_EUlffE_EESt5arrayIPcLm3EEEEviT0_T1_.private_seg_size, 0
	.set _ZN2at6native29vectorized_elementwise_kernelILi16ENS0_13BinaryFunctorIfffZNS0_12_GLOBAL__N_121threshold_kernel_implIfEEvRNS_18TensorIteratorBaseET_S7_EUlffE_EESt5arrayIPcLm3EEEEviT0_T1_.uses_vcc, 1
	.set _ZN2at6native29vectorized_elementwise_kernelILi16ENS0_13BinaryFunctorIfffZNS0_12_GLOBAL__N_121threshold_kernel_implIfEEvRNS_18TensorIteratorBaseET_S7_EUlffE_EESt5arrayIPcLm3EEEEviT0_T1_.uses_flat_scratch, 0
	.set _ZN2at6native29vectorized_elementwise_kernelILi16ENS0_13BinaryFunctorIfffZNS0_12_GLOBAL__N_121threshold_kernel_implIfEEvRNS_18TensorIteratorBaseET_S7_EUlffE_EESt5arrayIPcLm3EEEEviT0_T1_.has_dyn_sized_stack, 0
	.set _ZN2at6native29vectorized_elementwise_kernelILi16ENS0_13BinaryFunctorIfffZNS0_12_GLOBAL__N_121threshold_kernel_implIfEEvRNS_18TensorIteratorBaseET_S7_EUlffE_EESt5arrayIPcLm3EEEEviT0_T1_.has_recursion, 0
	.set _ZN2at6native29vectorized_elementwise_kernelILi16ENS0_13BinaryFunctorIfffZNS0_12_GLOBAL__N_121threshold_kernel_implIfEEvRNS_18TensorIteratorBaseET_S7_EUlffE_EESt5arrayIPcLm3EEEEviT0_T1_.has_indirect_call, 0
	.section	.AMDGPU.csdata,"",@progbits
; Kernel info:
; codeLenInByte = 1004
; TotalNumSgprs: 24
; NumVgprs: 16
; ScratchSize: 0
; MemoryBound: 0
; FloatMode: 240
; IeeeMode: 1
; LDSByteSize: 0 bytes/workgroup (compile time only)
; SGPRBlocks: 2
; VGPRBlocks: 3
; NumSGPRsForWavesPerEU: 24
; NumVGPRsForWavesPerEU: 16
; Occupancy: 10
; WaveLimiterHint : 0
; COMPUTE_PGM_RSRC2:SCRATCH_EN: 0
; COMPUTE_PGM_RSRC2:USER_SGPR: 6
; COMPUTE_PGM_RSRC2:TRAP_HANDLER: 0
; COMPUTE_PGM_RSRC2:TGID_X_EN: 1
; COMPUTE_PGM_RSRC2:TGID_Y_EN: 0
; COMPUTE_PGM_RSRC2:TGID_Z_EN: 0
; COMPUTE_PGM_RSRC2:TIDIG_COMP_CNT: 0
	.section	.text._ZN2at6native29vectorized_elementwise_kernelILi8ENS0_13BinaryFunctorIfffZNS0_12_GLOBAL__N_121threshold_kernel_implIfEEvRNS_18TensorIteratorBaseET_S7_EUlffE_EESt5arrayIPcLm3EEEEviT0_T1_,"axG",@progbits,_ZN2at6native29vectorized_elementwise_kernelILi8ENS0_13BinaryFunctorIfffZNS0_12_GLOBAL__N_121threshold_kernel_implIfEEvRNS_18TensorIteratorBaseET_S7_EUlffE_EESt5arrayIPcLm3EEEEviT0_T1_,comdat
	.globl	_ZN2at6native29vectorized_elementwise_kernelILi8ENS0_13BinaryFunctorIfffZNS0_12_GLOBAL__N_121threshold_kernel_implIfEEvRNS_18TensorIteratorBaseET_S7_EUlffE_EESt5arrayIPcLm3EEEEviT0_T1_ ; -- Begin function _ZN2at6native29vectorized_elementwise_kernelILi8ENS0_13BinaryFunctorIfffZNS0_12_GLOBAL__N_121threshold_kernel_implIfEEvRNS_18TensorIteratorBaseET_S7_EUlffE_EESt5arrayIPcLm3EEEEviT0_T1_
	.p2align	8
	.type	_ZN2at6native29vectorized_elementwise_kernelILi8ENS0_13BinaryFunctorIfffZNS0_12_GLOBAL__N_121threshold_kernel_implIfEEvRNS_18TensorIteratorBaseET_S7_EUlffE_EESt5arrayIPcLm3EEEEviT0_T1_,@function
_ZN2at6native29vectorized_elementwise_kernelILi8ENS0_13BinaryFunctorIfffZNS0_12_GLOBAL__N_121threshold_kernel_implIfEEvRNS_18TensorIteratorBaseET_S7_EUlffE_EESt5arrayIPcLm3EEEEviT0_T1_: ; @_ZN2at6native29vectorized_elementwise_kernelILi8ENS0_13BinaryFunctorIfffZNS0_12_GLOBAL__N_121threshold_kernel_implIfEEvRNS_18TensorIteratorBaseET_S7_EUlffE_EESt5arrayIPcLm3EEEEviT0_T1_
; %bb.0:
	s_load_dwordx8 s[8:15], s[4:5], 0x0
	s_load_dwordx2 s[16:17], s[4:5], 0x20
	s_lshl_b32 s2, s6, 10
	s_mov_b64 s[0:1], -1
	s_waitcnt lgkmcnt(0)
	s_sub_i32 s6, s8, s2
	s_cmpk_gt_i32 s6, 0x3ff
	s_cbranch_scc0 .LBB161_2
; %bb.1:
	s_ashr_i32 s3, s2, 31
	s_lshl_b64 s[0:1], s[2:3], 2
	s_add_u32 s4, s14, s0
	s_addc_u32 s5, s15, s1
	v_lshlrev_b32_e32 v9, 4, v0
	s_add_u32 s18, s16, s0
	s_addc_u32 s19, s17, s1
	global_load_dwordx4 v[1:4], v9, s[4:5]
	global_load_dwordx4 v[5:8], v9, s[18:19]
	v_mov_b32_e32 v10, s10
	s_add_u32 s0, s12, s0
	s_addc_u32 s1, s13, s1
	s_waitcnt vmcnt(1)
	v_cmp_nge_f32_e32 vcc, s9, v1
	s_waitcnt vmcnt(0)
	v_cndmask_b32_e32 v1, v10, v5, vcc
	v_cmp_nge_f32_e32 vcc, s9, v2
	v_cndmask_b32_e32 v2, v10, v6, vcc
	v_cmp_nge_f32_e32 vcc, s9, v3
	;; [unrolled: 2-line block ×3, first 2 shown]
	v_cndmask_b32_e32 v4, v10, v8, vcc
	global_store_dwordx4 v9, v[1:4], s[0:1]
	s_mov_b64 s[0:1], 0
.LBB161_2:
	s_andn2_b64 vcc, exec, s[0:1]
	s_cbranch_vccnz .LBB161_16
; %bb.3:
	v_cmp_gt_i32_e32 vcc, s6, v0
	v_mov_b32_e32 v3, 0
	v_or_b32_e32 v1, s2, v0
	v_mov_b32_e32 v2, 0
	v_mov_b32_e32 v4, 0
	;; [unrolled: 1-line block ×3, first 2 shown]
	s_and_saveexec_b64 s[4:5], vcc
	s_cbranch_execz .LBB161_5
; %bb.4:
	v_mov_b32_e32 v2, 0
	v_lshlrev_b64 v[4:5], 2, v[1:2]
	v_mov_b32_e32 v2, s17
	v_add_co_u32_e64 v6, s[0:1], s16, v4
	v_addc_co_u32_e64 v7, s[0:1], v2, v5, s[0:1]
	v_mov_b32_e32 v2, s15
	v_add_co_u32_e64 v8, s[0:1], s14, v4
	v_addc_co_u32_e64 v9, s[0:1], v2, v5, s[0:1]
	global_load_dword v2, v[8:9], off
	global_load_dword v4, v[6:7], off
	v_or_b32_e32 v6, 0x100, v0
.LBB161_5:
	s_or_b64 exec, exec, s[4:5]
	v_cmp_gt_i32_e64 s[0:1], s6, v6
	v_mov_b32_e32 v5, 0
	s_and_saveexec_b64 s[4:5], s[0:1]
	s_cbranch_execz .LBB161_7
; %bb.6:
	v_add_u32_e32 v7, s2, v6
	v_mov_b32_e32 v8, 0
	v_lshlrev_b64 v[7:8], 2, v[7:8]
	v_mov_b32_e32 v3, s17
	v_add_co_u32_e64 v9, s[0:1], s16, v7
	v_addc_co_u32_e64 v10, s[0:1], v3, v8, s[0:1]
	v_mov_b32_e32 v3, s15
	v_add_co_u32_e64 v7, s[0:1], s14, v7
	v_addc_co_u32_e64 v8, s[0:1], v3, v8, s[0:1]
	global_load_dword v3, v[7:8], off
	global_load_dword v5, v[9:10], off
	v_add_u32_e32 v6, 0x100, v6
.LBB161_7:
	s_or_b64 exec, exec, s[4:5]
	v_cmp_gt_i32_e64 s[0:1], s6, v6
	v_mov_b32_e32 v7, 0
	v_mov_b32_e32 v8, 0
	;; [unrolled: 1-line block ×3, first 2 shown]
	s_and_saveexec_b64 s[4:5], s[0:1]
	s_cbranch_execz .LBB161_9
; %bb.8:
	v_add_u32_e32 v8, s2, v6
	v_mov_b32_e32 v9, 0
	v_lshlrev_b64 v[8:9], 2, v[8:9]
	v_mov_b32_e32 v11, s17
	v_add_co_u32_e64 v10, s[0:1], s16, v8
	v_addc_co_u32_e64 v11, s[0:1], v11, v9, s[0:1]
	v_mov_b32_e32 v13, s15
	v_add_co_u32_e64 v12, s[0:1], s14, v8
	v_addc_co_u32_e64 v13, s[0:1], v13, v9, s[0:1]
	global_load_dword v8, v[12:13], off
	global_load_dword v9, v[10:11], off
	v_add_u32_e32 v6, 0x100, v6
.LBB161_9:
	s_or_b64 exec, exec, s[4:5]
	v_cmp_gt_i32_e64 s[0:1], s6, v6
	v_mov_b32_e32 v11, 0
	s_and_saveexec_b64 s[4:5], s[0:1]
	s_cbranch_execz .LBB161_11
; %bb.10:
	v_add_u32_e32 v6, s2, v6
	v_mov_b32_e32 v7, 0
	v_lshlrev_b64 v[6:7], 2, v[6:7]
	v_mov_b32_e32 v10, s17
	v_add_co_u32_e64 v12, s[0:1], s16, v6
	v_addc_co_u32_e64 v13, s[0:1], v10, v7, s[0:1]
	v_mov_b32_e32 v10, s15
	v_add_co_u32_e64 v14, s[0:1], s14, v6
	v_addc_co_u32_e64 v15, s[0:1], v10, v7, s[0:1]
	global_load_dword v7, v[14:15], off
	global_load_dword v11, v[12:13], off
.LBB161_11:
	s_or_b64 exec, exec, s[4:5]
	v_mov_b32_e32 v12, s10
	s_waitcnt vmcnt(1)
	v_cmp_nge_f32_e64 s[0:1], s9, v2
	s_waitcnt vmcnt(0)
	v_cndmask_b32_e64 v2, v12, v4, s[0:1]
	v_or_b32_e32 v6, 0x100, v0
	v_cmp_nge_f32_e64 s[0:1], s9, v3
	v_cndmask_b32_e32 v10, 0, v2, vcc
	v_cndmask_b32_e64 v2, v12, v5, s[0:1]
	v_cmp_gt_i32_e64 s[0:1], s6, v6
	v_cndmask_b32_e64 v5, 0, v2, s[0:1]
	v_or_b32_e32 v2, 0x200, v0
	v_cmp_nge_f32_e64 s[0:1], s9, v8
	v_cndmask_b32_e64 v3, v12, v9, s[0:1]
	v_cmp_gt_i32_e64 s[0:1], s6, v2
	v_cndmask_b32_e64 v4, 0, v3, s[0:1]
	v_or_b32_e32 v2, 0x300, v0
	v_cmp_nge_f32_e64 s[0:1], s9, v7
	v_cndmask_b32_e64 v3, v12, v11, s[0:1]
	v_cmp_gt_i32_e64 s[0:1], s6, v2
	v_cndmask_b32_e64 v3, 0, v3, s[0:1]
	s_and_saveexec_b64 s[0:1], vcc
	s_cbranch_execnz .LBB161_17
; %bb.12:
	s_or_b64 exec, exec, s[0:1]
	v_cmp_gt_i32_e32 vcc, s6, v0
	s_and_saveexec_b64 s[0:1], vcc
	s_cbranch_execnz .LBB161_18
.LBB161_13:
	s_or_b64 exec, exec, s[0:1]
	v_cmp_gt_i32_e32 vcc, s6, v0
	s_and_saveexec_b64 s[0:1], vcc
	s_cbranch_execnz .LBB161_19
.LBB161_14:
	s_or_b64 exec, exec, s[0:1]
	v_cmp_gt_i32_e32 vcc, s6, v0
	s_and_saveexec_b64 s[0:1], vcc
	s_cbranch_execz .LBB161_16
.LBB161_15:
	v_add_u32_e32 v0, s2, v0
	v_mov_b32_e32 v1, 0
	v_lshlrev_b64 v[0:1], 2, v[0:1]
	v_mov_b32_e32 v2, s13
	v_add_co_u32_e32 v0, vcc, s12, v0
	v_addc_co_u32_e32 v1, vcc, v2, v1, vcc
	global_store_dword v[0:1], v3, off
.LBB161_16:
	s_endpgm
.LBB161_17:
	v_mov_b32_e32 v2, 0
	v_lshlrev_b64 v[0:1], 2, v[1:2]
	v_mov_b32_e32 v2, s13
	v_add_co_u32_e32 v0, vcc, s12, v0
	v_addc_co_u32_e32 v1, vcc, v2, v1, vcc
	global_store_dword v[0:1], v10, off
	v_mov_b32_e32 v0, v6
	s_or_b64 exec, exec, s[0:1]
	v_cmp_gt_i32_e32 vcc, s6, v0
	s_and_saveexec_b64 s[0:1], vcc
	s_cbranch_execz .LBB161_13
.LBB161_18:
	v_add_u32_e32 v1, s2, v0
	v_mov_b32_e32 v2, 0
	v_lshlrev_b64 v[1:2], 2, v[1:2]
	v_mov_b32_e32 v6, s13
	v_add_co_u32_e32 v1, vcc, s12, v1
	v_addc_co_u32_e32 v2, vcc, v6, v2, vcc
	v_add_u32_e32 v0, 0x100, v0
	global_store_dword v[1:2], v5, off
	s_or_b64 exec, exec, s[0:1]
	v_cmp_gt_i32_e32 vcc, s6, v0
	s_and_saveexec_b64 s[0:1], vcc
	s_cbranch_execz .LBB161_14
.LBB161_19:
	v_add_u32_e32 v1, s2, v0
	v_mov_b32_e32 v2, 0
	v_lshlrev_b64 v[1:2], 2, v[1:2]
	v_mov_b32_e32 v5, s13
	v_add_co_u32_e32 v1, vcc, s12, v1
	v_addc_co_u32_e32 v2, vcc, v5, v2, vcc
	v_add_u32_e32 v0, 0x100, v0
	global_store_dword v[1:2], v4, off
	s_or_b64 exec, exec, s[0:1]
	v_cmp_gt_i32_e32 vcc, s6, v0
	s_and_saveexec_b64 s[0:1], vcc
	s_cbranch_execnz .LBB161_15
	s_branch .LBB161_16
	.section	.rodata,"a",@progbits
	.p2align	6, 0x0
	.amdhsa_kernel _ZN2at6native29vectorized_elementwise_kernelILi8ENS0_13BinaryFunctorIfffZNS0_12_GLOBAL__N_121threshold_kernel_implIfEEvRNS_18TensorIteratorBaseET_S7_EUlffE_EESt5arrayIPcLm3EEEEviT0_T1_
		.amdhsa_group_segment_fixed_size 0
		.amdhsa_private_segment_fixed_size 0
		.amdhsa_kernarg_size 40
		.amdhsa_user_sgpr_count 6
		.amdhsa_user_sgpr_private_segment_buffer 1
		.amdhsa_user_sgpr_dispatch_ptr 0
		.amdhsa_user_sgpr_queue_ptr 0
		.amdhsa_user_sgpr_kernarg_segment_ptr 1
		.amdhsa_user_sgpr_dispatch_id 0
		.amdhsa_user_sgpr_flat_scratch_init 0
		.amdhsa_user_sgpr_private_segment_size 0
		.amdhsa_uses_dynamic_stack 0
		.amdhsa_system_sgpr_private_segment_wavefront_offset 0
		.amdhsa_system_sgpr_workgroup_id_x 1
		.amdhsa_system_sgpr_workgroup_id_y 0
		.amdhsa_system_sgpr_workgroup_id_z 0
		.amdhsa_system_sgpr_workgroup_info 0
		.amdhsa_system_vgpr_workitem_id 0
		.amdhsa_next_free_vgpr 16
		.amdhsa_next_free_sgpr 20
		.amdhsa_reserve_vcc 1
		.amdhsa_reserve_flat_scratch 0
		.amdhsa_float_round_mode_32 0
		.amdhsa_float_round_mode_16_64 0
		.amdhsa_float_denorm_mode_32 3
		.amdhsa_float_denorm_mode_16_64 3
		.amdhsa_dx10_clamp 1
		.amdhsa_ieee_mode 1
		.amdhsa_fp16_overflow 0
		.amdhsa_exception_fp_ieee_invalid_op 0
		.amdhsa_exception_fp_denorm_src 0
		.amdhsa_exception_fp_ieee_div_zero 0
		.amdhsa_exception_fp_ieee_overflow 0
		.amdhsa_exception_fp_ieee_underflow 0
		.amdhsa_exception_fp_ieee_inexact 0
		.amdhsa_exception_int_div_zero 0
	.end_amdhsa_kernel
	.section	.text._ZN2at6native29vectorized_elementwise_kernelILi8ENS0_13BinaryFunctorIfffZNS0_12_GLOBAL__N_121threshold_kernel_implIfEEvRNS_18TensorIteratorBaseET_S7_EUlffE_EESt5arrayIPcLm3EEEEviT0_T1_,"axG",@progbits,_ZN2at6native29vectorized_elementwise_kernelILi8ENS0_13BinaryFunctorIfffZNS0_12_GLOBAL__N_121threshold_kernel_implIfEEvRNS_18TensorIteratorBaseET_S7_EUlffE_EESt5arrayIPcLm3EEEEviT0_T1_,comdat
.Lfunc_end161:
	.size	_ZN2at6native29vectorized_elementwise_kernelILi8ENS0_13BinaryFunctorIfffZNS0_12_GLOBAL__N_121threshold_kernel_implIfEEvRNS_18TensorIteratorBaseET_S7_EUlffE_EESt5arrayIPcLm3EEEEviT0_T1_, .Lfunc_end161-_ZN2at6native29vectorized_elementwise_kernelILi8ENS0_13BinaryFunctorIfffZNS0_12_GLOBAL__N_121threshold_kernel_implIfEEvRNS_18TensorIteratorBaseET_S7_EUlffE_EESt5arrayIPcLm3EEEEviT0_T1_
                                        ; -- End function
	.set _ZN2at6native29vectorized_elementwise_kernelILi8ENS0_13BinaryFunctorIfffZNS0_12_GLOBAL__N_121threshold_kernel_implIfEEvRNS_18TensorIteratorBaseET_S7_EUlffE_EESt5arrayIPcLm3EEEEviT0_T1_.num_vgpr, 16
	.set _ZN2at6native29vectorized_elementwise_kernelILi8ENS0_13BinaryFunctorIfffZNS0_12_GLOBAL__N_121threshold_kernel_implIfEEvRNS_18TensorIteratorBaseET_S7_EUlffE_EESt5arrayIPcLm3EEEEviT0_T1_.num_agpr, 0
	.set _ZN2at6native29vectorized_elementwise_kernelILi8ENS0_13BinaryFunctorIfffZNS0_12_GLOBAL__N_121threshold_kernel_implIfEEvRNS_18TensorIteratorBaseET_S7_EUlffE_EESt5arrayIPcLm3EEEEviT0_T1_.numbered_sgpr, 20
	.set _ZN2at6native29vectorized_elementwise_kernelILi8ENS0_13BinaryFunctorIfffZNS0_12_GLOBAL__N_121threshold_kernel_implIfEEvRNS_18TensorIteratorBaseET_S7_EUlffE_EESt5arrayIPcLm3EEEEviT0_T1_.num_named_barrier, 0
	.set _ZN2at6native29vectorized_elementwise_kernelILi8ENS0_13BinaryFunctorIfffZNS0_12_GLOBAL__N_121threshold_kernel_implIfEEvRNS_18TensorIteratorBaseET_S7_EUlffE_EESt5arrayIPcLm3EEEEviT0_T1_.private_seg_size, 0
	.set _ZN2at6native29vectorized_elementwise_kernelILi8ENS0_13BinaryFunctorIfffZNS0_12_GLOBAL__N_121threshold_kernel_implIfEEvRNS_18TensorIteratorBaseET_S7_EUlffE_EESt5arrayIPcLm3EEEEviT0_T1_.uses_vcc, 1
	.set _ZN2at6native29vectorized_elementwise_kernelILi8ENS0_13BinaryFunctorIfffZNS0_12_GLOBAL__N_121threshold_kernel_implIfEEvRNS_18TensorIteratorBaseET_S7_EUlffE_EESt5arrayIPcLm3EEEEviT0_T1_.uses_flat_scratch, 0
	.set _ZN2at6native29vectorized_elementwise_kernelILi8ENS0_13BinaryFunctorIfffZNS0_12_GLOBAL__N_121threshold_kernel_implIfEEvRNS_18TensorIteratorBaseET_S7_EUlffE_EESt5arrayIPcLm3EEEEviT0_T1_.has_dyn_sized_stack, 0
	.set _ZN2at6native29vectorized_elementwise_kernelILi8ENS0_13BinaryFunctorIfffZNS0_12_GLOBAL__N_121threshold_kernel_implIfEEvRNS_18TensorIteratorBaseET_S7_EUlffE_EESt5arrayIPcLm3EEEEviT0_T1_.has_recursion, 0
	.set _ZN2at6native29vectorized_elementwise_kernelILi8ENS0_13BinaryFunctorIfffZNS0_12_GLOBAL__N_121threshold_kernel_implIfEEvRNS_18TensorIteratorBaseET_S7_EUlffE_EESt5arrayIPcLm3EEEEviT0_T1_.has_indirect_call, 0
	.section	.AMDGPU.csdata,"",@progbits
; Kernel info:
; codeLenInByte = 1004
; TotalNumSgprs: 24
; NumVgprs: 16
; ScratchSize: 0
; MemoryBound: 0
; FloatMode: 240
; IeeeMode: 1
; LDSByteSize: 0 bytes/workgroup (compile time only)
; SGPRBlocks: 2
; VGPRBlocks: 3
; NumSGPRsForWavesPerEU: 24
; NumVGPRsForWavesPerEU: 16
; Occupancy: 10
; WaveLimiterHint : 0
; COMPUTE_PGM_RSRC2:SCRATCH_EN: 0
; COMPUTE_PGM_RSRC2:USER_SGPR: 6
; COMPUTE_PGM_RSRC2:TRAP_HANDLER: 0
; COMPUTE_PGM_RSRC2:TGID_X_EN: 1
; COMPUTE_PGM_RSRC2:TGID_Y_EN: 0
; COMPUTE_PGM_RSRC2:TGID_Z_EN: 0
; COMPUTE_PGM_RSRC2:TIDIG_COMP_CNT: 0
	.section	.text._ZN2at6native29vectorized_elementwise_kernelILi4ENS0_13BinaryFunctorIfffZNS0_12_GLOBAL__N_121threshold_kernel_implIfEEvRNS_18TensorIteratorBaseET_S7_EUlffE_EESt5arrayIPcLm3EEEEviT0_T1_,"axG",@progbits,_ZN2at6native29vectorized_elementwise_kernelILi4ENS0_13BinaryFunctorIfffZNS0_12_GLOBAL__N_121threshold_kernel_implIfEEvRNS_18TensorIteratorBaseET_S7_EUlffE_EESt5arrayIPcLm3EEEEviT0_T1_,comdat
	.globl	_ZN2at6native29vectorized_elementwise_kernelILi4ENS0_13BinaryFunctorIfffZNS0_12_GLOBAL__N_121threshold_kernel_implIfEEvRNS_18TensorIteratorBaseET_S7_EUlffE_EESt5arrayIPcLm3EEEEviT0_T1_ ; -- Begin function _ZN2at6native29vectorized_elementwise_kernelILi4ENS0_13BinaryFunctorIfffZNS0_12_GLOBAL__N_121threshold_kernel_implIfEEvRNS_18TensorIteratorBaseET_S7_EUlffE_EESt5arrayIPcLm3EEEEviT0_T1_
	.p2align	8
	.type	_ZN2at6native29vectorized_elementwise_kernelILi4ENS0_13BinaryFunctorIfffZNS0_12_GLOBAL__N_121threshold_kernel_implIfEEvRNS_18TensorIteratorBaseET_S7_EUlffE_EESt5arrayIPcLm3EEEEviT0_T1_,@function
_ZN2at6native29vectorized_elementwise_kernelILi4ENS0_13BinaryFunctorIfffZNS0_12_GLOBAL__N_121threshold_kernel_implIfEEvRNS_18TensorIteratorBaseET_S7_EUlffE_EESt5arrayIPcLm3EEEEviT0_T1_: ; @_ZN2at6native29vectorized_elementwise_kernelILi4ENS0_13BinaryFunctorIfffZNS0_12_GLOBAL__N_121threshold_kernel_implIfEEvRNS_18TensorIteratorBaseET_S7_EUlffE_EESt5arrayIPcLm3EEEEviT0_T1_
; %bb.0:
	s_load_dwordx8 s[8:15], s[4:5], 0x0
	s_load_dwordx2 s[16:17], s[4:5], 0x20
	s_lshl_b32 s2, s6, 10
	s_mov_b64 s[0:1], -1
	s_waitcnt lgkmcnt(0)
	s_sub_i32 s6, s8, s2
	s_cmpk_gt_i32 s6, 0x3ff
	s_cbranch_scc0 .LBB162_2
; %bb.1:
	s_ashr_i32 s3, s2, 31
	s_lshl_b64 s[0:1], s[2:3], 2
	s_add_u32 s4, s14, s0
	s_addc_u32 s5, s15, s1
	v_lshlrev_b32_e32 v9, 4, v0
	s_add_u32 s18, s16, s0
	s_addc_u32 s19, s17, s1
	global_load_dwordx4 v[1:4], v9, s[4:5]
	global_load_dwordx4 v[5:8], v9, s[18:19]
	v_mov_b32_e32 v10, s10
	s_add_u32 s0, s12, s0
	s_addc_u32 s1, s13, s1
	s_waitcnt vmcnt(1)
	v_cmp_nge_f32_e32 vcc, s9, v1
	s_waitcnt vmcnt(0)
	v_cndmask_b32_e32 v1, v10, v5, vcc
	v_cmp_nge_f32_e32 vcc, s9, v2
	v_cndmask_b32_e32 v2, v10, v6, vcc
	v_cmp_nge_f32_e32 vcc, s9, v3
	;; [unrolled: 2-line block ×3, first 2 shown]
	v_cndmask_b32_e32 v4, v10, v8, vcc
	global_store_dwordx4 v9, v[1:4], s[0:1]
	s_mov_b64 s[0:1], 0
.LBB162_2:
	s_andn2_b64 vcc, exec, s[0:1]
	s_cbranch_vccnz .LBB162_16
; %bb.3:
	v_cmp_gt_i32_e32 vcc, s6, v0
	v_mov_b32_e32 v3, 0
	v_or_b32_e32 v1, s2, v0
	v_mov_b32_e32 v2, 0
	v_mov_b32_e32 v4, 0
	;; [unrolled: 1-line block ×3, first 2 shown]
	s_and_saveexec_b64 s[4:5], vcc
	s_cbranch_execz .LBB162_5
; %bb.4:
	v_mov_b32_e32 v2, 0
	v_lshlrev_b64 v[4:5], 2, v[1:2]
	v_mov_b32_e32 v2, s17
	v_add_co_u32_e64 v6, s[0:1], s16, v4
	v_addc_co_u32_e64 v7, s[0:1], v2, v5, s[0:1]
	v_mov_b32_e32 v2, s15
	v_add_co_u32_e64 v8, s[0:1], s14, v4
	v_addc_co_u32_e64 v9, s[0:1], v2, v5, s[0:1]
	global_load_dword v2, v[8:9], off
	global_load_dword v4, v[6:7], off
	v_or_b32_e32 v6, 0x100, v0
.LBB162_5:
	s_or_b64 exec, exec, s[4:5]
	v_cmp_gt_i32_e64 s[0:1], s6, v6
	v_mov_b32_e32 v5, 0
	s_and_saveexec_b64 s[4:5], s[0:1]
	s_cbranch_execz .LBB162_7
; %bb.6:
	v_add_u32_e32 v7, s2, v6
	v_mov_b32_e32 v8, 0
	v_lshlrev_b64 v[7:8], 2, v[7:8]
	v_mov_b32_e32 v3, s17
	v_add_co_u32_e64 v9, s[0:1], s16, v7
	v_addc_co_u32_e64 v10, s[0:1], v3, v8, s[0:1]
	v_mov_b32_e32 v3, s15
	v_add_co_u32_e64 v7, s[0:1], s14, v7
	v_addc_co_u32_e64 v8, s[0:1], v3, v8, s[0:1]
	global_load_dword v3, v[7:8], off
	global_load_dword v5, v[9:10], off
	v_add_u32_e32 v6, 0x100, v6
.LBB162_7:
	s_or_b64 exec, exec, s[4:5]
	v_cmp_gt_i32_e64 s[0:1], s6, v6
	v_mov_b32_e32 v7, 0
	v_mov_b32_e32 v8, 0
	;; [unrolled: 1-line block ×3, first 2 shown]
	s_and_saveexec_b64 s[4:5], s[0:1]
	s_cbranch_execz .LBB162_9
; %bb.8:
	v_add_u32_e32 v8, s2, v6
	v_mov_b32_e32 v9, 0
	v_lshlrev_b64 v[8:9], 2, v[8:9]
	v_mov_b32_e32 v11, s17
	v_add_co_u32_e64 v10, s[0:1], s16, v8
	v_addc_co_u32_e64 v11, s[0:1], v11, v9, s[0:1]
	v_mov_b32_e32 v13, s15
	v_add_co_u32_e64 v12, s[0:1], s14, v8
	v_addc_co_u32_e64 v13, s[0:1], v13, v9, s[0:1]
	global_load_dword v8, v[12:13], off
	global_load_dword v9, v[10:11], off
	v_add_u32_e32 v6, 0x100, v6
.LBB162_9:
	s_or_b64 exec, exec, s[4:5]
	v_cmp_gt_i32_e64 s[0:1], s6, v6
	v_mov_b32_e32 v11, 0
	s_and_saveexec_b64 s[4:5], s[0:1]
	s_cbranch_execz .LBB162_11
; %bb.10:
	v_add_u32_e32 v6, s2, v6
	v_mov_b32_e32 v7, 0
	v_lshlrev_b64 v[6:7], 2, v[6:7]
	v_mov_b32_e32 v10, s17
	v_add_co_u32_e64 v12, s[0:1], s16, v6
	v_addc_co_u32_e64 v13, s[0:1], v10, v7, s[0:1]
	v_mov_b32_e32 v10, s15
	v_add_co_u32_e64 v14, s[0:1], s14, v6
	v_addc_co_u32_e64 v15, s[0:1], v10, v7, s[0:1]
	global_load_dword v7, v[14:15], off
	global_load_dword v11, v[12:13], off
.LBB162_11:
	s_or_b64 exec, exec, s[4:5]
	v_mov_b32_e32 v12, s10
	s_waitcnt vmcnt(1)
	v_cmp_nge_f32_e64 s[0:1], s9, v2
	s_waitcnt vmcnt(0)
	v_cndmask_b32_e64 v2, v12, v4, s[0:1]
	v_or_b32_e32 v6, 0x100, v0
	v_cmp_nge_f32_e64 s[0:1], s9, v3
	v_cndmask_b32_e32 v10, 0, v2, vcc
	v_cndmask_b32_e64 v2, v12, v5, s[0:1]
	v_cmp_gt_i32_e64 s[0:1], s6, v6
	v_cndmask_b32_e64 v5, 0, v2, s[0:1]
	v_or_b32_e32 v2, 0x200, v0
	v_cmp_nge_f32_e64 s[0:1], s9, v8
	v_cndmask_b32_e64 v3, v12, v9, s[0:1]
	v_cmp_gt_i32_e64 s[0:1], s6, v2
	v_cndmask_b32_e64 v4, 0, v3, s[0:1]
	v_or_b32_e32 v2, 0x300, v0
	v_cmp_nge_f32_e64 s[0:1], s9, v7
	v_cndmask_b32_e64 v3, v12, v11, s[0:1]
	v_cmp_gt_i32_e64 s[0:1], s6, v2
	v_cndmask_b32_e64 v3, 0, v3, s[0:1]
	s_and_saveexec_b64 s[0:1], vcc
	s_cbranch_execnz .LBB162_17
; %bb.12:
	s_or_b64 exec, exec, s[0:1]
	v_cmp_gt_i32_e32 vcc, s6, v0
	s_and_saveexec_b64 s[0:1], vcc
	s_cbranch_execnz .LBB162_18
.LBB162_13:
	s_or_b64 exec, exec, s[0:1]
	v_cmp_gt_i32_e32 vcc, s6, v0
	s_and_saveexec_b64 s[0:1], vcc
	s_cbranch_execnz .LBB162_19
.LBB162_14:
	s_or_b64 exec, exec, s[0:1]
	v_cmp_gt_i32_e32 vcc, s6, v0
	s_and_saveexec_b64 s[0:1], vcc
	s_cbranch_execz .LBB162_16
.LBB162_15:
	v_add_u32_e32 v0, s2, v0
	v_mov_b32_e32 v1, 0
	v_lshlrev_b64 v[0:1], 2, v[0:1]
	v_mov_b32_e32 v2, s13
	v_add_co_u32_e32 v0, vcc, s12, v0
	v_addc_co_u32_e32 v1, vcc, v2, v1, vcc
	global_store_dword v[0:1], v3, off
.LBB162_16:
	s_endpgm
.LBB162_17:
	v_mov_b32_e32 v2, 0
	v_lshlrev_b64 v[0:1], 2, v[1:2]
	v_mov_b32_e32 v2, s13
	v_add_co_u32_e32 v0, vcc, s12, v0
	v_addc_co_u32_e32 v1, vcc, v2, v1, vcc
	global_store_dword v[0:1], v10, off
	v_mov_b32_e32 v0, v6
	s_or_b64 exec, exec, s[0:1]
	v_cmp_gt_i32_e32 vcc, s6, v0
	s_and_saveexec_b64 s[0:1], vcc
	s_cbranch_execz .LBB162_13
.LBB162_18:
	v_add_u32_e32 v1, s2, v0
	v_mov_b32_e32 v2, 0
	v_lshlrev_b64 v[1:2], 2, v[1:2]
	v_mov_b32_e32 v6, s13
	v_add_co_u32_e32 v1, vcc, s12, v1
	v_addc_co_u32_e32 v2, vcc, v6, v2, vcc
	v_add_u32_e32 v0, 0x100, v0
	global_store_dword v[1:2], v5, off
	s_or_b64 exec, exec, s[0:1]
	v_cmp_gt_i32_e32 vcc, s6, v0
	s_and_saveexec_b64 s[0:1], vcc
	s_cbranch_execz .LBB162_14
.LBB162_19:
	v_add_u32_e32 v1, s2, v0
	v_mov_b32_e32 v2, 0
	v_lshlrev_b64 v[1:2], 2, v[1:2]
	v_mov_b32_e32 v5, s13
	v_add_co_u32_e32 v1, vcc, s12, v1
	v_addc_co_u32_e32 v2, vcc, v5, v2, vcc
	v_add_u32_e32 v0, 0x100, v0
	global_store_dword v[1:2], v4, off
	s_or_b64 exec, exec, s[0:1]
	v_cmp_gt_i32_e32 vcc, s6, v0
	s_and_saveexec_b64 s[0:1], vcc
	s_cbranch_execnz .LBB162_15
	s_branch .LBB162_16
	.section	.rodata,"a",@progbits
	.p2align	6, 0x0
	.amdhsa_kernel _ZN2at6native29vectorized_elementwise_kernelILi4ENS0_13BinaryFunctorIfffZNS0_12_GLOBAL__N_121threshold_kernel_implIfEEvRNS_18TensorIteratorBaseET_S7_EUlffE_EESt5arrayIPcLm3EEEEviT0_T1_
		.amdhsa_group_segment_fixed_size 0
		.amdhsa_private_segment_fixed_size 0
		.amdhsa_kernarg_size 40
		.amdhsa_user_sgpr_count 6
		.amdhsa_user_sgpr_private_segment_buffer 1
		.amdhsa_user_sgpr_dispatch_ptr 0
		.amdhsa_user_sgpr_queue_ptr 0
		.amdhsa_user_sgpr_kernarg_segment_ptr 1
		.amdhsa_user_sgpr_dispatch_id 0
		.amdhsa_user_sgpr_flat_scratch_init 0
		.amdhsa_user_sgpr_private_segment_size 0
		.amdhsa_uses_dynamic_stack 0
		.amdhsa_system_sgpr_private_segment_wavefront_offset 0
		.amdhsa_system_sgpr_workgroup_id_x 1
		.amdhsa_system_sgpr_workgroup_id_y 0
		.amdhsa_system_sgpr_workgroup_id_z 0
		.amdhsa_system_sgpr_workgroup_info 0
		.amdhsa_system_vgpr_workitem_id 0
		.amdhsa_next_free_vgpr 16
		.amdhsa_next_free_sgpr 20
		.amdhsa_reserve_vcc 1
		.amdhsa_reserve_flat_scratch 0
		.amdhsa_float_round_mode_32 0
		.amdhsa_float_round_mode_16_64 0
		.amdhsa_float_denorm_mode_32 3
		.amdhsa_float_denorm_mode_16_64 3
		.amdhsa_dx10_clamp 1
		.amdhsa_ieee_mode 1
		.amdhsa_fp16_overflow 0
		.amdhsa_exception_fp_ieee_invalid_op 0
		.amdhsa_exception_fp_denorm_src 0
		.amdhsa_exception_fp_ieee_div_zero 0
		.amdhsa_exception_fp_ieee_overflow 0
		.amdhsa_exception_fp_ieee_underflow 0
		.amdhsa_exception_fp_ieee_inexact 0
		.amdhsa_exception_int_div_zero 0
	.end_amdhsa_kernel
	.section	.text._ZN2at6native29vectorized_elementwise_kernelILi4ENS0_13BinaryFunctorIfffZNS0_12_GLOBAL__N_121threshold_kernel_implIfEEvRNS_18TensorIteratorBaseET_S7_EUlffE_EESt5arrayIPcLm3EEEEviT0_T1_,"axG",@progbits,_ZN2at6native29vectorized_elementwise_kernelILi4ENS0_13BinaryFunctorIfffZNS0_12_GLOBAL__N_121threshold_kernel_implIfEEvRNS_18TensorIteratorBaseET_S7_EUlffE_EESt5arrayIPcLm3EEEEviT0_T1_,comdat
.Lfunc_end162:
	.size	_ZN2at6native29vectorized_elementwise_kernelILi4ENS0_13BinaryFunctorIfffZNS0_12_GLOBAL__N_121threshold_kernel_implIfEEvRNS_18TensorIteratorBaseET_S7_EUlffE_EESt5arrayIPcLm3EEEEviT0_T1_, .Lfunc_end162-_ZN2at6native29vectorized_elementwise_kernelILi4ENS0_13BinaryFunctorIfffZNS0_12_GLOBAL__N_121threshold_kernel_implIfEEvRNS_18TensorIteratorBaseET_S7_EUlffE_EESt5arrayIPcLm3EEEEviT0_T1_
                                        ; -- End function
	.set _ZN2at6native29vectorized_elementwise_kernelILi4ENS0_13BinaryFunctorIfffZNS0_12_GLOBAL__N_121threshold_kernel_implIfEEvRNS_18TensorIteratorBaseET_S7_EUlffE_EESt5arrayIPcLm3EEEEviT0_T1_.num_vgpr, 16
	.set _ZN2at6native29vectorized_elementwise_kernelILi4ENS0_13BinaryFunctorIfffZNS0_12_GLOBAL__N_121threshold_kernel_implIfEEvRNS_18TensorIteratorBaseET_S7_EUlffE_EESt5arrayIPcLm3EEEEviT0_T1_.num_agpr, 0
	.set _ZN2at6native29vectorized_elementwise_kernelILi4ENS0_13BinaryFunctorIfffZNS0_12_GLOBAL__N_121threshold_kernel_implIfEEvRNS_18TensorIteratorBaseET_S7_EUlffE_EESt5arrayIPcLm3EEEEviT0_T1_.numbered_sgpr, 20
	.set _ZN2at6native29vectorized_elementwise_kernelILi4ENS0_13BinaryFunctorIfffZNS0_12_GLOBAL__N_121threshold_kernel_implIfEEvRNS_18TensorIteratorBaseET_S7_EUlffE_EESt5arrayIPcLm3EEEEviT0_T1_.num_named_barrier, 0
	.set _ZN2at6native29vectorized_elementwise_kernelILi4ENS0_13BinaryFunctorIfffZNS0_12_GLOBAL__N_121threshold_kernel_implIfEEvRNS_18TensorIteratorBaseET_S7_EUlffE_EESt5arrayIPcLm3EEEEviT0_T1_.private_seg_size, 0
	.set _ZN2at6native29vectorized_elementwise_kernelILi4ENS0_13BinaryFunctorIfffZNS0_12_GLOBAL__N_121threshold_kernel_implIfEEvRNS_18TensorIteratorBaseET_S7_EUlffE_EESt5arrayIPcLm3EEEEviT0_T1_.uses_vcc, 1
	.set _ZN2at6native29vectorized_elementwise_kernelILi4ENS0_13BinaryFunctorIfffZNS0_12_GLOBAL__N_121threshold_kernel_implIfEEvRNS_18TensorIteratorBaseET_S7_EUlffE_EESt5arrayIPcLm3EEEEviT0_T1_.uses_flat_scratch, 0
	.set _ZN2at6native29vectorized_elementwise_kernelILi4ENS0_13BinaryFunctorIfffZNS0_12_GLOBAL__N_121threshold_kernel_implIfEEvRNS_18TensorIteratorBaseET_S7_EUlffE_EESt5arrayIPcLm3EEEEviT0_T1_.has_dyn_sized_stack, 0
	.set _ZN2at6native29vectorized_elementwise_kernelILi4ENS0_13BinaryFunctorIfffZNS0_12_GLOBAL__N_121threshold_kernel_implIfEEvRNS_18TensorIteratorBaseET_S7_EUlffE_EESt5arrayIPcLm3EEEEviT0_T1_.has_recursion, 0
	.set _ZN2at6native29vectorized_elementwise_kernelILi4ENS0_13BinaryFunctorIfffZNS0_12_GLOBAL__N_121threshold_kernel_implIfEEvRNS_18TensorIteratorBaseET_S7_EUlffE_EESt5arrayIPcLm3EEEEviT0_T1_.has_indirect_call, 0
	.section	.AMDGPU.csdata,"",@progbits
; Kernel info:
; codeLenInByte = 1004
; TotalNumSgprs: 24
; NumVgprs: 16
; ScratchSize: 0
; MemoryBound: 0
; FloatMode: 240
; IeeeMode: 1
; LDSByteSize: 0 bytes/workgroup (compile time only)
; SGPRBlocks: 2
; VGPRBlocks: 3
; NumSGPRsForWavesPerEU: 24
; NumVGPRsForWavesPerEU: 16
; Occupancy: 10
; WaveLimiterHint : 0
; COMPUTE_PGM_RSRC2:SCRATCH_EN: 0
; COMPUTE_PGM_RSRC2:USER_SGPR: 6
; COMPUTE_PGM_RSRC2:TRAP_HANDLER: 0
; COMPUTE_PGM_RSRC2:TGID_X_EN: 1
; COMPUTE_PGM_RSRC2:TGID_Y_EN: 0
; COMPUTE_PGM_RSRC2:TGID_Z_EN: 0
; COMPUTE_PGM_RSRC2:TIDIG_COMP_CNT: 0
	.section	.text._ZN2at6native29vectorized_elementwise_kernelILi2ENS0_13BinaryFunctorIfffZNS0_12_GLOBAL__N_121threshold_kernel_implIfEEvRNS_18TensorIteratorBaseET_S7_EUlffE_EESt5arrayIPcLm3EEEEviT0_T1_,"axG",@progbits,_ZN2at6native29vectorized_elementwise_kernelILi2ENS0_13BinaryFunctorIfffZNS0_12_GLOBAL__N_121threshold_kernel_implIfEEvRNS_18TensorIteratorBaseET_S7_EUlffE_EESt5arrayIPcLm3EEEEviT0_T1_,comdat
	.globl	_ZN2at6native29vectorized_elementwise_kernelILi2ENS0_13BinaryFunctorIfffZNS0_12_GLOBAL__N_121threshold_kernel_implIfEEvRNS_18TensorIteratorBaseET_S7_EUlffE_EESt5arrayIPcLm3EEEEviT0_T1_ ; -- Begin function _ZN2at6native29vectorized_elementwise_kernelILi2ENS0_13BinaryFunctorIfffZNS0_12_GLOBAL__N_121threshold_kernel_implIfEEvRNS_18TensorIteratorBaseET_S7_EUlffE_EESt5arrayIPcLm3EEEEviT0_T1_
	.p2align	8
	.type	_ZN2at6native29vectorized_elementwise_kernelILi2ENS0_13BinaryFunctorIfffZNS0_12_GLOBAL__N_121threshold_kernel_implIfEEvRNS_18TensorIteratorBaseET_S7_EUlffE_EESt5arrayIPcLm3EEEEviT0_T1_,@function
_ZN2at6native29vectorized_elementwise_kernelILi2ENS0_13BinaryFunctorIfffZNS0_12_GLOBAL__N_121threshold_kernel_implIfEEvRNS_18TensorIteratorBaseET_S7_EUlffE_EESt5arrayIPcLm3EEEEviT0_T1_: ; @_ZN2at6native29vectorized_elementwise_kernelILi2ENS0_13BinaryFunctorIfffZNS0_12_GLOBAL__N_121threshold_kernel_implIfEEvRNS_18TensorIteratorBaseET_S7_EUlffE_EESt5arrayIPcLm3EEEEviT0_T1_
; %bb.0:
	s_load_dwordx8 s[8:15], s[4:5], 0x0
	s_load_dwordx2 s[16:17], s[4:5], 0x20
	s_lshl_b32 s2, s6, 10
	s_mov_b64 s[0:1], -1
	s_waitcnt lgkmcnt(0)
	s_sub_i32 s6, s8, s2
	s_cmpk_gt_i32 s6, 0x3ff
	s_cbranch_scc0 .LBB163_2
; %bb.1:
	s_ashr_i32 s3, s2, 31
	s_lshl_b64 s[0:1], s[2:3], 2
	s_add_u32 s4, s14, s0
	s_addc_u32 s5, s15, s1
	v_lshlrev_b32_e32 v9, 3, v0
	s_add_u32 s18, s16, s0
	s_addc_u32 s19, s17, s1
	global_load_dwordx2 v[1:2], v9, s[4:5]
	global_load_dwordx2 v[3:4], v9, s[18:19]
	global_load_dwordx2 v[5:6], v9, s[4:5] offset:2048
	global_load_dwordx2 v[7:8], v9, s[18:19] offset:2048
	v_mov_b32_e32 v10, s10
	s_add_u32 s0, s12, s0
	s_addc_u32 s1, s13, s1
	s_waitcnt vmcnt(3)
	v_cmp_nge_f32_e32 vcc, s9, v1
	s_waitcnt vmcnt(2)
	v_cndmask_b32_e32 v1, v10, v3, vcc
	v_cmp_nge_f32_e32 vcc, s9, v2
	v_cndmask_b32_e32 v2, v10, v4, vcc
	s_waitcnt vmcnt(1)
	v_cmp_nge_f32_e32 vcc, s9, v5
	s_waitcnt vmcnt(0)
	v_cndmask_b32_e32 v3, v10, v7, vcc
	v_cmp_nge_f32_e32 vcc, s9, v6
	v_cndmask_b32_e32 v4, v10, v8, vcc
	global_store_dwordx2 v9, v[1:2], s[0:1]
	global_store_dwordx2 v9, v[3:4], s[0:1] offset:2048
	s_mov_b64 s[0:1], 0
.LBB163_2:
	s_andn2_b64 vcc, exec, s[0:1]
	s_cbranch_vccnz .LBB163_16
; %bb.3:
	v_cmp_gt_i32_e32 vcc, s6, v0
	v_mov_b32_e32 v3, 0
	v_or_b32_e32 v1, s2, v0
	v_mov_b32_e32 v2, 0
	v_mov_b32_e32 v4, 0
	;; [unrolled: 1-line block ×3, first 2 shown]
	s_and_saveexec_b64 s[4:5], vcc
	s_cbranch_execz .LBB163_5
; %bb.4:
	v_mov_b32_e32 v2, 0
	v_lshlrev_b64 v[4:5], 2, v[1:2]
	v_mov_b32_e32 v2, s17
	v_add_co_u32_e64 v6, s[0:1], s16, v4
	v_addc_co_u32_e64 v7, s[0:1], v2, v5, s[0:1]
	v_mov_b32_e32 v2, s15
	v_add_co_u32_e64 v8, s[0:1], s14, v4
	v_addc_co_u32_e64 v9, s[0:1], v2, v5, s[0:1]
	global_load_dword v2, v[8:9], off
	global_load_dword v4, v[6:7], off
	v_or_b32_e32 v6, 0x100, v0
.LBB163_5:
	s_or_b64 exec, exec, s[4:5]
	v_cmp_gt_i32_e64 s[0:1], s6, v6
	v_mov_b32_e32 v5, 0
	s_and_saveexec_b64 s[4:5], s[0:1]
	s_cbranch_execz .LBB163_7
; %bb.6:
	v_add_u32_e32 v7, s2, v6
	v_mov_b32_e32 v8, 0
	v_lshlrev_b64 v[7:8], 2, v[7:8]
	v_mov_b32_e32 v3, s17
	v_add_co_u32_e64 v9, s[0:1], s16, v7
	v_addc_co_u32_e64 v10, s[0:1], v3, v8, s[0:1]
	v_mov_b32_e32 v3, s15
	v_add_co_u32_e64 v7, s[0:1], s14, v7
	v_addc_co_u32_e64 v8, s[0:1], v3, v8, s[0:1]
	global_load_dword v3, v[7:8], off
	global_load_dword v5, v[9:10], off
	v_add_u32_e32 v6, 0x100, v6
.LBB163_7:
	s_or_b64 exec, exec, s[4:5]
	v_cmp_gt_i32_e64 s[0:1], s6, v6
	v_mov_b32_e32 v7, 0
	v_mov_b32_e32 v8, 0
	;; [unrolled: 1-line block ×3, first 2 shown]
	s_and_saveexec_b64 s[4:5], s[0:1]
	s_cbranch_execz .LBB163_9
; %bb.8:
	v_add_u32_e32 v8, s2, v6
	v_mov_b32_e32 v9, 0
	v_lshlrev_b64 v[8:9], 2, v[8:9]
	v_mov_b32_e32 v11, s17
	v_add_co_u32_e64 v10, s[0:1], s16, v8
	v_addc_co_u32_e64 v11, s[0:1], v11, v9, s[0:1]
	v_mov_b32_e32 v13, s15
	v_add_co_u32_e64 v12, s[0:1], s14, v8
	v_addc_co_u32_e64 v13, s[0:1], v13, v9, s[0:1]
	global_load_dword v8, v[12:13], off
	global_load_dword v9, v[10:11], off
	v_add_u32_e32 v6, 0x100, v6
.LBB163_9:
	s_or_b64 exec, exec, s[4:5]
	v_cmp_gt_i32_e64 s[0:1], s6, v6
	v_mov_b32_e32 v11, 0
	s_and_saveexec_b64 s[4:5], s[0:1]
	s_cbranch_execz .LBB163_11
; %bb.10:
	v_add_u32_e32 v6, s2, v6
	v_mov_b32_e32 v7, 0
	v_lshlrev_b64 v[6:7], 2, v[6:7]
	v_mov_b32_e32 v10, s17
	v_add_co_u32_e64 v12, s[0:1], s16, v6
	v_addc_co_u32_e64 v13, s[0:1], v10, v7, s[0:1]
	v_mov_b32_e32 v10, s15
	v_add_co_u32_e64 v14, s[0:1], s14, v6
	v_addc_co_u32_e64 v15, s[0:1], v10, v7, s[0:1]
	global_load_dword v7, v[14:15], off
	global_load_dword v11, v[12:13], off
.LBB163_11:
	s_or_b64 exec, exec, s[4:5]
	v_mov_b32_e32 v12, s10
	s_waitcnt vmcnt(1)
	v_cmp_nge_f32_e64 s[0:1], s9, v2
	s_waitcnt vmcnt(0)
	v_cndmask_b32_e64 v2, v12, v4, s[0:1]
	v_or_b32_e32 v6, 0x100, v0
	v_cmp_nge_f32_e64 s[0:1], s9, v3
	v_cndmask_b32_e32 v10, 0, v2, vcc
	v_cndmask_b32_e64 v2, v12, v5, s[0:1]
	v_cmp_gt_i32_e64 s[0:1], s6, v6
	v_cndmask_b32_e64 v5, 0, v2, s[0:1]
	v_or_b32_e32 v2, 0x200, v0
	v_cmp_nge_f32_e64 s[0:1], s9, v8
	v_cndmask_b32_e64 v3, v12, v9, s[0:1]
	v_cmp_gt_i32_e64 s[0:1], s6, v2
	v_cndmask_b32_e64 v4, 0, v3, s[0:1]
	v_or_b32_e32 v2, 0x300, v0
	v_cmp_nge_f32_e64 s[0:1], s9, v7
	v_cndmask_b32_e64 v3, v12, v11, s[0:1]
	v_cmp_gt_i32_e64 s[0:1], s6, v2
	v_cndmask_b32_e64 v3, 0, v3, s[0:1]
	s_and_saveexec_b64 s[0:1], vcc
	s_cbranch_execnz .LBB163_17
; %bb.12:
	s_or_b64 exec, exec, s[0:1]
	v_cmp_gt_i32_e32 vcc, s6, v0
	s_and_saveexec_b64 s[0:1], vcc
	s_cbranch_execnz .LBB163_18
.LBB163_13:
	s_or_b64 exec, exec, s[0:1]
	v_cmp_gt_i32_e32 vcc, s6, v0
	s_and_saveexec_b64 s[0:1], vcc
	s_cbranch_execnz .LBB163_19
.LBB163_14:
	s_or_b64 exec, exec, s[0:1]
	v_cmp_gt_i32_e32 vcc, s6, v0
	s_and_saveexec_b64 s[0:1], vcc
	s_cbranch_execz .LBB163_16
.LBB163_15:
	v_add_u32_e32 v0, s2, v0
	v_mov_b32_e32 v1, 0
	v_lshlrev_b64 v[0:1], 2, v[0:1]
	v_mov_b32_e32 v2, s13
	v_add_co_u32_e32 v0, vcc, s12, v0
	v_addc_co_u32_e32 v1, vcc, v2, v1, vcc
	global_store_dword v[0:1], v3, off
.LBB163_16:
	s_endpgm
.LBB163_17:
	v_mov_b32_e32 v2, 0
	v_lshlrev_b64 v[0:1], 2, v[1:2]
	v_mov_b32_e32 v2, s13
	v_add_co_u32_e32 v0, vcc, s12, v0
	v_addc_co_u32_e32 v1, vcc, v2, v1, vcc
	global_store_dword v[0:1], v10, off
	v_mov_b32_e32 v0, v6
	s_or_b64 exec, exec, s[0:1]
	v_cmp_gt_i32_e32 vcc, s6, v0
	s_and_saveexec_b64 s[0:1], vcc
	s_cbranch_execz .LBB163_13
.LBB163_18:
	v_add_u32_e32 v1, s2, v0
	v_mov_b32_e32 v2, 0
	v_lshlrev_b64 v[1:2], 2, v[1:2]
	v_mov_b32_e32 v6, s13
	v_add_co_u32_e32 v1, vcc, s12, v1
	v_addc_co_u32_e32 v2, vcc, v6, v2, vcc
	v_add_u32_e32 v0, 0x100, v0
	global_store_dword v[1:2], v5, off
	s_or_b64 exec, exec, s[0:1]
	v_cmp_gt_i32_e32 vcc, s6, v0
	s_and_saveexec_b64 s[0:1], vcc
	s_cbranch_execz .LBB163_14
.LBB163_19:
	v_add_u32_e32 v1, s2, v0
	v_mov_b32_e32 v2, 0
	v_lshlrev_b64 v[1:2], 2, v[1:2]
	v_mov_b32_e32 v5, s13
	v_add_co_u32_e32 v1, vcc, s12, v1
	v_addc_co_u32_e32 v2, vcc, v5, v2, vcc
	v_add_u32_e32 v0, 0x100, v0
	global_store_dword v[1:2], v4, off
	s_or_b64 exec, exec, s[0:1]
	v_cmp_gt_i32_e32 vcc, s6, v0
	s_and_saveexec_b64 s[0:1], vcc
	s_cbranch_execnz .LBB163_15
	s_branch .LBB163_16
	.section	.rodata,"a",@progbits
	.p2align	6, 0x0
	.amdhsa_kernel _ZN2at6native29vectorized_elementwise_kernelILi2ENS0_13BinaryFunctorIfffZNS0_12_GLOBAL__N_121threshold_kernel_implIfEEvRNS_18TensorIteratorBaseET_S7_EUlffE_EESt5arrayIPcLm3EEEEviT0_T1_
		.amdhsa_group_segment_fixed_size 0
		.amdhsa_private_segment_fixed_size 0
		.amdhsa_kernarg_size 40
		.amdhsa_user_sgpr_count 6
		.amdhsa_user_sgpr_private_segment_buffer 1
		.amdhsa_user_sgpr_dispatch_ptr 0
		.amdhsa_user_sgpr_queue_ptr 0
		.amdhsa_user_sgpr_kernarg_segment_ptr 1
		.amdhsa_user_sgpr_dispatch_id 0
		.amdhsa_user_sgpr_flat_scratch_init 0
		.amdhsa_user_sgpr_private_segment_size 0
		.amdhsa_uses_dynamic_stack 0
		.amdhsa_system_sgpr_private_segment_wavefront_offset 0
		.amdhsa_system_sgpr_workgroup_id_x 1
		.amdhsa_system_sgpr_workgroup_id_y 0
		.amdhsa_system_sgpr_workgroup_id_z 0
		.amdhsa_system_sgpr_workgroup_info 0
		.amdhsa_system_vgpr_workitem_id 0
		.amdhsa_next_free_vgpr 16
		.amdhsa_next_free_sgpr 20
		.amdhsa_reserve_vcc 1
		.amdhsa_reserve_flat_scratch 0
		.amdhsa_float_round_mode_32 0
		.amdhsa_float_round_mode_16_64 0
		.amdhsa_float_denorm_mode_32 3
		.amdhsa_float_denorm_mode_16_64 3
		.amdhsa_dx10_clamp 1
		.amdhsa_ieee_mode 1
		.amdhsa_fp16_overflow 0
		.amdhsa_exception_fp_ieee_invalid_op 0
		.amdhsa_exception_fp_denorm_src 0
		.amdhsa_exception_fp_ieee_div_zero 0
		.amdhsa_exception_fp_ieee_overflow 0
		.amdhsa_exception_fp_ieee_underflow 0
		.amdhsa_exception_fp_ieee_inexact 0
		.amdhsa_exception_int_div_zero 0
	.end_amdhsa_kernel
	.section	.text._ZN2at6native29vectorized_elementwise_kernelILi2ENS0_13BinaryFunctorIfffZNS0_12_GLOBAL__N_121threshold_kernel_implIfEEvRNS_18TensorIteratorBaseET_S7_EUlffE_EESt5arrayIPcLm3EEEEviT0_T1_,"axG",@progbits,_ZN2at6native29vectorized_elementwise_kernelILi2ENS0_13BinaryFunctorIfffZNS0_12_GLOBAL__N_121threshold_kernel_implIfEEvRNS_18TensorIteratorBaseET_S7_EUlffE_EESt5arrayIPcLm3EEEEviT0_T1_,comdat
.Lfunc_end163:
	.size	_ZN2at6native29vectorized_elementwise_kernelILi2ENS0_13BinaryFunctorIfffZNS0_12_GLOBAL__N_121threshold_kernel_implIfEEvRNS_18TensorIteratorBaseET_S7_EUlffE_EESt5arrayIPcLm3EEEEviT0_T1_, .Lfunc_end163-_ZN2at6native29vectorized_elementwise_kernelILi2ENS0_13BinaryFunctorIfffZNS0_12_GLOBAL__N_121threshold_kernel_implIfEEvRNS_18TensorIteratorBaseET_S7_EUlffE_EESt5arrayIPcLm3EEEEviT0_T1_
                                        ; -- End function
	.set _ZN2at6native29vectorized_elementwise_kernelILi2ENS0_13BinaryFunctorIfffZNS0_12_GLOBAL__N_121threshold_kernel_implIfEEvRNS_18TensorIteratorBaseET_S7_EUlffE_EESt5arrayIPcLm3EEEEviT0_T1_.num_vgpr, 16
	.set _ZN2at6native29vectorized_elementwise_kernelILi2ENS0_13BinaryFunctorIfffZNS0_12_GLOBAL__N_121threshold_kernel_implIfEEvRNS_18TensorIteratorBaseET_S7_EUlffE_EESt5arrayIPcLm3EEEEviT0_T1_.num_agpr, 0
	.set _ZN2at6native29vectorized_elementwise_kernelILi2ENS0_13BinaryFunctorIfffZNS0_12_GLOBAL__N_121threshold_kernel_implIfEEvRNS_18TensorIteratorBaseET_S7_EUlffE_EESt5arrayIPcLm3EEEEviT0_T1_.numbered_sgpr, 20
	.set _ZN2at6native29vectorized_elementwise_kernelILi2ENS0_13BinaryFunctorIfffZNS0_12_GLOBAL__N_121threshold_kernel_implIfEEvRNS_18TensorIteratorBaseET_S7_EUlffE_EESt5arrayIPcLm3EEEEviT0_T1_.num_named_barrier, 0
	.set _ZN2at6native29vectorized_elementwise_kernelILi2ENS0_13BinaryFunctorIfffZNS0_12_GLOBAL__N_121threshold_kernel_implIfEEvRNS_18TensorIteratorBaseET_S7_EUlffE_EESt5arrayIPcLm3EEEEviT0_T1_.private_seg_size, 0
	.set _ZN2at6native29vectorized_elementwise_kernelILi2ENS0_13BinaryFunctorIfffZNS0_12_GLOBAL__N_121threshold_kernel_implIfEEvRNS_18TensorIteratorBaseET_S7_EUlffE_EESt5arrayIPcLm3EEEEviT0_T1_.uses_vcc, 1
	.set _ZN2at6native29vectorized_elementwise_kernelILi2ENS0_13BinaryFunctorIfffZNS0_12_GLOBAL__N_121threshold_kernel_implIfEEvRNS_18TensorIteratorBaseET_S7_EUlffE_EESt5arrayIPcLm3EEEEviT0_T1_.uses_flat_scratch, 0
	.set _ZN2at6native29vectorized_elementwise_kernelILi2ENS0_13BinaryFunctorIfffZNS0_12_GLOBAL__N_121threshold_kernel_implIfEEvRNS_18TensorIteratorBaseET_S7_EUlffE_EESt5arrayIPcLm3EEEEviT0_T1_.has_dyn_sized_stack, 0
	.set _ZN2at6native29vectorized_elementwise_kernelILi2ENS0_13BinaryFunctorIfffZNS0_12_GLOBAL__N_121threshold_kernel_implIfEEvRNS_18TensorIteratorBaseET_S7_EUlffE_EESt5arrayIPcLm3EEEEviT0_T1_.has_recursion, 0
	.set _ZN2at6native29vectorized_elementwise_kernelILi2ENS0_13BinaryFunctorIfffZNS0_12_GLOBAL__N_121threshold_kernel_implIfEEvRNS_18TensorIteratorBaseET_S7_EUlffE_EESt5arrayIPcLm3EEEEviT0_T1_.has_indirect_call, 0
	.section	.AMDGPU.csdata,"",@progbits
; Kernel info:
; codeLenInByte = 1036
; TotalNumSgprs: 24
; NumVgprs: 16
; ScratchSize: 0
; MemoryBound: 0
; FloatMode: 240
; IeeeMode: 1
; LDSByteSize: 0 bytes/workgroup (compile time only)
; SGPRBlocks: 2
; VGPRBlocks: 3
; NumSGPRsForWavesPerEU: 24
; NumVGPRsForWavesPerEU: 16
; Occupancy: 10
; WaveLimiterHint : 1
; COMPUTE_PGM_RSRC2:SCRATCH_EN: 0
; COMPUTE_PGM_RSRC2:USER_SGPR: 6
; COMPUTE_PGM_RSRC2:TRAP_HANDLER: 0
; COMPUTE_PGM_RSRC2:TGID_X_EN: 1
; COMPUTE_PGM_RSRC2:TGID_Y_EN: 0
; COMPUTE_PGM_RSRC2:TGID_Z_EN: 0
; COMPUTE_PGM_RSRC2:TIDIG_COMP_CNT: 0
	.section	.text._ZN2at6native27unrolled_elementwise_kernelINS0_13BinaryFunctorIfffZNS0_12_GLOBAL__N_121threshold_kernel_implIfEEvRNS_18TensorIteratorBaseET_S7_EUlffE_EESt5arrayIPcLm3EELi4E23TrivialOffsetCalculatorILi2EjESD_ILi1EjENS0_6memory15LoadWithoutCastENSG_16StoreWithoutCastEEEviS7_T0_T2_T3_T4_T5_,"axG",@progbits,_ZN2at6native27unrolled_elementwise_kernelINS0_13BinaryFunctorIfffZNS0_12_GLOBAL__N_121threshold_kernel_implIfEEvRNS_18TensorIteratorBaseET_S7_EUlffE_EESt5arrayIPcLm3EELi4E23TrivialOffsetCalculatorILi2EjESD_ILi1EjENS0_6memory15LoadWithoutCastENSG_16StoreWithoutCastEEEviS7_T0_T2_T3_T4_T5_,comdat
	.globl	_ZN2at6native27unrolled_elementwise_kernelINS0_13BinaryFunctorIfffZNS0_12_GLOBAL__N_121threshold_kernel_implIfEEvRNS_18TensorIteratorBaseET_S7_EUlffE_EESt5arrayIPcLm3EELi4E23TrivialOffsetCalculatorILi2EjESD_ILi1EjENS0_6memory15LoadWithoutCastENSG_16StoreWithoutCastEEEviS7_T0_T2_T3_T4_T5_ ; -- Begin function _ZN2at6native27unrolled_elementwise_kernelINS0_13BinaryFunctorIfffZNS0_12_GLOBAL__N_121threshold_kernel_implIfEEvRNS_18TensorIteratorBaseET_S7_EUlffE_EESt5arrayIPcLm3EELi4E23TrivialOffsetCalculatorILi2EjESD_ILi1EjENS0_6memory15LoadWithoutCastENSG_16StoreWithoutCastEEEviS7_T0_T2_T3_T4_T5_
	.p2align	8
	.type	_ZN2at6native27unrolled_elementwise_kernelINS0_13BinaryFunctorIfffZNS0_12_GLOBAL__N_121threshold_kernel_implIfEEvRNS_18TensorIteratorBaseET_S7_EUlffE_EESt5arrayIPcLm3EELi4E23TrivialOffsetCalculatorILi2EjESD_ILi1EjENS0_6memory15LoadWithoutCastENSG_16StoreWithoutCastEEEviS7_T0_T2_T3_T4_T5_,@function
_ZN2at6native27unrolled_elementwise_kernelINS0_13BinaryFunctorIfffZNS0_12_GLOBAL__N_121threshold_kernel_implIfEEvRNS_18TensorIteratorBaseET_S7_EUlffE_EESt5arrayIPcLm3EELi4E23TrivialOffsetCalculatorILi2EjESD_ILi1EjENS0_6memory15LoadWithoutCastENSG_16StoreWithoutCastEEEviS7_T0_T2_T3_T4_T5_: ; @_ZN2at6native27unrolled_elementwise_kernelINS0_13BinaryFunctorIfffZNS0_12_GLOBAL__N_121threshold_kernel_implIfEEvRNS_18TensorIteratorBaseET_S7_EUlffE_EESt5arrayIPcLm3EELi4E23TrivialOffsetCalculatorILi2EjESD_ILi1EjENS0_6memory15LoadWithoutCastENSG_16StoreWithoutCastEEEviS7_T0_T2_T3_T4_T5_
; %bb.0:
	s_load_dwordx8 s[8:15], s[4:5], 0x0
	s_load_dwordx2 s[2:3], s[4:5], 0x20
	s_lshl_b32 s6, s6, 10
	v_mov_b32_e32 v3, 0
	v_or_b32_e32 v1, s6, v0
	s_waitcnt lgkmcnt(0)
	s_sub_i32 s7, s8, s6
	v_cmp_gt_i32_e32 vcc, s7, v0
	v_mov_b32_e32 v2, 0
	v_mov_b32_e32 v4, 0
	;; [unrolled: 1-line block ×3, first 2 shown]
	s_and_saveexec_b64 s[4:5], vcc
	s_cbranch_execz .LBB164_2
; %bb.1:
	v_mov_b32_e32 v2, 0
	v_lshlrev_b64 v[4:5], 2, v[1:2]
	v_mov_b32_e32 v2, s15
	v_add_co_u32_e64 v6, s[0:1], s14, v4
	v_addc_co_u32_e64 v7, s[0:1], v2, v5, s[0:1]
	v_mov_b32_e32 v2, s3
	v_add_co_u32_e64 v8, s[0:1], s2, v4
	v_addc_co_u32_e64 v9, s[0:1], v2, v5, s[0:1]
	global_load_dword v2, v[6:7], off
	global_load_dword v4, v[8:9], off
	v_or_b32_e32 v5, 0x100, v0
.LBB164_2:
	s_or_b64 exec, exec, s[4:5]
	v_cmp_gt_i32_e64 s[0:1], s7, v5
	v_mov_b32_e32 v6, 0
	s_and_saveexec_b64 s[4:5], s[0:1]
	s_cbranch_execz .LBB164_4
; %bb.3:
	v_add_u32_e32 v6, s6, v5
	v_mov_b32_e32 v7, 0
	v_lshlrev_b64 v[6:7], 2, v[6:7]
	v_mov_b32_e32 v3, s15
	v_add_co_u32_e64 v8, s[0:1], s14, v6
	v_addc_co_u32_e64 v9, s[0:1], v3, v7, s[0:1]
	v_mov_b32_e32 v3, s3
	v_add_co_u32_e64 v10, s[0:1], s2, v6
	v_addc_co_u32_e64 v11, s[0:1], v3, v7, s[0:1]
	global_load_dword v3, v[8:9], off
	global_load_dword v6, v[10:11], off
	v_add_u32_e32 v5, 0x100, v5
.LBB164_4:
	s_or_b64 exec, exec, s[4:5]
	v_cmp_gt_i32_e64 s[0:1], s7, v5
	v_mov_b32_e32 v7, 0
	v_mov_b32_e32 v8, 0
	;; [unrolled: 1-line block ×3, first 2 shown]
	s_and_saveexec_b64 s[4:5], s[0:1]
	s_cbranch_execz .LBB164_6
; %bb.5:
	v_add_u32_e32 v8, s6, v5
	v_mov_b32_e32 v9, 0
	v_lshlrev_b64 v[8:9], 2, v[8:9]
	v_mov_b32_e32 v11, s15
	v_add_co_u32_e64 v10, s[0:1], s14, v8
	v_addc_co_u32_e64 v11, s[0:1], v11, v9, s[0:1]
	v_mov_b32_e32 v13, s3
	v_add_co_u32_e64 v12, s[0:1], s2, v8
	v_addc_co_u32_e64 v13, s[0:1], v13, v9, s[0:1]
	global_load_dword v8, v[10:11], off
	global_load_dword v9, v[12:13], off
	v_add_u32_e32 v5, 0x100, v5
.LBB164_6:
	s_or_b64 exec, exec, s[4:5]
	v_cmp_gt_i32_e64 s[0:1], s7, v5
	v_mov_b32_e32 v12, 0
	s_and_saveexec_b64 s[4:5], s[0:1]
	s_cbranch_execz .LBB164_8
; %bb.7:
	v_add_u32_e32 v10, s6, v5
	v_mov_b32_e32 v11, 0
	v_lshlrev_b64 v[10:11], 2, v[10:11]
	v_mov_b32_e32 v5, s15
	v_add_co_u32_e64 v13, s[0:1], s14, v10
	v_addc_co_u32_e64 v14, s[0:1], v5, v11, s[0:1]
	v_mov_b32_e32 v5, s3
	v_add_co_u32_e64 v10, s[0:1], s2, v10
	v_addc_co_u32_e64 v11, s[0:1], v5, v11, s[0:1]
	global_load_dword v7, v[13:14], off
	global_load_dword v12, v[10:11], off
.LBB164_8:
	s_or_b64 exec, exec, s[4:5]
	v_mov_b32_e32 v13, s10
	s_waitcnt vmcnt(1)
	v_cmp_nge_f32_e64 s[0:1], s9, v2
	s_waitcnt vmcnt(0)
	v_cndmask_b32_e64 v2, v13, v4, s[0:1]
	v_or_b32_e32 v10, 0x100, v0
	v_cmp_nge_f32_e64 s[0:1], s9, v3
	v_cndmask_b32_e32 v11, 0, v2, vcc
	v_cndmask_b32_e64 v2, v13, v6, s[0:1]
	v_cmp_gt_i32_e64 s[0:1], s7, v10
	v_cndmask_b32_e64 v5, 0, v2, s[0:1]
	v_or_b32_e32 v2, 0x200, v0
	v_cmp_nge_f32_e64 s[0:1], s9, v8
	v_cndmask_b32_e64 v3, v13, v9, s[0:1]
	v_cmp_gt_i32_e64 s[0:1], s7, v2
	v_cndmask_b32_e64 v4, 0, v3, s[0:1]
	v_or_b32_e32 v2, 0x300, v0
	v_cmp_nge_f32_e64 s[0:1], s9, v7
	v_cndmask_b32_e64 v3, v13, v12, s[0:1]
	v_cmp_gt_i32_e64 s[0:1], s7, v2
	v_cndmask_b32_e64 v3, 0, v3, s[0:1]
	s_and_saveexec_b64 s[0:1], vcc
	s_cbranch_execnz .LBB164_13
; %bb.9:
	s_or_b64 exec, exec, s[0:1]
	v_cmp_gt_i32_e32 vcc, s7, v0
	s_and_saveexec_b64 s[0:1], vcc
	s_cbranch_execnz .LBB164_14
.LBB164_10:
	s_or_b64 exec, exec, s[0:1]
	v_cmp_gt_i32_e32 vcc, s7, v0
	s_and_saveexec_b64 s[0:1], vcc
	s_cbranch_execnz .LBB164_15
.LBB164_11:
	s_or_b64 exec, exec, s[0:1]
	v_cmp_gt_i32_e32 vcc, s7, v0
	s_and_saveexec_b64 s[0:1], vcc
	s_cbranch_execnz .LBB164_16
.LBB164_12:
	s_endpgm
.LBB164_13:
	v_mov_b32_e32 v2, 0
	v_lshlrev_b64 v[0:1], 2, v[1:2]
	v_mov_b32_e32 v2, s13
	v_add_co_u32_e32 v0, vcc, s12, v0
	v_addc_co_u32_e32 v1, vcc, v2, v1, vcc
	global_store_dword v[0:1], v11, off
	v_mov_b32_e32 v0, v10
	s_or_b64 exec, exec, s[0:1]
	v_cmp_gt_i32_e32 vcc, s7, v0
	s_and_saveexec_b64 s[0:1], vcc
	s_cbranch_execz .LBB164_10
.LBB164_14:
	v_add_u32_e32 v2, 0x100, v0
	v_add_u32_e32 v0, s6, v0
	v_mov_b32_e32 v1, 0
	v_lshlrev_b64 v[0:1], 2, v[0:1]
	v_mov_b32_e32 v6, s13
	v_add_co_u32_e32 v0, vcc, s12, v0
	v_addc_co_u32_e32 v1, vcc, v6, v1, vcc
	global_store_dword v[0:1], v5, off
	v_mov_b32_e32 v0, v2
	s_or_b64 exec, exec, s[0:1]
	v_cmp_gt_i32_e32 vcc, s7, v0
	s_and_saveexec_b64 s[0:1], vcc
	s_cbranch_execz .LBB164_11
.LBB164_15:
	v_add_u32_e32 v2, 0x100, v0
	v_add_u32_e32 v0, s6, v0
	v_mov_b32_e32 v1, 0
	v_lshlrev_b64 v[0:1], 2, v[0:1]
	v_mov_b32_e32 v5, s13
	v_add_co_u32_e32 v0, vcc, s12, v0
	v_addc_co_u32_e32 v1, vcc, v5, v1, vcc
	global_store_dword v[0:1], v4, off
	v_mov_b32_e32 v0, v2
	s_or_b64 exec, exec, s[0:1]
	v_cmp_gt_i32_e32 vcc, s7, v0
	s_and_saveexec_b64 s[0:1], vcc
	s_cbranch_execz .LBB164_12
.LBB164_16:
	v_add_u32_e32 v0, s6, v0
	v_mov_b32_e32 v1, 0
	v_lshlrev_b64 v[0:1], 2, v[0:1]
	v_mov_b32_e32 v2, s13
	v_add_co_u32_e32 v0, vcc, s12, v0
	v_addc_co_u32_e32 v1, vcc, v2, v1, vcc
	global_store_dword v[0:1], v3, off
	s_endpgm
	.section	.rodata,"a",@progbits
	.p2align	6, 0x0
	.amdhsa_kernel _ZN2at6native27unrolled_elementwise_kernelINS0_13BinaryFunctorIfffZNS0_12_GLOBAL__N_121threshold_kernel_implIfEEvRNS_18TensorIteratorBaseET_S7_EUlffE_EESt5arrayIPcLm3EELi4E23TrivialOffsetCalculatorILi2EjESD_ILi1EjENS0_6memory15LoadWithoutCastENSG_16StoreWithoutCastEEEviS7_T0_T2_T3_T4_T5_
		.amdhsa_group_segment_fixed_size 0
		.amdhsa_private_segment_fixed_size 0
		.amdhsa_kernarg_size 44
		.amdhsa_user_sgpr_count 6
		.amdhsa_user_sgpr_private_segment_buffer 1
		.amdhsa_user_sgpr_dispatch_ptr 0
		.amdhsa_user_sgpr_queue_ptr 0
		.amdhsa_user_sgpr_kernarg_segment_ptr 1
		.amdhsa_user_sgpr_dispatch_id 0
		.amdhsa_user_sgpr_flat_scratch_init 0
		.amdhsa_user_sgpr_private_segment_size 0
		.amdhsa_uses_dynamic_stack 0
		.amdhsa_system_sgpr_private_segment_wavefront_offset 0
		.amdhsa_system_sgpr_workgroup_id_x 1
		.amdhsa_system_sgpr_workgroup_id_y 0
		.amdhsa_system_sgpr_workgroup_id_z 0
		.amdhsa_system_sgpr_workgroup_info 0
		.amdhsa_system_vgpr_workitem_id 0
		.amdhsa_next_free_vgpr 15
		.amdhsa_next_free_sgpr 16
		.amdhsa_reserve_vcc 1
		.amdhsa_reserve_flat_scratch 0
		.amdhsa_float_round_mode_32 0
		.amdhsa_float_round_mode_16_64 0
		.amdhsa_float_denorm_mode_32 3
		.amdhsa_float_denorm_mode_16_64 3
		.amdhsa_dx10_clamp 1
		.amdhsa_ieee_mode 1
		.amdhsa_fp16_overflow 0
		.amdhsa_exception_fp_ieee_invalid_op 0
		.amdhsa_exception_fp_denorm_src 0
		.amdhsa_exception_fp_ieee_div_zero 0
		.amdhsa_exception_fp_ieee_overflow 0
		.amdhsa_exception_fp_ieee_underflow 0
		.amdhsa_exception_fp_ieee_inexact 0
		.amdhsa_exception_int_div_zero 0
	.end_amdhsa_kernel
	.section	.text._ZN2at6native27unrolled_elementwise_kernelINS0_13BinaryFunctorIfffZNS0_12_GLOBAL__N_121threshold_kernel_implIfEEvRNS_18TensorIteratorBaseET_S7_EUlffE_EESt5arrayIPcLm3EELi4E23TrivialOffsetCalculatorILi2EjESD_ILi1EjENS0_6memory15LoadWithoutCastENSG_16StoreWithoutCastEEEviS7_T0_T2_T3_T4_T5_,"axG",@progbits,_ZN2at6native27unrolled_elementwise_kernelINS0_13BinaryFunctorIfffZNS0_12_GLOBAL__N_121threshold_kernel_implIfEEvRNS_18TensorIteratorBaseET_S7_EUlffE_EESt5arrayIPcLm3EELi4E23TrivialOffsetCalculatorILi2EjESD_ILi1EjENS0_6memory15LoadWithoutCastENSG_16StoreWithoutCastEEEviS7_T0_T2_T3_T4_T5_,comdat
.Lfunc_end164:
	.size	_ZN2at6native27unrolled_elementwise_kernelINS0_13BinaryFunctorIfffZNS0_12_GLOBAL__N_121threshold_kernel_implIfEEvRNS_18TensorIteratorBaseET_S7_EUlffE_EESt5arrayIPcLm3EELi4E23TrivialOffsetCalculatorILi2EjESD_ILi1EjENS0_6memory15LoadWithoutCastENSG_16StoreWithoutCastEEEviS7_T0_T2_T3_T4_T5_, .Lfunc_end164-_ZN2at6native27unrolled_elementwise_kernelINS0_13BinaryFunctorIfffZNS0_12_GLOBAL__N_121threshold_kernel_implIfEEvRNS_18TensorIteratorBaseET_S7_EUlffE_EESt5arrayIPcLm3EELi4E23TrivialOffsetCalculatorILi2EjESD_ILi1EjENS0_6memory15LoadWithoutCastENSG_16StoreWithoutCastEEEviS7_T0_T2_T3_T4_T5_
                                        ; -- End function
	.set _ZN2at6native27unrolled_elementwise_kernelINS0_13BinaryFunctorIfffZNS0_12_GLOBAL__N_121threshold_kernel_implIfEEvRNS_18TensorIteratorBaseET_S7_EUlffE_EESt5arrayIPcLm3EELi4E23TrivialOffsetCalculatorILi2EjESD_ILi1EjENS0_6memory15LoadWithoutCastENSG_16StoreWithoutCastEEEviS7_T0_T2_T3_T4_T5_.num_vgpr, 15
	.set _ZN2at6native27unrolled_elementwise_kernelINS0_13BinaryFunctorIfffZNS0_12_GLOBAL__N_121threshold_kernel_implIfEEvRNS_18TensorIteratorBaseET_S7_EUlffE_EESt5arrayIPcLm3EELi4E23TrivialOffsetCalculatorILi2EjESD_ILi1EjENS0_6memory15LoadWithoutCastENSG_16StoreWithoutCastEEEviS7_T0_T2_T3_T4_T5_.num_agpr, 0
	.set _ZN2at6native27unrolled_elementwise_kernelINS0_13BinaryFunctorIfffZNS0_12_GLOBAL__N_121threshold_kernel_implIfEEvRNS_18TensorIteratorBaseET_S7_EUlffE_EESt5arrayIPcLm3EELi4E23TrivialOffsetCalculatorILi2EjESD_ILi1EjENS0_6memory15LoadWithoutCastENSG_16StoreWithoutCastEEEviS7_T0_T2_T3_T4_T5_.numbered_sgpr, 16
	.set _ZN2at6native27unrolled_elementwise_kernelINS0_13BinaryFunctorIfffZNS0_12_GLOBAL__N_121threshold_kernel_implIfEEvRNS_18TensorIteratorBaseET_S7_EUlffE_EESt5arrayIPcLm3EELi4E23TrivialOffsetCalculatorILi2EjESD_ILi1EjENS0_6memory15LoadWithoutCastENSG_16StoreWithoutCastEEEviS7_T0_T2_T3_T4_T5_.num_named_barrier, 0
	.set _ZN2at6native27unrolled_elementwise_kernelINS0_13BinaryFunctorIfffZNS0_12_GLOBAL__N_121threshold_kernel_implIfEEvRNS_18TensorIteratorBaseET_S7_EUlffE_EESt5arrayIPcLm3EELi4E23TrivialOffsetCalculatorILi2EjESD_ILi1EjENS0_6memory15LoadWithoutCastENSG_16StoreWithoutCastEEEviS7_T0_T2_T3_T4_T5_.private_seg_size, 0
	.set _ZN2at6native27unrolled_elementwise_kernelINS0_13BinaryFunctorIfffZNS0_12_GLOBAL__N_121threshold_kernel_implIfEEvRNS_18TensorIteratorBaseET_S7_EUlffE_EESt5arrayIPcLm3EELi4E23TrivialOffsetCalculatorILi2EjESD_ILi1EjENS0_6memory15LoadWithoutCastENSG_16StoreWithoutCastEEEviS7_T0_T2_T3_T4_T5_.uses_vcc, 1
	.set _ZN2at6native27unrolled_elementwise_kernelINS0_13BinaryFunctorIfffZNS0_12_GLOBAL__N_121threshold_kernel_implIfEEvRNS_18TensorIteratorBaseET_S7_EUlffE_EESt5arrayIPcLm3EELi4E23TrivialOffsetCalculatorILi2EjESD_ILi1EjENS0_6memory15LoadWithoutCastENSG_16StoreWithoutCastEEEviS7_T0_T2_T3_T4_T5_.uses_flat_scratch, 0
	.set _ZN2at6native27unrolled_elementwise_kernelINS0_13BinaryFunctorIfffZNS0_12_GLOBAL__N_121threshold_kernel_implIfEEvRNS_18TensorIteratorBaseET_S7_EUlffE_EESt5arrayIPcLm3EELi4E23TrivialOffsetCalculatorILi2EjESD_ILi1EjENS0_6memory15LoadWithoutCastENSG_16StoreWithoutCastEEEviS7_T0_T2_T3_T4_T5_.has_dyn_sized_stack, 0
	.set _ZN2at6native27unrolled_elementwise_kernelINS0_13BinaryFunctorIfffZNS0_12_GLOBAL__N_121threshold_kernel_implIfEEvRNS_18TensorIteratorBaseET_S7_EUlffE_EESt5arrayIPcLm3EELi4E23TrivialOffsetCalculatorILi2EjESD_ILi1EjENS0_6memory15LoadWithoutCastENSG_16StoreWithoutCastEEEviS7_T0_T2_T3_T4_T5_.has_recursion, 0
	.set _ZN2at6native27unrolled_elementwise_kernelINS0_13BinaryFunctorIfffZNS0_12_GLOBAL__N_121threshold_kernel_implIfEEvRNS_18TensorIteratorBaseET_S7_EUlffE_EESt5arrayIPcLm3EELi4E23TrivialOffsetCalculatorILi2EjESD_ILi1EjENS0_6memory15LoadWithoutCastENSG_16StoreWithoutCastEEEviS7_T0_T2_T3_T4_T5_.has_indirect_call, 0
	.section	.AMDGPU.csdata,"",@progbits
; Kernel info:
; codeLenInByte = 884
; TotalNumSgprs: 20
; NumVgprs: 15
; ScratchSize: 0
; MemoryBound: 0
; FloatMode: 240
; IeeeMode: 1
; LDSByteSize: 0 bytes/workgroup (compile time only)
; SGPRBlocks: 2
; VGPRBlocks: 3
; NumSGPRsForWavesPerEU: 20
; NumVGPRsForWavesPerEU: 15
; Occupancy: 10
; WaveLimiterHint : 0
; COMPUTE_PGM_RSRC2:SCRATCH_EN: 0
; COMPUTE_PGM_RSRC2:USER_SGPR: 6
; COMPUTE_PGM_RSRC2:TRAP_HANDLER: 0
; COMPUTE_PGM_RSRC2:TGID_X_EN: 1
; COMPUTE_PGM_RSRC2:TGID_Y_EN: 0
; COMPUTE_PGM_RSRC2:TGID_Z_EN: 0
; COMPUTE_PGM_RSRC2:TIDIG_COMP_CNT: 0
	.section	.text._ZN2at6native32elementwise_kernel_manual_unrollILi128ELi4EZNS0_22gpu_kernel_impl_nocastINS0_13BinaryFunctorIfffZNS0_12_GLOBAL__N_121threshold_kernel_implIfEEvRNS_18TensorIteratorBaseET_S8_EUlffE_EEEEvS7_RKS8_EUlibE_EEviT1_,"axG",@progbits,_ZN2at6native32elementwise_kernel_manual_unrollILi128ELi4EZNS0_22gpu_kernel_impl_nocastINS0_13BinaryFunctorIfffZNS0_12_GLOBAL__N_121threshold_kernel_implIfEEvRNS_18TensorIteratorBaseET_S8_EUlffE_EEEEvS7_RKS8_EUlibE_EEviT1_,comdat
	.globl	_ZN2at6native32elementwise_kernel_manual_unrollILi128ELi4EZNS0_22gpu_kernel_impl_nocastINS0_13BinaryFunctorIfffZNS0_12_GLOBAL__N_121threshold_kernel_implIfEEvRNS_18TensorIteratorBaseET_S8_EUlffE_EEEEvS7_RKS8_EUlibE_EEviT1_ ; -- Begin function _ZN2at6native32elementwise_kernel_manual_unrollILi128ELi4EZNS0_22gpu_kernel_impl_nocastINS0_13BinaryFunctorIfffZNS0_12_GLOBAL__N_121threshold_kernel_implIfEEvRNS_18TensorIteratorBaseET_S8_EUlffE_EEEEvS7_RKS8_EUlibE_EEviT1_
	.p2align	8
	.type	_ZN2at6native32elementwise_kernel_manual_unrollILi128ELi4EZNS0_22gpu_kernel_impl_nocastINS0_13BinaryFunctorIfffZNS0_12_GLOBAL__N_121threshold_kernel_implIfEEvRNS_18TensorIteratorBaseET_S8_EUlffE_EEEEvS7_RKS8_EUlibE_EEviT1_,@function
_ZN2at6native32elementwise_kernel_manual_unrollILi128ELi4EZNS0_22gpu_kernel_impl_nocastINS0_13BinaryFunctorIfffZNS0_12_GLOBAL__N_121threshold_kernel_implIfEEvRNS_18TensorIteratorBaseET_S8_EUlffE_EEEEvS7_RKS8_EUlibE_EEviT1_: ; @_ZN2at6native32elementwise_kernel_manual_unrollILi128ELi4EZNS0_22gpu_kernel_impl_nocastINS0_13BinaryFunctorIfffZNS0_12_GLOBAL__N_121threshold_kernel_implIfEEvRNS_18TensorIteratorBaseET_S8_EUlffE_EEEEvS7_RKS8_EUlibE_EEviT1_
; %bb.0:
	s_load_dword s38, s[4:5], 0x0
	s_load_dword s33, s[4:5], 0x8
	s_add_u32 s16, s4, 8
	s_addc_u32 s17, s5, 0
	v_lshl_or_b32 v11, s6, 9, v0
	v_or_b32_e32 v21, 0x180, v11
	s_waitcnt lgkmcnt(0)
	s_add_i32 s36, s33, -1
	s_cmp_gt_u32 s36, 1
	v_cmp_le_i32_e32 vcc, s38, v21
	s_cselect_b64 s[18:19], -1, 0
	s_and_saveexec_b64 s[0:1], vcc
	s_xor_b64 s[20:21], exec, s[0:1]
	s_cbranch_execz .LBB165_54
; %bb.1:
	s_load_dwordx4 s[12:15], s[16:17], 0x4
	s_load_dwordx2 s[24:25], s[16:17], 0x14
	s_load_dwordx4 s[8:11], s[16:17], 0xc4
	s_load_dwordx2 s[22:23], s[16:17], 0xd4
	s_load_dwordx8 s[0:7], s[16:17], 0x188
	s_cmp_lg_u32 s33, 0
	s_cselect_b64 s[28:29], -1, 0
	s_min_u32 s37, s36, 15
	s_cmp_gt_u32 s33, 1
	s_cselect_b64 s[26:27], -1, 0
	v_cmp_gt_i32_e32 vcc, s38, v11
	s_and_saveexec_b64 s[30:31], vcc
	s_cbranch_execnz .LBB165_5
; %bb.2:
	s_or_b64 exec, exec, s[30:31]
	v_cmp_gt_i32_e32 vcc, s38, v11
	s_and_saveexec_b64 s[30:31], vcc
	s_cbranch_execnz .LBB165_17
.LBB165_3:
	s_or_b64 exec, exec, s[30:31]
	v_cmp_gt_i32_e32 vcc, s38, v11
	s_and_saveexec_b64 s[30:31], vcc
	s_cbranch_execnz .LBB165_29
.LBB165_4:
	s_or_b64 exec, exec, s[30:31]
	v_cmp_gt_i32_e32 vcc, s38, v11
	s_and_saveexec_b64 s[30:31], vcc
	s_cbranch_execnz .LBB165_41
	s_branch .LBB165_53
.LBB165_5:
	s_andn2_b64 vcc, exec, s[18:19]
	s_cbranch_vccnz .LBB165_11
; %bb.6:
	s_andn2_b64 vcc, exec, s[28:29]
	s_cbranch_vccnz .LBB165_12
; %bb.7:
	s_add_i32 s34, s37, 1
	s_and_b32 s39, s34, 30
	s_add_u32 s34, s16, 0xffffffe8
	s_addc_u32 s35, s17, -1
	v_mov_b32_e32 v2, 0
	v_mov_b32_e32 v4, 0
	;; [unrolled: 1-line block ×4, first 2 shown]
.LBB165_8:                              ; =>This Inner Loop Header: Depth=1
	s_load_dwordx4 s[40:43], s[34:35], 0x1c
	s_load_dwordx2 s[48:49], s[34:35], 0x2c
	s_load_dwordx2 s[50:51], s[34:35], 0xec
	s_load_dwordx4 s[44:47], s[34:35], 0xdc
	s_add_u32 s34, s34, 24
	s_waitcnt lgkmcnt(0)
	v_mul_hi_u32 v3, s41, v1
	s_addc_u32 s35, s35, 0
	s_add_i32 s39, s39, -2
	s_cmp_lg_u32 s39, 0
	v_add_u32_e32 v3, v1, v3
	v_lshrrev_b32_e32 v3, s42, v3
	v_mul_lo_u32 v5, v3, s40
	v_mul_hi_u32 v6, s48, v3
	v_sub_u32_e32 v5, v1, v5
	v_add_u32_e32 v1, v3, v6
	v_lshrrev_b32_e32 v1, s49, v1
	v_mul_lo_u32 v8, v1, s43
	v_mul_lo_u32 v6, v5, s44
	;; [unrolled: 1-line block ×4, first 2 shown]
	v_sub_u32_e32 v3, v3, v8
	v_mul_lo_u32 v8, v3, s47
	v_mul_lo_u32 v9, v3, s50
	;; [unrolled: 1-line block ×3, first 2 shown]
	v_add3_u32 v0, v6, v0, v8
	v_add3_u32 v4, v7, v4, v9
	;; [unrolled: 1-line block ×3, first 2 shown]
	s_cbranch_scc1 .LBB165_8
; %bb.9:
	s_bitcmp1_b32 s37, 0
	s_cselect_b64 s[40:41], -1, 0
	s_and_b64 vcc, exec, s[40:41]
	s_cbranch_vccnz .LBB165_13
; %bb.10:
	s_load_dwordx2 s[40:41], s[34:35], 0x1c
	s_load_dword s39, s[34:35], 0x24
	s_load_dwordx2 s[42:43], s[34:35], 0xdc
	s_waitcnt lgkmcnt(0)
	v_mul_hi_u32 v3, s41, v1
	v_add_u32_e32 v3, v1, v3
	v_lshrrev_b32_e32 v3, s39, v3
	v_mul_lo_u32 v3, v3, s40
	s_load_dword s39, s[34:35], 0xe4
	v_sub_u32_e32 v3, v1, v3
	v_mad_u64_u32 v[0:1], s[34:35], v3, s42, v[0:1]
	v_mad_u64_u32 v[4:5], s[34:35], v3, s43, v[4:5]
	s_waitcnt lgkmcnt(0)
	v_mad_u64_u32 v[2:3], s[34:35], v3, s39, v[2:3]
	s_cbranch_execz .LBB165_14
	s_branch .LBB165_16
.LBB165_11:
                                        ; implicit-def: $vgpr0
                                        ; implicit-def: $vgpr4
                                        ; implicit-def: $vgpr2
	s_branch .LBB165_14
.LBB165_12:
	v_mov_b32_e32 v0, 0
	v_mov_b32_e32 v4, 0
	v_mov_b32_e32 v2, 0
.LBB165_13:
	s_cbranch_execnz .LBB165_16
.LBB165_14:
	s_waitcnt lgkmcnt(0)
	v_mul_hi_u32 v0, s13, v11
	s_andn2_b64 vcc, exec, s[26:27]
	v_add_u32_e32 v0, v11, v0
	v_lshrrev_b32_e32 v1, s14, v0
	v_mul_lo_u32 v0, v1, s12
	v_sub_u32_e32 v2, v11, v0
	v_mul_lo_u32 v0, v2, s8
	v_mul_lo_u32 v4, v2, s9
	;; [unrolled: 1-line block ×3, first 2 shown]
	s_cbranch_vccnz .LBB165_16
; %bb.15:
	v_mul_hi_u32 v3, s24, v1
	v_add_u32_e32 v3, v1, v3
	v_lshrrev_b32_e32 v3, s25, v3
	v_mul_lo_u32 v3, v3, s15
	v_sub_u32_e32 v3, v1, v3
	v_mad_u64_u32 v[0:1], s[34:35], v3, s11, v[0:1]
	v_mad_u64_u32 v[4:5], s[34:35], v3, s22, v[4:5]
	;; [unrolled: 1-line block ×3, first 2 shown]
.LBB165_16:
	s_waitcnt lgkmcnt(0)
	global_load_dword v1, v4, s[2:3]
	global_load_dword v3, v2, s[4:5]
	v_mov_b32_e32 v2, s7
	v_add_u32_e32 v11, 0x80, v11
	s_waitcnt vmcnt(1)
	v_cmp_nge_f32_e32 vcc, s6, v1
	s_waitcnt vmcnt(0)
	v_cndmask_b32_e32 v1, v2, v3, vcc
	global_store_dword v0, v1, s[0:1]
	s_or_b64 exec, exec, s[30:31]
	v_cmp_gt_i32_e32 vcc, s38, v11
	s_and_saveexec_b64 s[30:31], vcc
	s_cbranch_execz .LBB165_3
.LBB165_17:
	s_andn2_b64 vcc, exec, s[18:19]
	s_cbranch_vccnz .LBB165_23
; %bb.18:
	s_andn2_b64 vcc, exec, s[28:29]
	s_cbranch_vccnz .LBB165_24
; %bb.19:
	s_add_i32 s34, s37, 1
	s_and_b32 s39, s34, 30
	s_add_u32 s34, s16, 0xffffffe8
	s_addc_u32 s35, s17, -1
	v_mov_b32_e32 v2, 0
	v_mov_b32_e32 v4, 0
	;; [unrolled: 1-line block ×4, first 2 shown]
.LBB165_20:                             ; =>This Inner Loop Header: Depth=1
	s_load_dwordx4 s[40:43], s[34:35], 0x1c
	s_load_dwordx2 s[48:49], s[34:35], 0x2c
	s_load_dwordx2 s[50:51], s[34:35], 0xec
	s_load_dwordx4 s[44:47], s[34:35], 0xdc
	s_add_u32 s34, s34, 24
	s_waitcnt lgkmcnt(0)
	v_mul_hi_u32 v3, s41, v1
	s_addc_u32 s35, s35, 0
	s_add_i32 s39, s39, -2
	s_cmp_eq_u32 s39, 0
	v_add_u32_e32 v3, v1, v3
	v_lshrrev_b32_e32 v3, s42, v3
	v_mul_lo_u32 v5, v3, s40
	v_mul_hi_u32 v6, s48, v3
	v_sub_u32_e32 v5, v1, v5
	v_add_u32_e32 v1, v3, v6
	v_lshrrev_b32_e32 v1, s49, v1
	v_mul_lo_u32 v8, v1, s43
	v_mul_lo_u32 v6, v5, s44
	;; [unrolled: 1-line block ×4, first 2 shown]
	v_sub_u32_e32 v3, v3, v8
	v_mul_lo_u32 v8, v3, s47
	v_mul_lo_u32 v9, v3, s50
	;; [unrolled: 1-line block ×3, first 2 shown]
	v_add3_u32 v0, v6, v0, v8
	v_add3_u32 v4, v7, v4, v9
	v_add3_u32 v2, v5, v2, v3
	s_cbranch_scc0 .LBB165_20
; %bb.21:
	s_bitcmp1_b32 s37, 0
	s_cselect_b64 s[40:41], -1, 0
	s_and_b64 vcc, exec, s[40:41]
	s_cbranch_vccnz .LBB165_25
; %bb.22:
	s_load_dwordx2 s[40:41], s[34:35], 0x1c
	s_load_dword s39, s[34:35], 0x24
	s_load_dwordx2 s[42:43], s[34:35], 0xdc
	s_waitcnt lgkmcnt(0)
	v_mul_hi_u32 v3, s41, v1
	v_add_u32_e32 v3, v1, v3
	v_lshrrev_b32_e32 v3, s39, v3
	v_mul_lo_u32 v3, v3, s40
	s_load_dword s39, s[34:35], 0xe4
	v_sub_u32_e32 v3, v1, v3
	v_mad_u64_u32 v[0:1], s[34:35], v3, s42, v[0:1]
	v_mad_u64_u32 v[4:5], s[34:35], v3, s43, v[4:5]
	s_waitcnt lgkmcnt(0)
	v_mad_u64_u32 v[2:3], s[34:35], v3, s39, v[2:3]
	s_branch .LBB165_25
.LBB165_23:
                                        ; implicit-def: $vgpr0
                                        ; implicit-def: $vgpr4
                                        ; implicit-def: $vgpr2
	s_branch .LBB165_26
.LBB165_24:
	v_mov_b32_e32 v0, 0
	v_mov_b32_e32 v4, 0
	;; [unrolled: 1-line block ×3, first 2 shown]
.LBB165_25:
	s_cbranch_execnz .LBB165_28
.LBB165_26:
	s_waitcnt lgkmcnt(0)
	v_mul_hi_u32 v0, s13, v11
	s_andn2_b64 vcc, exec, s[26:27]
	v_add_u32_e32 v0, v11, v0
	v_lshrrev_b32_e32 v1, s14, v0
	v_mul_lo_u32 v0, v1, s12
	v_sub_u32_e32 v2, v11, v0
	v_mul_lo_u32 v0, v2, s8
	v_mul_lo_u32 v4, v2, s9
	v_mul_lo_u32 v2, v2, s10
	s_cbranch_vccnz .LBB165_28
; %bb.27:
	v_mul_hi_u32 v3, s24, v1
	v_add_u32_e32 v3, v1, v3
	v_lshrrev_b32_e32 v3, s25, v3
	v_mul_lo_u32 v3, v3, s15
	v_sub_u32_e32 v3, v1, v3
	v_mad_u64_u32 v[0:1], s[34:35], v3, s11, v[0:1]
	v_mad_u64_u32 v[4:5], s[34:35], v3, s22, v[4:5]
	;; [unrolled: 1-line block ×3, first 2 shown]
.LBB165_28:
	s_waitcnt lgkmcnt(0)
	global_load_dword v1, v4, s[2:3]
	global_load_dword v3, v2, s[4:5]
	v_mov_b32_e32 v2, s7
	v_add_u32_e32 v11, 0x80, v11
	s_waitcnt vmcnt(1)
	v_cmp_nge_f32_e32 vcc, s6, v1
	s_waitcnt vmcnt(0)
	v_cndmask_b32_e32 v1, v2, v3, vcc
	global_store_dword v0, v1, s[0:1]
	s_or_b64 exec, exec, s[30:31]
	v_cmp_gt_i32_e32 vcc, s38, v11
	s_and_saveexec_b64 s[30:31], vcc
	s_cbranch_execz .LBB165_4
.LBB165_29:
	s_andn2_b64 vcc, exec, s[18:19]
	s_cbranch_vccnz .LBB165_35
; %bb.30:
	s_andn2_b64 vcc, exec, s[28:29]
	s_cbranch_vccnz .LBB165_36
; %bb.31:
	s_add_i32 s34, s37, 1
	s_and_b32 s39, s34, 30
	s_add_u32 s34, s16, 0xffffffe8
	s_addc_u32 s35, s17, -1
	v_mov_b32_e32 v2, 0
	v_mov_b32_e32 v4, 0
	;; [unrolled: 1-line block ×4, first 2 shown]
.LBB165_32:                             ; =>This Inner Loop Header: Depth=1
	s_load_dwordx4 s[40:43], s[34:35], 0x1c
	s_load_dwordx2 s[48:49], s[34:35], 0x2c
	s_load_dwordx2 s[50:51], s[34:35], 0xec
	s_load_dwordx4 s[44:47], s[34:35], 0xdc
	s_add_u32 s34, s34, 24
	s_waitcnt lgkmcnt(0)
	v_mul_hi_u32 v3, s41, v1
	s_addc_u32 s35, s35, 0
	s_add_i32 s39, s39, -2
	s_cmp_eq_u32 s39, 0
	v_add_u32_e32 v3, v1, v3
	v_lshrrev_b32_e32 v3, s42, v3
	v_mul_lo_u32 v5, v3, s40
	v_mul_hi_u32 v6, s48, v3
	v_sub_u32_e32 v5, v1, v5
	v_add_u32_e32 v1, v3, v6
	v_lshrrev_b32_e32 v1, s49, v1
	v_mul_lo_u32 v8, v1, s43
	v_mul_lo_u32 v6, v5, s44
	;; [unrolled: 1-line block ×4, first 2 shown]
	v_sub_u32_e32 v3, v3, v8
	v_mul_lo_u32 v8, v3, s47
	v_mul_lo_u32 v9, v3, s50
	;; [unrolled: 1-line block ×3, first 2 shown]
	v_add3_u32 v0, v6, v0, v8
	v_add3_u32 v4, v7, v4, v9
	;; [unrolled: 1-line block ×3, first 2 shown]
	s_cbranch_scc0 .LBB165_32
; %bb.33:
	s_bitcmp1_b32 s37, 0
	s_cselect_b64 s[40:41], -1, 0
	s_and_b64 vcc, exec, s[40:41]
	s_cbranch_vccnz .LBB165_37
; %bb.34:
	s_load_dwordx2 s[40:41], s[34:35], 0x1c
	s_load_dword s39, s[34:35], 0x24
	s_load_dwordx2 s[42:43], s[34:35], 0xdc
	s_waitcnt lgkmcnt(0)
	v_mul_hi_u32 v3, s41, v1
	v_add_u32_e32 v3, v1, v3
	v_lshrrev_b32_e32 v3, s39, v3
	v_mul_lo_u32 v3, v3, s40
	s_load_dword s39, s[34:35], 0xe4
	v_sub_u32_e32 v3, v1, v3
	v_mad_u64_u32 v[0:1], s[34:35], v3, s42, v[0:1]
	v_mad_u64_u32 v[4:5], s[34:35], v3, s43, v[4:5]
	s_waitcnt lgkmcnt(0)
	v_mad_u64_u32 v[2:3], s[34:35], v3, s39, v[2:3]
	s_branch .LBB165_37
.LBB165_35:
                                        ; implicit-def: $vgpr0
                                        ; implicit-def: $vgpr4
                                        ; implicit-def: $vgpr2
	s_branch .LBB165_38
.LBB165_36:
	v_mov_b32_e32 v0, 0
	v_mov_b32_e32 v4, 0
	;; [unrolled: 1-line block ×3, first 2 shown]
.LBB165_37:
	s_cbranch_execnz .LBB165_40
.LBB165_38:
	s_waitcnt lgkmcnt(0)
	v_mul_hi_u32 v0, s13, v11
	s_andn2_b64 vcc, exec, s[26:27]
	v_add_u32_e32 v0, v11, v0
	v_lshrrev_b32_e32 v1, s14, v0
	v_mul_lo_u32 v0, v1, s12
	v_sub_u32_e32 v2, v11, v0
	v_mul_lo_u32 v0, v2, s8
	v_mul_lo_u32 v4, v2, s9
	;; [unrolled: 1-line block ×3, first 2 shown]
	s_cbranch_vccnz .LBB165_40
; %bb.39:
	v_mul_hi_u32 v3, s24, v1
	v_add_u32_e32 v3, v1, v3
	v_lshrrev_b32_e32 v3, s25, v3
	v_mul_lo_u32 v3, v3, s15
	v_sub_u32_e32 v3, v1, v3
	v_mad_u64_u32 v[0:1], s[34:35], v3, s11, v[0:1]
	v_mad_u64_u32 v[4:5], s[34:35], v3, s22, v[4:5]
	;; [unrolled: 1-line block ×3, first 2 shown]
.LBB165_40:
	s_waitcnt lgkmcnt(0)
	global_load_dword v1, v4, s[2:3]
	global_load_dword v3, v2, s[4:5]
	v_mov_b32_e32 v2, s7
	v_add_u32_e32 v11, 0x80, v11
	s_waitcnt vmcnt(1)
	v_cmp_nge_f32_e32 vcc, s6, v1
	s_waitcnt vmcnt(0)
	v_cndmask_b32_e32 v1, v2, v3, vcc
	global_store_dword v0, v1, s[0:1]
	s_or_b64 exec, exec, s[30:31]
	v_cmp_gt_i32_e32 vcc, s38, v11
	s_and_saveexec_b64 s[30:31], vcc
	s_cbranch_execz .LBB165_53
.LBB165_41:
	s_andn2_b64 vcc, exec, s[18:19]
	s_cbranch_vccnz .LBB165_47
; %bb.42:
	s_andn2_b64 vcc, exec, s[28:29]
	s_cbranch_vccnz .LBB165_48
; %bb.43:
	s_add_i32 s28, s37, 1
	s_and_b32 s34, s28, 30
	s_add_u32 s28, s16, 0xffffffe8
	s_addc_u32 s29, s17, -1
	v_mov_b32_e32 v2, 0
	v_mov_b32_e32 v4, 0
	;; [unrolled: 1-line block ×4, first 2 shown]
.LBB165_44:                             ; =>This Inner Loop Header: Depth=1
	s_load_dwordx4 s[40:43], s[28:29], 0x1c
	s_load_dwordx2 s[38:39], s[28:29], 0x2c
	s_load_dwordx2 s[48:49], s[28:29], 0xec
	s_load_dwordx4 s[44:47], s[28:29], 0xdc
	s_add_u32 s28, s28, 24
	s_waitcnt lgkmcnt(0)
	v_mul_hi_u32 v3, s41, v1
	s_addc_u32 s29, s29, 0
	s_add_i32 s34, s34, -2
	s_cmp_eq_u32 s34, 0
	v_add_u32_e32 v3, v1, v3
	v_lshrrev_b32_e32 v3, s42, v3
	v_mul_lo_u32 v5, v3, s40
	v_mul_hi_u32 v6, s38, v3
	v_sub_u32_e32 v5, v1, v5
	v_add_u32_e32 v1, v3, v6
	v_lshrrev_b32_e32 v1, s39, v1
	v_mul_lo_u32 v8, v1, s43
	v_mul_lo_u32 v6, v5, s44
	;; [unrolled: 1-line block ×4, first 2 shown]
	v_sub_u32_e32 v3, v3, v8
	v_mul_lo_u32 v8, v3, s47
	v_mul_lo_u32 v9, v3, s48
	;; [unrolled: 1-line block ×3, first 2 shown]
	v_add3_u32 v0, v6, v0, v8
	v_add3_u32 v4, v7, v4, v9
	;; [unrolled: 1-line block ×3, first 2 shown]
	s_cbranch_scc0 .LBB165_44
; %bb.45:
	s_bitcmp1_b32 s37, 0
	s_cselect_b64 s[34:35], -1, 0
	s_and_b64 vcc, exec, s[34:35]
	s_cbranch_vccnz .LBB165_49
; %bb.46:
	s_load_dwordx2 s[34:35], s[28:29], 0x1c
	s_load_dword s37, s[28:29], 0x24
	s_load_dwordx2 s[38:39], s[28:29], 0xdc
	s_waitcnt lgkmcnt(0)
	v_mul_hi_u32 v3, s35, v1
	v_add_u32_e32 v3, v1, v3
	v_lshrrev_b32_e32 v3, s37, v3
	v_mul_lo_u32 v3, v3, s34
	s_load_dword s34, s[28:29], 0xe4
	v_sub_u32_e32 v3, v1, v3
	v_mad_u64_u32 v[0:1], s[28:29], v3, s38, v[0:1]
	v_mad_u64_u32 v[4:5], s[28:29], v3, s39, v[4:5]
	s_waitcnt lgkmcnt(0)
	v_mad_u64_u32 v[2:3], s[28:29], v3, s34, v[2:3]
	s_branch .LBB165_49
.LBB165_47:
                                        ; implicit-def: $vgpr0
                                        ; implicit-def: $vgpr4
                                        ; implicit-def: $vgpr2
	s_branch .LBB165_50
.LBB165_48:
	v_mov_b32_e32 v0, 0
	v_mov_b32_e32 v4, 0
	;; [unrolled: 1-line block ×3, first 2 shown]
.LBB165_49:
	s_cbranch_execnz .LBB165_52
.LBB165_50:
	s_waitcnt lgkmcnt(0)
	v_mul_hi_u32 v0, s13, v11
	s_andn2_b64 vcc, exec, s[26:27]
	v_add_u32_e32 v0, v11, v0
	v_lshrrev_b32_e32 v1, s14, v0
	v_mul_lo_u32 v0, v1, s12
	v_sub_u32_e32 v2, v11, v0
	v_mul_lo_u32 v0, v2, s8
	v_mul_lo_u32 v4, v2, s9
	;; [unrolled: 1-line block ×3, first 2 shown]
	s_cbranch_vccnz .LBB165_52
; %bb.51:
	v_mul_hi_u32 v3, s24, v1
	v_add_u32_e32 v3, v1, v3
	v_lshrrev_b32_e32 v3, s25, v3
	v_mul_lo_u32 v3, v3, s15
	v_sub_u32_e32 v3, v1, v3
	v_mad_u64_u32 v[0:1], s[8:9], v3, s11, v[0:1]
	v_mad_u64_u32 v[4:5], s[8:9], v3, s22, v[4:5]
	;; [unrolled: 1-line block ×3, first 2 shown]
.LBB165_52:
	s_waitcnt lgkmcnt(0)
	global_load_dword v1, v4, s[2:3]
	global_load_dword v3, v2, s[4:5]
	v_mov_b32_e32 v2, s7
	s_waitcnt vmcnt(1)
	v_cmp_nge_f32_e32 vcc, s6, v1
	s_waitcnt vmcnt(0)
	v_cndmask_b32_e32 v1, v2, v3, vcc
	global_store_dword v0, v1, s[0:1]
.LBB165_53:
	s_or_b64 exec, exec, s[30:31]
                                        ; implicit-def: $vgpr21
                                        ; implicit-def: $vgpr11
.LBB165_54:
	s_waitcnt lgkmcnt(0)
	s_andn2_saveexec_b64 s[0:1], s[20:21]
	s_cbranch_execz .LBB165_61
; %bb.55:
	v_cndmask_b32_e64 v0, 0, 1, s[18:19]
	v_cmp_ne_u32_e64 s[0:1], 1, v0
	s_andn2_b64 vcc, exec, s[18:19]
	s_cbranch_vccnz .LBB165_62
; %bb.56:
	s_cmp_lg_u32 s33, 0
	s_cbranch_scc0 .LBB165_63
; %bb.57:
	s_min_u32 s4, s36, 15
	s_add_i32 s2, s4, 1
	s_and_b32 s5, s2, 30
	s_add_u32 s2, s16, 0xffffffe8
	s_addc_u32 s3, s17, -1
	v_mov_b32_e32 v2, 0
	v_mov_b32_e32 v4, 0
	;; [unrolled: 1-line block ×4, first 2 shown]
.LBB165_58:                             ; =>This Inner Loop Header: Depth=1
	s_load_dwordx4 s[8:11], s[2:3], 0x1c
	s_load_dwordx2 s[6:7], s[2:3], 0x2c
	s_load_dwordx2 s[18:19], s[2:3], 0xec
	s_load_dwordx4 s[12:15], s[2:3], 0xdc
	s_add_u32 s2, s2, 24
	s_waitcnt lgkmcnt(0)
	v_mul_hi_u32 v3, s9, v1
	s_addc_u32 s3, s3, 0
	s_add_i32 s5, s5, -2
	s_cmp_lg_u32 s5, 0
	v_add_u32_e32 v3, v1, v3
	v_lshrrev_b32_e32 v3, s10, v3
	v_mul_lo_u32 v5, v3, s8
	v_mul_hi_u32 v6, s6, v3
	v_sub_u32_e32 v5, v1, v5
	v_add_u32_e32 v1, v3, v6
	v_lshrrev_b32_e32 v1, s7, v1
	v_mul_lo_u32 v8, v1, s11
	v_mul_lo_u32 v6, v5, s12
	;; [unrolled: 1-line block ×4, first 2 shown]
	v_sub_u32_e32 v3, v3, v8
	v_mul_lo_u32 v8, v3, s15
	v_mul_lo_u32 v9, v3, s18
	;; [unrolled: 1-line block ×3, first 2 shown]
	v_add3_u32 v0, v6, v0, v8
	v_add3_u32 v4, v7, v4, v9
	;; [unrolled: 1-line block ×3, first 2 shown]
	s_cbranch_scc1 .LBB165_58
; %bb.59:
	s_bitcmp1_b32 s4, 0
	s_cselect_b64 s[4:5], -1, 0
	s_and_b64 vcc, exec, s[4:5]
	s_cbranch_vccnz .LBB165_64
; %bb.60:
	s_load_dwordx2 s[4:5], s[2:3], 0x1c
	s_load_dword s8, s[2:3], 0x24
	s_load_dwordx2 s[6:7], s[2:3], 0xdc
	s_waitcnt lgkmcnt(0)
	v_mul_hi_u32 v3, s5, v1
	v_add_u32_e32 v3, v1, v3
	v_lshrrev_b32_e32 v3, s8, v3
	v_mul_lo_u32 v3, v3, s4
	s_load_dword s4, s[2:3], 0xe4
	v_sub_u32_e32 v3, v1, v3
	v_mad_u64_u32 v[0:1], s[2:3], v3, s6, v[0:1]
	v_mad_u64_u32 v[4:5], s[2:3], v3, s7, v[4:5]
	s_waitcnt lgkmcnt(0)
	v_mad_u64_u32 v[2:3], s[2:3], v3, s4, v[2:3]
	s_cbranch_execz .LBB165_65
	s_branch .LBB165_67
.LBB165_61:
	s_endpgm
.LBB165_62:
                                        ; implicit-def: $vgpr0
                                        ; implicit-def: $vgpr4
                                        ; implicit-def: $vgpr2
	s_branch .LBB165_65
.LBB165_63:
	v_mov_b32_e32 v0, 0
	v_mov_b32_e32 v4, 0
	v_mov_b32_e32 v2, 0
.LBB165_64:
	s_cbranch_execnz .LBB165_67
.LBB165_65:
	s_load_dwordx4 s[4:7], s[16:17], 0x4
	s_load_dwordx4 s[8:11], s[16:17], 0xc4
	s_cmp_lt_u32 s33, 2
	s_waitcnt lgkmcnt(0)
	v_mul_hi_u32 v0, s5, v11
	v_add_u32_e32 v0, v11, v0
	v_lshrrev_b32_e32 v1, s6, v0
	v_mul_lo_u32 v0, v1, s4
	v_sub_u32_e32 v2, v11, v0
	v_mul_lo_u32 v0, v2, s8
	v_mul_lo_u32 v4, v2, s9
	;; [unrolled: 1-line block ×3, first 2 shown]
	s_cbranch_scc1 .LBB165_67
; %bb.66:
	s_load_dwordx4 s[4:7], s[16:17], 0x10
	s_load_dwordx4 s[8:11], s[16:17], 0xd0
	s_waitcnt lgkmcnt(0)
	v_mul_hi_u32 v3, s5, v1
	v_add_u32_e32 v3, v1, v3
	v_lshrrev_b32_e32 v3, s6, v3
	v_mul_lo_u32 v3, v3, s4
	v_sub_u32_e32 v3, v1, v3
	v_mad_u64_u32 v[0:1], s[2:3], v3, s8, v[0:1]
	v_mad_u64_u32 v[4:5], s[2:3], v3, s9, v[4:5]
	;; [unrolled: 1-line block ×3, first 2 shown]
.LBB165_67:
	s_and_b64 vcc, exec, s[0:1]
	v_add_u32_e32 v1, 0x80, v11
	s_cbranch_vccnz .LBB165_73
; %bb.68:
	s_cmp_lg_u32 s33, 0
	s_cbranch_scc0 .LBB165_74
; %bb.69:
	s_min_u32 s4, s36, 15
	s_add_i32 s2, s4, 1
	s_and_b32 s5, s2, 30
	s_add_u32 s2, s16, 0xffffffe8
	s_addc_u32 s3, s17, -1
	v_mov_b32_e32 v7, 0
	v_mov_b32_e32 v9, 0
	;; [unrolled: 1-line block ×4, first 2 shown]
.LBB165_70:                             ; =>This Inner Loop Header: Depth=1
	s_load_dwordx4 s[8:11], s[2:3], 0x1c
	s_load_dwordx2 s[6:7], s[2:3], 0x2c
	s_load_dwordx2 s[18:19], s[2:3], 0xec
	s_load_dwordx4 s[12:15], s[2:3], 0xdc
	s_add_u32 s2, s2, 24
	s_waitcnt lgkmcnt(0)
	v_mul_hi_u32 v6, s9, v3
	s_addc_u32 s3, s3, 0
	s_add_i32 s5, s5, -2
	s_cmp_lg_u32 s5, 0
	v_add_u32_e32 v6, v3, v6
	v_lshrrev_b32_e32 v6, s10, v6
	v_mul_lo_u32 v8, v6, s8
	v_mul_hi_u32 v10, s6, v6
	v_sub_u32_e32 v8, v3, v8
	v_add_u32_e32 v3, v6, v10
	v_lshrrev_b32_e32 v3, s7, v3
	v_mul_lo_u32 v13, v3, s11
	v_mul_lo_u32 v10, v8, s12
	;; [unrolled: 1-line block ×4, first 2 shown]
	v_sub_u32_e32 v6, v6, v13
	v_mul_lo_u32 v13, v6, s15
	v_mul_lo_u32 v14, v6, s18
	v_mul_lo_u32 v6, v6, s19
	v_add3_u32 v5, v10, v5, v13
	v_add3_u32 v9, v12, v9, v14
	;; [unrolled: 1-line block ×3, first 2 shown]
	s_cbranch_scc1 .LBB165_70
; %bb.71:
	s_bitcmp1_b32 s4, 0
	s_cselect_b64 s[4:5], -1, 0
	s_and_b64 vcc, exec, s[4:5]
	s_cbranch_vccnz .LBB165_75
; %bb.72:
	s_load_dwordx2 s[4:5], s[2:3], 0x1c
	s_load_dword s8, s[2:3], 0x24
	s_load_dwordx2 s[6:7], s[2:3], 0xdc
	s_waitcnt lgkmcnt(0)
	v_mul_hi_u32 v6, s5, v3
	v_add_u32_e32 v6, v3, v6
	v_lshrrev_b32_e32 v6, s8, v6
	v_mul_lo_u32 v6, v6, s4
	s_load_dword s4, s[2:3], 0xe4
	v_sub_u32_e32 v3, v3, v6
	v_mad_u64_u32 v[5:6], s[2:3], v3, s6, v[5:6]
	v_mad_u64_u32 v[9:10], s[2:3], v3, s7, v[9:10]
	s_waitcnt lgkmcnt(0)
	v_mad_u64_u32 v[7:8], s[2:3], v3, s4, v[7:8]
	s_cbranch_execz .LBB165_76
	s_branch .LBB165_78
.LBB165_73:
                                        ; implicit-def: $vgpr5
                                        ; implicit-def: $vgpr9
                                        ; implicit-def: $vgpr7
	s_branch .LBB165_76
.LBB165_74:
	v_mov_b32_e32 v5, 0
	v_mov_b32_e32 v9, 0
	;; [unrolled: 1-line block ×3, first 2 shown]
.LBB165_75:
	s_cbranch_execnz .LBB165_78
.LBB165_76:
	s_load_dwordx4 s[4:7], s[16:17], 0x4
	s_load_dwordx4 s[8:11], s[16:17], 0xc4
	s_cmp_lt_u32 s33, 2
	s_waitcnt lgkmcnt(0)
	v_mul_hi_u32 v3, s5, v1
	v_add_u32_e32 v3, v1, v3
	v_lshrrev_b32_e32 v3, s6, v3
	v_mul_lo_u32 v5, v3, s4
	v_sub_u32_e32 v1, v1, v5
	v_mul_lo_u32 v5, v1, s8
	v_mul_lo_u32 v9, v1, s9
	v_mul_lo_u32 v7, v1, s10
	s_cbranch_scc1 .LBB165_78
; %bb.77:
	s_load_dwordx4 s[4:7], s[16:17], 0x10
	s_load_dwordx4 s[8:11], s[16:17], 0xd0
	s_waitcnt lgkmcnt(0)
	v_mul_hi_u32 v1, s5, v3
	v_add_u32_e32 v1, v3, v1
	v_lshrrev_b32_e32 v1, s6, v1
	v_mul_lo_u32 v1, v1, s4
	v_sub_u32_e32 v1, v3, v1
	v_mad_u64_u32 v[5:6], s[2:3], v1, s8, v[5:6]
	v_mad_u64_u32 v[9:10], s[2:3], v1, s9, v[9:10]
	;; [unrolled: 1-line block ×3, first 2 shown]
.LBB165_78:
	s_and_b64 vcc, exec, s[0:1]
	v_add_u32_e32 v1, 0x100, v11
	s_cbranch_vccnz .LBB165_84
; %bb.79:
	s_cmp_lg_u32 s33, 0
	s_cbranch_scc0 .LBB165_85
; %bb.80:
	s_min_u32 s4, s36, 15
	s_add_i32 s2, s4, 1
	s_and_b32 s5, s2, 30
	s_add_u32 s2, s16, 0xffffffe8
	s_addc_u32 s3, s17, -1
	v_mov_b32_e32 v12, 0
	v_mov_b32_e32 v14, 0
	;; [unrolled: 1-line block ×4, first 2 shown]
.LBB165_81:                             ; =>This Inner Loop Header: Depth=1
	s_load_dwordx4 s[8:11], s[2:3], 0x1c
	s_load_dwordx2 s[6:7], s[2:3], 0x2c
	s_load_dwordx2 s[18:19], s[2:3], 0xec
	s_load_dwordx4 s[12:15], s[2:3], 0xdc
	s_add_u32 s2, s2, 24
	s_waitcnt lgkmcnt(0)
	v_mul_hi_u32 v6, s9, v3
	s_addc_u32 s3, s3, 0
	s_add_i32 s5, s5, -2
	s_cmp_lg_u32 s5, 0
	v_add_u32_e32 v6, v3, v6
	v_lshrrev_b32_e32 v6, s10, v6
	v_mul_lo_u32 v8, v6, s8
	v_mul_hi_u32 v11, s6, v6
	v_sub_u32_e32 v8, v3, v8
	v_add_u32_e32 v3, v6, v11
	v_lshrrev_b32_e32 v3, s7, v3
	v_mul_lo_u32 v15, v3, s11
	v_mul_lo_u32 v11, v8, s12
	;; [unrolled: 1-line block ×4, first 2 shown]
	v_sub_u32_e32 v6, v6, v15
	v_mul_lo_u32 v15, v6, s15
	v_mul_lo_u32 v16, v6, s18
	;; [unrolled: 1-line block ×3, first 2 shown]
	v_add3_u32 v10, v11, v10, v15
	v_add3_u32 v14, v13, v14, v16
	;; [unrolled: 1-line block ×3, first 2 shown]
	s_cbranch_scc1 .LBB165_81
; %bb.82:
	s_bitcmp1_b32 s4, 0
	s_cselect_b64 s[4:5], -1, 0
	s_and_b64 vcc, exec, s[4:5]
	s_cbranch_vccnz .LBB165_86
; %bb.83:
	s_load_dwordx2 s[4:5], s[2:3], 0x1c
	s_load_dword s8, s[2:3], 0x24
	s_load_dwordx2 s[6:7], s[2:3], 0xdc
	s_waitcnt lgkmcnt(0)
	v_mul_hi_u32 v6, s5, v3
	v_add_u32_e32 v6, v3, v6
	v_lshrrev_b32_e32 v6, s8, v6
	v_mul_lo_u32 v6, v6, s4
	s_load_dword s4, s[2:3], 0xe4
	v_sub_u32_e32 v3, v3, v6
	v_mad_u64_u32 v[10:11], s[2:3], v3, s6, v[10:11]
	v_mad_u64_u32 v[14:15], s[2:3], v3, s7, v[14:15]
	s_waitcnt lgkmcnt(0)
	v_mad_u64_u32 v[12:13], s[2:3], v3, s4, v[12:13]
	s_cbranch_execz .LBB165_87
	s_branch .LBB165_89
.LBB165_84:
                                        ; implicit-def: $vgpr10
                                        ; implicit-def: $vgpr14
                                        ; implicit-def: $vgpr12
	s_branch .LBB165_87
.LBB165_85:
	v_mov_b32_e32 v10, 0
	v_mov_b32_e32 v14, 0
	;; [unrolled: 1-line block ×3, first 2 shown]
.LBB165_86:
	s_cbranch_execnz .LBB165_89
.LBB165_87:
	s_load_dwordx4 s[4:7], s[16:17], 0x4
	s_load_dwordx4 s[8:11], s[16:17], 0xc4
	s_cmp_lt_u32 s33, 2
	s_waitcnt lgkmcnt(0)
	v_mul_hi_u32 v3, s5, v1
	v_add_u32_e32 v3, v1, v3
	v_lshrrev_b32_e32 v3, s6, v3
	v_mul_lo_u32 v6, v3, s4
	v_sub_u32_e32 v1, v1, v6
	v_mul_lo_u32 v10, v1, s8
	v_mul_lo_u32 v14, v1, s9
	;; [unrolled: 1-line block ×3, first 2 shown]
	s_cbranch_scc1 .LBB165_89
; %bb.88:
	s_load_dwordx4 s[4:7], s[16:17], 0x10
	s_load_dwordx4 s[8:11], s[16:17], 0xd0
	s_waitcnt lgkmcnt(0)
	v_mul_hi_u32 v1, s5, v3
	v_add_u32_e32 v1, v3, v1
	v_lshrrev_b32_e32 v1, s6, v1
	v_mul_lo_u32 v1, v1, s4
	v_sub_u32_e32 v1, v3, v1
	v_mad_u64_u32 v[10:11], s[2:3], v1, s8, v[10:11]
	v_mad_u64_u32 v[14:15], s[2:3], v1, s9, v[14:15]
	;; [unrolled: 1-line block ×3, first 2 shown]
.LBB165_89:
	s_and_b64 vcc, exec, s[0:1]
	s_cbranch_vccnz .LBB165_95
; %bb.90:
	s_cmp_lg_u32 s33, 0
	s_cbranch_scc0 .LBB165_96
; %bb.91:
	s_min_u32 s2, s36, 15
	s_add_i32 s0, s2, 1
	s_and_b32 s3, s0, 30
	s_add_u32 s0, s16, 0xffffffe8
	s_addc_u32 s1, s17, -1
	v_mov_b32_e32 v17, 0
	v_mov_b32_e32 v19, 0
	;; [unrolled: 1-line block ×4, first 2 shown]
.LBB165_92:                             ; =>This Inner Loop Header: Depth=1
	s_load_dwordx4 s[4:7], s[0:1], 0x1c
	s_load_dwordx2 s[12:13], s[0:1], 0x2c
	s_load_dwordx2 s[14:15], s[0:1], 0xec
	s_load_dwordx4 s[8:11], s[0:1], 0xdc
	s_add_u32 s0, s0, 24
	s_waitcnt lgkmcnt(0)
	v_mul_hi_u32 v3, s5, v1
	s_addc_u32 s1, s1, 0
	s_add_i32 s3, s3, -2
	s_cmp_lg_u32 s3, 0
	v_add_u32_e32 v3, v1, v3
	v_lshrrev_b32_e32 v3, s6, v3
	v_mul_lo_u32 v6, v3, s4
	v_mul_hi_u32 v8, s12, v3
	v_sub_u32_e32 v6, v1, v6
	v_add_u32_e32 v1, v3, v8
	v_lshrrev_b32_e32 v1, s13, v1
	v_mul_lo_u32 v13, v1, s7
	v_mul_lo_u32 v8, v6, s8
	;; [unrolled: 1-line block ×4, first 2 shown]
	v_sub_u32_e32 v3, v3, v13
	v_mul_lo_u32 v13, v3, s11
	v_mul_lo_u32 v16, v3, s14
	;; [unrolled: 1-line block ×3, first 2 shown]
	v_add3_u32 v15, v8, v15, v13
	v_add3_u32 v19, v11, v19, v16
	;; [unrolled: 1-line block ×3, first 2 shown]
	s_cbranch_scc1 .LBB165_92
; %bb.93:
	s_bitcmp1_b32 s2, 0
	s_cselect_b64 s[2:3], -1, 0
	s_and_b64 vcc, exec, s[2:3]
	s_cbranch_vccnz .LBB165_97
; %bb.94:
	s_load_dwordx2 s[2:3], s[0:1], 0x1c
	s_load_dword s6, s[0:1], 0x24
	s_load_dwordx2 s[4:5], s[0:1], 0xdc
	s_waitcnt lgkmcnt(0)
	v_mul_hi_u32 v3, s3, v1
	v_add_u32_e32 v3, v1, v3
	v_lshrrev_b32_e32 v3, s6, v3
	v_mul_lo_u32 v3, v3, s2
	s_load_dword s2, s[0:1], 0xe4
	v_sub_u32_e32 v1, v1, v3
	v_mad_u64_u32 v[15:16], s[0:1], v1, s4, v[15:16]
	v_mad_u64_u32 v[19:20], s[0:1], v1, s5, v[19:20]
	s_waitcnt lgkmcnt(0)
	v_mad_u64_u32 v[17:18], s[0:1], v1, s2, v[17:18]
	s_cbranch_execz .LBB165_98
	s_branch .LBB165_100
.LBB165_95:
                                        ; implicit-def: $vgpr15
                                        ; implicit-def: $vgpr19
                                        ; implicit-def: $vgpr17
	s_branch .LBB165_98
.LBB165_96:
	v_mov_b32_e32 v15, 0
	v_mov_b32_e32 v19, 0
	;; [unrolled: 1-line block ×3, first 2 shown]
.LBB165_97:
	s_cbranch_execnz .LBB165_100
.LBB165_98:
	s_load_dwordx4 s[0:3], s[16:17], 0x4
	s_load_dwordx4 s[4:7], s[16:17], 0xc4
	s_cmp_lt_u32 s33, 2
	s_waitcnt lgkmcnt(0)
	v_mul_hi_u32 v1, s1, v21
	v_add_u32_e32 v1, v21, v1
	v_lshrrev_b32_e32 v1, s2, v1
	v_mul_lo_u32 v3, v1, s0
	v_sub_u32_e32 v3, v21, v3
	v_mul_lo_u32 v15, v3, s4
	v_mul_lo_u32 v19, v3, s5
	;; [unrolled: 1-line block ×3, first 2 shown]
	s_cbranch_scc1 .LBB165_100
; %bb.99:
	s_load_dwordx4 s[0:3], s[16:17], 0x10
	s_load_dwordx4 s[4:7], s[16:17], 0xd0
	s_waitcnt lgkmcnt(0)
	v_mul_hi_u32 v3, s1, v1
	v_add_u32_e32 v3, v1, v3
	v_lshrrev_b32_e32 v3, s2, v3
	v_mul_lo_u32 v3, v3, s0
	v_sub_u32_e32 v1, v1, v3
	v_mad_u64_u32 v[15:16], s[0:1], v1, s4, v[15:16]
	v_mad_u64_u32 v[19:20], s[0:1], v1, s5, v[19:20]
	v_mad_u64_u32 v[17:18], s[0:1], v1, s6, v[17:18]
.LBB165_100:
	s_load_dwordx8 s[0:7], s[16:17], 0x188
	s_waitcnt lgkmcnt(0)
	global_load_dword v1, v4, s[2:3]
	global_load_dword v3, v2, s[4:5]
	global_load_dword v6, v9, s[2:3]
	global_load_dword v8, v7, s[4:5]
	global_load_dword v11, v14, s[2:3]
	global_load_dword v13, v12, s[4:5]
	global_load_dword v16, v19, s[2:3]
	global_load_dword v18, v17, s[4:5]
	v_mov_b32_e32 v2, s7
	s_waitcnt vmcnt(7)
	v_cmp_nge_f32_e32 vcc, s6, v1
	s_waitcnt vmcnt(6)
	v_cndmask_b32_e32 v1, v2, v3, vcc
	s_waitcnt vmcnt(5)
	v_cmp_nge_f32_e32 vcc, s6, v6
	s_waitcnt vmcnt(4)
	v_cndmask_b32_e32 v3, v2, v8, vcc
	;; [unrolled: 4-line block ×4, first 2 shown]
	global_store_dword v0, v1, s[0:1]
	global_store_dword v5, v3, s[0:1]
	;; [unrolled: 1-line block ×4, first 2 shown]
	s_endpgm
	.section	.rodata,"a",@progbits
	.p2align	6, 0x0
	.amdhsa_kernel _ZN2at6native32elementwise_kernel_manual_unrollILi128ELi4EZNS0_22gpu_kernel_impl_nocastINS0_13BinaryFunctorIfffZNS0_12_GLOBAL__N_121threshold_kernel_implIfEEvRNS_18TensorIteratorBaseET_S8_EUlffE_EEEEvS7_RKS8_EUlibE_EEviT1_
		.amdhsa_group_segment_fixed_size 0
		.amdhsa_private_segment_fixed_size 0
		.amdhsa_kernarg_size 432
		.amdhsa_user_sgpr_count 6
		.amdhsa_user_sgpr_private_segment_buffer 1
		.amdhsa_user_sgpr_dispatch_ptr 0
		.amdhsa_user_sgpr_queue_ptr 0
		.amdhsa_user_sgpr_kernarg_segment_ptr 1
		.amdhsa_user_sgpr_dispatch_id 0
		.amdhsa_user_sgpr_flat_scratch_init 0
		.amdhsa_user_sgpr_private_segment_size 0
		.amdhsa_uses_dynamic_stack 0
		.amdhsa_system_sgpr_private_segment_wavefront_offset 0
		.amdhsa_system_sgpr_workgroup_id_x 1
		.amdhsa_system_sgpr_workgroup_id_y 0
		.amdhsa_system_sgpr_workgroup_id_z 0
		.amdhsa_system_sgpr_workgroup_info 0
		.amdhsa_system_vgpr_workitem_id 0
		.amdhsa_next_free_vgpr 22
		.amdhsa_next_free_sgpr 52
		.amdhsa_reserve_vcc 1
		.amdhsa_reserve_flat_scratch 0
		.amdhsa_float_round_mode_32 0
		.amdhsa_float_round_mode_16_64 0
		.amdhsa_float_denorm_mode_32 3
		.amdhsa_float_denorm_mode_16_64 3
		.amdhsa_dx10_clamp 1
		.amdhsa_ieee_mode 1
		.amdhsa_fp16_overflow 0
		.amdhsa_exception_fp_ieee_invalid_op 0
		.amdhsa_exception_fp_denorm_src 0
		.amdhsa_exception_fp_ieee_div_zero 0
		.amdhsa_exception_fp_ieee_overflow 0
		.amdhsa_exception_fp_ieee_underflow 0
		.amdhsa_exception_fp_ieee_inexact 0
		.amdhsa_exception_int_div_zero 0
	.end_amdhsa_kernel
	.section	.text._ZN2at6native32elementwise_kernel_manual_unrollILi128ELi4EZNS0_22gpu_kernel_impl_nocastINS0_13BinaryFunctorIfffZNS0_12_GLOBAL__N_121threshold_kernel_implIfEEvRNS_18TensorIteratorBaseET_S8_EUlffE_EEEEvS7_RKS8_EUlibE_EEviT1_,"axG",@progbits,_ZN2at6native32elementwise_kernel_manual_unrollILi128ELi4EZNS0_22gpu_kernel_impl_nocastINS0_13BinaryFunctorIfffZNS0_12_GLOBAL__N_121threshold_kernel_implIfEEvRNS_18TensorIteratorBaseET_S8_EUlffE_EEEEvS7_RKS8_EUlibE_EEviT1_,comdat
.Lfunc_end165:
	.size	_ZN2at6native32elementwise_kernel_manual_unrollILi128ELi4EZNS0_22gpu_kernel_impl_nocastINS0_13BinaryFunctorIfffZNS0_12_GLOBAL__N_121threshold_kernel_implIfEEvRNS_18TensorIteratorBaseET_S8_EUlffE_EEEEvS7_RKS8_EUlibE_EEviT1_, .Lfunc_end165-_ZN2at6native32elementwise_kernel_manual_unrollILi128ELi4EZNS0_22gpu_kernel_impl_nocastINS0_13BinaryFunctorIfffZNS0_12_GLOBAL__N_121threshold_kernel_implIfEEvRNS_18TensorIteratorBaseET_S8_EUlffE_EEEEvS7_RKS8_EUlibE_EEviT1_
                                        ; -- End function
	.set _ZN2at6native32elementwise_kernel_manual_unrollILi128ELi4EZNS0_22gpu_kernel_impl_nocastINS0_13BinaryFunctorIfffZNS0_12_GLOBAL__N_121threshold_kernel_implIfEEvRNS_18TensorIteratorBaseET_S8_EUlffE_EEEEvS7_RKS8_EUlibE_EEviT1_.num_vgpr, 22
	.set _ZN2at6native32elementwise_kernel_manual_unrollILi128ELi4EZNS0_22gpu_kernel_impl_nocastINS0_13BinaryFunctorIfffZNS0_12_GLOBAL__N_121threshold_kernel_implIfEEvRNS_18TensorIteratorBaseET_S8_EUlffE_EEEEvS7_RKS8_EUlibE_EEviT1_.num_agpr, 0
	.set _ZN2at6native32elementwise_kernel_manual_unrollILi128ELi4EZNS0_22gpu_kernel_impl_nocastINS0_13BinaryFunctorIfffZNS0_12_GLOBAL__N_121threshold_kernel_implIfEEvRNS_18TensorIteratorBaseET_S8_EUlffE_EEEEvS7_RKS8_EUlibE_EEviT1_.numbered_sgpr, 52
	.set _ZN2at6native32elementwise_kernel_manual_unrollILi128ELi4EZNS0_22gpu_kernel_impl_nocastINS0_13BinaryFunctorIfffZNS0_12_GLOBAL__N_121threshold_kernel_implIfEEvRNS_18TensorIteratorBaseET_S8_EUlffE_EEEEvS7_RKS8_EUlibE_EEviT1_.num_named_barrier, 0
	.set _ZN2at6native32elementwise_kernel_manual_unrollILi128ELi4EZNS0_22gpu_kernel_impl_nocastINS0_13BinaryFunctorIfffZNS0_12_GLOBAL__N_121threshold_kernel_implIfEEvRNS_18TensorIteratorBaseET_S8_EUlffE_EEEEvS7_RKS8_EUlibE_EEviT1_.private_seg_size, 0
	.set _ZN2at6native32elementwise_kernel_manual_unrollILi128ELi4EZNS0_22gpu_kernel_impl_nocastINS0_13BinaryFunctorIfffZNS0_12_GLOBAL__N_121threshold_kernel_implIfEEvRNS_18TensorIteratorBaseET_S8_EUlffE_EEEEvS7_RKS8_EUlibE_EEviT1_.uses_vcc, 1
	.set _ZN2at6native32elementwise_kernel_manual_unrollILi128ELi4EZNS0_22gpu_kernel_impl_nocastINS0_13BinaryFunctorIfffZNS0_12_GLOBAL__N_121threshold_kernel_implIfEEvRNS_18TensorIteratorBaseET_S8_EUlffE_EEEEvS7_RKS8_EUlibE_EEviT1_.uses_flat_scratch, 0
	.set _ZN2at6native32elementwise_kernel_manual_unrollILi128ELi4EZNS0_22gpu_kernel_impl_nocastINS0_13BinaryFunctorIfffZNS0_12_GLOBAL__N_121threshold_kernel_implIfEEvRNS_18TensorIteratorBaseET_S8_EUlffE_EEEEvS7_RKS8_EUlibE_EEviT1_.has_dyn_sized_stack, 0
	.set _ZN2at6native32elementwise_kernel_manual_unrollILi128ELi4EZNS0_22gpu_kernel_impl_nocastINS0_13BinaryFunctorIfffZNS0_12_GLOBAL__N_121threshold_kernel_implIfEEvRNS_18TensorIteratorBaseET_S8_EUlffE_EEEEvS7_RKS8_EUlibE_EEviT1_.has_recursion, 0
	.set _ZN2at6native32elementwise_kernel_manual_unrollILi128ELi4EZNS0_22gpu_kernel_impl_nocastINS0_13BinaryFunctorIfffZNS0_12_GLOBAL__N_121threshold_kernel_implIfEEvRNS_18TensorIteratorBaseET_S8_EUlffE_EEEEvS7_RKS8_EUlibE_EEviT1_.has_indirect_call, 0
	.section	.AMDGPU.csdata,"",@progbits
; Kernel info:
; codeLenInByte = 4744
; TotalNumSgprs: 56
; NumVgprs: 22
; ScratchSize: 0
; MemoryBound: 0
; FloatMode: 240
; IeeeMode: 1
; LDSByteSize: 0 bytes/workgroup (compile time only)
; SGPRBlocks: 6
; VGPRBlocks: 5
; NumSGPRsForWavesPerEU: 56
; NumVGPRsForWavesPerEU: 22
; Occupancy: 10
; WaveLimiterHint : 1
; COMPUTE_PGM_RSRC2:SCRATCH_EN: 0
; COMPUTE_PGM_RSRC2:USER_SGPR: 6
; COMPUTE_PGM_RSRC2:TRAP_HANDLER: 0
; COMPUTE_PGM_RSRC2:TGID_X_EN: 1
; COMPUTE_PGM_RSRC2:TGID_Y_EN: 0
; COMPUTE_PGM_RSRC2:TGID_Z_EN: 0
; COMPUTE_PGM_RSRC2:TIDIG_COMP_CNT: 0
	.text
	.p2align	2                               ; -- Begin function _ZN2at6native25elementwise_kernel_helperILb1ENS0_13BinaryFunctorIfffZNS0_12_GLOBAL__N_121threshold_kernel_implIfEEvRNS_18TensorIteratorBaseET_S7_EUlffE_EENS0_6memory8policies11unroll_baseILi512ESt5arrayIPcLm3EE23TrivialOffsetCalculatorILi2EjESG_ILi1EjENSA_12LoadWithCastILi2EEENSA_13StoreWithCastILi1EEELi32ELi1EEEEEvT0_T1_
	.type	_ZN2at6native25elementwise_kernel_helperILb1ENS0_13BinaryFunctorIfffZNS0_12_GLOBAL__N_121threshold_kernel_implIfEEvRNS_18TensorIteratorBaseET_S7_EUlffE_EENS0_6memory8policies11unroll_baseILi512ESt5arrayIPcLm3EE23TrivialOffsetCalculatorILi2EjESG_ILi1EjENSA_12LoadWithCastILi2EEENSA_13StoreWithCastILi1EEELi32ELi1EEEEEvT0_T1_,@function
_ZN2at6native25elementwise_kernel_helperILb1ENS0_13BinaryFunctorIfffZNS0_12_GLOBAL__N_121threshold_kernel_implIfEEvRNS_18TensorIteratorBaseET_S7_EUlffE_EENS0_6memory8policies11unroll_baseILi512ESt5arrayIPcLm3EE23TrivialOffsetCalculatorILi2EjESG_ILi1EjENSA_12LoadWithCastILi2EEENSA_13StoreWithCastILi1EEELi32ELi1EEEEEvT0_T1_: ; @_ZN2at6native25elementwise_kernel_helperILb1ENS0_13BinaryFunctorIfffZNS0_12_GLOBAL__N_121threshold_kernel_implIfEEvRNS_18TensorIteratorBaseET_S7_EUlffE_EENS0_6memory8policies11unroll_baseILi512ESt5arrayIPcLm3EE23TrivialOffsetCalculatorILi2EjESG_ILi1EjENSA_12LoadWithCastILi2EEENSA_13StoreWithCastILi1EEELi32ELi1EEEEEvT0_T1_
; %bb.0:
	s_waitcnt vmcnt(0) expcnt(0) lgkmcnt(0)
	s_or_saveexec_b64 s[4:5], -1
	buffer_store_dword v40, off, s[0:3], s32 offset:256 ; 4-byte Folded Spill
	buffer_store_dword v41, off, s[0:3], s32 offset:260 ; 4-byte Folded Spill
	s_mov_b64 exec, s[4:5]
	v_writelane_b32 v40, s34, 0
	v_writelane_b32 v40, s35, 1
	;; [unrolled: 1-line block ×34, first 2 shown]
	s_load_dword s4, s[8:9], 0x10
	s_load_dword s6, s[8:9], 0x0
	s_mov_b32 s5, 0
                                        ; implicit-def: $vgpr41 : SGPR spill to VGPR lane
	v_and_b32_e32 v17, 0x3ff, v31
	v_writelane_b32 v41, s5, 0
	s_waitcnt lgkmcnt(0)
	s_lshr_b32 s4, s4, 16
	s_cmp_lg_u32 s4, 0
	s_cselect_b64 s[4:5], -1, 0
	s_not_b32 s7, s12
	s_cmp_lg_u64 s[4:5], 0
	s_addc_u32 s4, s6, s7
	s_lshl_b32 s4, s4, 14
	v_mov_b32_e32 v18, 0
	v_writelane_b32 v41, s4, 2
	s_mov_b64 s[4:5], 0
	v_mov_b32_e32 v19, 10
	v_mov_b32_e32 v20, 25
	;; [unrolled: 1-line block ×30, first 2 shown]
	buffer_store_dword v18, off, s[0:3], s32
	buffer_store_dword v18, off, s[0:3], s32 offset:4
	buffer_store_dword v18, off, s[0:3], s32 offset:8
	;; [unrolled: 1-line block ×63, first 2 shown]
                                        ; implicit-def: $sgpr6_sgpr7
                                        ; implicit-def: $sgpr8_sgpr9
                                        ; implicit-def: $sgpr10_sgpr11
                                        ; implicit-def: $sgpr12_sgpr13
	s_branch .LBB166_17
.LBB166_1:                              ;   in Loop: Header=BB166_17 Depth=1
	s_or_b64 exec, exec, vcc
	v_readlane_b32 vcc_lo, v41, 26
	v_readlane_b32 vcc_hi, v41, 27
	s_andn2_b64 vcc, vcc, exec
	s_and_b64 s[48:49], s[68:69], exec
	s_or_b64 vcc, vcc, s[48:49]
	v_writelane_b32 v41, vcc_lo, 26
	v_writelane_b32 v41, vcc_hi, 27
	v_readlane_b32 vcc_lo, v41, 28
	v_readlane_b32 vcc_hi, v41, 29
	s_andn2_b64 vcc, vcc, exec
	s_and_b64 s[48:49], s[54:55], exec
	s_or_b64 s[50:51], vcc, s[48:49]
	v_readlane_b32 vcc_lo, v41, 24
	v_readlane_b32 vcc_hi, v41, 25
	s_orn2_b64 vcc, vcc, exec
	v_writelane_b32 v41, vcc_lo, 24
	v_writelane_b32 v41, vcc_hi, 25
.LBB166_2:                              ;   in Loop: Header=BB166_17 Depth=1
	s_or_b64 exec, exec, s[96:97]
	v_readlane_b32 vcc_lo, v41, 22
	v_readlane_b32 s48, v41, 26
	v_readlane_b32 vcc_hi, v41, 23
	v_readlane_b32 s49, v41, 27
	s_andn2_b64 vcc, vcc, exec
	s_and_b64 s[48:49], s[48:49], exec
	s_or_b64 vcc, vcc, s[48:49]
	v_writelane_b32 v41, vcc_lo, 22
	v_writelane_b32 v41, vcc_hi, 23
	v_readlane_b32 vcc_lo, v41, 20
	v_readlane_b32 vcc_hi, v41, 21
	s_andn2_b64 vcc, vcc, exec
	s_and_b64 s[48:49], s[50:51], exec
	s_or_b64 vcc, vcc, s[48:49]
	v_writelane_b32 v41, vcc_lo, 20
	v_writelane_b32 v41, vcc_hi, 21
	v_readlane_b32 vcc_lo, v41, 24
	v_readlane_b32 vcc_hi, v41, 25
	s_orn2_b64 s[96:97], vcc, exec
.LBB166_3:                              ;   in Loop: Header=BB166_17 Depth=1
	s_or_b64 exec, exec, s[86:87]
	v_readlane_b32 vcc_lo, v41, 16
	v_readlane_b32 s48, v41, 22
	v_readlane_b32 vcc_hi, v41, 17
	v_readlane_b32 s49, v41, 23
	s_andn2_b64 vcc, vcc, exec
	s_and_b64 s[48:49], s[48:49], exec
	s_or_b64 vcc, vcc, s[48:49]
	v_writelane_b32 v41, vcc_lo, 16
	v_writelane_b32 v41, vcc_hi, 17
	v_readlane_b32 vcc_lo, v41, 18
	v_readlane_b32 s48, v41, 20
	v_readlane_b32 vcc_hi, v41, 19
	v_readlane_b32 s49, v41, 21
	s_andn2_b64 vcc, vcc, exec
	s_and_b64 s[48:49], s[48:49], exec
	s_or_b64 s[50:51], vcc, s[48:49]
	s_orn2_b64 s[82:83], s[96:97], exec
.LBB166_4:                              ;   in Loop: Header=BB166_17 Depth=1
	v_readlane_b32 vcc_lo, v41, 14
	v_readlane_b32 vcc_hi, v41, 15
	s_or_b64 exec, exec, vcc
	v_readlane_b32 vcc_lo, v41, 10
	v_readlane_b32 s48, v41, 16
	v_readlane_b32 vcc_hi, v41, 11
	v_readlane_b32 s49, v41, 17
	s_andn2_b64 vcc, vcc, exec
	s_and_b64 s[48:49], s[48:49], exec
	s_or_b64 vcc, vcc, s[48:49]
	v_writelane_b32 v41, vcc_lo, 10
	v_writelane_b32 v41, vcc_hi, 11
	v_readlane_b32 vcc_lo, v41, 12
	v_readlane_b32 vcc_hi, v41, 13
	s_andn2_b64 vcc, vcc, exec
	s_and_b64 s[48:49], s[50:51], exec
	s_or_b64 s[50:51], vcc, s[48:49]
	s_orn2_b64 s[68:69], s[82:83], exec
.LBB166_5:                              ;   in Loop: Header=BB166_17 Depth=1
	v_readlane_b32 vcc_lo, v41, 8
	v_readlane_b32 vcc_hi, v41, 9
	s_or_b64 exec, exec, vcc
	v_readlane_b32 vcc_lo, v41, 4
	v_readlane_b32 s48, v41, 10
	v_readlane_b32 vcc_hi, v41, 5
	v_readlane_b32 s49, v41, 11
	s_andn2_b64 vcc, vcc, exec
	s_and_b64 s[48:49], s[48:49], exec
	s_or_b64 vcc, vcc, s[48:49]
	v_writelane_b32 v41, vcc_lo, 4
	v_writelane_b32 v41, vcc_hi, 5
	v_readlane_b32 vcc_lo, v41, 6
	v_readlane_b32 vcc_hi, v41, 7
	s_andn2_b64 vcc, vcc, exec
	s_and_b64 s[48:49], s[50:51], exec
	s_or_b64 s[48:49], vcc, s[48:49]
	s_orn2_b64 s[54:55], s[68:69], exec
.LBB166_6:                              ;   in Loop: Header=BB166_17 Depth=1
	s_or_b64 exec, exec, s[52:53]
	s_andn2_b64 vcc, s[36:37], exec
	v_readlane_b32 s36, v41, 4
	v_readlane_b32 s37, v41, 5
	s_and_b64 s[36:37], s[36:37], exec
	s_or_b64 s[36:37], vcc, s[36:37]
	s_andn2_b64 vcc, s[34:35], exec
	s_and_b64 s[34:35], s[48:49], exec
	s_or_b64 s[34:35], vcc, s[34:35]
	s_orn2_b64 s[48:49], s[54:55], exec
.LBB166_7:                              ;   in Loop: Header=BB166_17 Depth=1
	s_or_b64 exec, exec, s[38:39]
	s_andn2_b64 s[94:95], s[94:95], exec
	s_and_b64 vcc, s[36:37], exec
	s_or_b64 s[94:95], s[94:95], vcc
	s_andn2_b64 s[92:93], s[92:93], exec
	s_and_b64 vcc, s[34:35], exec
	s_or_b64 s[92:93], s[92:93], vcc
	s_orn2_b64 s[34:35], s[48:49], exec
.LBB166_8:                              ;   in Loop: Header=BB166_17 Depth=1
	s_or_b64 exec, exec, s[30:31]
	s_andn2_b64 s[88:89], s[88:89], exec
	s_and_b64 s[94:95], s[94:95], exec
	s_andn2_b64 s[78:79], s[78:79], exec
	s_and_b64 s[92:93], s[92:93], exec
	s_or_b64 s[88:89], s[88:89], s[94:95]
	s_or_b64 s[78:79], s[78:79], s[92:93]
	s_orn2_b64 s[92:93], s[34:35], exec
.LBB166_9:                              ;   in Loop: Header=BB166_17 Depth=1
	s_or_b64 exec, exec, s[90:91]
	s_andn2_b64 s[74:75], s[74:75], exec
	s_and_b64 s[88:89], s[88:89], exec
	s_andn2_b64 s[72:73], s[72:73], exec
	s_and_b64 s[78:79], s[78:79], exec
	s_or_b64 s[74:75], s[74:75], s[88:89]
	s_or_b64 s[72:73], s[72:73], s[78:79]
	s_orn2_b64 s[78:79], s[92:93], exec
.LBB166_10:                             ;   in Loop: Header=BB166_17 Depth=1
	s_or_b64 exec, exec, s[76:77]
	s_andn2_b64 s[60:61], s[60:61], exec
	s_and_b64 s[74:75], s[74:75], exec
	s_andn2_b64 s[58:59], s[58:59], exec
	s_and_b64 s[72:73], s[72:73], exec
	s_or_b64 s[60:61], s[60:61], s[74:75]
	s_or_b64 s[58:59], s[58:59], s[72:73]
	s_orn2_b64 s[72:73], s[78:79], exec
.LBB166_11:                             ;   in Loop: Header=BB166_17 Depth=1
	s_or_b64 exec, exec, s[62:63]
	s_andn2_b64 s[46:47], s[46:47], exec
	s_and_b64 s[60:61], s[60:61], exec
	s_andn2_b64 s[44:45], s[44:45], exec
	s_and_b64 s[58:59], s[58:59], exec
	s_or_b64 s[46:47], s[46:47], s[60:61]
	s_or_b64 s[44:45], s[44:45], s[58:59]
	s_orn2_b64 s[58:59], s[72:73], exec
.LBB166_12:                             ;   in Loop: Header=BB166_17 Depth=1
	s_or_b64 exec, exec, s[56:57]
	s_andn2_b64 s[40:41], s[40:41], exec
	s_and_b64 s[46:47], s[46:47], exec
	s_andn2_b64 s[28:29], s[28:29], exec
	s_and_b64 s[44:45], s[44:45], exec
	s_or_b64 s[40:41], s[40:41], s[46:47]
	s_or_b64 s[28:29], s[28:29], s[44:45]
	s_orn2_b64 s[44:45], s[58:59], exec
.LBB166_13:                             ;   in Loop: Header=BB166_17 Depth=1
	s_or_b64 exec, exec, s[42:43]
	s_andn2_b64 s[24:25], s[24:25], exec
	s_and_b64 s[40:41], s[40:41], exec
	s_andn2_b64 s[22:23], s[22:23], exec
	s_and_b64 s[28:29], s[28:29], exec
	s_or_b64 s[24:25], s[24:25], s[40:41]
	s_or_b64 s[22:23], s[22:23], s[28:29]
	s_orn2_b64 s[28:29], s[44:45], exec
.LBB166_14:                             ;   in Loop: Header=BB166_17 Depth=1
	s_or_b64 exec, exec, s[26:27]
	s_andn2_b64 s[18:19], s[18:19], exec
	s_and_b64 s[24:25], s[24:25], exec
	s_andn2_b64 s[16:17], s[16:17], exec
	s_and_b64 s[22:23], s[22:23], exec
	s_or_b64 s[18:19], s[18:19], s[24:25]
	s_or_b64 s[16:17], s[16:17], s[22:23]
	s_orn2_b64 s[22:23], s[28:29], exec
.LBB166_15:                             ;   in Loop: Header=BB166_17 Depth=1
	s_or_b64 exec, exec, s[20:21]
	s_andn2_b64 s[12:13], s[12:13], exec
	s_and_b64 s[18:19], s[18:19], exec
	s_andn2_b64 s[10:11], s[10:11], exec
	s_and_b64 s[16:17], s[16:17], exec
	s_or_b64 s[12:13], s[12:13], s[18:19]
	s_or_b64 s[10:11], s[10:11], s[16:17]
	s_orn2_b64 s[16:17], s[22:23], exec
.LBB166_16:                             ;   in Loop: Header=BB166_17 Depth=1
	s_or_b64 exec, exec, s[14:15]
	s_and_b64 s[14:15], exec, s[16:17]
	s_or_b64 s[4:5], s[14:15], s[4:5]
	s_andn2_b64 s[8:9], s[8:9], exec
	s_and_b64 s[14:15], s[12:13], exec
	s_or_b64 s[8:9], s[8:9], s[14:15]
	s_andn2_b64 s[6:7], s[6:7], exec
	s_and_b64 s[14:15], s[10:11], exec
	s_or_b64 s[6:7], s[6:7], s[14:15]
	s_andn2_b64 exec, exec, s[4:5]
	s_cbranch_execz .LBB166_3650
.LBB166_17:                             ; =>This Inner Loop Header: Depth=1
	v_cmp_lt_i32_e32 vcc, v64, v8
	s_mov_b64 s[16:17], -1
	s_mov_b64 s[18:19], -1
                                        ; implicit-def: $sgpr22_sgpr23
                                        ; implicit-def: $sgpr24_sgpr25
	s_and_saveexec_b64 s[14:15], vcc
	s_cbranch_execz .LBB166_127
; %bb.18:                               ;   in Loop: Header=BB166_17 Depth=1
	v_readlane_b32 s18, v41, 2
	s_waitcnt vmcnt(0) lgkmcnt(0)
	v_add_u32_e32 v65, s18, v64
	v_mul_lo_u32 v15, v65, v11
	v_cmp_gt_i16_sdwa s[18:19], v9, v19 src0_sel:BYTE_0 src1_sel:DWORD
	s_mov_b64 s[20:21], 0
                                        ; implicit-def: $vgpr66
	v_add_co_u32_e32 v15, vcc, v4, v15
	v_addc_co_u32_e32 v16, vcc, 0, v5, vcc
	s_and_saveexec_b64 s[22:23], s[18:19]
	s_xor_b64 s[18:19], exec, s[22:23]
	s_cbranch_execz .LBB166_78
; %bb.19:                               ;   in Loop: Header=BB166_17 Depth=1
	v_cmp_gt_i16_sdwa s[20:21], v9, v20 src0_sel:BYTE_0 src1_sel:DWORD
	s_mov_b64 s[22:23], 0
                                        ; implicit-def: $vgpr66
	s_and_saveexec_b64 s[24:25], s[20:21]
	s_xor_b64 s[20:21], exec, s[24:25]
	s_cbranch_execz .LBB166_51
; %bb.20:                               ;   in Loop: Header=BB166_17 Depth=1
	v_cmp_gt_i16_sdwa s[24:25], v9, v21 src0_sel:BYTE_0 src1_sel:DWORD
                                        ; implicit-def: $vgpr66
	s_and_saveexec_b64 s[26:27], s[24:25]
	s_xor_b64 s[24:25], exec, s[26:27]
	s_cbranch_execz .LBB166_36
; %bb.21:                               ;   in Loop: Header=BB166_17 Depth=1
	v_cmp_gt_i16_sdwa s[22:23], v9, v22 src0_sel:BYTE_0 src1_sel:DWORD
	s_mov_b64 s[26:27], 0
                                        ; implicit-def: $vgpr66
	s_and_saveexec_b64 s[28:29], s[22:23]
	s_xor_b64 s[22:23], exec, s[28:29]
	s_cbranch_execz .LBB166_31
; %bb.22:                               ;   in Loop: Header=BB166_17 Depth=1
	v_cmp_gt_i16_sdwa s[28:29], v9, v23 src0_sel:BYTE_0 src1_sel:DWORD
                                        ; implicit-def: $vgpr66
	s_and_saveexec_b64 s[40:41], s[28:29]
	s_xor_b64 s[28:29], exec, s[40:41]
	s_cbranch_execz .LBB166_26
; %bb.23:                               ;   in Loop: Header=BB166_17 Depth=1
	v_cmp_eq_u16_sdwa s[42:43], v9, v24 src0_sel:BYTE_0 src1_sel:DWORD
                                        ; implicit-def: $vgpr66
	s_and_saveexec_b64 s[40:41], s[42:43]
	s_cbranch_execz .LBB166_25
; %bb.24:                               ;   in Loop: Header=BB166_17 Depth=1
	flat_load_dword v15, v[15:16]
	s_mov_b64 s[26:27], exec
	s_waitcnt vmcnt(0) lgkmcnt(0)
	v_lshlrev_b32_e32 v66, 16, v15
.LBB166_25:                             ;   in Loop: Header=BB166_17 Depth=1
	s_or_b64 exec, exec, s[40:41]
	s_and_b64 s[26:27], s[26:27], exec
                                        ; implicit-def: $vgpr15_vgpr16
.LBB166_26:                             ;   in Loop: Header=BB166_17 Depth=1
	s_andn2_saveexec_b64 s[28:29], s[28:29]
	s_cbranch_execz .LBB166_30
; %bb.27:                               ;   in Loop: Header=BB166_17 Depth=1
	v_cmp_eq_u16_sdwa s[44:45], v9, v25 src0_sel:BYTE_0 src1_sel:DWORD
	s_mov_b64 s[42:43], s[26:27]
                                        ; implicit-def: $vgpr66
	s_and_saveexec_b64 s[40:41], s[44:45]
	s_cbranch_execz .LBB166_29
; %bb.28:                               ;   in Loop: Header=BB166_17 Depth=1
	flat_load_ubyte v15, v[15:16]
	s_movk_i32 s42, 0xff
	s_waitcnt vmcnt(0) lgkmcnt(0)
	v_lshlrev_b32_e32 v16, 23, v15
	v_cmp_ne_u32_e32 vcc, s42, v15
	v_cndmask_b32_e32 v16, v26, v16, vcc
	v_cmp_ne_u32_e32 vcc, 0, v15
	v_cndmask_b32_e32 v66, v27, v16, vcc
	s_or_b64 s[42:43], s[26:27], exec
.LBB166_29:                             ;   in Loop: Header=BB166_17 Depth=1
	s_or_b64 exec, exec, s[40:41]
	s_andn2_b64 s[26:27], s[26:27], exec
	s_and_b64 s[40:41], s[42:43], exec
	s_or_b64 s[26:27], s[26:27], s[40:41]
.LBB166_30:                             ;   in Loop: Header=BB166_17 Depth=1
	s_or_b64 exec, exec, s[28:29]
	s_and_b64 s[26:27], s[26:27], exec
                                        ; implicit-def: $vgpr15_vgpr16
.LBB166_31:                             ;   in Loop: Header=BB166_17 Depth=1
	s_andn2_saveexec_b64 s[22:23], s[22:23]
	s_cbranch_execz .LBB166_35
; %bb.32:                               ;   in Loop: Header=BB166_17 Depth=1
	v_cmp_eq_u16_sdwa s[42:43], v9, v28 src0_sel:BYTE_0 src1_sel:DWORD
	s_mov_b64 s[40:41], s[26:27]
                                        ; implicit-def: $vgpr66
	s_and_saveexec_b64 s[28:29], s[42:43]
	s_cbranch_execz .LBB166_34
; %bb.33:                               ;   in Loop: Header=BB166_17 Depth=1
	flat_load_dwordx2 v[15:16], v[15:16]
	s_or_b64 s[40:41], s[26:27], exec
	s_waitcnt vmcnt(0) lgkmcnt(0)
	v_ffbh_u32_e32 v66, v16
	v_min_u32_e32 v66, 32, v66
	v_lshlrev_b64 v[15:16], v66, v[15:16]
	v_min_u32_e32 v15, 1, v15
	v_or_b32_e32 v15, v16, v15
	v_cvt_f32_u32_e32 v15, v15
	v_sub_u32_e32 v16, 32, v66
	v_ldexp_f32 v66, v15, v16
.LBB166_34:                             ;   in Loop: Header=BB166_17 Depth=1
	s_or_b64 exec, exec, s[28:29]
	s_andn2_b64 s[26:27], s[26:27], exec
	s_and_b64 s[28:29], s[40:41], exec
	s_or_b64 s[26:27], s[26:27], s[28:29]
.LBB166_35:                             ;   in Loop: Header=BB166_17 Depth=1
	s_or_b64 exec, exec, s[22:23]
	s_and_b64 s[22:23], s[26:27], exec
                                        ; implicit-def: $vgpr15_vgpr16
.LBB166_36:                             ;   in Loop: Header=BB166_17 Depth=1
	s_andn2_saveexec_b64 s[24:25], s[24:25]
	s_cbranch_execz .LBB166_50
; %bb.37:                               ;   in Loop: Header=BB166_17 Depth=1
	v_cmp_gt_i16_sdwa s[26:27], v9, v29 src0_sel:BYTE_0 src1_sel:DWORD
                                        ; implicit-def: $vgpr66
	s_and_saveexec_b64 s[28:29], s[26:27]
	s_xor_b64 s[26:27], exec, s[28:29]
	s_cbranch_execz .LBB166_43
; %bb.38:                               ;   in Loop: Header=BB166_17 Depth=1
	v_cmp_gt_i16_sdwa s[28:29], v9, v30 src0_sel:BYTE_0 src1_sel:DWORD
                                        ; implicit-def: $vgpr66
	s_and_saveexec_b64 s[40:41], s[28:29]
	s_xor_b64 s[28:29], exec, s[40:41]
	s_cbranch_execz .LBB166_40
; %bb.39:                               ;   in Loop: Header=BB166_17 Depth=1
	flat_load_dword v15, v[15:16]
	s_waitcnt vmcnt(0) lgkmcnt(0)
	v_cvt_f32_u32_e32 v66, v15
                                        ; implicit-def: $vgpr15_vgpr16
.LBB166_40:                             ;   in Loop: Header=BB166_17 Depth=1
	s_andn2_saveexec_b64 s[28:29], s[28:29]
	s_cbranch_execz .LBB166_42
; %bb.41:                               ;   in Loop: Header=BB166_17 Depth=1
	flat_load_ushort v15, v[15:16]
	s_waitcnt vmcnt(0) lgkmcnt(0)
	v_cvt_f32_u32_e32 v66, v15
.LBB166_42:                             ;   in Loop: Header=BB166_17 Depth=1
	s_or_b64 exec, exec, s[28:29]
                                        ; implicit-def: $vgpr15_vgpr16
.LBB166_43:                             ;   in Loop: Header=BB166_17 Depth=1
	s_andn2_saveexec_b64 s[26:27], s[26:27]
	s_cbranch_execz .LBB166_49
; %bb.44:                               ;   in Loop: Header=BB166_17 Depth=1
	flat_load_ubyte v15, v[15:16]
	s_movk_i32 s28, 0x7f
	s_waitcnt vmcnt(0) lgkmcnt(0)
	v_cmp_lt_i16_e32 vcc, s28, v15
	s_mov_b64 s[28:29], 0
	s_and_saveexec_b64 s[40:41], vcc
	s_xor_b64 s[40:41], exec, s[40:41]
	s_cbranch_execnz .LBB166_2094
; %bb.45:                               ;   in Loop: Header=BB166_17 Depth=1
	s_or_saveexec_b64 s[40:41], s[40:41]
	v_mov_b32_e32 v66, 0x7f800001
	s_xor_b64 exec, exec, s[40:41]
	s_cbranch_execnz .LBB166_2097
.LBB166_46:                             ;   in Loop: Header=BB166_17 Depth=1
	s_or_b64 exec, exec, s[40:41]
	s_and_saveexec_b64 s[40:41], s[28:29]
	s_cbranch_execz .LBB166_48
.LBB166_47:                             ;   in Loop: Header=BB166_17 Depth=1
	v_lshlrev_b32_e32 v16, 24, v15
	v_and_b32_e32 v15, 0xffff, v15
	v_and_b32_e32 v66, 7, v15
	v_ffbh_u32_e32 v68, v66
	v_min_u32_e32 v68, 32, v68
	v_subrev_u32_e32 v69, 28, v68
	v_bfe_u32 v67, v15, 3, 4
	v_lshlrev_b32_e32 v15, v69, v15
	v_sub_u32_e32 v68, 29, v68
	v_and_b32_e32 v15, 7, v15
	v_cmp_eq_u32_e32 vcc, 0, v67
	v_cndmask_b32_e32 v67, v67, v68, vcc
	v_cndmask_b32_e32 v15, v66, v15, vcc
	v_lshlrev_b32_e32 v15, 20, v15
	v_and_b32_e32 v16, 0x80000000, v16
	v_lshl_add_u32 v66, v67, 23, v31
	v_or3_b32 v66, v16, v66, v15
.LBB166_48:                             ;   in Loop: Header=BB166_17 Depth=1
	s_or_b64 exec, exec, s[40:41]
.LBB166_49:                             ;   in Loop: Header=BB166_17 Depth=1
	s_or_b64 exec, exec, s[26:27]
	s_or_b64 s[22:23], s[22:23], exec
.LBB166_50:                             ;   in Loop: Header=BB166_17 Depth=1
	s_or_b64 exec, exec, s[24:25]
	s_and_b64 s[22:23], s[22:23], exec
                                        ; implicit-def: $vgpr15_vgpr16
.LBB166_51:                             ;   in Loop: Header=BB166_17 Depth=1
	s_andn2_saveexec_b64 s[20:21], s[20:21]
	s_cbranch_execz .LBB166_77
; %bb.52:                               ;   in Loop: Header=BB166_17 Depth=1
	v_cmp_gt_i16_sdwa s[24:25], v9, v32 src0_sel:BYTE_0 src1_sel:DWORD
	s_mov_b64 s[26:27], s[22:23]
                                        ; implicit-def: $vgpr66
	s_and_saveexec_b64 s[28:29], s[24:25]
	s_xor_b64 s[24:25], exec, s[28:29]
	s_cbranch_execz .LBB166_66
; %bb.53:                               ;   in Loop: Header=BB166_17 Depth=1
	v_cmp_gt_i16_sdwa s[26:27], v9, v33 src0_sel:BYTE_0 src1_sel:DWORD
                                        ; implicit-def: $vgpr66
	s_and_saveexec_b64 s[28:29], s[26:27]
	s_xor_b64 s[26:27], exec, s[28:29]
	s_cbranch_execz .LBB166_63
; %bb.54:                               ;   in Loop: Header=BB166_17 Depth=1
	v_cmp_gt_i16_sdwa s[28:29], v9, v34 src0_sel:BYTE_0 src1_sel:DWORD
                                        ; implicit-def: $vgpr66
	s_and_saveexec_b64 s[40:41], s[28:29]
	s_xor_b64 s[28:29], exec, s[40:41]
	s_cbranch_execz .LBB166_60
; %bb.55:                               ;   in Loop: Header=BB166_17 Depth=1
	flat_load_ubyte v15, v[15:16]
	s_movk_i32 s40, 0x7f
	s_waitcnt vmcnt(0) lgkmcnt(0)
	v_cmp_lt_i16_e32 vcc, s40, v15
	s_mov_b64 s[40:41], 0
	s_and_saveexec_b64 s[42:43], vcc
	s_xor_b64 s[42:43], exec, s[42:43]
	s_cbranch_execnz .LBB166_2198
; %bb.56:                               ;   in Loop: Header=BB166_17 Depth=1
	s_or_saveexec_b64 s[42:43], s[42:43]
	v_mov_b32_e32 v66, 0x7f800001
	s_xor_b64 exec, exec, s[42:43]
	s_cbranch_execnz .LBB166_2201
.LBB166_57:                             ;   in Loop: Header=BB166_17 Depth=1
	s_or_b64 exec, exec, s[42:43]
	s_and_saveexec_b64 s[42:43], s[40:41]
	s_cbranch_execz .LBB166_59
.LBB166_58:                             ;   in Loop: Header=BB166_17 Depth=1
	v_lshlrev_b32_e32 v16, 24, v15
	v_and_b32_e32 v15, 0xffff, v15
	v_and_b32_e32 v66, 3, v15
	v_ffbh_u32_e32 v68, v66
	v_min_u32_e32 v68, 32, v68
	v_subrev_u32_e32 v69, 29, v68
	v_bfe_u32 v67, v15, 2, 5
	v_lshlrev_b32_e32 v15, v69, v15
	v_sub_u32_e32 v68, 30, v68
	v_and_b32_e32 v15, 3, v15
	v_cmp_eq_u32_e32 vcc, 0, v67
	v_cndmask_b32_e32 v67, v67, v68, vcc
	v_cndmask_b32_e32 v15, v66, v15, vcc
	v_lshlrev_b32_e32 v15, 21, v15
	v_and_b32_e32 v16, 0x80000000, v16
	v_lshl_add_u32 v66, v67, 23, v35
	v_or3_b32 v66, v16, v66, v15
.LBB166_59:                             ;   in Loop: Header=BB166_17 Depth=1
	s_or_b64 exec, exec, s[42:43]
                                        ; implicit-def: $vgpr15_vgpr16
.LBB166_60:                             ;   in Loop: Header=BB166_17 Depth=1
	s_andn2_saveexec_b64 s[28:29], s[28:29]
	s_cbranch_execz .LBB166_62
; %bb.61:                               ;   in Loop: Header=BB166_17 Depth=1
	flat_load_ubyte v15, v[15:16]
	s_mov_b32 s40, 0x7f800000
	s_waitcnt vmcnt(0) lgkmcnt(0)
	v_lshlrev_b32_e32 v15, 24, v15
	v_and_b32_e32 v16, 0x7f000000, v15
	v_ffbh_u32_e32 v66, v16
	v_min_u32_e32 v66, 32, v66
	v_sub_u32_e64 v66, v66, 4 clamp
	v_lshlrev_b32_e32 v68, v66, v16
	v_lshlrev_b32_e32 v66, 23, v66
	v_lshrrev_b32_e32 v68, 4, v68
	v_add_u32_e32 v67, 0x1000000, v16
	v_sub_u32_e32 v66, v68, v66
	v_ashrrev_i32_e32 v67, 8, v67
	v_add_u32_e32 v66, 0x3c000000, v66
	v_and_or_b32 v66, v67, s40, v66
	v_cmp_ne_u32_e32 vcc, 0, v16
	v_cndmask_b32_e32 v16, 0, v66, vcc
	s_brev_b32 s40, 1
	v_and_or_b32 v66, v15, s40, v16
.LBB166_62:                             ;   in Loop: Header=BB166_17 Depth=1
	s_or_b64 exec, exec, s[28:29]
                                        ; implicit-def: $vgpr15_vgpr16
.LBB166_63:                             ;   in Loop: Header=BB166_17 Depth=1
	s_andn2_saveexec_b64 s[26:27], s[26:27]
	s_cbranch_execz .LBB166_65
; %bb.64:                               ;   in Loop: Header=BB166_17 Depth=1
	flat_load_ubyte v15, v[15:16]
	s_movk_i32 s28, 0x7f00
	s_waitcnt vmcnt(0) lgkmcnt(0)
	v_lshlrev_b16_e32 v16, 8, v15
	v_lshlrev_b32_e32 v15, 25, v15
	v_lshrrev_b32_e32 v66, 4, v15
	v_and_or_b32 v67, v16, s28, 0.5
	v_or_b32_e32 v66, 0x70000000, v66
	s_brev_b32 s28, 16
	v_add_f32_e32 v67, -0.5, v67
	v_mul_f32_e32 v66, 0x7800000, v66
	v_cmp_gt_u32_e32 vcc, s28, v15
	v_cndmask_b32_e32 v15, v66, v67, vcc
	v_bfe_i32 v16, v16, 0, 16
	s_brev_b32 s28, 1
	v_and_or_b32 v66, v16, s28, v15
.LBB166_65:                             ;   in Loop: Header=BB166_17 Depth=1
	s_or_b64 exec, exec, s[26:27]
	s_or_b64 s[26:27], s[22:23], exec
                                        ; implicit-def: $vgpr15_vgpr16
.LBB166_66:                             ;   in Loop: Header=BB166_17 Depth=1
	s_andn2_saveexec_b64 s[24:25], s[24:25]
	s_cbranch_execz .LBB166_76
; %bb.67:                               ;   in Loop: Header=BB166_17 Depth=1
	v_cmp_gt_i16_sdwa s[40:41], v9, v36 src0_sel:BYTE_0 src1_sel:DWORD
	s_mov_b64 s[28:29], s[26:27]
                                        ; implicit-def: $vgpr66
	s_and_saveexec_b64 s[42:43], s[40:41]
	s_xor_b64 s[40:41], exec, s[42:43]
	s_cbranch_execz .LBB166_71
; %bb.68:                               ;   in Loop: Header=BB166_17 Depth=1
	v_cmp_eq_u16_sdwa s[44:45], v9, v37 src0_sel:BYTE_0 src1_sel:DWORD
	s_mov_b64 s[28:29], s[26:27]
                                        ; implicit-def: $vgpr66
	s_and_saveexec_b64 s[42:43], s[44:45]
	s_cbranch_execz .LBB166_70
; %bb.69:                               ;   in Loop: Header=BB166_17 Depth=1
	flat_load_ushort v15, v[15:16]
	s_or_b64 s[28:29], s[26:27], exec
	s_waitcnt vmcnt(0) lgkmcnt(0)
	v_lshlrev_b32_e32 v66, 16, v15
.LBB166_70:                             ;   in Loop: Header=BB166_17 Depth=1
	s_or_b64 exec, exec, s[42:43]
	s_andn2_b64 s[42:43], s[26:27], exec
	s_and_b64 s[28:29], s[28:29], exec
	s_or_b64 s[28:29], s[42:43], s[28:29]
                                        ; implicit-def: $vgpr15_vgpr16
.LBB166_71:                             ;   in Loop: Header=BB166_17 Depth=1
	s_andn2_saveexec_b64 s[40:41], s[40:41]
	s_cbranch_execz .LBB166_75
; %bb.72:                               ;   in Loop: Header=BB166_17 Depth=1
	v_cmp_eq_u16_sdwa s[46:47], v9, v38 src0_sel:BYTE_0 src1_sel:DWORD
	s_mov_b64 s[42:43], s[28:29]
                                        ; implicit-def: $vgpr66
	s_and_saveexec_b64 s[44:45], s[46:47]
	s_cbranch_execz .LBB166_74
; %bb.73:                               ;   in Loop: Header=BB166_17 Depth=1
	flat_load_ubyte v15, v[15:16]
	s_or_b64 s[42:43], s[28:29], exec
	s_waitcnt vmcnt(0) lgkmcnt(0)
	v_cmp_ne_u16_e32 vcc, 0, v15
	v_cndmask_b32_e64 v66, 0, 1.0, vcc
.LBB166_74:                             ;   in Loop: Header=BB166_17 Depth=1
	s_or_b64 exec, exec, s[44:45]
	s_andn2_b64 s[28:29], s[28:29], exec
	s_and_b64 s[42:43], s[42:43], exec
	s_or_b64 s[28:29], s[28:29], s[42:43]
.LBB166_75:                             ;   in Loop: Header=BB166_17 Depth=1
	s_or_b64 exec, exec, s[40:41]
	s_andn2_b64 s[26:27], s[26:27], exec
	s_and_b64 s[28:29], s[28:29], exec
	s_or_b64 s[26:27], s[26:27], s[28:29]
.LBB166_76:                             ;   in Loop: Header=BB166_17 Depth=1
	s_or_b64 exec, exec, s[24:25]
	s_andn2_b64 s[22:23], s[22:23], exec
	s_and_b64 s[24:25], s[26:27], exec
	s_or_b64 s[22:23], s[22:23], s[24:25]
.LBB166_77:                             ;   in Loop: Header=BB166_17 Depth=1
	s_or_b64 exec, exec, s[20:21]
	s_and_b64 s[20:21], s[22:23], exec
                                        ; implicit-def: $vgpr15_vgpr16
.LBB166_78:                             ;   in Loop: Header=BB166_17 Depth=1
	s_andn2_saveexec_b64 s[18:19], s[18:19]
	s_cbranch_execz .LBB166_120
; %bb.79:                               ;   in Loop: Header=BB166_17 Depth=1
	v_cmp_gt_i16_sdwa s[22:23], v9, v39 src0_sel:BYTE_0 src1_sel:DWORD
                                        ; implicit-def: $vgpr66
	s_and_saveexec_b64 s[24:25], s[22:23]
	s_xor_b64 s[22:23], exec, s[24:25]
	s_cbranch_execz .LBB166_101
; %bb.80:                               ;   in Loop: Header=BB166_17 Depth=1
	v_cmp_gt_i16_sdwa s[24:25], v9, v48 src0_sel:BYTE_0 src1_sel:DWORD
                                        ; implicit-def: $vgpr66
	s_and_saveexec_b64 s[26:27], s[24:25]
	s_xor_b64 s[24:25], exec, s[26:27]
	;; [unrolled: 6-line block ×4, first 2 shown]
	s_cbranch_execz .LBB166_84
; %bb.83:                               ;   in Loop: Header=BB166_17 Depth=1
	flat_load_dwordx2 v[15:16], v[15:16]
	s_waitcnt vmcnt(0) lgkmcnt(0)
	v_cvt_f32_f64_e32 v66, v[15:16]
                                        ; implicit-def: $vgpr15_vgpr16
.LBB166_84:                             ;   in Loop: Header=BB166_17 Depth=1
	s_andn2_saveexec_b64 s[28:29], s[28:29]
	s_cbranch_execz .LBB166_86
; %bb.85:                               ;   in Loop: Header=BB166_17 Depth=1
	flat_load_dword v66, v[15:16]
.LBB166_86:                             ;   in Loop: Header=BB166_17 Depth=1
	s_or_b64 exec, exec, s[28:29]
                                        ; implicit-def: $vgpr15_vgpr16
.LBB166_87:                             ;   in Loop: Header=BB166_17 Depth=1
	s_andn2_saveexec_b64 s[26:27], s[26:27]
	s_cbranch_execz .LBB166_89
; %bb.88:                               ;   in Loop: Header=BB166_17 Depth=1
	flat_load_dword v15, v[15:16]
	s_waitcnt vmcnt(0) lgkmcnt(0)
	v_cvt_f32_f16_e32 v66, v15
.LBB166_89:                             ;   in Loop: Header=BB166_17 Depth=1
	s_or_b64 exec, exec, s[26:27]
                                        ; implicit-def: $vgpr15_vgpr16
.LBB166_90:                             ;   in Loop: Header=BB166_17 Depth=1
	s_andn2_saveexec_b64 s[24:25], s[24:25]
	s_cbranch_execz .LBB166_100
; %bb.91:                               ;   in Loop: Header=BB166_17 Depth=1
	v_cmp_gt_i16_sdwa s[26:27], v9, v51 src0_sel:BYTE_0 src1_sel:DWORD
                                        ; implicit-def: $vgpr66
	s_and_saveexec_b64 s[28:29], s[26:27]
	s_xor_b64 s[26:27], exec, s[28:29]
	s_cbranch_execz .LBB166_97
; %bb.92:                               ;   in Loop: Header=BB166_17 Depth=1
	v_cmp_gt_i16_sdwa s[28:29], v9, v52 src0_sel:BYTE_0 src1_sel:DWORD
                                        ; implicit-def: $vgpr66
	s_and_saveexec_b64 s[40:41], s[28:29]
	s_xor_b64 s[28:29], exec, s[40:41]
	s_cbranch_execz .LBB166_94
; %bb.93:                               ;   in Loop: Header=BB166_17 Depth=1
	flat_load_dwordx2 v[15:16], v[15:16]
	s_waitcnt vmcnt(0) lgkmcnt(0)
	v_cvt_f32_f64_e32 v66, v[15:16]
                                        ; implicit-def: $vgpr15_vgpr16
.LBB166_94:                             ;   in Loop: Header=BB166_17 Depth=1
	s_andn2_saveexec_b64 s[28:29], s[28:29]
	s_cbranch_execz .LBB166_96
; %bb.95:                               ;   in Loop: Header=BB166_17 Depth=1
	s_waitcnt vmcnt(0) lgkmcnt(0)
	flat_load_dword v66, v[15:16]
.LBB166_96:                             ;   in Loop: Header=BB166_17 Depth=1
	s_or_b64 exec, exec, s[28:29]
                                        ; implicit-def: $vgpr15_vgpr16
.LBB166_97:                             ;   in Loop: Header=BB166_17 Depth=1
	s_andn2_saveexec_b64 s[26:27], s[26:27]
	s_cbranch_execz .LBB166_99
; %bb.98:                               ;   in Loop: Header=BB166_17 Depth=1
	flat_load_ushort v15, v[15:16]
	s_waitcnt vmcnt(0) lgkmcnt(0)
	v_cvt_f32_f16_e32 v66, v15
.LBB166_99:                             ;   in Loop: Header=BB166_17 Depth=1
	s_or_b64 exec, exec, s[26:27]
.LBB166_100:                            ;   in Loop: Header=BB166_17 Depth=1
	s_or_b64 exec, exec, s[24:25]
                                        ; implicit-def: $vgpr15_vgpr16
.LBB166_101:                            ;   in Loop: Header=BB166_17 Depth=1
	s_andn2_saveexec_b64 s[22:23], s[22:23]
	s_cbranch_execz .LBB166_119
; %bb.102:                              ;   in Loop: Header=BB166_17 Depth=1
	v_cmp_gt_i16_sdwa s[24:25], v9, v53 src0_sel:BYTE_0 src1_sel:DWORD
                                        ; implicit-def: $vgpr66
	s_and_saveexec_b64 s[26:27], s[24:25]
	s_xor_b64 s[24:25], exec, s[26:27]
	s_cbranch_execz .LBB166_112
; %bb.103:                              ;   in Loop: Header=BB166_17 Depth=1
	v_cmp_gt_i16_sdwa s[26:27], v9, v54 src0_sel:BYTE_0 src1_sel:DWORD
                                        ; implicit-def: $vgpr66
	s_and_saveexec_b64 s[28:29], s[26:27]
	s_xor_b64 s[26:27], exec, s[28:29]
	;; [unrolled: 6-line block ×3, first 2 shown]
	s_cbranch_execz .LBB166_106
; %bb.105:                              ;   in Loop: Header=BB166_17 Depth=1
	flat_load_dwordx2 v[15:16], v[15:16]
	s_waitcnt vmcnt(0) lgkmcnt(0)
	v_xor_b32_e32 v67, v15, v16
	v_ffbh_i32_e32 v66, v16
	v_ashrrev_i32_e32 v67, 31, v67
	v_add_u32_e32 v66, -1, v66
	v_add_u32_e32 v67, 32, v67
	v_min_u32_e32 v66, v66, v67
	v_lshlrev_b64 v[15:16], v66, v[15:16]
	v_min_u32_e32 v15, 1, v15
	v_or_b32_e32 v15, v16, v15
	v_cvt_f32_i32_e32 v15, v15
	v_sub_u32_e32 v16, 32, v66
	v_ldexp_f32 v66, v15, v16
                                        ; implicit-def: $vgpr15_vgpr16
.LBB166_106:                            ;   in Loop: Header=BB166_17 Depth=1
	s_andn2_saveexec_b64 s[28:29], s[28:29]
	s_cbranch_execz .LBB166_108
; %bb.107:                              ;   in Loop: Header=BB166_17 Depth=1
	flat_load_dword v15, v[15:16]
	s_waitcnt vmcnt(0) lgkmcnt(0)
	v_cvt_f32_i32_e32 v66, v15
.LBB166_108:                            ;   in Loop: Header=BB166_17 Depth=1
	s_or_b64 exec, exec, s[28:29]
                                        ; implicit-def: $vgpr15_vgpr16
.LBB166_109:                            ;   in Loop: Header=BB166_17 Depth=1
	s_andn2_saveexec_b64 s[26:27], s[26:27]
	s_cbranch_execz .LBB166_111
; %bb.110:                              ;   in Loop: Header=BB166_17 Depth=1
	flat_load_sshort v15, v[15:16]
	s_waitcnt vmcnt(0) lgkmcnt(0)
	v_cvt_f32_i32_e32 v66, v15
.LBB166_111:                            ;   in Loop: Header=BB166_17 Depth=1
	s_or_b64 exec, exec, s[26:27]
                                        ; implicit-def: $vgpr15_vgpr16
.LBB166_112:                            ;   in Loop: Header=BB166_17 Depth=1
	s_andn2_saveexec_b64 s[24:25], s[24:25]
	s_cbranch_execz .LBB166_118
; %bb.113:                              ;   in Loop: Header=BB166_17 Depth=1
	v_cmp_gt_i16_sdwa s[26:27], v9, v18 src0_sel:BYTE_0 src1_sel:DWORD
                                        ; implicit-def: $vgpr66
	s_and_saveexec_b64 s[28:29], s[26:27]
	s_xor_b64 s[26:27], exec, s[28:29]
	s_cbranch_execz .LBB166_115
; %bb.114:                              ;   in Loop: Header=BB166_17 Depth=1
	flat_load_sbyte v15, v[15:16]
	s_waitcnt vmcnt(0) lgkmcnt(0)
	v_cvt_f32_i32_e32 v66, v15
                                        ; implicit-def: $vgpr15_vgpr16
.LBB166_115:                            ;   in Loop: Header=BB166_17 Depth=1
	s_andn2_saveexec_b64 s[26:27], s[26:27]
	s_cbranch_execz .LBB166_117
; %bb.116:                              ;   in Loop: Header=BB166_17 Depth=1
	flat_load_ubyte v15, v[15:16]
	s_waitcnt vmcnt(0) lgkmcnt(0)
	v_cvt_f32_ubyte0_e32 v66, v15
.LBB166_117:                            ;   in Loop: Header=BB166_17 Depth=1
	s_or_b64 exec, exec, s[26:27]
.LBB166_118:                            ;   in Loop: Header=BB166_17 Depth=1
	s_or_b64 exec, exec, s[24:25]
.LBB166_119:                            ;   in Loop: Header=BB166_17 Depth=1
	s_or_b64 exec, exec, s[22:23]
	s_or_b64 s[20:21], s[20:21], exec
.LBB166_120:                            ;   in Loop: Header=BB166_17 Depth=1
	s_or_b64 exec, exec, s[18:19]
	s_mov_b64 s[22:23], -1
	s_mov_b64 s[26:27], 0
	s_mov_b64 s[24:25], 0
	s_and_saveexec_b64 s[18:19], s[20:21]
	s_cbranch_execz .LBB166_126
; %bb.121:                              ;   in Loop: Header=BB166_17 Depth=1
	v_readlane_b32 s20, v41, 0
	s_lshr_b32 s56, s32, 6
	s_add_i32 s56, s56, s20
	v_mov_b32_e32 v15, s56
	s_waitcnt vmcnt(0) lgkmcnt(0)
	buffer_store_dword v66, v15, s[0:3], 0 offen offset:4
	v_mul_lo_u32 v15, v65, v12
	v_cmp_gt_i16_sdwa s[20:21], v10, v19 src0_sel:BYTE_0 src1_sel:DWORD
	s_mov_b64 s[22:23], 0
                                        ; implicit-def: $vgpr65
	v_add_co_u32_e32 v15, vcc, v6, v15
	v_addc_co_u32_e32 v16, vcc, 0, v7, vcc
	s_and_saveexec_b64 s[24:25], s[20:21]
	s_xor_b64 s[20:21], exec, s[24:25]
	s_cbranch_execnz .LBB166_1794
; %bb.122:                              ;   in Loop: Header=BB166_17 Depth=1
	s_andn2_saveexec_b64 s[20:21], s[20:21]
	s_cbranch_execnz .LBB166_1853
.LBB166_123:                            ;   in Loop: Header=BB166_17 Depth=1
	s_or_b64 exec, exec, s[20:21]
	s_mov_b64 s[20:21], 0
	s_and_saveexec_b64 s[24:25], s[22:23]
	s_cbranch_execz .LBB166_125
.LBB166_124:                            ;   in Loop: Header=BB166_17 Depth=1
	s_mov_b64 s[20:21], exec
	v_mov_b32_e32 v15, s56
	v_add_u32_e32 v64, 0x200, v64
	s_waitcnt vmcnt(0) lgkmcnt(0)
	buffer_store_dword v65, v15, s[0:3], 0 offen
.LBB166_125:                            ;   in Loop: Header=BB166_17 Depth=1
	s_or_b64 exec, exec, s[24:25]
	s_mov_b64 s[24:25], exec
	s_xor_b64 s[22:23], exec, -1
	s_and_b64 s[26:27], s[20:21], exec
.LBB166_126:                            ;   in Loop: Header=BB166_17 Depth=1
	s_or_b64 exec, exec, s[18:19]
	s_orn2_b64 s[18:19], s[26:27], exec
.LBB166_127:                            ;   in Loop: Header=BB166_17 Depth=1
	s_or_b64 exec, exec, s[14:15]
	s_andn2_b64 s[12:13], s[12:13], exec
	s_and_b64 s[14:15], s[24:25], exec
	s_or_b64 s[12:13], s[12:13], s[14:15]
	s_andn2_b64 s[10:11], s[10:11], exec
	s_and_b64 s[14:15], s[22:23], exec
	s_or_b64 s[10:11], s[10:11], s[14:15]
	s_and_saveexec_b64 s[14:15], s[18:19]
	s_cbranch_execz .LBB166_16
; %bb.128:                              ;   in Loop: Header=BB166_17 Depth=1
	v_cmp_lt_i32_e32 vcc, v64, v8
	s_mov_b64 s[22:23], -1
	s_mov_b64 s[24:25], -1
                                        ; implicit-def: $sgpr16_sgpr17
                                        ; implicit-def: $sgpr18_sgpr19
	s_and_saveexec_b64 s[20:21], vcc
	s_cbranch_execz .LBB166_238
; %bb.129:                              ;   in Loop: Header=BB166_17 Depth=1
	v_readlane_b32 s16, v41, 2
	s_waitcnt vmcnt(0) lgkmcnt(0)
	v_add_u32_e32 v65, s16, v64
	v_mul_lo_u32 v15, v65, v11
	v_cmp_gt_i16_sdwa s[16:17], v9, v19 src0_sel:BYTE_0 src1_sel:DWORD
	s_mov_b64 s[26:27], 0
                                        ; implicit-def: $vgpr66
	v_add_co_u32_e32 v15, vcc, v4, v15
	v_addc_co_u32_e32 v16, vcc, 0, v5, vcc
	s_and_saveexec_b64 s[18:19], s[16:17]
	s_xor_b64 s[16:17], exec, s[18:19]
	s_cbranch_execz .LBB166_189
; %bb.130:                              ;   in Loop: Header=BB166_17 Depth=1
	v_cmp_gt_i16_sdwa s[18:19], v9, v20 src0_sel:BYTE_0 src1_sel:DWORD
	s_mov_b64 s[24:25], 0
                                        ; implicit-def: $vgpr66
	s_and_saveexec_b64 s[26:27], s[18:19]
	s_xor_b64 s[18:19], exec, s[26:27]
	s_cbranch_execz .LBB166_162
; %bb.131:                              ;   in Loop: Header=BB166_17 Depth=1
	v_cmp_gt_i16_sdwa s[26:27], v9, v21 src0_sel:BYTE_0 src1_sel:DWORD
                                        ; implicit-def: $vgpr66
	s_and_saveexec_b64 s[28:29], s[26:27]
	s_xor_b64 s[26:27], exec, s[28:29]
	s_cbranch_execz .LBB166_147
; %bb.132:                              ;   in Loop: Header=BB166_17 Depth=1
	v_cmp_gt_i16_sdwa s[24:25], v9, v22 src0_sel:BYTE_0 src1_sel:DWORD
	s_mov_b64 s[28:29], 0
                                        ; implicit-def: $vgpr66
	s_and_saveexec_b64 s[40:41], s[24:25]
	s_xor_b64 s[24:25], exec, s[40:41]
	s_cbranch_execz .LBB166_142
; %bb.133:                              ;   in Loop: Header=BB166_17 Depth=1
	v_cmp_gt_i16_sdwa s[40:41], v9, v23 src0_sel:BYTE_0 src1_sel:DWORD
                                        ; implicit-def: $vgpr66
	s_and_saveexec_b64 s[42:43], s[40:41]
	s_xor_b64 s[40:41], exec, s[42:43]
	s_cbranch_execz .LBB166_137
; %bb.134:                              ;   in Loop: Header=BB166_17 Depth=1
	v_cmp_eq_u16_sdwa s[44:45], v9, v24 src0_sel:BYTE_0 src1_sel:DWORD
                                        ; implicit-def: $vgpr66
	s_and_saveexec_b64 s[42:43], s[44:45]
	s_cbranch_execz .LBB166_136
; %bb.135:                              ;   in Loop: Header=BB166_17 Depth=1
	flat_load_dword v15, v[15:16]
	s_mov_b64 s[28:29], exec
	s_waitcnt vmcnt(0) lgkmcnt(0)
	v_lshlrev_b32_e32 v66, 16, v15
.LBB166_136:                            ;   in Loop: Header=BB166_17 Depth=1
	s_or_b64 exec, exec, s[42:43]
	s_and_b64 s[28:29], s[28:29], exec
                                        ; implicit-def: $vgpr15_vgpr16
.LBB166_137:                            ;   in Loop: Header=BB166_17 Depth=1
	s_andn2_saveexec_b64 s[40:41], s[40:41]
	s_cbranch_execz .LBB166_141
; %bb.138:                              ;   in Loop: Header=BB166_17 Depth=1
	v_cmp_eq_u16_sdwa s[46:47], v9, v25 src0_sel:BYTE_0 src1_sel:DWORD
	s_mov_b64 s[44:45], s[28:29]
                                        ; implicit-def: $vgpr66
	s_and_saveexec_b64 s[42:43], s[46:47]
	s_cbranch_execz .LBB166_140
; %bb.139:                              ;   in Loop: Header=BB166_17 Depth=1
	flat_load_ubyte v15, v[15:16]
	s_movk_i32 s44, 0xff
	s_waitcnt vmcnt(0) lgkmcnt(0)
	v_lshlrev_b32_e32 v16, 23, v15
	v_cmp_ne_u32_e32 vcc, s44, v15
	v_cndmask_b32_e32 v16, v26, v16, vcc
	v_cmp_ne_u32_e32 vcc, 0, v15
	v_cndmask_b32_e32 v66, v27, v16, vcc
	s_or_b64 s[44:45], s[28:29], exec
.LBB166_140:                            ;   in Loop: Header=BB166_17 Depth=1
	s_or_b64 exec, exec, s[42:43]
	s_andn2_b64 s[28:29], s[28:29], exec
	s_and_b64 s[42:43], s[44:45], exec
	s_or_b64 s[28:29], s[28:29], s[42:43]
.LBB166_141:                            ;   in Loop: Header=BB166_17 Depth=1
	s_or_b64 exec, exec, s[40:41]
	s_and_b64 s[28:29], s[28:29], exec
                                        ; implicit-def: $vgpr15_vgpr16
.LBB166_142:                            ;   in Loop: Header=BB166_17 Depth=1
	s_andn2_saveexec_b64 s[24:25], s[24:25]
	s_cbranch_execz .LBB166_146
; %bb.143:                              ;   in Loop: Header=BB166_17 Depth=1
	v_cmp_eq_u16_sdwa s[44:45], v9, v28 src0_sel:BYTE_0 src1_sel:DWORD
	s_mov_b64 s[42:43], s[28:29]
                                        ; implicit-def: $vgpr66
	s_and_saveexec_b64 s[40:41], s[44:45]
	s_cbranch_execz .LBB166_145
; %bb.144:                              ;   in Loop: Header=BB166_17 Depth=1
	flat_load_dwordx2 v[15:16], v[15:16]
	s_or_b64 s[42:43], s[28:29], exec
	s_waitcnt vmcnt(0) lgkmcnt(0)
	v_ffbh_u32_e32 v66, v16
	v_min_u32_e32 v66, 32, v66
	v_lshlrev_b64 v[15:16], v66, v[15:16]
	v_min_u32_e32 v15, 1, v15
	v_or_b32_e32 v15, v16, v15
	v_cvt_f32_u32_e32 v15, v15
	v_sub_u32_e32 v16, 32, v66
	v_ldexp_f32 v66, v15, v16
.LBB166_145:                            ;   in Loop: Header=BB166_17 Depth=1
	s_or_b64 exec, exec, s[40:41]
	s_andn2_b64 s[28:29], s[28:29], exec
	s_and_b64 s[40:41], s[42:43], exec
	s_or_b64 s[28:29], s[28:29], s[40:41]
.LBB166_146:                            ;   in Loop: Header=BB166_17 Depth=1
	s_or_b64 exec, exec, s[24:25]
	s_and_b64 s[24:25], s[28:29], exec
                                        ; implicit-def: $vgpr15_vgpr16
.LBB166_147:                            ;   in Loop: Header=BB166_17 Depth=1
	s_andn2_saveexec_b64 s[26:27], s[26:27]
	s_cbranch_execz .LBB166_161
; %bb.148:                              ;   in Loop: Header=BB166_17 Depth=1
	v_cmp_gt_i16_sdwa s[28:29], v9, v29 src0_sel:BYTE_0 src1_sel:DWORD
                                        ; implicit-def: $vgpr66
	s_and_saveexec_b64 s[40:41], s[28:29]
	s_xor_b64 s[28:29], exec, s[40:41]
	s_cbranch_execz .LBB166_154
; %bb.149:                              ;   in Loop: Header=BB166_17 Depth=1
	v_cmp_gt_i16_sdwa s[40:41], v9, v30 src0_sel:BYTE_0 src1_sel:DWORD
                                        ; implicit-def: $vgpr66
	s_and_saveexec_b64 s[42:43], s[40:41]
	s_xor_b64 s[40:41], exec, s[42:43]
	s_cbranch_execz .LBB166_151
; %bb.150:                              ;   in Loop: Header=BB166_17 Depth=1
	flat_load_dword v15, v[15:16]
	s_waitcnt vmcnt(0) lgkmcnt(0)
	v_cvt_f32_u32_e32 v66, v15
                                        ; implicit-def: $vgpr15_vgpr16
.LBB166_151:                            ;   in Loop: Header=BB166_17 Depth=1
	s_andn2_saveexec_b64 s[40:41], s[40:41]
	s_cbranch_execz .LBB166_153
; %bb.152:                              ;   in Loop: Header=BB166_17 Depth=1
	flat_load_ushort v15, v[15:16]
	s_waitcnt vmcnt(0) lgkmcnt(0)
	v_cvt_f32_u32_e32 v66, v15
.LBB166_153:                            ;   in Loop: Header=BB166_17 Depth=1
	s_or_b64 exec, exec, s[40:41]
                                        ; implicit-def: $vgpr15_vgpr16
.LBB166_154:                            ;   in Loop: Header=BB166_17 Depth=1
	s_andn2_saveexec_b64 s[28:29], s[28:29]
	s_cbranch_execz .LBB166_160
; %bb.155:                              ;   in Loop: Header=BB166_17 Depth=1
	flat_load_ubyte v15, v[15:16]
	s_movk_i32 s40, 0x7f
	s_waitcnt vmcnt(0) lgkmcnt(0)
	v_cmp_lt_i16_e32 vcc, s40, v15
	s_mov_b64 s[40:41], 0
	s_and_saveexec_b64 s[42:43], vcc
	s_xor_b64 s[42:43], exec, s[42:43]
	s_cbranch_execnz .LBB166_2202
; %bb.156:                              ;   in Loop: Header=BB166_17 Depth=1
	s_or_saveexec_b64 s[42:43], s[42:43]
	v_mov_b32_e32 v66, 0x7f800001
	s_xor_b64 exec, exec, s[42:43]
	s_cbranch_execnz .LBB166_2205
.LBB166_157:                            ;   in Loop: Header=BB166_17 Depth=1
	s_or_b64 exec, exec, s[42:43]
	s_and_saveexec_b64 s[42:43], s[40:41]
	s_cbranch_execz .LBB166_159
.LBB166_158:                            ;   in Loop: Header=BB166_17 Depth=1
	v_lshlrev_b32_e32 v16, 24, v15
	v_and_b32_e32 v15, 0xffff, v15
	v_and_b32_e32 v66, 7, v15
	v_ffbh_u32_e32 v68, v66
	v_min_u32_e32 v68, 32, v68
	v_subrev_u32_e32 v69, 28, v68
	v_bfe_u32 v67, v15, 3, 4
	v_lshlrev_b32_e32 v15, v69, v15
	v_sub_u32_e32 v68, 29, v68
	v_and_b32_e32 v15, 7, v15
	v_cmp_eq_u32_e32 vcc, 0, v67
	v_cndmask_b32_e32 v67, v67, v68, vcc
	v_cndmask_b32_e32 v15, v66, v15, vcc
	v_lshlrev_b32_e32 v15, 20, v15
	v_and_b32_e32 v16, 0x80000000, v16
	v_lshl_add_u32 v66, v67, 23, v31
	v_or3_b32 v66, v16, v66, v15
.LBB166_159:                            ;   in Loop: Header=BB166_17 Depth=1
	s_or_b64 exec, exec, s[42:43]
.LBB166_160:                            ;   in Loop: Header=BB166_17 Depth=1
	s_or_b64 exec, exec, s[28:29]
	s_or_b64 s[24:25], s[24:25], exec
.LBB166_161:                            ;   in Loop: Header=BB166_17 Depth=1
	s_or_b64 exec, exec, s[26:27]
	s_and_b64 s[24:25], s[24:25], exec
                                        ; implicit-def: $vgpr15_vgpr16
.LBB166_162:                            ;   in Loop: Header=BB166_17 Depth=1
	s_andn2_saveexec_b64 s[18:19], s[18:19]
	s_cbranch_execz .LBB166_188
; %bb.163:                              ;   in Loop: Header=BB166_17 Depth=1
	v_cmp_gt_i16_sdwa s[26:27], v9, v32 src0_sel:BYTE_0 src1_sel:DWORD
	s_mov_b64 s[28:29], s[24:25]
                                        ; implicit-def: $vgpr66
	s_and_saveexec_b64 s[40:41], s[26:27]
	s_xor_b64 s[26:27], exec, s[40:41]
	s_cbranch_execz .LBB166_177
; %bb.164:                              ;   in Loop: Header=BB166_17 Depth=1
	v_cmp_gt_i16_sdwa s[28:29], v9, v33 src0_sel:BYTE_0 src1_sel:DWORD
                                        ; implicit-def: $vgpr66
	s_and_saveexec_b64 s[40:41], s[28:29]
	s_xor_b64 s[28:29], exec, s[40:41]
	s_cbranch_execz .LBB166_174
; %bb.165:                              ;   in Loop: Header=BB166_17 Depth=1
	v_cmp_gt_i16_sdwa s[40:41], v9, v34 src0_sel:BYTE_0 src1_sel:DWORD
                                        ; implicit-def: $vgpr66
	s_and_saveexec_b64 s[42:43], s[40:41]
	s_xor_b64 s[40:41], exec, s[42:43]
	s_cbranch_execz .LBB166_171
; %bb.166:                              ;   in Loop: Header=BB166_17 Depth=1
	flat_load_ubyte v15, v[15:16]
	s_movk_i32 s42, 0x7f
	s_waitcnt vmcnt(0) lgkmcnt(0)
	v_cmp_lt_i16_e32 vcc, s42, v15
	s_mov_b64 s[42:43], 0
	s_and_saveexec_b64 s[44:45], vcc
	s_xor_b64 s[44:45], exec, s[44:45]
	s_cbranch_execnz .LBB166_2310
; %bb.167:                              ;   in Loop: Header=BB166_17 Depth=1
	s_or_saveexec_b64 s[44:45], s[44:45]
	v_mov_b32_e32 v66, 0x7f800001
	s_xor_b64 exec, exec, s[44:45]
	s_cbranch_execnz .LBB166_2313
.LBB166_168:                            ;   in Loop: Header=BB166_17 Depth=1
	s_or_b64 exec, exec, s[44:45]
	s_and_saveexec_b64 s[44:45], s[42:43]
	s_cbranch_execz .LBB166_170
.LBB166_169:                            ;   in Loop: Header=BB166_17 Depth=1
	v_lshlrev_b32_e32 v16, 24, v15
	v_and_b32_e32 v15, 0xffff, v15
	v_and_b32_e32 v66, 3, v15
	v_ffbh_u32_e32 v68, v66
	v_min_u32_e32 v68, 32, v68
	v_subrev_u32_e32 v69, 29, v68
	v_bfe_u32 v67, v15, 2, 5
	v_lshlrev_b32_e32 v15, v69, v15
	v_sub_u32_e32 v68, 30, v68
	v_and_b32_e32 v15, 3, v15
	v_cmp_eq_u32_e32 vcc, 0, v67
	v_cndmask_b32_e32 v67, v67, v68, vcc
	v_cndmask_b32_e32 v15, v66, v15, vcc
	v_lshlrev_b32_e32 v15, 21, v15
	v_and_b32_e32 v16, 0x80000000, v16
	v_lshl_add_u32 v66, v67, 23, v35
	v_or3_b32 v66, v16, v66, v15
.LBB166_170:                            ;   in Loop: Header=BB166_17 Depth=1
	s_or_b64 exec, exec, s[44:45]
                                        ; implicit-def: $vgpr15_vgpr16
.LBB166_171:                            ;   in Loop: Header=BB166_17 Depth=1
	s_andn2_saveexec_b64 s[40:41], s[40:41]
	s_cbranch_execz .LBB166_173
; %bb.172:                              ;   in Loop: Header=BB166_17 Depth=1
	flat_load_ubyte v15, v[15:16]
	s_mov_b32 s42, 0x7f800000
	s_waitcnt vmcnt(0) lgkmcnt(0)
	v_lshlrev_b32_e32 v15, 24, v15
	v_and_b32_e32 v16, 0x7f000000, v15
	v_ffbh_u32_e32 v66, v16
	v_min_u32_e32 v66, 32, v66
	v_sub_u32_e64 v66, v66, 4 clamp
	v_lshlrev_b32_e32 v68, v66, v16
	v_lshlrev_b32_e32 v66, 23, v66
	v_lshrrev_b32_e32 v68, 4, v68
	v_add_u32_e32 v67, 0x1000000, v16
	v_sub_u32_e32 v66, v68, v66
	v_ashrrev_i32_e32 v67, 8, v67
	v_add_u32_e32 v66, 0x3c000000, v66
	v_and_or_b32 v66, v67, s42, v66
	v_cmp_ne_u32_e32 vcc, 0, v16
	v_cndmask_b32_e32 v16, 0, v66, vcc
	s_brev_b32 s42, 1
	v_and_or_b32 v66, v15, s42, v16
.LBB166_173:                            ;   in Loop: Header=BB166_17 Depth=1
	s_or_b64 exec, exec, s[40:41]
                                        ; implicit-def: $vgpr15_vgpr16
.LBB166_174:                            ;   in Loop: Header=BB166_17 Depth=1
	s_andn2_saveexec_b64 s[28:29], s[28:29]
	s_cbranch_execz .LBB166_176
; %bb.175:                              ;   in Loop: Header=BB166_17 Depth=1
	flat_load_ubyte v15, v[15:16]
	s_movk_i32 s40, 0x7f00
	s_waitcnt vmcnt(0) lgkmcnt(0)
	v_lshlrev_b16_e32 v16, 8, v15
	v_lshlrev_b32_e32 v15, 25, v15
	v_lshrrev_b32_e32 v66, 4, v15
	v_and_or_b32 v67, v16, s40, 0.5
	v_or_b32_e32 v66, 0x70000000, v66
	s_brev_b32 s40, 16
	v_add_f32_e32 v67, -0.5, v67
	v_mul_f32_e32 v66, 0x7800000, v66
	v_cmp_gt_u32_e32 vcc, s40, v15
	v_cndmask_b32_e32 v15, v66, v67, vcc
	v_bfe_i32 v16, v16, 0, 16
	s_brev_b32 s40, 1
	v_and_or_b32 v66, v16, s40, v15
.LBB166_176:                            ;   in Loop: Header=BB166_17 Depth=1
	s_or_b64 exec, exec, s[28:29]
	s_or_b64 s[28:29], s[24:25], exec
                                        ; implicit-def: $vgpr15_vgpr16
.LBB166_177:                            ;   in Loop: Header=BB166_17 Depth=1
	s_andn2_saveexec_b64 s[26:27], s[26:27]
	s_cbranch_execz .LBB166_187
; %bb.178:                              ;   in Loop: Header=BB166_17 Depth=1
	v_cmp_gt_i16_sdwa s[42:43], v9, v36 src0_sel:BYTE_0 src1_sel:DWORD
	s_mov_b64 s[40:41], s[28:29]
                                        ; implicit-def: $vgpr66
	s_and_saveexec_b64 s[44:45], s[42:43]
	s_xor_b64 s[42:43], exec, s[44:45]
	s_cbranch_execz .LBB166_182
; %bb.179:                              ;   in Loop: Header=BB166_17 Depth=1
	v_cmp_eq_u16_sdwa s[46:47], v9, v37 src0_sel:BYTE_0 src1_sel:DWORD
	s_mov_b64 s[40:41], s[28:29]
                                        ; implicit-def: $vgpr66
	s_and_saveexec_b64 s[44:45], s[46:47]
	s_cbranch_execz .LBB166_181
; %bb.180:                              ;   in Loop: Header=BB166_17 Depth=1
	flat_load_ushort v15, v[15:16]
	s_or_b64 s[40:41], s[28:29], exec
	s_waitcnt vmcnt(0) lgkmcnt(0)
	v_lshlrev_b32_e32 v66, 16, v15
.LBB166_181:                            ;   in Loop: Header=BB166_17 Depth=1
	s_or_b64 exec, exec, s[44:45]
	s_andn2_b64 s[44:45], s[28:29], exec
	s_and_b64 s[40:41], s[40:41], exec
	s_or_b64 s[40:41], s[44:45], s[40:41]
                                        ; implicit-def: $vgpr15_vgpr16
.LBB166_182:                            ;   in Loop: Header=BB166_17 Depth=1
	s_andn2_saveexec_b64 s[42:43], s[42:43]
	s_cbranch_execz .LBB166_186
; %bb.183:                              ;   in Loop: Header=BB166_17 Depth=1
	v_cmp_eq_u16_sdwa s[56:57], v9, v38 src0_sel:BYTE_0 src1_sel:DWORD
	s_mov_b64 s[44:45], s[40:41]
                                        ; implicit-def: $vgpr66
	s_and_saveexec_b64 s[46:47], s[56:57]
	s_cbranch_execz .LBB166_185
; %bb.184:                              ;   in Loop: Header=BB166_17 Depth=1
	flat_load_ubyte v15, v[15:16]
	s_or_b64 s[44:45], s[40:41], exec
	s_waitcnt vmcnt(0) lgkmcnt(0)
	v_cmp_ne_u16_e32 vcc, 0, v15
	v_cndmask_b32_e64 v66, 0, 1.0, vcc
.LBB166_185:                            ;   in Loop: Header=BB166_17 Depth=1
	s_or_b64 exec, exec, s[46:47]
	s_andn2_b64 s[40:41], s[40:41], exec
	s_and_b64 s[44:45], s[44:45], exec
	s_or_b64 s[40:41], s[40:41], s[44:45]
.LBB166_186:                            ;   in Loop: Header=BB166_17 Depth=1
	s_or_b64 exec, exec, s[42:43]
	s_andn2_b64 s[28:29], s[28:29], exec
	s_and_b64 s[40:41], s[40:41], exec
	s_or_b64 s[28:29], s[28:29], s[40:41]
.LBB166_187:                            ;   in Loop: Header=BB166_17 Depth=1
	s_or_b64 exec, exec, s[26:27]
	s_andn2_b64 s[24:25], s[24:25], exec
	s_and_b64 s[26:27], s[28:29], exec
	s_or_b64 s[24:25], s[24:25], s[26:27]
.LBB166_188:                            ;   in Loop: Header=BB166_17 Depth=1
	s_or_b64 exec, exec, s[18:19]
	s_and_b64 s[26:27], s[24:25], exec
                                        ; implicit-def: $vgpr15_vgpr16
.LBB166_189:                            ;   in Loop: Header=BB166_17 Depth=1
	s_andn2_saveexec_b64 s[16:17], s[16:17]
	s_cbranch_execz .LBB166_231
; %bb.190:                              ;   in Loop: Header=BB166_17 Depth=1
	v_cmp_gt_i16_sdwa s[18:19], v9, v39 src0_sel:BYTE_0 src1_sel:DWORD
                                        ; implicit-def: $vgpr66
	s_and_saveexec_b64 s[24:25], s[18:19]
	s_xor_b64 s[18:19], exec, s[24:25]
	s_cbranch_execz .LBB166_212
; %bb.191:                              ;   in Loop: Header=BB166_17 Depth=1
	v_cmp_gt_i16_sdwa s[24:25], v9, v48 src0_sel:BYTE_0 src1_sel:DWORD
                                        ; implicit-def: $vgpr66
	s_and_saveexec_b64 s[28:29], s[24:25]
	s_xor_b64 s[24:25], exec, s[28:29]
	;; [unrolled: 6-line block ×4, first 2 shown]
	s_cbranch_execz .LBB166_195
; %bb.194:                              ;   in Loop: Header=BB166_17 Depth=1
	flat_load_dwordx2 v[15:16], v[15:16]
	s_waitcnt vmcnt(0) lgkmcnt(0)
	v_cvt_f32_f64_e32 v66, v[15:16]
                                        ; implicit-def: $vgpr15_vgpr16
.LBB166_195:                            ;   in Loop: Header=BB166_17 Depth=1
	s_andn2_saveexec_b64 s[40:41], s[40:41]
	s_cbranch_execz .LBB166_197
; %bb.196:                              ;   in Loop: Header=BB166_17 Depth=1
	flat_load_dword v66, v[15:16]
.LBB166_197:                            ;   in Loop: Header=BB166_17 Depth=1
	s_or_b64 exec, exec, s[40:41]
                                        ; implicit-def: $vgpr15_vgpr16
.LBB166_198:                            ;   in Loop: Header=BB166_17 Depth=1
	s_andn2_saveexec_b64 s[28:29], s[28:29]
	s_cbranch_execz .LBB166_200
; %bb.199:                              ;   in Loop: Header=BB166_17 Depth=1
	flat_load_dword v15, v[15:16]
	s_waitcnt vmcnt(0) lgkmcnt(0)
	v_cvt_f32_f16_e32 v66, v15
.LBB166_200:                            ;   in Loop: Header=BB166_17 Depth=1
	s_or_b64 exec, exec, s[28:29]
                                        ; implicit-def: $vgpr15_vgpr16
.LBB166_201:                            ;   in Loop: Header=BB166_17 Depth=1
	s_andn2_saveexec_b64 s[24:25], s[24:25]
	s_cbranch_execz .LBB166_211
; %bb.202:                              ;   in Loop: Header=BB166_17 Depth=1
	v_cmp_gt_i16_sdwa s[28:29], v9, v51 src0_sel:BYTE_0 src1_sel:DWORD
                                        ; implicit-def: $vgpr66
	s_and_saveexec_b64 s[40:41], s[28:29]
	s_xor_b64 s[28:29], exec, s[40:41]
	s_cbranch_execz .LBB166_208
; %bb.203:                              ;   in Loop: Header=BB166_17 Depth=1
	v_cmp_gt_i16_sdwa s[40:41], v9, v52 src0_sel:BYTE_0 src1_sel:DWORD
                                        ; implicit-def: $vgpr66
	s_and_saveexec_b64 s[42:43], s[40:41]
	s_xor_b64 s[40:41], exec, s[42:43]
	s_cbranch_execz .LBB166_205
; %bb.204:                              ;   in Loop: Header=BB166_17 Depth=1
	flat_load_dwordx2 v[15:16], v[15:16]
	s_waitcnt vmcnt(0) lgkmcnt(0)
	v_cvt_f32_f64_e32 v66, v[15:16]
                                        ; implicit-def: $vgpr15_vgpr16
.LBB166_205:                            ;   in Loop: Header=BB166_17 Depth=1
	s_andn2_saveexec_b64 s[40:41], s[40:41]
	s_cbranch_execz .LBB166_207
; %bb.206:                              ;   in Loop: Header=BB166_17 Depth=1
	s_waitcnt vmcnt(0) lgkmcnt(0)
	flat_load_dword v66, v[15:16]
.LBB166_207:                            ;   in Loop: Header=BB166_17 Depth=1
	s_or_b64 exec, exec, s[40:41]
                                        ; implicit-def: $vgpr15_vgpr16
.LBB166_208:                            ;   in Loop: Header=BB166_17 Depth=1
	s_andn2_saveexec_b64 s[28:29], s[28:29]
	s_cbranch_execz .LBB166_210
; %bb.209:                              ;   in Loop: Header=BB166_17 Depth=1
	flat_load_ushort v15, v[15:16]
	s_waitcnt vmcnt(0) lgkmcnt(0)
	v_cvt_f32_f16_e32 v66, v15
.LBB166_210:                            ;   in Loop: Header=BB166_17 Depth=1
	s_or_b64 exec, exec, s[28:29]
.LBB166_211:                            ;   in Loop: Header=BB166_17 Depth=1
	s_or_b64 exec, exec, s[24:25]
                                        ; implicit-def: $vgpr15_vgpr16
.LBB166_212:                            ;   in Loop: Header=BB166_17 Depth=1
	s_andn2_saveexec_b64 s[18:19], s[18:19]
	s_cbranch_execz .LBB166_230
; %bb.213:                              ;   in Loop: Header=BB166_17 Depth=1
	v_cmp_gt_i16_sdwa s[24:25], v9, v53 src0_sel:BYTE_0 src1_sel:DWORD
                                        ; implicit-def: $vgpr66
	s_and_saveexec_b64 s[28:29], s[24:25]
	s_xor_b64 s[24:25], exec, s[28:29]
	s_cbranch_execz .LBB166_223
; %bb.214:                              ;   in Loop: Header=BB166_17 Depth=1
	v_cmp_gt_i16_sdwa s[28:29], v9, v54 src0_sel:BYTE_0 src1_sel:DWORD
                                        ; implicit-def: $vgpr66
	s_and_saveexec_b64 s[40:41], s[28:29]
	s_xor_b64 s[28:29], exec, s[40:41]
	;; [unrolled: 6-line block ×3, first 2 shown]
	s_cbranch_execz .LBB166_217
; %bb.216:                              ;   in Loop: Header=BB166_17 Depth=1
	flat_load_dwordx2 v[15:16], v[15:16]
	s_waitcnt vmcnt(0) lgkmcnt(0)
	v_xor_b32_e32 v67, v15, v16
	v_ffbh_i32_e32 v66, v16
	v_ashrrev_i32_e32 v67, 31, v67
	v_add_u32_e32 v66, -1, v66
	v_add_u32_e32 v67, 32, v67
	v_min_u32_e32 v66, v66, v67
	v_lshlrev_b64 v[15:16], v66, v[15:16]
	v_min_u32_e32 v15, 1, v15
	v_or_b32_e32 v15, v16, v15
	v_cvt_f32_i32_e32 v15, v15
	v_sub_u32_e32 v16, 32, v66
	v_ldexp_f32 v66, v15, v16
                                        ; implicit-def: $vgpr15_vgpr16
.LBB166_217:                            ;   in Loop: Header=BB166_17 Depth=1
	s_andn2_saveexec_b64 s[40:41], s[40:41]
	s_cbranch_execz .LBB166_219
; %bb.218:                              ;   in Loop: Header=BB166_17 Depth=1
	flat_load_dword v15, v[15:16]
	s_waitcnt vmcnt(0) lgkmcnt(0)
	v_cvt_f32_i32_e32 v66, v15
.LBB166_219:                            ;   in Loop: Header=BB166_17 Depth=1
	s_or_b64 exec, exec, s[40:41]
                                        ; implicit-def: $vgpr15_vgpr16
.LBB166_220:                            ;   in Loop: Header=BB166_17 Depth=1
	s_andn2_saveexec_b64 s[28:29], s[28:29]
	s_cbranch_execz .LBB166_222
; %bb.221:                              ;   in Loop: Header=BB166_17 Depth=1
	flat_load_sshort v15, v[15:16]
	s_waitcnt vmcnt(0) lgkmcnt(0)
	v_cvt_f32_i32_e32 v66, v15
.LBB166_222:                            ;   in Loop: Header=BB166_17 Depth=1
	s_or_b64 exec, exec, s[28:29]
                                        ; implicit-def: $vgpr15_vgpr16
.LBB166_223:                            ;   in Loop: Header=BB166_17 Depth=1
	s_andn2_saveexec_b64 s[24:25], s[24:25]
	s_cbranch_execz .LBB166_229
; %bb.224:                              ;   in Loop: Header=BB166_17 Depth=1
	v_cmp_gt_i16_sdwa s[28:29], v9, v18 src0_sel:BYTE_0 src1_sel:DWORD
                                        ; implicit-def: $vgpr66
	s_and_saveexec_b64 s[40:41], s[28:29]
	s_xor_b64 s[28:29], exec, s[40:41]
	s_cbranch_execz .LBB166_226
; %bb.225:                              ;   in Loop: Header=BB166_17 Depth=1
	flat_load_sbyte v15, v[15:16]
	s_waitcnt vmcnt(0) lgkmcnt(0)
	v_cvt_f32_i32_e32 v66, v15
                                        ; implicit-def: $vgpr15_vgpr16
.LBB166_226:                            ;   in Loop: Header=BB166_17 Depth=1
	s_andn2_saveexec_b64 s[28:29], s[28:29]
	s_cbranch_execz .LBB166_228
; %bb.227:                              ;   in Loop: Header=BB166_17 Depth=1
	flat_load_ubyte v15, v[15:16]
	s_waitcnt vmcnt(0) lgkmcnt(0)
	v_cvt_f32_ubyte0_e32 v66, v15
.LBB166_228:                            ;   in Loop: Header=BB166_17 Depth=1
	s_or_b64 exec, exec, s[28:29]
.LBB166_229:                            ;   in Loop: Header=BB166_17 Depth=1
	s_or_b64 exec, exec, s[24:25]
.LBB166_230:                            ;   in Loop: Header=BB166_17 Depth=1
	s_or_b64 exec, exec, s[18:19]
	s_or_b64 s[26:27], s[26:27], exec
.LBB166_231:                            ;   in Loop: Header=BB166_17 Depth=1
	s_or_b64 exec, exec, s[16:17]
	s_mov_b64 s[16:17], -1
	s_mov_b64 s[28:29], 0
	s_mov_b64 s[18:19], 0
	s_and_saveexec_b64 s[24:25], s[26:27]
	s_cbranch_execz .LBB166_237
; %bb.232:                              ;   in Loop: Header=BB166_17 Depth=1
	v_readlane_b32 s16, v41, 0
	s_lshr_b32 s58, s32, 6
	s_add_i32 s58, s58, s16
	v_mov_b32_e32 v15, s58
	s_waitcnt vmcnt(0) lgkmcnt(0)
	buffer_store_dword v66, v15, s[0:3], 0 offen offset:12
	v_mul_lo_u32 v15, v65, v12
	v_cmp_gt_i16_sdwa s[16:17], v10, v19 src0_sel:BYTE_0 src1_sel:DWORD
                                        ; implicit-def: $vgpr65
	v_add_co_u32_e32 v15, vcc, v6, v15
	v_addc_co_u32_e32 v16, vcc, 0, v7, vcc
	s_and_saveexec_b64 s[26:27], s[16:17]
	s_xor_b64 s[16:17], exec, s[26:27]
	s_cbranch_execnz .LBB166_1894
; %bb.233:                              ;   in Loop: Header=BB166_17 Depth=1
	s_andn2_saveexec_b64 s[16:17], s[16:17]
	s_cbranch_execnz .LBB166_1953
.LBB166_234:                            ;   in Loop: Header=BB166_17 Depth=1
	s_or_b64 exec, exec, s[16:17]
	s_mov_b64 s[26:27], 0
	s_and_saveexec_b64 s[16:17], s[18:19]
	s_cbranch_execz .LBB166_236
.LBB166_235:                            ;   in Loop: Header=BB166_17 Depth=1
	s_mov_b64 s[26:27], exec
	v_mov_b32_e32 v15, s58
	v_add_u32_e32 v64, 0x200, v64
	s_waitcnt vmcnt(0) lgkmcnt(0)
	buffer_store_dword v65, v15, s[0:3], 0 offen offset:8
.LBB166_236:                            ;   in Loop: Header=BB166_17 Depth=1
	s_or_b64 exec, exec, s[16:17]
	s_mov_b64 s[18:19], exec
	s_xor_b64 s[16:17], exec, -1
	s_and_b64 s[28:29], s[26:27], exec
.LBB166_237:                            ;   in Loop: Header=BB166_17 Depth=1
	s_or_b64 exec, exec, s[24:25]
	s_orn2_b64 s[24:25], s[28:29], exec
.LBB166_238:                            ;   in Loop: Header=BB166_17 Depth=1
	s_or_b64 exec, exec, s[20:21]
	s_and_saveexec_b64 s[20:21], s[24:25]
	s_cbranch_execz .LBB166_15
; %bb.239:                              ;   in Loop: Header=BB166_17 Depth=1
	v_cmp_lt_i32_e32 vcc, v64, v8
	s_mov_b64 s[28:29], -1
	s_mov_b64 s[40:41], -1
                                        ; implicit-def: $sgpr22_sgpr23
                                        ; implicit-def: $sgpr24_sgpr25
	s_and_saveexec_b64 s[26:27], vcc
	s_cbranch_execz .LBB166_349
; %bb.240:                              ;   in Loop: Header=BB166_17 Depth=1
	v_readlane_b32 s22, v41, 2
	s_waitcnt vmcnt(0) lgkmcnt(0)
	v_add_u32_e32 v65, s22, v64
	v_mul_lo_u32 v15, v65, v11
	v_cmp_gt_i16_sdwa s[22:23], v9, v19 src0_sel:BYTE_0 src1_sel:DWORD
	s_mov_b64 s[42:43], 0
                                        ; implicit-def: $vgpr66
	v_add_co_u32_e32 v15, vcc, v4, v15
	v_addc_co_u32_e32 v16, vcc, 0, v5, vcc
	s_and_saveexec_b64 s[24:25], s[22:23]
	s_xor_b64 s[22:23], exec, s[24:25]
	s_cbranch_execz .LBB166_300
; %bb.241:                              ;   in Loop: Header=BB166_17 Depth=1
	v_cmp_gt_i16_sdwa s[24:25], v9, v20 src0_sel:BYTE_0 src1_sel:DWORD
	s_mov_b64 s[40:41], 0
                                        ; implicit-def: $vgpr66
	s_and_saveexec_b64 s[42:43], s[24:25]
	s_xor_b64 s[24:25], exec, s[42:43]
	s_cbranch_execz .LBB166_273
; %bb.242:                              ;   in Loop: Header=BB166_17 Depth=1
	v_cmp_gt_i16_sdwa s[42:43], v9, v21 src0_sel:BYTE_0 src1_sel:DWORD
                                        ; implicit-def: $vgpr66
	s_and_saveexec_b64 s[44:45], s[42:43]
	s_xor_b64 s[42:43], exec, s[44:45]
	s_cbranch_execz .LBB166_258
; %bb.243:                              ;   in Loop: Header=BB166_17 Depth=1
	v_cmp_gt_i16_sdwa s[40:41], v9, v22 src0_sel:BYTE_0 src1_sel:DWORD
	s_mov_b64 s[44:45], 0
                                        ; implicit-def: $vgpr66
	s_and_saveexec_b64 s[46:47], s[40:41]
	s_xor_b64 s[40:41], exec, s[46:47]
	s_cbranch_execz .LBB166_253
; %bb.244:                              ;   in Loop: Header=BB166_17 Depth=1
	v_cmp_gt_i16_sdwa s[46:47], v9, v23 src0_sel:BYTE_0 src1_sel:DWORD
                                        ; implicit-def: $vgpr66
	s_and_saveexec_b64 s[56:57], s[46:47]
	s_xor_b64 s[46:47], exec, s[56:57]
	s_cbranch_execz .LBB166_248
; %bb.245:                              ;   in Loop: Header=BB166_17 Depth=1
	v_cmp_eq_u16_sdwa s[58:59], v9, v24 src0_sel:BYTE_0 src1_sel:DWORD
                                        ; implicit-def: $vgpr66
	s_and_saveexec_b64 s[56:57], s[58:59]
	s_cbranch_execz .LBB166_247
; %bb.246:                              ;   in Loop: Header=BB166_17 Depth=1
	flat_load_dword v15, v[15:16]
	s_mov_b64 s[44:45], exec
	s_waitcnt vmcnt(0) lgkmcnt(0)
	v_lshlrev_b32_e32 v66, 16, v15
.LBB166_247:                            ;   in Loop: Header=BB166_17 Depth=1
	s_or_b64 exec, exec, s[56:57]
	s_and_b64 s[44:45], s[44:45], exec
                                        ; implicit-def: $vgpr15_vgpr16
.LBB166_248:                            ;   in Loop: Header=BB166_17 Depth=1
	s_andn2_saveexec_b64 s[46:47], s[46:47]
	s_cbranch_execz .LBB166_252
; %bb.249:                              ;   in Loop: Header=BB166_17 Depth=1
	v_cmp_eq_u16_sdwa s[60:61], v9, v25 src0_sel:BYTE_0 src1_sel:DWORD
	s_mov_b64 s[58:59], s[44:45]
                                        ; implicit-def: $vgpr66
	s_and_saveexec_b64 s[56:57], s[60:61]
	s_cbranch_execz .LBB166_251
; %bb.250:                              ;   in Loop: Header=BB166_17 Depth=1
	flat_load_ubyte v15, v[15:16]
	s_movk_i32 s58, 0xff
	s_waitcnt vmcnt(0) lgkmcnt(0)
	v_lshlrev_b32_e32 v16, 23, v15
	v_cmp_ne_u32_e32 vcc, s58, v15
	v_cndmask_b32_e32 v16, v26, v16, vcc
	v_cmp_ne_u32_e32 vcc, 0, v15
	v_cndmask_b32_e32 v66, v27, v16, vcc
	s_or_b64 s[58:59], s[44:45], exec
.LBB166_251:                            ;   in Loop: Header=BB166_17 Depth=1
	s_or_b64 exec, exec, s[56:57]
	s_andn2_b64 s[44:45], s[44:45], exec
	s_and_b64 s[56:57], s[58:59], exec
	s_or_b64 s[44:45], s[44:45], s[56:57]
.LBB166_252:                            ;   in Loop: Header=BB166_17 Depth=1
	s_or_b64 exec, exec, s[46:47]
	s_and_b64 s[44:45], s[44:45], exec
                                        ; implicit-def: $vgpr15_vgpr16
.LBB166_253:                            ;   in Loop: Header=BB166_17 Depth=1
	s_andn2_saveexec_b64 s[40:41], s[40:41]
	s_cbranch_execz .LBB166_257
; %bb.254:                              ;   in Loop: Header=BB166_17 Depth=1
	v_cmp_eq_u16_sdwa s[58:59], v9, v28 src0_sel:BYTE_0 src1_sel:DWORD
	s_mov_b64 s[56:57], s[44:45]
                                        ; implicit-def: $vgpr66
	s_and_saveexec_b64 s[46:47], s[58:59]
	s_cbranch_execz .LBB166_256
; %bb.255:                              ;   in Loop: Header=BB166_17 Depth=1
	flat_load_dwordx2 v[15:16], v[15:16]
	s_or_b64 s[56:57], s[44:45], exec
	s_waitcnt vmcnt(0) lgkmcnt(0)
	v_ffbh_u32_e32 v66, v16
	v_min_u32_e32 v66, 32, v66
	v_lshlrev_b64 v[15:16], v66, v[15:16]
	v_min_u32_e32 v15, 1, v15
	v_or_b32_e32 v15, v16, v15
	v_cvt_f32_u32_e32 v15, v15
	v_sub_u32_e32 v16, 32, v66
	v_ldexp_f32 v66, v15, v16
.LBB166_256:                            ;   in Loop: Header=BB166_17 Depth=1
	s_or_b64 exec, exec, s[46:47]
	s_andn2_b64 s[44:45], s[44:45], exec
	s_and_b64 s[46:47], s[56:57], exec
	s_or_b64 s[44:45], s[44:45], s[46:47]
.LBB166_257:                            ;   in Loop: Header=BB166_17 Depth=1
	s_or_b64 exec, exec, s[40:41]
	s_and_b64 s[40:41], s[44:45], exec
                                        ; implicit-def: $vgpr15_vgpr16
.LBB166_258:                            ;   in Loop: Header=BB166_17 Depth=1
	s_andn2_saveexec_b64 s[42:43], s[42:43]
	s_cbranch_execz .LBB166_272
; %bb.259:                              ;   in Loop: Header=BB166_17 Depth=1
	v_cmp_gt_i16_sdwa s[44:45], v9, v29 src0_sel:BYTE_0 src1_sel:DWORD
                                        ; implicit-def: $vgpr66
	s_and_saveexec_b64 s[46:47], s[44:45]
	s_xor_b64 s[44:45], exec, s[46:47]
	s_cbranch_execz .LBB166_265
; %bb.260:                              ;   in Loop: Header=BB166_17 Depth=1
	v_cmp_gt_i16_sdwa s[46:47], v9, v30 src0_sel:BYTE_0 src1_sel:DWORD
                                        ; implicit-def: $vgpr66
	s_and_saveexec_b64 s[56:57], s[46:47]
	s_xor_b64 s[46:47], exec, s[56:57]
	s_cbranch_execz .LBB166_262
; %bb.261:                              ;   in Loop: Header=BB166_17 Depth=1
	flat_load_dword v15, v[15:16]
	s_waitcnt vmcnt(0) lgkmcnt(0)
	v_cvt_f32_u32_e32 v66, v15
                                        ; implicit-def: $vgpr15_vgpr16
.LBB166_262:                            ;   in Loop: Header=BB166_17 Depth=1
	s_andn2_saveexec_b64 s[46:47], s[46:47]
	s_cbranch_execz .LBB166_264
; %bb.263:                              ;   in Loop: Header=BB166_17 Depth=1
	flat_load_ushort v15, v[15:16]
	s_waitcnt vmcnt(0) lgkmcnt(0)
	v_cvt_f32_u32_e32 v66, v15
.LBB166_264:                            ;   in Loop: Header=BB166_17 Depth=1
	s_or_b64 exec, exec, s[46:47]
                                        ; implicit-def: $vgpr15_vgpr16
.LBB166_265:                            ;   in Loop: Header=BB166_17 Depth=1
	s_andn2_saveexec_b64 s[44:45], s[44:45]
	s_cbranch_execz .LBB166_271
; %bb.266:                              ;   in Loop: Header=BB166_17 Depth=1
	flat_load_ubyte v15, v[15:16]
	s_movk_i32 s46, 0x7f
	s_waitcnt vmcnt(0) lgkmcnt(0)
	v_cmp_lt_i16_e32 vcc, s46, v15
	s_mov_b64 s[46:47], 0
	s_and_saveexec_b64 s[56:57], vcc
	s_xor_b64 s[56:57], exec, s[56:57]
	s_cbranch_execnz .LBB166_2314
; %bb.267:                              ;   in Loop: Header=BB166_17 Depth=1
	s_or_saveexec_b64 s[56:57], s[56:57]
	v_mov_b32_e32 v66, 0x7f800001
	s_xor_b64 exec, exec, s[56:57]
	s_cbranch_execnz .LBB166_2317
.LBB166_268:                            ;   in Loop: Header=BB166_17 Depth=1
	s_or_b64 exec, exec, s[56:57]
	s_and_saveexec_b64 s[56:57], s[46:47]
	s_cbranch_execz .LBB166_270
.LBB166_269:                            ;   in Loop: Header=BB166_17 Depth=1
	v_lshlrev_b32_e32 v16, 24, v15
	v_and_b32_e32 v15, 0xffff, v15
	v_and_b32_e32 v66, 7, v15
	v_ffbh_u32_e32 v68, v66
	v_min_u32_e32 v68, 32, v68
	v_subrev_u32_e32 v69, 28, v68
	v_bfe_u32 v67, v15, 3, 4
	v_lshlrev_b32_e32 v15, v69, v15
	v_sub_u32_e32 v68, 29, v68
	v_and_b32_e32 v15, 7, v15
	v_cmp_eq_u32_e32 vcc, 0, v67
	v_cndmask_b32_e32 v67, v67, v68, vcc
	v_cndmask_b32_e32 v15, v66, v15, vcc
	v_lshlrev_b32_e32 v15, 20, v15
	v_and_b32_e32 v16, 0x80000000, v16
	v_lshl_add_u32 v66, v67, 23, v31
	v_or3_b32 v66, v16, v66, v15
.LBB166_270:                            ;   in Loop: Header=BB166_17 Depth=1
	s_or_b64 exec, exec, s[56:57]
.LBB166_271:                            ;   in Loop: Header=BB166_17 Depth=1
	s_or_b64 exec, exec, s[44:45]
	s_or_b64 s[40:41], s[40:41], exec
.LBB166_272:                            ;   in Loop: Header=BB166_17 Depth=1
	s_or_b64 exec, exec, s[42:43]
	s_and_b64 s[40:41], s[40:41], exec
                                        ; implicit-def: $vgpr15_vgpr16
.LBB166_273:                            ;   in Loop: Header=BB166_17 Depth=1
	s_andn2_saveexec_b64 s[24:25], s[24:25]
	s_cbranch_execz .LBB166_299
; %bb.274:                              ;   in Loop: Header=BB166_17 Depth=1
	v_cmp_gt_i16_sdwa s[42:43], v9, v32 src0_sel:BYTE_0 src1_sel:DWORD
	s_mov_b64 s[44:45], s[40:41]
                                        ; implicit-def: $vgpr66
	s_and_saveexec_b64 s[46:47], s[42:43]
	s_xor_b64 s[42:43], exec, s[46:47]
	s_cbranch_execz .LBB166_288
; %bb.275:                              ;   in Loop: Header=BB166_17 Depth=1
	v_cmp_gt_i16_sdwa s[44:45], v9, v33 src0_sel:BYTE_0 src1_sel:DWORD
                                        ; implicit-def: $vgpr66
	s_and_saveexec_b64 s[46:47], s[44:45]
	s_xor_b64 s[44:45], exec, s[46:47]
	s_cbranch_execz .LBB166_285
; %bb.276:                              ;   in Loop: Header=BB166_17 Depth=1
	v_cmp_gt_i16_sdwa s[46:47], v9, v34 src0_sel:BYTE_0 src1_sel:DWORD
                                        ; implicit-def: $vgpr66
	s_and_saveexec_b64 s[56:57], s[46:47]
	s_xor_b64 s[46:47], exec, s[56:57]
	s_cbranch_execz .LBB166_282
; %bb.277:                              ;   in Loop: Header=BB166_17 Depth=1
	flat_load_ubyte v15, v[15:16]
	s_movk_i32 s56, 0x7f
	s_waitcnt vmcnt(0) lgkmcnt(0)
	v_cmp_lt_i16_e32 vcc, s56, v15
	s_mov_b64 s[56:57], 0
	s_and_saveexec_b64 s[58:59], vcc
	s_xor_b64 s[58:59], exec, s[58:59]
	s_cbranch_execnz .LBB166_2426
; %bb.278:                              ;   in Loop: Header=BB166_17 Depth=1
	s_or_saveexec_b64 s[58:59], s[58:59]
	v_mov_b32_e32 v66, 0x7f800001
	s_xor_b64 exec, exec, s[58:59]
	s_cbranch_execnz .LBB166_2429
.LBB166_279:                            ;   in Loop: Header=BB166_17 Depth=1
	s_or_b64 exec, exec, s[58:59]
	s_and_saveexec_b64 s[58:59], s[56:57]
	s_cbranch_execz .LBB166_281
.LBB166_280:                            ;   in Loop: Header=BB166_17 Depth=1
	v_lshlrev_b32_e32 v16, 24, v15
	v_and_b32_e32 v15, 0xffff, v15
	v_and_b32_e32 v66, 3, v15
	v_ffbh_u32_e32 v68, v66
	v_min_u32_e32 v68, 32, v68
	v_subrev_u32_e32 v69, 29, v68
	v_bfe_u32 v67, v15, 2, 5
	v_lshlrev_b32_e32 v15, v69, v15
	v_sub_u32_e32 v68, 30, v68
	v_and_b32_e32 v15, 3, v15
	v_cmp_eq_u32_e32 vcc, 0, v67
	v_cndmask_b32_e32 v67, v67, v68, vcc
	v_cndmask_b32_e32 v15, v66, v15, vcc
	v_lshlrev_b32_e32 v15, 21, v15
	v_and_b32_e32 v16, 0x80000000, v16
	v_lshl_add_u32 v66, v67, 23, v35
	v_or3_b32 v66, v16, v66, v15
.LBB166_281:                            ;   in Loop: Header=BB166_17 Depth=1
	s_or_b64 exec, exec, s[58:59]
                                        ; implicit-def: $vgpr15_vgpr16
.LBB166_282:                            ;   in Loop: Header=BB166_17 Depth=1
	s_andn2_saveexec_b64 s[46:47], s[46:47]
	s_cbranch_execz .LBB166_284
; %bb.283:                              ;   in Loop: Header=BB166_17 Depth=1
	flat_load_ubyte v15, v[15:16]
	s_mov_b32 s56, 0x7f800000
	s_waitcnt vmcnt(0) lgkmcnt(0)
	v_lshlrev_b32_e32 v15, 24, v15
	v_and_b32_e32 v16, 0x7f000000, v15
	v_ffbh_u32_e32 v66, v16
	v_min_u32_e32 v66, 32, v66
	v_sub_u32_e64 v66, v66, 4 clamp
	v_lshlrev_b32_e32 v68, v66, v16
	v_lshlrev_b32_e32 v66, 23, v66
	v_lshrrev_b32_e32 v68, 4, v68
	v_add_u32_e32 v67, 0x1000000, v16
	v_sub_u32_e32 v66, v68, v66
	v_ashrrev_i32_e32 v67, 8, v67
	v_add_u32_e32 v66, 0x3c000000, v66
	v_and_or_b32 v66, v67, s56, v66
	v_cmp_ne_u32_e32 vcc, 0, v16
	v_cndmask_b32_e32 v16, 0, v66, vcc
	s_brev_b32 s56, 1
	v_and_or_b32 v66, v15, s56, v16
.LBB166_284:                            ;   in Loop: Header=BB166_17 Depth=1
	s_or_b64 exec, exec, s[46:47]
                                        ; implicit-def: $vgpr15_vgpr16
.LBB166_285:                            ;   in Loop: Header=BB166_17 Depth=1
	s_andn2_saveexec_b64 s[44:45], s[44:45]
	s_cbranch_execz .LBB166_287
; %bb.286:                              ;   in Loop: Header=BB166_17 Depth=1
	flat_load_ubyte v15, v[15:16]
	s_movk_i32 s46, 0x7f00
	s_waitcnt vmcnt(0) lgkmcnt(0)
	v_lshlrev_b16_e32 v16, 8, v15
	v_lshlrev_b32_e32 v15, 25, v15
	v_lshrrev_b32_e32 v66, 4, v15
	v_and_or_b32 v67, v16, s46, 0.5
	v_or_b32_e32 v66, 0x70000000, v66
	s_brev_b32 s46, 16
	v_add_f32_e32 v67, -0.5, v67
	v_mul_f32_e32 v66, 0x7800000, v66
	v_cmp_gt_u32_e32 vcc, s46, v15
	v_cndmask_b32_e32 v15, v66, v67, vcc
	v_bfe_i32 v16, v16, 0, 16
	s_brev_b32 s46, 1
	v_and_or_b32 v66, v16, s46, v15
.LBB166_287:                            ;   in Loop: Header=BB166_17 Depth=1
	s_or_b64 exec, exec, s[44:45]
	s_or_b64 s[44:45], s[40:41], exec
                                        ; implicit-def: $vgpr15_vgpr16
.LBB166_288:                            ;   in Loop: Header=BB166_17 Depth=1
	s_andn2_saveexec_b64 s[42:43], s[42:43]
	s_cbranch_execz .LBB166_298
; %bb.289:                              ;   in Loop: Header=BB166_17 Depth=1
	v_cmp_gt_i16_sdwa s[56:57], v9, v36 src0_sel:BYTE_0 src1_sel:DWORD
	s_mov_b64 s[46:47], s[44:45]
                                        ; implicit-def: $vgpr66
	s_and_saveexec_b64 s[58:59], s[56:57]
	s_xor_b64 s[56:57], exec, s[58:59]
	s_cbranch_execz .LBB166_293
; %bb.290:                              ;   in Loop: Header=BB166_17 Depth=1
	v_cmp_eq_u16_sdwa s[60:61], v9, v37 src0_sel:BYTE_0 src1_sel:DWORD
	s_mov_b64 s[46:47], s[44:45]
                                        ; implicit-def: $vgpr66
	s_and_saveexec_b64 s[58:59], s[60:61]
	s_cbranch_execz .LBB166_292
; %bb.291:                              ;   in Loop: Header=BB166_17 Depth=1
	flat_load_ushort v15, v[15:16]
	s_or_b64 s[46:47], s[44:45], exec
	s_waitcnt vmcnt(0) lgkmcnt(0)
	v_lshlrev_b32_e32 v66, 16, v15
.LBB166_292:                            ;   in Loop: Header=BB166_17 Depth=1
	s_or_b64 exec, exec, s[58:59]
	s_andn2_b64 s[58:59], s[44:45], exec
	s_and_b64 s[46:47], s[46:47], exec
	s_or_b64 s[46:47], s[58:59], s[46:47]
                                        ; implicit-def: $vgpr15_vgpr16
.LBB166_293:                            ;   in Loop: Header=BB166_17 Depth=1
	s_andn2_saveexec_b64 s[56:57], s[56:57]
	s_cbranch_execz .LBB166_297
; %bb.294:                              ;   in Loop: Header=BB166_17 Depth=1
	v_cmp_eq_u16_sdwa s[62:63], v9, v38 src0_sel:BYTE_0 src1_sel:DWORD
	s_mov_b64 s[58:59], s[46:47]
                                        ; implicit-def: $vgpr66
	s_and_saveexec_b64 s[60:61], s[62:63]
	s_cbranch_execz .LBB166_296
; %bb.295:                              ;   in Loop: Header=BB166_17 Depth=1
	flat_load_ubyte v15, v[15:16]
	s_or_b64 s[58:59], s[46:47], exec
	s_waitcnt vmcnt(0) lgkmcnt(0)
	v_cmp_ne_u16_e32 vcc, 0, v15
	v_cndmask_b32_e64 v66, 0, 1.0, vcc
.LBB166_296:                            ;   in Loop: Header=BB166_17 Depth=1
	s_or_b64 exec, exec, s[60:61]
	s_andn2_b64 s[46:47], s[46:47], exec
	s_and_b64 s[58:59], s[58:59], exec
	s_or_b64 s[46:47], s[46:47], s[58:59]
.LBB166_297:                            ;   in Loop: Header=BB166_17 Depth=1
	s_or_b64 exec, exec, s[56:57]
	s_andn2_b64 s[44:45], s[44:45], exec
	s_and_b64 s[46:47], s[46:47], exec
	s_or_b64 s[44:45], s[44:45], s[46:47]
.LBB166_298:                            ;   in Loop: Header=BB166_17 Depth=1
	s_or_b64 exec, exec, s[42:43]
	s_andn2_b64 s[40:41], s[40:41], exec
	s_and_b64 s[42:43], s[44:45], exec
	s_or_b64 s[40:41], s[40:41], s[42:43]
.LBB166_299:                            ;   in Loop: Header=BB166_17 Depth=1
	s_or_b64 exec, exec, s[24:25]
	s_and_b64 s[42:43], s[40:41], exec
                                        ; implicit-def: $vgpr15_vgpr16
.LBB166_300:                            ;   in Loop: Header=BB166_17 Depth=1
	s_andn2_saveexec_b64 s[22:23], s[22:23]
	s_cbranch_execz .LBB166_342
; %bb.301:                              ;   in Loop: Header=BB166_17 Depth=1
	v_cmp_gt_i16_sdwa s[24:25], v9, v39 src0_sel:BYTE_0 src1_sel:DWORD
                                        ; implicit-def: $vgpr66
	s_and_saveexec_b64 s[40:41], s[24:25]
	s_xor_b64 s[24:25], exec, s[40:41]
	s_cbranch_execz .LBB166_323
; %bb.302:                              ;   in Loop: Header=BB166_17 Depth=1
	v_cmp_gt_i16_sdwa s[40:41], v9, v48 src0_sel:BYTE_0 src1_sel:DWORD
                                        ; implicit-def: $vgpr66
	s_and_saveexec_b64 s[44:45], s[40:41]
	s_xor_b64 s[40:41], exec, s[44:45]
	s_cbranch_execz .LBB166_312
; %bb.303:                              ;   in Loop: Header=BB166_17 Depth=1
	v_cmp_gt_i16_sdwa s[44:45], v9, v49 src0_sel:BYTE_0 src1_sel:DWORD
                                        ; implicit-def: $vgpr66
	s_and_saveexec_b64 s[46:47], s[44:45]
	s_xor_b64 s[44:45], exec, s[46:47]
	s_cbranch_execz .LBB166_309
; %bb.304:                              ;   in Loop: Header=BB166_17 Depth=1
	v_cmp_gt_i16_sdwa s[46:47], v9, v50 src0_sel:BYTE_0 src1_sel:DWORD
                                        ; implicit-def: $vgpr66
	s_and_saveexec_b64 s[56:57], s[46:47]
	s_xor_b64 s[46:47], exec, s[56:57]
	s_cbranch_execz .LBB166_306
; %bb.305:                              ;   in Loop: Header=BB166_17 Depth=1
	flat_load_dwordx2 v[15:16], v[15:16]
	s_waitcnt vmcnt(0) lgkmcnt(0)
	v_cvt_f32_f64_e32 v66, v[15:16]
                                        ; implicit-def: $vgpr15_vgpr16
.LBB166_306:                            ;   in Loop: Header=BB166_17 Depth=1
	s_andn2_saveexec_b64 s[46:47], s[46:47]
	s_cbranch_execz .LBB166_308
; %bb.307:                              ;   in Loop: Header=BB166_17 Depth=1
	flat_load_dword v66, v[15:16]
.LBB166_308:                            ;   in Loop: Header=BB166_17 Depth=1
	s_or_b64 exec, exec, s[46:47]
                                        ; implicit-def: $vgpr15_vgpr16
.LBB166_309:                            ;   in Loop: Header=BB166_17 Depth=1
	s_andn2_saveexec_b64 s[44:45], s[44:45]
	s_cbranch_execz .LBB166_311
; %bb.310:                              ;   in Loop: Header=BB166_17 Depth=1
	flat_load_dword v15, v[15:16]
	s_waitcnt vmcnt(0) lgkmcnt(0)
	v_cvt_f32_f16_e32 v66, v15
.LBB166_311:                            ;   in Loop: Header=BB166_17 Depth=1
	s_or_b64 exec, exec, s[44:45]
                                        ; implicit-def: $vgpr15_vgpr16
.LBB166_312:                            ;   in Loop: Header=BB166_17 Depth=1
	s_andn2_saveexec_b64 s[40:41], s[40:41]
	s_cbranch_execz .LBB166_322
; %bb.313:                              ;   in Loop: Header=BB166_17 Depth=1
	v_cmp_gt_i16_sdwa s[44:45], v9, v51 src0_sel:BYTE_0 src1_sel:DWORD
                                        ; implicit-def: $vgpr66
	s_and_saveexec_b64 s[46:47], s[44:45]
	s_xor_b64 s[44:45], exec, s[46:47]
	s_cbranch_execz .LBB166_319
; %bb.314:                              ;   in Loop: Header=BB166_17 Depth=1
	v_cmp_gt_i16_sdwa s[46:47], v9, v52 src0_sel:BYTE_0 src1_sel:DWORD
                                        ; implicit-def: $vgpr66
	s_and_saveexec_b64 s[56:57], s[46:47]
	s_xor_b64 s[46:47], exec, s[56:57]
	s_cbranch_execz .LBB166_316
; %bb.315:                              ;   in Loop: Header=BB166_17 Depth=1
	flat_load_dwordx2 v[15:16], v[15:16]
	s_waitcnt vmcnt(0) lgkmcnt(0)
	v_cvt_f32_f64_e32 v66, v[15:16]
                                        ; implicit-def: $vgpr15_vgpr16
.LBB166_316:                            ;   in Loop: Header=BB166_17 Depth=1
	s_andn2_saveexec_b64 s[46:47], s[46:47]
	s_cbranch_execz .LBB166_318
; %bb.317:                              ;   in Loop: Header=BB166_17 Depth=1
	s_waitcnt vmcnt(0) lgkmcnt(0)
	flat_load_dword v66, v[15:16]
.LBB166_318:                            ;   in Loop: Header=BB166_17 Depth=1
	s_or_b64 exec, exec, s[46:47]
                                        ; implicit-def: $vgpr15_vgpr16
.LBB166_319:                            ;   in Loop: Header=BB166_17 Depth=1
	s_andn2_saveexec_b64 s[44:45], s[44:45]
	s_cbranch_execz .LBB166_321
; %bb.320:                              ;   in Loop: Header=BB166_17 Depth=1
	flat_load_ushort v15, v[15:16]
	s_waitcnt vmcnt(0) lgkmcnt(0)
	v_cvt_f32_f16_e32 v66, v15
.LBB166_321:                            ;   in Loop: Header=BB166_17 Depth=1
	s_or_b64 exec, exec, s[44:45]
.LBB166_322:                            ;   in Loop: Header=BB166_17 Depth=1
	s_or_b64 exec, exec, s[40:41]
                                        ; implicit-def: $vgpr15_vgpr16
.LBB166_323:                            ;   in Loop: Header=BB166_17 Depth=1
	s_andn2_saveexec_b64 s[24:25], s[24:25]
	s_cbranch_execz .LBB166_341
; %bb.324:                              ;   in Loop: Header=BB166_17 Depth=1
	v_cmp_gt_i16_sdwa s[40:41], v9, v53 src0_sel:BYTE_0 src1_sel:DWORD
                                        ; implicit-def: $vgpr66
	s_and_saveexec_b64 s[44:45], s[40:41]
	s_xor_b64 s[40:41], exec, s[44:45]
	s_cbranch_execz .LBB166_334
; %bb.325:                              ;   in Loop: Header=BB166_17 Depth=1
	v_cmp_gt_i16_sdwa s[44:45], v9, v54 src0_sel:BYTE_0 src1_sel:DWORD
                                        ; implicit-def: $vgpr66
	s_and_saveexec_b64 s[46:47], s[44:45]
	s_xor_b64 s[44:45], exec, s[46:47]
	;; [unrolled: 6-line block ×3, first 2 shown]
	s_cbranch_execz .LBB166_328
; %bb.327:                              ;   in Loop: Header=BB166_17 Depth=1
	flat_load_dwordx2 v[15:16], v[15:16]
	s_waitcnt vmcnt(0) lgkmcnt(0)
	v_xor_b32_e32 v67, v15, v16
	v_ffbh_i32_e32 v66, v16
	v_ashrrev_i32_e32 v67, 31, v67
	v_add_u32_e32 v66, -1, v66
	v_add_u32_e32 v67, 32, v67
	v_min_u32_e32 v66, v66, v67
	v_lshlrev_b64 v[15:16], v66, v[15:16]
	v_min_u32_e32 v15, 1, v15
	v_or_b32_e32 v15, v16, v15
	v_cvt_f32_i32_e32 v15, v15
	v_sub_u32_e32 v16, 32, v66
	v_ldexp_f32 v66, v15, v16
                                        ; implicit-def: $vgpr15_vgpr16
.LBB166_328:                            ;   in Loop: Header=BB166_17 Depth=1
	s_andn2_saveexec_b64 s[46:47], s[46:47]
	s_cbranch_execz .LBB166_330
; %bb.329:                              ;   in Loop: Header=BB166_17 Depth=1
	flat_load_dword v15, v[15:16]
	s_waitcnt vmcnt(0) lgkmcnt(0)
	v_cvt_f32_i32_e32 v66, v15
.LBB166_330:                            ;   in Loop: Header=BB166_17 Depth=1
	s_or_b64 exec, exec, s[46:47]
                                        ; implicit-def: $vgpr15_vgpr16
.LBB166_331:                            ;   in Loop: Header=BB166_17 Depth=1
	s_andn2_saveexec_b64 s[44:45], s[44:45]
	s_cbranch_execz .LBB166_333
; %bb.332:                              ;   in Loop: Header=BB166_17 Depth=1
	flat_load_sshort v15, v[15:16]
	s_waitcnt vmcnt(0) lgkmcnt(0)
	v_cvt_f32_i32_e32 v66, v15
.LBB166_333:                            ;   in Loop: Header=BB166_17 Depth=1
	s_or_b64 exec, exec, s[44:45]
                                        ; implicit-def: $vgpr15_vgpr16
.LBB166_334:                            ;   in Loop: Header=BB166_17 Depth=1
	s_andn2_saveexec_b64 s[40:41], s[40:41]
	s_cbranch_execz .LBB166_340
; %bb.335:                              ;   in Loop: Header=BB166_17 Depth=1
	v_cmp_gt_i16_sdwa s[44:45], v9, v18 src0_sel:BYTE_0 src1_sel:DWORD
                                        ; implicit-def: $vgpr66
	s_and_saveexec_b64 s[46:47], s[44:45]
	s_xor_b64 s[44:45], exec, s[46:47]
	s_cbranch_execz .LBB166_337
; %bb.336:                              ;   in Loop: Header=BB166_17 Depth=1
	flat_load_sbyte v15, v[15:16]
	s_waitcnt vmcnt(0) lgkmcnt(0)
	v_cvt_f32_i32_e32 v66, v15
                                        ; implicit-def: $vgpr15_vgpr16
.LBB166_337:                            ;   in Loop: Header=BB166_17 Depth=1
	s_andn2_saveexec_b64 s[44:45], s[44:45]
	s_cbranch_execz .LBB166_339
; %bb.338:                              ;   in Loop: Header=BB166_17 Depth=1
	flat_load_ubyte v15, v[15:16]
	s_waitcnt vmcnt(0) lgkmcnt(0)
	v_cvt_f32_ubyte0_e32 v66, v15
.LBB166_339:                            ;   in Loop: Header=BB166_17 Depth=1
	s_or_b64 exec, exec, s[44:45]
.LBB166_340:                            ;   in Loop: Header=BB166_17 Depth=1
	s_or_b64 exec, exec, s[40:41]
.LBB166_341:                            ;   in Loop: Header=BB166_17 Depth=1
	s_or_b64 exec, exec, s[24:25]
	s_or_b64 s[42:43], s[42:43], exec
.LBB166_342:                            ;   in Loop: Header=BB166_17 Depth=1
	s_or_b64 exec, exec, s[22:23]
	s_mov_b64 s[22:23], -1
	s_mov_b64 s[44:45], 0
	s_mov_b64 s[24:25], 0
	s_and_saveexec_b64 s[40:41], s[42:43]
	s_cbranch_execz .LBB166_348
; %bb.343:                              ;   in Loop: Header=BB166_17 Depth=1
	v_readlane_b32 s22, v41, 0
	s_lshr_b32 s72, s32, 6
	s_add_i32 s72, s72, s22
	v_mov_b32_e32 v15, s72
	s_waitcnt vmcnt(0) lgkmcnt(0)
	buffer_store_dword v66, v15, s[0:3], 0 offen offset:20
	v_mul_lo_u32 v15, v65, v12
	v_cmp_gt_i16_sdwa s[22:23], v10, v19 src0_sel:BYTE_0 src1_sel:DWORD
                                        ; implicit-def: $vgpr65
	v_add_co_u32_e32 v15, vcc, v6, v15
	v_addc_co_u32_e32 v16, vcc, 0, v7, vcc
	s_and_saveexec_b64 s[42:43], s[22:23]
	s_xor_b64 s[22:23], exec, s[42:43]
	s_cbranch_execnz .LBB166_1994
; %bb.344:                              ;   in Loop: Header=BB166_17 Depth=1
	s_andn2_saveexec_b64 s[22:23], s[22:23]
	s_cbranch_execnz .LBB166_2053
.LBB166_345:                            ;   in Loop: Header=BB166_17 Depth=1
	s_or_b64 exec, exec, s[22:23]
	s_mov_b64 s[42:43], 0
	s_and_saveexec_b64 s[22:23], s[24:25]
	s_cbranch_execz .LBB166_347
.LBB166_346:                            ;   in Loop: Header=BB166_17 Depth=1
	s_mov_b64 s[42:43], exec
	v_mov_b32_e32 v15, s72
	v_add_u32_e32 v64, 0x200, v64
	s_waitcnt vmcnt(0) lgkmcnt(0)
	buffer_store_dword v65, v15, s[0:3], 0 offen offset:16
.LBB166_347:                            ;   in Loop: Header=BB166_17 Depth=1
	s_or_b64 exec, exec, s[22:23]
	s_mov_b64 s[24:25], exec
	s_xor_b64 s[22:23], exec, -1
	s_and_b64 s[44:45], s[42:43], exec
.LBB166_348:                            ;   in Loop: Header=BB166_17 Depth=1
	s_or_b64 exec, exec, s[40:41]
	s_orn2_b64 s[40:41], s[44:45], exec
.LBB166_349:                            ;   in Loop: Header=BB166_17 Depth=1
	s_or_b64 exec, exec, s[26:27]
	s_and_saveexec_b64 s[26:27], s[40:41]
	s_cbranch_execz .LBB166_14
; %bb.350:                              ;   in Loop: Header=BB166_17 Depth=1
	v_cmp_lt_i32_e32 vcc, v64, v8
	s_mov_b64 s[44:45], -1
	s_mov_b64 s[46:47], -1
                                        ; implicit-def: $sgpr28_sgpr29
                                        ; implicit-def: $sgpr40_sgpr41
	s_and_saveexec_b64 s[42:43], vcc
	s_cbranch_execz .LBB166_460
; %bb.351:                              ;   in Loop: Header=BB166_17 Depth=1
	v_readlane_b32 s28, v41, 2
	s_waitcnt vmcnt(0) lgkmcnt(0)
	v_add_u32_e32 v65, s28, v64
	v_mul_lo_u32 v15, v65, v11
	v_cmp_gt_i16_sdwa s[28:29], v9, v19 src0_sel:BYTE_0 src1_sel:DWORD
	s_mov_b64 s[56:57], 0
                                        ; implicit-def: $vgpr66
	v_add_co_u32_e32 v15, vcc, v4, v15
	v_addc_co_u32_e32 v16, vcc, 0, v5, vcc
	s_and_saveexec_b64 s[40:41], s[28:29]
	s_xor_b64 s[28:29], exec, s[40:41]
	s_cbranch_execz .LBB166_411
; %bb.352:                              ;   in Loop: Header=BB166_17 Depth=1
	v_cmp_gt_i16_sdwa s[40:41], v9, v20 src0_sel:BYTE_0 src1_sel:DWORD
	s_mov_b64 s[46:47], 0
                                        ; implicit-def: $vgpr66
	s_and_saveexec_b64 s[56:57], s[40:41]
	s_xor_b64 s[40:41], exec, s[56:57]
	s_cbranch_execz .LBB166_384
; %bb.353:                              ;   in Loop: Header=BB166_17 Depth=1
	v_cmp_gt_i16_sdwa s[56:57], v9, v21 src0_sel:BYTE_0 src1_sel:DWORD
                                        ; implicit-def: $vgpr66
	s_and_saveexec_b64 s[58:59], s[56:57]
	s_xor_b64 s[56:57], exec, s[58:59]
	s_cbranch_execz .LBB166_369
; %bb.354:                              ;   in Loop: Header=BB166_17 Depth=1
	v_cmp_gt_i16_sdwa s[46:47], v9, v22 src0_sel:BYTE_0 src1_sel:DWORD
	s_mov_b64 s[58:59], 0
                                        ; implicit-def: $vgpr66
	s_and_saveexec_b64 s[60:61], s[46:47]
	s_xor_b64 s[46:47], exec, s[60:61]
	s_cbranch_execz .LBB166_364
; %bb.355:                              ;   in Loop: Header=BB166_17 Depth=1
	v_cmp_gt_i16_sdwa s[60:61], v9, v23 src0_sel:BYTE_0 src1_sel:DWORD
                                        ; implicit-def: $vgpr66
	s_and_saveexec_b64 s[62:63], s[60:61]
	s_xor_b64 s[60:61], exec, s[62:63]
	s_cbranch_execz .LBB166_359
; %bb.356:                              ;   in Loop: Header=BB166_17 Depth=1
	v_cmp_eq_u16_sdwa s[72:73], v9, v24 src0_sel:BYTE_0 src1_sel:DWORD
                                        ; implicit-def: $vgpr66
	s_and_saveexec_b64 s[62:63], s[72:73]
	s_cbranch_execz .LBB166_358
; %bb.357:                              ;   in Loop: Header=BB166_17 Depth=1
	flat_load_dword v15, v[15:16]
	s_mov_b64 s[58:59], exec
	s_waitcnt vmcnt(0) lgkmcnt(0)
	v_lshlrev_b32_e32 v66, 16, v15
.LBB166_358:                            ;   in Loop: Header=BB166_17 Depth=1
	s_or_b64 exec, exec, s[62:63]
	s_and_b64 s[58:59], s[58:59], exec
                                        ; implicit-def: $vgpr15_vgpr16
.LBB166_359:                            ;   in Loop: Header=BB166_17 Depth=1
	s_andn2_saveexec_b64 s[60:61], s[60:61]
	s_cbranch_execz .LBB166_363
; %bb.360:                              ;   in Loop: Header=BB166_17 Depth=1
	v_cmp_eq_u16_sdwa s[74:75], v9, v25 src0_sel:BYTE_0 src1_sel:DWORD
	s_mov_b64 s[72:73], s[58:59]
                                        ; implicit-def: $vgpr66
	s_and_saveexec_b64 s[62:63], s[74:75]
	s_cbranch_execz .LBB166_362
; %bb.361:                              ;   in Loop: Header=BB166_17 Depth=1
	flat_load_ubyte v15, v[15:16]
	s_movk_i32 s72, 0xff
	s_waitcnt vmcnt(0) lgkmcnt(0)
	v_lshlrev_b32_e32 v16, 23, v15
	v_cmp_ne_u32_e32 vcc, s72, v15
	v_cndmask_b32_e32 v16, v26, v16, vcc
	v_cmp_ne_u32_e32 vcc, 0, v15
	v_cndmask_b32_e32 v66, v27, v16, vcc
	s_or_b64 s[72:73], s[58:59], exec
.LBB166_362:                            ;   in Loop: Header=BB166_17 Depth=1
	s_or_b64 exec, exec, s[62:63]
	s_andn2_b64 s[58:59], s[58:59], exec
	s_and_b64 s[62:63], s[72:73], exec
	s_or_b64 s[58:59], s[58:59], s[62:63]
.LBB166_363:                            ;   in Loop: Header=BB166_17 Depth=1
	s_or_b64 exec, exec, s[60:61]
	s_and_b64 s[58:59], s[58:59], exec
                                        ; implicit-def: $vgpr15_vgpr16
.LBB166_364:                            ;   in Loop: Header=BB166_17 Depth=1
	s_andn2_saveexec_b64 s[46:47], s[46:47]
	s_cbranch_execz .LBB166_368
; %bb.365:                              ;   in Loop: Header=BB166_17 Depth=1
	v_cmp_eq_u16_sdwa s[72:73], v9, v28 src0_sel:BYTE_0 src1_sel:DWORD
	s_mov_b64 s[62:63], s[58:59]
                                        ; implicit-def: $vgpr66
	s_and_saveexec_b64 s[60:61], s[72:73]
	s_cbranch_execz .LBB166_367
; %bb.366:                              ;   in Loop: Header=BB166_17 Depth=1
	flat_load_dwordx2 v[15:16], v[15:16]
	s_or_b64 s[62:63], s[58:59], exec
	s_waitcnt vmcnt(0) lgkmcnt(0)
	v_ffbh_u32_e32 v66, v16
	v_min_u32_e32 v66, 32, v66
	v_lshlrev_b64 v[15:16], v66, v[15:16]
	v_min_u32_e32 v15, 1, v15
	v_or_b32_e32 v15, v16, v15
	v_cvt_f32_u32_e32 v15, v15
	v_sub_u32_e32 v16, 32, v66
	v_ldexp_f32 v66, v15, v16
.LBB166_367:                            ;   in Loop: Header=BB166_17 Depth=1
	s_or_b64 exec, exec, s[60:61]
	s_andn2_b64 s[58:59], s[58:59], exec
	s_and_b64 s[60:61], s[62:63], exec
	s_or_b64 s[58:59], s[58:59], s[60:61]
.LBB166_368:                            ;   in Loop: Header=BB166_17 Depth=1
	s_or_b64 exec, exec, s[46:47]
	s_and_b64 s[46:47], s[58:59], exec
                                        ; implicit-def: $vgpr15_vgpr16
.LBB166_369:                            ;   in Loop: Header=BB166_17 Depth=1
	s_andn2_saveexec_b64 s[56:57], s[56:57]
	s_cbranch_execz .LBB166_383
; %bb.370:                              ;   in Loop: Header=BB166_17 Depth=1
	v_cmp_gt_i16_sdwa s[58:59], v9, v29 src0_sel:BYTE_0 src1_sel:DWORD
                                        ; implicit-def: $vgpr66
	s_and_saveexec_b64 s[60:61], s[58:59]
	s_xor_b64 s[58:59], exec, s[60:61]
	s_cbranch_execz .LBB166_376
; %bb.371:                              ;   in Loop: Header=BB166_17 Depth=1
	v_cmp_gt_i16_sdwa s[60:61], v9, v30 src0_sel:BYTE_0 src1_sel:DWORD
                                        ; implicit-def: $vgpr66
	s_and_saveexec_b64 s[62:63], s[60:61]
	s_xor_b64 s[60:61], exec, s[62:63]
	s_cbranch_execz .LBB166_373
; %bb.372:                              ;   in Loop: Header=BB166_17 Depth=1
	flat_load_dword v15, v[15:16]
	s_waitcnt vmcnt(0) lgkmcnt(0)
	v_cvt_f32_u32_e32 v66, v15
                                        ; implicit-def: $vgpr15_vgpr16
.LBB166_373:                            ;   in Loop: Header=BB166_17 Depth=1
	s_andn2_saveexec_b64 s[60:61], s[60:61]
	s_cbranch_execz .LBB166_375
; %bb.374:                              ;   in Loop: Header=BB166_17 Depth=1
	flat_load_ushort v15, v[15:16]
	s_waitcnt vmcnt(0) lgkmcnt(0)
	v_cvt_f32_u32_e32 v66, v15
.LBB166_375:                            ;   in Loop: Header=BB166_17 Depth=1
	s_or_b64 exec, exec, s[60:61]
                                        ; implicit-def: $vgpr15_vgpr16
.LBB166_376:                            ;   in Loop: Header=BB166_17 Depth=1
	s_andn2_saveexec_b64 s[58:59], s[58:59]
	s_cbranch_execz .LBB166_382
; %bb.377:                              ;   in Loop: Header=BB166_17 Depth=1
	flat_load_ubyte v15, v[15:16]
	s_movk_i32 s60, 0x7f
	s_waitcnt vmcnt(0) lgkmcnt(0)
	v_cmp_lt_i16_e32 vcc, s60, v15
	s_mov_b64 s[60:61], 0
	s_and_saveexec_b64 s[62:63], vcc
	s_xor_b64 s[62:63], exec, s[62:63]
	s_cbranch_execnz .LBB166_2430
; %bb.378:                              ;   in Loop: Header=BB166_17 Depth=1
	s_or_saveexec_b64 s[62:63], s[62:63]
	v_mov_b32_e32 v66, 0x7f800001
	s_xor_b64 exec, exec, s[62:63]
	s_cbranch_execnz .LBB166_2433
.LBB166_379:                            ;   in Loop: Header=BB166_17 Depth=1
	s_or_b64 exec, exec, s[62:63]
	s_and_saveexec_b64 s[62:63], s[60:61]
	s_cbranch_execz .LBB166_381
.LBB166_380:                            ;   in Loop: Header=BB166_17 Depth=1
	v_lshlrev_b32_e32 v16, 24, v15
	v_and_b32_e32 v15, 0xffff, v15
	v_and_b32_e32 v66, 7, v15
	v_ffbh_u32_e32 v68, v66
	v_min_u32_e32 v68, 32, v68
	v_subrev_u32_e32 v69, 28, v68
	v_bfe_u32 v67, v15, 3, 4
	v_lshlrev_b32_e32 v15, v69, v15
	v_sub_u32_e32 v68, 29, v68
	v_and_b32_e32 v15, 7, v15
	v_cmp_eq_u32_e32 vcc, 0, v67
	v_cndmask_b32_e32 v67, v67, v68, vcc
	v_cndmask_b32_e32 v15, v66, v15, vcc
	v_lshlrev_b32_e32 v15, 20, v15
	v_and_b32_e32 v16, 0x80000000, v16
	v_lshl_add_u32 v66, v67, 23, v31
	v_or3_b32 v66, v16, v66, v15
.LBB166_381:                            ;   in Loop: Header=BB166_17 Depth=1
	s_or_b64 exec, exec, s[62:63]
.LBB166_382:                            ;   in Loop: Header=BB166_17 Depth=1
	s_or_b64 exec, exec, s[58:59]
	s_or_b64 s[46:47], s[46:47], exec
.LBB166_383:                            ;   in Loop: Header=BB166_17 Depth=1
	s_or_b64 exec, exec, s[56:57]
	s_and_b64 s[46:47], s[46:47], exec
                                        ; implicit-def: $vgpr15_vgpr16
.LBB166_384:                            ;   in Loop: Header=BB166_17 Depth=1
	s_andn2_saveexec_b64 s[40:41], s[40:41]
	s_cbranch_execz .LBB166_410
; %bb.385:                              ;   in Loop: Header=BB166_17 Depth=1
	v_cmp_gt_i16_sdwa s[56:57], v9, v32 src0_sel:BYTE_0 src1_sel:DWORD
	s_mov_b64 s[58:59], s[46:47]
                                        ; implicit-def: $vgpr66
	s_and_saveexec_b64 s[60:61], s[56:57]
	s_xor_b64 s[56:57], exec, s[60:61]
	s_cbranch_execz .LBB166_399
; %bb.386:                              ;   in Loop: Header=BB166_17 Depth=1
	v_cmp_gt_i16_sdwa s[58:59], v9, v33 src0_sel:BYTE_0 src1_sel:DWORD
                                        ; implicit-def: $vgpr66
	s_and_saveexec_b64 s[60:61], s[58:59]
	s_xor_b64 s[58:59], exec, s[60:61]
	s_cbranch_execz .LBB166_396
; %bb.387:                              ;   in Loop: Header=BB166_17 Depth=1
	v_cmp_gt_i16_sdwa s[60:61], v9, v34 src0_sel:BYTE_0 src1_sel:DWORD
                                        ; implicit-def: $vgpr66
	s_and_saveexec_b64 s[62:63], s[60:61]
	s_xor_b64 s[60:61], exec, s[62:63]
	s_cbranch_execz .LBB166_393
; %bb.388:                              ;   in Loop: Header=BB166_17 Depth=1
	flat_load_ubyte v15, v[15:16]
	s_movk_i32 s62, 0x7f
	s_waitcnt vmcnt(0) lgkmcnt(0)
	v_cmp_lt_i16_e32 vcc, s62, v15
	s_mov_b64 s[62:63], 0
	s_and_saveexec_b64 s[72:73], vcc
	s_xor_b64 s[72:73], exec, s[72:73]
	s_cbranch_execnz .LBB166_2542
; %bb.389:                              ;   in Loop: Header=BB166_17 Depth=1
	s_or_saveexec_b64 s[72:73], s[72:73]
	v_mov_b32_e32 v66, 0x7f800001
	s_xor_b64 exec, exec, s[72:73]
	s_cbranch_execnz .LBB166_2545
.LBB166_390:                            ;   in Loop: Header=BB166_17 Depth=1
	s_or_b64 exec, exec, s[72:73]
	s_and_saveexec_b64 s[72:73], s[62:63]
	s_cbranch_execz .LBB166_392
.LBB166_391:                            ;   in Loop: Header=BB166_17 Depth=1
	v_lshlrev_b32_e32 v16, 24, v15
	v_and_b32_e32 v15, 0xffff, v15
	v_and_b32_e32 v66, 3, v15
	v_ffbh_u32_e32 v68, v66
	v_min_u32_e32 v68, 32, v68
	v_subrev_u32_e32 v69, 29, v68
	v_bfe_u32 v67, v15, 2, 5
	v_lshlrev_b32_e32 v15, v69, v15
	v_sub_u32_e32 v68, 30, v68
	v_and_b32_e32 v15, 3, v15
	v_cmp_eq_u32_e32 vcc, 0, v67
	v_cndmask_b32_e32 v67, v67, v68, vcc
	v_cndmask_b32_e32 v15, v66, v15, vcc
	v_lshlrev_b32_e32 v15, 21, v15
	v_and_b32_e32 v16, 0x80000000, v16
	v_lshl_add_u32 v66, v67, 23, v35
	v_or3_b32 v66, v16, v66, v15
.LBB166_392:                            ;   in Loop: Header=BB166_17 Depth=1
	s_or_b64 exec, exec, s[72:73]
                                        ; implicit-def: $vgpr15_vgpr16
.LBB166_393:                            ;   in Loop: Header=BB166_17 Depth=1
	s_andn2_saveexec_b64 s[60:61], s[60:61]
	s_cbranch_execz .LBB166_395
; %bb.394:                              ;   in Loop: Header=BB166_17 Depth=1
	flat_load_ubyte v15, v[15:16]
	s_mov_b32 s62, 0x7f800000
	s_waitcnt vmcnt(0) lgkmcnt(0)
	v_lshlrev_b32_e32 v15, 24, v15
	v_and_b32_e32 v16, 0x7f000000, v15
	v_ffbh_u32_e32 v66, v16
	v_min_u32_e32 v66, 32, v66
	v_sub_u32_e64 v66, v66, 4 clamp
	v_lshlrev_b32_e32 v68, v66, v16
	v_lshlrev_b32_e32 v66, 23, v66
	v_lshrrev_b32_e32 v68, 4, v68
	v_add_u32_e32 v67, 0x1000000, v16
	v_sub_u32_e32 v66, v68, v66
	v_ashrrev_i32_e32 v67, 8, v67
	v_add_u32_e32 v66, 0x3c000000, v66
	v_and_or_b32 v66, v67, s62, v66
	v_cmp_ne_u32_e32 vcc, 0, v16
	v_cndmask_b32_e32 v16, 0, v66, vcc
	s_brev_b32 s62, 1
	v_and_or_b32 v66, v15, s62, v16
.LBB166_395:                            ;   in Loop: Header=BB166_17 Depth=1
	s_or_b64 exec, exec, s[60:61]
                                        ; implicit-def: $vgpr15_vgpr16
.LBB166_396:                            ;   in Loop: Header=BB166_17 Depth=1
	s_andn2_saveexec_b64 s[58:59], s[58:59]
	s_cbranch_execz .LBB166_398
; %bb.397:                              ;   in Loop: Header=BB166_17 Depth=1
	flat_load_ubyte v15, v[15:16]
	s_movk_i32 s60, 0x7f00
	s_waitcnt vmcnt(0) lgkmcnt(0)
	v_lshlrev_b16_e32 v16, 8, v15
	v_lshlrev_b32_e32 v15, 25, v15
	v_lshrrev_b32_e32 v66, 4, v15
	v_and_or_b32 v67, v16, s60, 0.5
	v_or_b32_e32 v66, 0x70000000, v66
	s_brev_b32 s60, 16
	v_add_f32_e32 v67, -0.5, v67
	v_mul_f32_e32 v66, 0x7800000, v66
	v_cmp_gt_u32_e32 vcc, s60, v15
	v_cndmask_b32_e32 v15, v66, v67, vcc
	v_bfe_i32 v16, v16, 0, 16
	s_brev_b32 s60, 1
	v_and_or_b32 v66, v16, s60, v15
.LBB166_398:                            ;   in Loop: Header=BB166_17 Depth=1
	s_or_b64 exec, exec, s[58:59]
	s_or_b64 s[58:59], s[46:47], exec
                                        ; implicit-def: $vgpr15_vgpr16
.LBB166_399:                            ;   in Loop: Header=BB166_17 Depth=1
	s_andn2_saveexec_b64 s[56:57], s[56:57]
	s_cbranch_execz .LBB166_409
; %bb.400:                              ;   in Loop: Header=BB166_17 Depth=1
	v_cmp_gt_i16_sdwa s[62:63], v9, v36 src0_sel:BYTE_0 src1_sel:DWORD
	s_mov_b64 s[60:61], s[58:59]
                                        ; implicit-def: $vgpr66
	s_and_saveexec_b64 s[72:73], s[62:63]
	s_xor_b64 s[62:63], exec, s[72:73]
	s_cbranch_execz .LBB166_404
; %bb.401:                              ;   in Loop: Header=BB166_17 Depth=1
	v_cmp_eq_u16_sdwa s[74:75], v9, v37 src0_sel:BYTE_0 src1_sel:DWORD
	s_mov_b64 s[60:61], s[58:59]
                                        ; implicit-def: $vgpr66
	s_and_saveexec_b64 s[72:73], s[74:75]
	s_cbranch_execz .LBB166_403
; %bb.402:                              ;   in Loop: Header=BB166_17 Depth=1
	flat_load_ushort v15, v[15:16]
	s_or_b64 s[60:61], s[58:59], exec
	s_waitcnt vmcnt(0) lgkmcnt(0)
	v_lshlrev_b32_e32 v66, 16, v15
.LBB166_403:                            ;   in Loop: Header=BB166_17 Depth=1
	s_or_b64 exec, exec, s[72:73]
	s_andn2_b64 s[72:73], s[58:59], exec
	s_and_b64 s[60:61], s[60:61], exec
	s_or_b64 s[60:61], s[72:73], s[60:61]
                                        ; implicit-def: $vgpr15_vgpr16
.LBB166_404:                            ;   in Loop: Header=BB166_17 Depth=1
	s_andn2_saveexec_b64 s[62:63], s[62:63]
	s_cbranch_execz .LBB166_408
; %bb.405:                              ;   in Loop: Header=BB166_17 Depth=1
	v_cmp_eq_u16_sdwa s[76:77], v9, v38 src0_sel:BYTE_0 src1_sel:DWORD
	s_mov_b64 s[72:73], s[60:61]
                                        ; implicit-def: $vgpr66
	s_and_saveexec_b64 s[74:75], s[76:77]
	s_cbranch_execz .LBB166_407
; %bb.406:                              ;   in Loop: Header=BB166_17 Depth=1
	flat_load_ubyte v15, v[15:16]
	s_or_b64 s[72:73], s[60:61], exec
	s_waitcnt vmcnt(0) lgkmcnt(0)
	v_cmp_ne_u16_e32 vcc, 0, v15
	v_cndmask_b32_e64 v66, 0, 1.0, vcc
.LBB166_407:                            ;   in Loop: Header=BB166_17 Depth=1
	s_or_b64 exec, exec, s[74:75]
	s_andn2_b64 s[60:61], s[60:61], exec
	s_and_b64 s[72:73], s[72:73], exec
	s_or_b64 s[60:61], s[60:61], s[72:73]
.LBB166_408:                            ;   in Loop: Header=BB166_17 Depth=1
	s_or_b64 exec, exec, s[62:63]
	s_andn2_b64 s[58:59], s[58:59], exec
	s_and_b64 s[60:61], s[60:61], exec
	s_or_b64 s[58:59], s[58:59], s[60:61]
.LBB166_409:                            ;   in Loop: Header=BB166_17 Depth=1
	s_or_b64 exec, exec, s[56:57]
	s_andn2_b64 s[46:47], s[46:47], exec
	s_and_b64 s[56:57], s[58:59], exec
	s_or_b64 s[46:47], s[46:47], s[56:57]
.LBB166_410:                            ;   in Loop: Header=BB166_17 Depth=1
	s_or_b64 exec, exec, s[40:41]
	s_and_b64 s[56:57], s[46:47], exec
                                        ; implicit-def: $vgpr15_vgpr16
.LBB166_411:                            ;   in Loop: Header=BB166_17 Depth=1
	s_andn2_saveexec_b64 s[28:29], s[28:29]
	s_cbranch_execz .LBB166_453
; %bb.412:                              ;   in Loop: Header=BB166_17 Depth=1
	v_cmp_gt_i16_sdwa s[40:41], v9, v39 src0_sel:BYTE_0 src1_sel:DWORD
                                        ; implicit-def: $vgpr66
	s_and_saveexec_b64 s[46:47], s[40:41]
	s_xor_b64 s[40:41], exec, s[46:47]
	s_cbranch_execz .LBB166_434
; %bb.413:                              ;   in Loop: Header=BB166_17 Depth=1
	v_cmp_gt_i16_sdwa s[46:47], v9, v48 src0_sel:BYTE_0 src1_sel:DWORD
                                        ; implicit-def: $vgpr66
	s_and_saveexec_b64 s[58:59], s[46:47]
	s_xor_b64 s[46:47], exec, s[58:59]
	;; [unrolled: 6-line block ×4, first 2 shown]
	s_cbranch_execz .LBB166_417
; %bb.416:                              ;   in Loop: Header=BB166_17 Depth=1
	flat_load_dwordx2 v[15:16], v[15:16]
	s_waitcnt vmcnt(0) lgkmcnt(0)
	v_cvt_f32_f64_e32 v66, v[15:16]
                                        ; implicit-def: $vgpr15_vgpr16
.LBB166_417:                            ;   in Loop: Header=BB166_17 Depth=1
	s_andn2_saveexec_b64 s[60:61], s[60:61]
	s_cbranch_execz .LBB166_419
; %bb.418:                              ;   in Loop: Header=BB166_17 Depth=1
	flat_load_dword v66, v[15:16]
.LBB166_419:                            ;   in Loop: Header=BB166_17 Depth=1
	s_or_b64 exec, exec, s[60:61]
                                        ; implicit-def: $vgpr15_vgpr16
.LBB166_420:                            ;   in Loop: Header=BB166_17 Depth=1
	s_andn2_saveexec_b64 s[58:59], s[58:59]
	s_cbranch_execz .LBB166_422
; %bb.421:                              ;   in Loop: Header=BB166_17 Depth=1
	flat_load_dword v15, v[15:16]
	s_waitcnt vmcnt(0) lgkmcnt(0)
	v_cvt_f32_f16_e32 v66, v15
.LBB166_422:                            ;   in Loop: Header=BB166_17 Depth=1
	s_or_b64 exec, exec, s[58:59]
                                        ; implicit-def: $vgpr15_vgpr16
.LBB166_423:                            ;   in Loop: Header=BB166_17 Depth=1
	s_andn2_saveexec_b64 s[46:47], s[46:47]
	s_cbranch_execz .LBB166_433
; %bb.424:                              ;   in Loop: Header=BB166_17 Depth=1
	v_cmp_gt_i16_sdwa s[58:59], v9, v51 src0_sel:BYTE_0 src1_sel:DWORD
                                        ; implicit-def: $vgpr66
	s_and_saveexec_b64 s[60:61], s[58:59]
	s_xor_b64 s[58:59], exec, s[60:61]
	s_cbranch_execz .LBB166_430
; %bb.425:                              ;   in Loop: Header=BB166_17 Depth=1
	v_cmp_gt_i16_sdwa s[60:61], v9, v52 src0_sel:BYTE_0 src1_sel:DWORD
                                        ; implicit-def: $vgpr66
	s_and_saveexec_b64 s[62:63], s[60:61]
	s_xor_b64 s[60:61], exec, s[62:63]
	s_cbranch_execz .LBB166_427
; %bb.426:                              ;   in Loop: Header=BB166_17 Depth=1
	flat_load_dwordx2 v[15:16], v[15:16]
	s_waitcnt vmcnt(0) lgkmcnt(0)
	v_cvt_f32_f64_e32 v66, v[15:16]
                                        ; implicit-def: $vgpr15_vgpr16
.LBB166_427:                            ;   in Loop: Header=BB166_17 Depth=1
	s_andn2_saveexec_b64 s[60:61], s[60:61]
	s_cbranch_execz .LBB166_429
; %bb.428:                              ;   in Loop: Header=BB166_17 Depth=1
	s_waitcnt vmcnt(0) lgkmcnt(0)
	flat_load_dword v66, v[15:16]
.LBB166_429:                            ;   in Loop: Header=BB166_17 Depth=1
	s_or_b64 exec, exec, s[60:61]
                                        ; implicit-def: $vgpr15_vgpr16
.LBB166_430:                            ;   in Loop: Header=BB166_17 Depth=1
	s_andn2_saveexec_b64 s[58:59], s[58:59]
	s_cbranch_execz .LBB166_432
; %bb.431:                              ;   in Loop: Header=BB166_17 Depth=1
	flat_load_ushort v15, v[15:16]
	s_waitcnt vmcnt(0) lgkmcnt(0)
	v_cvt_f32_f16_e32 v66, v15
.LBB166_432:                            ;   in Loop: Header=BB166_17 Depth=1
	s_or_b64 exec, exec, s[58:59]
.LBB166_433:                            ;   in Loop: Header=BB166_17 Depth=1
	s_or_b64 exec, exec, s[46:47]
                                        ; implicit-def: $vgpr15_vgpr16
.LBB166_434:                            ;   in Loop: Header=BB166_17 Depth=1
	s_andn2_saveexec_b64 s[40:41], s[40:41]
	s_cbranch_execz .LBB166_452
; %bb.435:                              ;   in Loop: Header=BB166_17 Depth=1
	v_cmp_gt_i16_sdwa s[46:47], v9, v53 src0_sel:BYTE_0 src1_sel:DWORD
                                        ; implicit-def: $vgpr66
	s_and_saveexec_b64 s[58:59], s[46:47]
	s_xor_b64 s[46:47], exec, s[58:59]
	s_cbranch_execz .LBB166_445
; %bb.436:                              ;   in Loop: Header=BB166_17 Depth=1
	v_cmp_gt_i16_sdwa s[58:59], v9, v54 src0_sel:BYTE_0 src1_sel:DWORD
                                        ; implicit-def: $vgpr66
	s_and_saveexec_b64 s[60:61], s[58:59]
	s_xor_b64 s[58:59], exec, s[60:61]
	;; [unrolled: 6-line block ×3, first 2 shown]
	s_cbranch_execz .LBB166_439
; %bb.438:                              ;   in Loop: Header=BB166_17 Depth=1
	flat_load_dwordx2 v[15:16], v[15:16]
	s_waitcnt vmcnt(0) lgkmcnt(0)
	v_xor_b32_e32 v67, v15, v16
	v_ffbh_i32_e32 v66, v16
	v_ashrrev_i32_e32 v67, 31, v67
	v_add_u32_e32 v66, -1, v66
	v_add_u32_e32 v67, 32, v67
	v_min_u32_e32 v66, v66, v67
	v_lshlrev_b64 v[15:16], v66, v[15:16]
	v_min_u32_e32 v15, 1, v15
	v_or_b32_e32 v15, v16, v15
	v_cvt_f32_i32_e32 v15, v15
	v_sub_u32_e32 v16, 32, v66
	v_ldexp_f32 v66, v15, v16
                                        ; implicit-def: $vgpr15_vgpr16
.LBB166_439:                            ;   in Loop: Header=BB166_17 Depth=1
	s_andn2_saveexec_b64 s[60:61], s[60:61]
	s_cbranch_execz .LBB166_441
; %bb.440:                              ;   in Loop: Header=BB166_17 Depth=1
	flat_load_dword v15, v[15:16]
	s_waitcnt vmcnt(0) lgkmcnt(0)
	v_cvt_f32_i32_e32 v66, v15
.LBB166_441:                            ;   in Loop: Header=BB166_17 Depth=1
	s_or_b64 exec, exec, s[60:61]
                                        ; implicit-def: $vgpr15_vgpr16
.LBB166_442:                            ;   in Loop: Header=BB166_17 Depth=1
	s_andn2_saveexec_b64 s[58:59], s[58:59]
	s_cbranch_execz .LBB166_444
; %bb.443:                              ;   in Loop: Header=BB166_17 Depth=1
	flat_load_sshort v15, v[15:16]
	s_waitcnt vmcnt(0) lgkmcnt(0)
	v_cvt_f32_i32_e32 v66, v15
.LBB166_444:                            ;   in Loop: Header=BB166_17 Depth=1
	s_or_b64 exec, exec, s[58:59]
                                        ; implicit-def: $vgpr15_vgpr16
.LBB166_445:                            ;   in Loop: Header=BB166_17 Depth=1
	s_andn2_saveexec_b64 s[46:47], s[46:47]
	s_cbranch_execz .LBB166_451
; %bb.446:                              ;   in Loop: Header=BB166_17 Depth=1
	v_cmp_gt_i16_sdwa s[58:59], v9, v18 src0_sel:BYTE_0 src1_sel:DWORD
                                        ; implicit-def: $vgpr66
	s_and_saveexec_b64 s[60:61], s[58:59]
	s_xor_b64 s[58:59], exec, s[60:61]
	s_cbranch_execz .LBB166_448
; %bb.447:                              ;   in Loop: Header=BB166_17 Depth=1
	flat_load_sbyte v15, v[15:16]
	s_waitcnt vmcnt(0) lgkmcnt(0)
	v_cvt_f32_i32_e32 v66, v15
                                        ; implicit-def: $vgpr15_vgpr16
.LBB166_448:                            ;   in Loop: Header=BB166_17 Depth=1
	s_andn2_saveexec_b64 s[58:59], s[58:59]
	s_cbranch_execz .LBB166_450
; %bb.449:                              ;   in Loop: Header=BB166_17 Depth=1
	flat_load_ubyte v15, v[15:16]
	s_waitcnt vmcnt(0) lgkmcnt(0)
	v_cvt_f32_ubyte0_e32 v66, v15
.LBB166_450:                            ;   in Loop: Header=BB166_17 Depth=1
	s_or_b64 exec, exec, s[58:59]
.LBB166_451:                            ;   in Loop: Header=BB166_17 Depth=1
	s_or_b64 exec, exec, s[46:47]
.LBB166_452:                            ;   in Loop: Header=BB166_17 Depth=1
	s_or_b64 exec, exec, s[40:41]
	s_or_b64 s[56:57], s[56:57], exec
.LBB166_453:                            ;   in Loop: Header=BB166_17 Depth=1
	s_or_b64 exec, exec, s[28:29]
	s_mov_b64 s[28:29], -1
	s_mov_b64 s[58:59], 0
	s_mov_b64 s[40:41], 0
	s_and_saveexec_b64 s[46:47], s[56:57]
	s_cbranch_execz .LBB166_459
; %bb.454:                              ;   in Loop: Header=BB166_17 Depth=1
	v_readlane_b32 s28, v41, 0
	s_lshr_b32 s78, s32, 6
	s_add_i32 s78, s78, s28
	v_mov_b32_e32 v15, s78
	s_waitcnt vmcnt(0) lgkmcnt(0)
	buffer_store_dword v66, v15, s[0:3], 0 offen offset:28
	v_mul_lo_u32 v15, v65, v12
	v_cmp_gt_i16_sdwa s[28:29], v10, v19 src0_sel:BYTE_0 src1_sel:DWORD
                                        ; implicit-def: $vgpr65
	v_add_co_u32_e32 v15, vcc, v6, v15
	v_addc_co_u32_e32 v16, vcc, 0, v7, vcc
	s_and_saveexec_b64 s[56:57], s[28:29]
	s_xor_b64 s[28:29], exec, s[56:57]
	s_cbranch_execnz .LBB166_2098
; %bb.455:                              ;   in Loop: Header=BB166_17 Depth=1
	s_andn2_saveexec_b64 s[28:29], s[28:29]
	s_cbranch_execnz .LBB166_2157
.LBB166_456:                            ;   in Loop: Header=BB166_17 Depth=1
	s_or_b64 exec, exec, s[28:29]
	s_mov_b64 s[56:57], 0
	s_and_saveexec_b64 s[28:29], s[40:41]
	s_cbranch_execz .LBB166_458
.LBB166_457:                            ;   in Loop: Header=BB166_17 Depth=1
	s_mov_b64 s[56:57], exec
	v_mov_b32_e32 v15, s78
	v_add_u32_e32 v64, 0x200, v64
	s_waitcnt vmcnt(0) lgkmcnt(0)
	buffer_store_dword v65, v15, s[0:3], 0 offen offset:24
.LBB166_458:                            ;   in Loop: Header=BB166_17 Depth=1
	s_or_b64 exec, exec, s[28:29]
	s_mov_b64 s[40:41], exec
	s_xor_b64 s[28:29], exec, -1
	s_and_b64 s[58:59], s[56:57], exec
.LBB166_459:                            ;   in Loop: Header=BB166_17 Depth=1
	s_or_b64 exec, exec, s[46:47]
	s_orn2_b64 s[46:47], s[58:59], exec
.LBB166_460:                            ;   in Loop: Header=BB166_17 Depth=1
	s_or_b64 exec, exec, s[42:43]
	s_and_saveexec_b64 s[42:43], s[46:47]
	s_cbranch_execz .LBB166_13
; %bb.461:                              ;   in Loop: Header=BB166_17 Depth=1
	v_cmp_lt_i32_e32 vcc, v64, v8
	s_mov_b64 s[58:59], -1
	s_mov_b64 s[60:61], -1
                                        ; implicit-def: $sgpr44_sgpr45
                                        ; implicit-def: $sgpr46_sgpr47
	s_and_saveexec_b64 s[56:57], vcc
	s_cbranch_execz .LBB166_571
; %bb.462:                              ;   in Loop: Header=BB166_17 Depth=1
	v_readlane_b32 s44, v41, 2
	s_waitcnt vmcnt(0) lgkmcnt(0)
	v_add_u32_e32 v65, s44, v64
	v_mul_lo_u32 v15, v65, v11
	v_cmp_gt_i16_sdwa s[44:45], v9, v19 src0_sel:BYTE_0 src1_sel:DWORD
	s_mov_b64 s[62:63], 0
                                        ; implicit-def: $vgpr66
	v_add_co_u32_e32 v15, vcc, v4, v15
	v_addc_co_u32_e32 v16, vcc, 0, v5, vcc
	s_and_saveexec_b64 s[46:47], s[44:45]
	s_xor_b64 s[44:45], exec, s[46:47]
	s_cbranch_execz .LBB166_522
; %bb.463:                              ;   in Loop: Header=BB166_17 Depth=1
	v_cmp_gt_i16_sdwa s[46:47], v9, v20 src0_sel:BYTE_0 src1_sel:DWORD
	s_mov_b64 s[60:61], 0
                                        ; implicit-def: $vgpr66
	s_and_saveexec_b64 s[62:63], s[46:47]
	s_xor_b64 s[46:47], exec, s[62:63]
	s_cbranch_execz .LBB166_495
; %bb.464:                              ;   in Loop: Header=BB166_17 Depth=1
	v_cmp_gt_i16_sdwa s[62:63], v9, v21 src0_sel:BYTE_0 src1_sel:DWORD
                                        ; implicit-def: $vgpr66
	s_and_saveexec_b64 s[72:73], s[62:63]
	s_xor_b64 s[62:63], exec, s[72:73]
	s_cbranch_execz .LBB166_480
; %bb.465:                              ;   in Loop: Header=BB166_17 Depth=1
	v_cmp_gt_i16_sdwa s[60:61], v9, v22 src0_sel:BYTE_0 src1_sel:DWORD
	s_mov_b64 s[72:73], 0
                                        ; implicit-def: $vgpr66
	s_and_saveexec_b64 s[74:75], s[60:61]
	s_xor_b64 s[60:61], exec, s[74:75]
	s_cbranch_execz .LBB166_475
; %bb.466:                              ;   in Loop: Header=BB166_17 Depth=1
	v_cmp_gt_i16_sdwa s[74:75], v9, v23 src0_sel:BYTE_0 src1_sel:DWORD
                                        ; implicit-def: $vgpr66
	s_and_saveexec_b64 s[76:77], s[74:75]
	s_xor_b64 s[74:75], exec, s[76:77]
	s_cbranch_execz .LBB166_470
; %bb.467:                              ;   in Loop: Header=BB166_17 Depth=1
	v_cmp_eq_u16_sdwa s[78:79], v9, v24 src0_sel:BYTE_0 src1_sel:DWORD
                                        ; implicit-def: $vgpr66
	s_and_saveexec_b64 s[76:77], s[78:79]
	s_cbranch_execz .LBB166_469
; %bb.468:                              ;   in Loop: Header=BB166_17 Depth=1
	flat_load_dword v15, v[15:16]
	s_mov_b64 s[72:73], exec
	s_waitcnt vmcnt(0) lgkmcnt(0)
	v_lshlrev_b32_e32 v66, 16, v15
.LBB166_469:                            ;   in Loop: Header=BB166_17 Depth=1
	s_or_b64 exec, exec, s[76:77]
	s_and_b64 s[72:73], s[72:73], exec
                                        ; implicit-def: $vgpr15_vgpr16
.LBB166_470:                            ;   in Loop: Header=BB166_17 Depth=1
	s_andn2_saveexec_b64 s[74:75], s[74:75]
	s_cbranch_execz .LBB166_474
; %bb.471:                              ;   in Loop: Header=BB166_17 Depth=1
	v_cmp_eq_u16_sdwa s[88:89], v9, v25 src0_sel:BYTE_0 src1_sel:DWORD
	s_mov_b64 s[78:79], s[72:73]
                                        ; implicit-def: $vgpr66
	s_and_saveexec_b64 s[76:77], s[88:89]
	s_cbranch_execz .LBB166_473
; %bb.472:                              ;   in Loop: Header=BB166_17 Depth=1
	flat_load_ubyte v15, v[15:16]
	s_movk_i32 s78, 0xff
	s_waitcnt vmcnt(0) lgkmcnt(0)
	v_lshlrev_b32_e32 v16, 23, v15
	v_cmp_ne_u32_e32 vcc, s78, v15
	v_cndmask_b32_e32 v16, v26, v16, vcc
	v_cmp_ne_u32_e32 vcc, 0, v15
	v_cndmask_b32_e32 v66, v27, v16, vcc
	s_or_b64 s[78:79], s[72:73], exec
.LBB166_473:                            ;   in Loop: Header=BB166_17 Depth=1
	s_or_b64 exec, exec, s[76:77]
	s_andn2_b64 s[72:73], s[72:73], exec
	s_and_b64 s[76:77], s[78:79], exec
	s_or_b64 s[72:73], s[72:73], s[76:77]
.LBB166_474:                            ;   in Loop: Header=BB166_17 Depth=1
	s_or_b64 exec, exec, s[74:75]
	s_and_b64 s[72:73], s[72:73], exec
                                        ; implicit-def: $vgpr15_vgpr16
.LBB166_475:                            ;   in Loop: Header=BB166_17 Depth=1
	s_andn2_saveexec_b64 s[60:61], s[60:61]
	s_cbranch_execz .LBB166_479
; %bb.476:                              ;   in Loop: Header=BB166_17 Depth=1
	v_cmp_eq_u16_sdwa s[78:79], v9, v28 src0_sel:BYTE_0 src1_sel:DWORD
	s_mov_b64 s[76:77], s[72:73]
                                        ; implicit-def: $vgpr66
	s_and_saveexec_b64 s[74:75], s[78:79]
	s_cbranch_execz .LBB166_478
; %bb.477:                              ;   in Loop: Header=BB166_17 Depth=1
	flat_load_dwordx2 v[15:16], v[15:16]
	s_or_b64 s[76:77], s[72:73], exec
	s_waitcnt vmcnt(0) lgkmcnt(0)
	v_ffbh_u32_e32 v66, v16
	v_min_u32_e32 v66, 32, v66
	v_lshlrev_b64 v[15:16], v66, v[15:16]
	v_min_u32_e32 v15, 1, v15
	v_or_b32_e32 v15, v16, v15
	v_cvt_f32_u32_e32 v15, v15
	v_sub_u32_e32 v16, 32, v66
	v_ldexp_f32 v66, v15, v16
.LBB166_478:                            ;   in Loop: Header=BB166_17 Depth=1
	s_or_b64 exec, exec, s[74:75]
	s_andn2_b64 s[72:73], s[72:73], exec
	s_and_b64 s[74:75], s[76:77], exec
	s_or_b64 s[72:73], s[72:73], s[74:75]
.LBB166_479:                            ;   in Loop: Header=BB166_17 Depth=1
	s_or_b64 exec, exec, s[60:61]
	s_and_b64 s[60:61], s[72:73], exec
                                        ; implicit-def: $vgpr15_vgpr16
.LBB166_480:                            ;   in Loop: Header=BB166_17 Depth=1
	s_andn2_saveexec_b64 s[62:63], s[62:63]
	s_cbranch_execz .LBB166_494
; %bb.481:                              ;   in Loop: Header=BB166_17 Depth=1
	v_cmp_gt_i16_sdwa s[72:73], v9, v29 src0_sel:BYTE_0 src1_sel:DWORD
                                        ; implicit-def: $vgpr66
	s_and_saveexec_b64 s[74:75], s[72:73]
	s_xor_b64 s[72:73], exec, s[74:75]
	s_cbranch_execz .LBB166_487
; %bb.482:                              ;   in Loop: Header=BB166_17 Depth=1
	v_cmp_gt_i16_sdwa s[74:75], v9, v30 src0_sel:BYTE_0 src1_sel:DWORD
                                        ; implicit-def: $vgpr66
	s_and_saveexec_b64 s[76:77], s[74:75]
	s_xor_b64 s[74:75], exec, s[76:77]
	s_cbranch_execz .LBB166_484
; %bb.483:                              ;   in Loop: Header=BB166_17 Depth=1
	flat_load_dword v15, v[15:16]
	s_waitcnt vmcnt(0) lgkmcnt(0)
	v_cvt_f32_u32_e32 v66, v15
                                        ; implicit-def: $vgpr15_vgpr16
.LBB166_484:                            ;   in Loop: Header=BB166_17 Depth=1
	s_andn2_saveexec_b64 s[74:75], s[74:75]
	s_cbranch_execz .LBB166_486
; %bb.485:                              ;   in Loop: Header=BB166_17 Depth=1
	flat_load_ushort v15, v[15:16]
	s_waitcnt vmcnt(0) lgkmcnt(0)
	v_cvt_f32_u32_e32 v66, v15
.LBB166_486:                            ;   in Loop: Header=BB166_17 Depth=1
	s_or_b64 exec, exec, s[74:75]
                                        ; implicit-def: $vgpr15_vgpr16
.LBB166_487:                            ;   in Loop: Header=BB166_17 Depth=1
	s_andn2_saveexec_b64 s[72:73], s[72:73]
	s_cbranch_execz .LBB166_493
; %bb.488:                              ;   in Loop: Header=BB166_17 Depth=1
	flat_load_ubyte v15, v[15:16]
	s_movk_i32 s74, 0x7f
	s_waitcnt vmcnt(0) lgkmcnt(0)
	v_cmp_lt_i16_e32 vcc, s74, v15
	s_mov_b64 s[74:75], 0
	s_and_saveexec_b64 s[76:77], vcc
	s_xor_b64 s[76:77], exec, s[76:77]
	s_cbranch_execnz .LBB166_2546
; %bb.489:                              ;   in Loop: Header=BB166_17 Depth=1
	s_or_saveexec_b64 s[76:77], s[76:77]
	v_mov_b32_e32 v66, 0x7f800001
	s_xor_b64 exec, exec, s[76:77]
	s_cbranch_execnz .LBB166_2549
.LBB166_490:                            ;   in Loop: Header=BB166_17 Depth=1
	s_or_b64 exec, exec, s[76:77]
	s_and_saveexec_b64 s[76:77], s[74:75]
	s_cbranch_execz .LBB166_492
.LBB166_491:                            ;   in Loop: Header=BB166_17 Depth=1
	v_lshlrev_b32_e32 v16, 24, v15
	v_and_b32_e32 v15, 0xffff, v15
	v_and_b32_e32 v66, 7, v15
	v_ffbh_u32_e32 v68, v66
	v_min_u32_e32 v68, 32, v68
	v_subrev_u32_e32 v69, 28, v68
	v_bfe_u32 v67, v15, 3, 4
	v_lshlrev_b32_e32 v15, v69, v15
	v_sub_u32_e32 v68, 29, v68
	v_and_b32_e32 v15, 7, v15
	v_cmp_eq_u32_e32 vcc, 0, v67
	v_cndmask_b32_e32 v67, v67, v68, vcc
	v_cndmask_b32_e32 v15, v66, v15, vcc
	v_lshlrev_b32_e32 v15, 20, v15
	v_and_b32_e32 v16, 0x80000000, v16
	v_lshl_add_u32 v66, v67, 23, v31
	v_or3_b32 v66, v16, v66, v15
.LBB166_492:                            ;   in Loop: Header=BB166_17 Depth=1
	s_or_b64 exec, exec, s[76:77]
.LBB166_493:                            ;   in Loop: Header=BB166_17 Depth=1
	s_or_b64 exec, exec, s[72:73]
	s_or_b64 s[60:61], s[60:61], exec
.LBB166_494:                            ;   in Loop: Header=BB166_17 Depth=1
	s_or_b64 exec, exec, s[62:63]
	s_and_b64 s[60:61], s[60:61], exec
                                        ; implicit-def: $vgpr15_vgpr16
.LBB166_495:                            ;   in Loop: Header=BB166_17 Depth=1
	s_andn2_saveexec_b64 s[46:47], s[46:47]
	s_cbranch_execz .LBB166_521
; %bb.496:                              ;   in Loop: Header=BB166_17 Depth=1
	v_cmp_gt_i16_sdwa s[62:63], v9, v32 src0_sel:BYTE_0 src1_sel:DWORD
	s_mov_b64 s[72:73], s[60:61]
                                        ; implicit-def: $vgpr66
	s_and_saveexec_b64 s[74:75], s[62:63]
	s_xor_b64 s[62:63], exec, s[74:75]
	s_cbranch_execz .LBB166_510
; %bb.497:                              ;   in Loop: Header=BB166_17 Depth=1
	v_cmp_gt_i16_sdwa s[72:73], v9, v33 src0_sel:BYTE_0 src1_sel:DWORD
                                        ; implicit-def: $vgpr66
	s_and_saveexec_b64 s[74:75], s[72:73]
	s_xor_b64 s[72:73], exec, s[74:75]
	s_cbranch_execz .LBB166_507
; %bb.498:                              ;   in Loop: Header=BB166_17 Depth=1
	v_cmp_gt_i16_sdwa s[74:75], v9, v34 src0_sel:BYTE_0 src1_sel:DWORD
                                        ; implicit-def: $vgpr66
	s_and_saveexec_b64 s[76:77], s[74:75]
	s_xor_b64 s[74:75], exec, s[76:77]
	s_cbranch_execz .LBB166_504
; %bb.499:                              ;   in Loop: Header=BB166_17 Depth=1
	flat_load_ubyte v15, v[15:16]
	s_movk_i32 s76, 0x7f
	s_waitcnt vmcnt(0) lgkmcnt(0)
	v_cmp_lt_i16_e32 vcc, s76, v15
	s_mov_b64 s[76:77], 0
	s_and_saveexec_b64 s[78:79], vcc
	s_xor_b64 s[78:79], exec, s[78:79]
	s_cbranch_execnz .LBB166_2658
; %bb.500:                              ;   in Loop: Header=BB166_17 Depth=1
	s_or_saveexec_b64 s[78:79], s[78:79]
	v_mov_b32_e32 v66, 0x7f800001
	s_xor_b64 exec, exec, s[78:79]
	s_cbranch_execnz .LBB166_2661
.LBB166_501:                            ;   in Loop: Header=BB166_17 Depth=1
	s_or_b64 exec, exec, s[78:79]
	s_and_saveexec_b64 s[78:79], s[76:77]
	s_cbranch_execz .LBB166_503
.LBB166_502:                            ;   in Loop: Header=BB166_17 Depth=1
	v_lshlrev_b32_e32 v16, 24, v15
	v_and_b32_e32 v15, 0xffff, v15
	v_and_b32_e32 v66, 3, v15
	v_ffbh_u32_e32 v68, v66
	v_min_u32_e32 v68, 32, v68
	v_subrev_u32_e32 v69, 29, v68
	v_bfe_u32 v67, v15, 2, 5
	v_lshlrev_b32_e32 v15, v69, v15
	v_sub_u32_e32 v68, 30, v68
	v_and_b32_e32 v15, 3, v15
	v_cmp_eq_u32_e32 vcc, 0, v67
	v_cndmask_b32_e32 v67, v67, v68, vcc
	v_cndmask_b32_e32 v15, v66, v15, vcc
	v_lshlrev_b32_e32 v15, 21, v15
	v_and_b32_e32 v16, 0x80000000, v16
	v_lshl_add_u32 v66, v67, 23, v35
	v_or3_b32 v66, v16, v66, v15
.LBB166_503:                            ;   in Loop: Header=BB166_17 Depth=1
	s_or_b64 exec, exec, s[78:79]
                                        ; implicit-def: $vgpr15_vgpr16
.LBB166_504:                            ;   in Loop: Header=BB166_17 Depth=1
	s_andn2_saveexec_b64 s[74:75], s[74:75]
	s_cbranch_execz .LBB166_506
; %bb.505:                              ;   in Loop: Header=BB166_17 Depth=1
	flat_load_ubyte v15, v[15:16]
	s_mov_b32 s76, 0x7f800000
	s_waitcnt vmcnt(0) lgkmcnt(0)
	v_lshlrev_b32_e32 v15, 24, v15
	v_and_b32_e32 v16, 0x7f000000, v15
	v_ffbh_u32_e32 v66, v16
	v_min_u32_e32 v66, 32, v66
	v_sub_u32_e64 v66, v66, 4 clamp
	v_lshlrev_b32_e32 v68, v66, v16
	v_lshlrev_b32_e32 v66, 23, v66
	v_lshrrev_b32_e32 v68, 4, v68
	v_add_u32_e32 v67, 0x1000000, v16
	v_sub_u32_e32 v66, v68, v66
	v_ashrrev_i32_e32 v67, 8, v67
	v_add_u32_e32 v66, 0x3c000000, v66
	v_and_or_b32 v66, v67, s76, v66
	v_cmp_ne_u32_e32 vcc, 0, v16
	v_cndmask_b32_e32 v16, 0, v66, vcc
	s_brev_b32 s76, 1
	v_and_or_b32 v66, v15, s76, v16
.LBB166_506:                            ;   in Loop: Header=BB166_17 Depth=1
	s_or_b64 exec, exec, s[74:75]
                                        ; implicit-def: $vgpr15_vgpr16
.LBB166_507:                            ;   in Loop: Header=BB166_17 Depth=1
	s_andn2_saveexec_b64 s[72:73], s[72:73]
	s_cbranch_execz .LBB166_509
; %bb.508:                              ;   in Loop: Header=BB166_17 Depth=1
	flat_load_ubyte v15, v[15:16]
	s_movk_i32 s74, 0x7f00
	s_waitcnt vmcnt(0) lgkmcnt(0)
	v_lshlrev_b16_e32 v16, 8, v15
	v_lshlrev_b32_e32 v15, 25, v15
	v_lshrrev_b32_e32 v66, 4, v15
	v_and_or_b32 v67, v16, s74, 0.5
	v_or_b32_e32 v66, 0x70000000, v66
	s_brev_b32 s74, 16
	v_add_f32_e32 v67, -0.5, v67
	v_mul_f32_e32 v66, 0x7800000, v66
	v_cmp_gt_u32_e32 vcc, s74, v15
	v_cndmask_b32_e32 v15, v66, v67, vcc
	v_bfe_i32 v16, v16, 0, 16
	s_brev_b32 s74, 1
	v_and_or_b32 v66, v16, s74, v15
.LBB166_509:                            ;   in Loop: Header=BB166_17 Depth=1
	s_or_b64 exec, exec, s[72:73]
	s_or_b64 s[72:73], s[60:61], exec
                                        ; implicit-def: $vgpr15_vgpr16
.LBB166_510:                            ;   in Loop: Header=BB166_17 Depth=1
	s_andn2_saveexec_b64 s[62:63], s[62:63]
	s_cbranch_execz .LBB166_520
; %bb.511:                              ;   in Loop: Header=BB166_17 Depth=1
	v_cmp_gt_i16_sdwa s[76:77], v9, v36 src0_sel:BYTE_0 src1_sel:DWORD
	s_mov_b64 s[74:75], s[72:73]
                                        ; implicit-def: $vgpr66
	s_and_saveexec_b64 s[78:79], s[76:77]
	s_xor_b64 s[76:77], exec, s[78:79]
	s_cbranch_execz .LBB166_515
; %bb.512:                              ;   in Loop: Header=BB166_17 Depth=1
	v_cmp_eq_u16_sdwa s[88:89], v9, v37 src0_sel:BYTE_0 src1_sel:DWORD
	s_mov_b64 s[74:75], s[72:73]
                                        ; implicit-def: $vgpr66
	s_and_saveexec_b64 s[78:79], s[88:89]
	s_cbranch_execz .LBB166_514
; %bb.513:                              ;   in Loop: Header=BB166_17 Depth=1
	flat_load_ushort v15, v[15:16]
	s_or_b64 s[74:75], s[72:73], exec
	s_waitcnt vmcnt(0) lgkmcnt(0)
	v_lshlrev_b32_e32 v66, 16, v15
.LBB166_514:                            ;   in Loop: Header=BB166_17 Depth=1
	s_or_b64 exec, exec, s[78:79]
	s_andn2_b64 s[78:79], s[72:73], exec
	s_and_b64 s[74:75], s[74:75], exec
	s_or_b64 s[74:75], s[78:79], s[74:75]
                                        ; implicit-def: $vgpr15_vgpr16
.LBB166_515:                            ;   in Loop: Header=BB166_17 Depth=1
	s_andn2_saveexec_b64 s[76:77], s[76:77]
	s_cbranch_execz .LBB166_519
; %bb.516:                              ;   in Loop: Header=BB166_17 Depth=1
	v_cmp_eq_u16_sdwa s[90:91], v9, v38 src0_sel:BYTE_0 src1_sel:DWORD
	s_mov_b64 s[78:79], s[74:75]
                                        ; implicit-def: $vgpr66
	s_and_saveexec_b64 s[88:89], s[90:91]
	s_cbranch_execz .LBB166_518
; %bb.517:                              ;   in Loop: Header=BB166_17 Depth=1
	flat_load_ubyte v15, v[15:16]
	s_or_b64 s[78:79], s[74:75], exec
	s_waitcnt vmcnt(0) lgkmcnt(0)
	v_cmp_ne_u16_e32 vcc, 0, v15
	v_cndmask_b32_e64 v66, 0, 1.0, vcc
.LBB166_518:                            ;   in Loop: Header=BB166_17 Depth=1
	s_or_b64 exec, exec, s[88:89]
	s_andn2_b64 s[74:75], s[74:75], exec
	s_and_b64 s[78:79], s[78:79], exec
	s_or_b64 s[74:75], s[74:75], s[78:79]
.LBB166_519:                            ;   in Loop: Header=BB166_17 Depth=1
	s_or_b64 exec, exec, s[76:77]
	s_andn2_b64 s[72:73], s[72:73], exec
	s_and_b64 s[74:75], s[74:75], exec
	s_or_b64 s[72:73], s[72:73], s[74:75]
.LBB166_520:                            ;   in Loop: Header=BB166_17 Depth=1
	s_or_b64 exec, exec, s[62:63]
	s_andn2_b64 s[60:61], s[60:61], exec
	s_and_b64 s[62:63], s[72:73], exec
	s_or_b64 s[60:61], s[60:61], s[62:63]
.LBB166_521:                            ;   in Loop: Header=BB166_17 Depth=1
	s_or_b64 exec, exec, s[46:47]
	s_and_b64 s[62:63], s[60:61], exec
                                        ; implicit-def: $vgpr15_vgpr16
.LBB166_522:                            ;   in Loop: Header=BB166_17 Depth=1
	s_andn2_saveexec_b64 s[44:45], s[44:45]
	s_cbranch_execz .LBB166_564
; %bb.523:                              ;   in Loop: Header=BB166_17 Depth=1
	v_cmp_gt_i16_sdwa s[46:47], v9, v39 src0_sel:BYTE_0 src1_sel:DWORD
                                        ; implicit-def: $vgpr66
	s_and_saveexec_b64 s[60:61], s[46:47]
	s_xor_b64 s[46:47], exec, s[60:61]
	s_cbranch_execz .LBB166_545
; %bb.524:                              ;   in Loop: Header=BB166_17 Depth=1
	v_cmp_gt_i16_sdwa s[60:61], v9, v48 src0_sel:BYTE_0 src1_sel:DWORD
                                        ; implicit-def: $vgpr66
	s_and_saveexec_b64 s[72:73], s[60:61]
	s_xor_b64 s[60:61], exec, s[72:73]
	;; [unrolled: 6-line block ×4, first 2 shown]
	s_cbranch_execz .LBB166_528
; %bb.527:                              ;   in Loop: Header=BB166_17 Depth=1
	flat_load_dwordx2 v[15:16], v[15:16]
	s_waitcnt vmcnt(0) lgkmcnt(0)
	v_cvt_f32_f64_e32 v66, v[15:16]
                                        ; implicit-def: $vgpr15_vgpr16
.LBB166_528:                            ;   in Loop: Header=BB166_17 Depth=1
	s_andn2_saveexec_b64 s[74:75], s[74:75]
	s_cbranch_execz .LBB166_530
; %bb.529:                              ;   in Loop: Header=BB166_17 Depth=1
	flat_load_dword v66, v[15:16]
.LBB166_530:                            ;   in Loop: Header=BB166_17 Depth=1
	s_or_b64 exec, exec, s[74:75]
                                        ; implicit-def: $vgpr15_vgpr16
.LBB166_531:                            ;   in Loop: Header=BB166_17 Depth=1
	s_andn2_saveexec_b64 s[72:73], s[72:73]
	s_cbranch_execz .LBB166_533
; %bb.532:                              ;   in Loop: Header=BB166_17 Depth=1
	flat_load_dword v15, v[15:16]
	s_waitcnt vmcnt(0) lgkmcnt(0)
	v_cvt_f32_f16_e32 v66, v15
.LBB166_533:                            ;   in Loop: Header=BB166_17 Depth=1
	s_or_b64 exec, exec, s[72:73]
                                        ; implicit-def: $vgpr15_vgpr16
.LBB166_534:                            ;   in Loop: Header=BB166_17 Depth=1
	s_andn2_saveexec_b64 s[60:61], s[60:61]
	s_cbranch_execz .LBB166_544
; %bb.535:                              ;   in Loop: Header=BB166_17 Depth=1
	v_cmp_gt_i16_sdwa s[72:73], v9, v51 src0_sel:BYTE_0 src1_sel:DWORD
                                        ; implicit-def: $vgpr66
	s_and_saveexec_b64 s[74:75], s[72:73]
	s_xor_b64 s[72:73], exec, s[74:75]
	s_cbranch_execz .LBB166_541
; %bb.536:                              ;   in Loop: Header=BB166_17 Depth=1
	v_cmp_gt_i16_sdwa s[74:75], v9, v52 src0_sel:BYTE_0 src1_sel:DWORD
                                        ; implicit-def: $vgpr66
	s_and_saveexec_b64 s[76:77], s[74:75]
	s_xor_b64 s[74:75], exec, s[76:77]
	s_cbranch_execz .LBB166_538
; %bb.537:                              ;   in Loop: Header=BB166_17 Depth=1
	flat_load_dwordx2 v[15:16], v[15:16]
	s_waitcnt vmcnt(0) lgkmcnt(0)
	v_cvt_f32_f64_e32 v66, v[15:16]
                                        ; implicit-def: $vgpr15_vgpr16
.LBB166_538:                            ;   in Loop: Header=BB166_17 Depth=1
	s_andn2_saveexec_b64 s[74:75], s[74:75]
	s_cbranch_execz .LBB166_540
; %bb.539:                              ;   in Loop: Header=BB166_17 Depth=1
	s_waitcnt vmcnt(0) lgkmcnt(0)
	flat_load_dword v66, v[15:16]
.LBB166_540:                            ;   in Loop: Header=BB166_17 Depth=1
	s_or_b64 exec, exec, s[74:75]
                                        ; implicit-def: $vgpr15_vgpr16
.LBB166_541:                            ;   in Loop: Header=BB166_17 Depth=1
	s_andn2_saveexec_b64 s[72:73], s[72:73]
	s_cbranch_execz .LBB166_543
; %bb.542:                              ;   in Loop: Header=BB166_17 Depth=1
	flat_load_ushort v15, v[15:16]
	s_waitcnt vmcnt(0) lgkmcnt(0)
	v_cvt_f32_f16_e32 v66, v15
.LBB166_543:                            ;   in Loop: Header=BB166_17 Depth=1
	s_or_b64 exec, exec, s[72:73]
.LBB166_544:                            ;   in Loop: Header=BB166_17 Depth=1
	s_or_b64 exec, exec, s[60:61]
                                        ; implicit-def: $vgpr15_vgpr16
.LBB166_545:                            ;   in Loop: Header=BB166_17 Depth=1
	s_andn2_saveexec_b64 s[46:47], s[46:47]
	s_cbranch_execz .LBB166_563
; %bb.546:                              ;   in Loop: Header=BB166_17 Depth=1
	v_cmp_gt_i16_sdwa s[60:61], v9, v53 src0_sel:BYTE_0 src1_sel:DWORD
                                        ; implicit-def: $vgpr66
	s_and_saveexec_b64 s[72:73], s[60:61]
	s_xor_b64 s[60:61], exec, s[72:73]
	s_cbranch_execz .LBB166_556
; %bb.547:                              ;   in Loop: Header=BB166_17 Depth=1
	v_cmp_gt_i16_sdwa s[72:73], v9, v54 src0_sel:BYTE_0 src1_sel:DWORD
                                        ; implicit-def: $vgpr66
	s_and_saveexec_b64 s[74:75], s[72:73]
	s_xor_b64 s[72:73], exec, s[74:75]
	;; [unrolled: 6-line block ×3, first 2 shown]
	s_cbranch_execz .LBB166_550
; %bb.549:                              ;   in Loop: Header=BB166_17 Depth=1
	flat_load_dwordx2 v[15:16], v[15:16]
	s_waitcnt vmcnt(0) lgkmcnt(0)
	v_xor_b32_e32 v67, v15, v16
	v_ffbh_i32_e32 v66, v16
	v_ashrrev_i32_e32 v67, 31, v67
	v_add_u32_e32 v66, -1, v66
	v_add_u32_e32 v67, 32, v67
	v_min_u32_e32 v66, v66, v67
	v_lshlrev_b64 v[15:16], v66, v[15:16]
	v_min_u32_e32 v15, 1, v15
	v_or_b32_e32 v15, v16, v15
	v_cvt_f32_i32_e32 v15, v15
	v_sub_u32_e32 v16, 32, v66
	v_ldexp_f32 v66, v15, v16
                                        ; implicit-def: $vgpr15_vgpr16
.LBB166_550:                            ;   in Loop: Header=BB166_17 Depth=1
	s_andn2_saveexec_b64 s[74:75], s[74:75]
	s_cbranch_execz .LBB166_552
; %bb.551:                              ;   in Loop: Header=BB166_17 Depth=1
	flat_load_dword v15, v[15:16]
	s_waitcnt vmcnt(0) lgkmcnt(0)
	v_cvt_f32_i32_e32 v66, v15
.LBB166_552:                            ;   in Loop: Header=BB166_17 Depth=1
	s_or_b64 exec, exec, s[74:75]
                                        ; implicit-def: $vgpr15_vgpr16
.LBB166_553:                            ;   in Loop: Header=BB166_17 Depth=1
	s_andn2_saveexec_b64 s[72:73], s[72:73]
	s_cbranch_execz .LBB166_555
; %bb.554:                              ;   in Loop: Header=BB166_17 Depth=1
	flat_load_sshort v15, v[15:16]
	s_waitcnt vmcnt(0) lgkmcnt(0)
	v_cvt_f32_i32_e32 v66, v15
.LBB166_555:                            ;   in Loop: Header=BB166_17 Depth=1
	s_or_b64 exec, exec, s[72:73]
                                        ; implicit-def: $vgpr15_vgpr16
.LBB166_556:                            ;   in Loop: Header=BB166_17 Depth=1
	s_andn2_saveexec_b64 s[60:61], s[60:61]
	s_cbranch_execz .LBB166_562
; %bb.557:                              ;   in Loop: Header=BB166_17 Depth=1
	v_cmp_gt_i16_sdwa s[72:73], v9, v18 src0_sel:BYTE_0 src1_sel:DWORD
                                        ; implicit-def: $vgpr66
	s_and_saveexec_b64 s[74:75], s[72:73]
	s_xor_b64 s[72:73], exec, s[74:75]
	s_cbranch_execz .LBB166_559
; %bb.558:                              ;   in Loop: Header=BB166_17 Depth=1
	flat_load_sbyte v15, v[15:16]
	s_waitcnt vmcnt(0) lgkmcnt(0)
	v_cvt_f32_i32_e32 v66, v15
                                        ; implicit-def: $vgpr15_vgpr16
.LBB166_559:                            ;   in Loop: Header=BB166_17 Depth=1
	s_andn2_saveexec_b64 s[72:73], s[72:73]
	s_cbranch_execz .LBB166_561
; %bb.560:                              ;   in Loop: Header=BB166_17 Depth=1
	flat_load_ubyte v15, v[15:16]
	s_waitcnt vmcnt(0) lgkmcnt(0)
	v_cvt_f32_ubyte0_e32 v66, v15
.LBB166_561:                            ;   in Loop: Header=BB166_17 Depth=1
	s_or_b64 exec, exec, s[72:73]
.LBB166_562:                            ;   in Loop: Header=BB166_17 Depth=1
	s_or_b64 exec, exec, s[60:61]
.LBB166_563:                            ;   in Loop: Header=BB166_17 Depth=1
	s_or_b64 exec, exec, s[46:47]
	s_or_b64 s[62:63], s[62:63], exec
.LBB166_564:                            ;   in Loop: Header=BB166_17 Depth=1
	s_or_b64 exec, exec, s[44:45]
	s_mov_b64 s[44:45], -1
	s_mov_b64 s[72:73], 0
	s_mov_b64 s[46:47], 0
	s_and_saveexec_b64 s[60:61], s[62:63]
	s_cbranch_execz .LBB166_570
; %bb.565:                              ;   in Loop: Header=BB166_17 Depth=1
	v_readlane_b32 s44, v41, 0
	s_lshr_b32 s92, s32, 6
	s_add_i32 s92, s92, s44
	v_mov_b32_e32 v15, s92
	s_waitcnt vmcnt(0) lgkmcnt(0)
	buffer_store_dword v66, v15, s[0:3], 0 offen offset:36
	v_mul_lo_u32 v15, v65, v12
	v_cmp_gt_i16_sdwa s[44:45], v10, v19 src0_sel:BYTE_0 src1_sel:DWORD
                                        ; implicit-def: $vgpr65
	v_add_co_u32_e32 v15, vcc, v6, v15
	v_addc_co_u32_e32 v16, vcc, 0, v7, vcc
	s_and_saveexec_b64 s[62:63], s[44:45]
	s_xor_b64 s[44:45], exec, s[62:63]
	s_cbranch_execnz .LBB166_2206
; %bb.566:                              ;   in Loop: Header=BB166_17 Depth=1
	s_andn2_saveexec_b64 s[44:45], s[44:45]
	s_cbranch_execnz .LBB166_2265
.LBB166_567:                            ;   in Loop: Header=BB166_17 Depth=1
	s_or_b64 exec, exec, s[44:45]
	s_mov_b64 s[62:63], 0
	s_and_saveexec_b64 s[44:45], s[46:47]
	s_cbranch_execz .LBB166_569
.LBB166_568:                            ;   in Loop: Header=BB166_17 Depth=1
	s_mov_b64 s[62:63], exec
	v_mov_b32_e32 v15, s92
	v_add_u32_e32 v64, 0x200, v64
	s_waitcnt vmcnt(0) lgkmcnt(0)
	buffer_store_dword v65, v15, s[0:3], 0 offen offset:32
.LBB166_569:                            ;   in Loop: Header=BB166_17 Depth=1
	s_or_b64 exec, exec, s[44:45]
	s_mov_b64 s[46:47], exec
	s_xor_b64 s[44:45], exec, -1
	s_and_b64 s[72:73], s[62:63], exec
.LBB166_570:                            ;   in Loop: Header=BB166_17 Depth=1
	s_or_b64 exec, exec, s[60:61]
	s_orn2_b64 s[60:61], s[72:73], exec
.LBB166_571:                            ;   in Loop: Header=BB166_17 Depth=1
	s_or_b64 exec, exec, s[56:57]
	s_and_saveexec_b64 s[56:57], s[60:61]
	s_cbranch_execz .LBB166_12
; %bb.572:                              ;   in Loop: Header=BB166_17 Depth=1
	v_cmp_lt_i32_e32 vcc, v64, v8
	s_mov_b64 s[72:73], -1
	s_mov_b64 s[74:75], -1
                                        ; implicit-def: $sgpr58_sgpr59
                                        ; implicit-def: $sgpr60_sgpr61
	s_and_saveexec_b64 s[62:63], vcc
	s_cbranch_execz .LBB166_682
; %bb.573:                              ;   in Loop: Header=BB166_17 Depth=1
	v_readlane_b32 s58, v41, 2
	s_waitcnt vmcnt(0) lgkmcnt(0)
	v_add_u32_e32 v65, s58, v64
	v_mul_lo_u32 v15, v65, v11
	v_cmp_gt_i16_sdwa s[58:59], v9, v19 src0_sel:BYTE_0 src1_sel:DWORD
	s_mov_b64 s[76:77], 0
                                        ; implicit-def: $vgpr66
	v_add_co_u32_e32 v15, vcc, v4, v15
	v_addc_co_u32_e32 v16, vcc, 0, v5, vcc
	s_and_saveexec_b64 s[60:61], s[58:59]
	s_xor_b64 s[58:59], exec, s[60:61]
	s_cbranch_execz .LBB166_633
; %bb.574:                              ;   in Loop: Header=BB166_17 Depth=1
	v_cmp_gt_i16_sdwa s[60:61], v9, v20 src0_sel:BYTE_0 src1_sel:DWORD
	s_mov_b64 s[74:75], 0
                                        ; implicit-def: $vgpr66
	s_and_saveexec_b64 s[76:77], s[60:61]
	s_xor_b64 s[60:61], exec, s[76:77]
	s_cbranch_execz .LBB166_606
; %bb.575:                              ;   in Loop: Header=BB166_17 Depth=1
	v_cmp_gt_i16_sdwa s[76:77], v9, v21 src0_sel:BYTE_0 src1_sel:DWORD
                                        ; implicit-def: $vgpr66
	s_and_saveexec_b64 s[78:79], s[76:77]
	s_xor_b64 s[76:77], exec, s[78:79]
	s_cbranch_execz .LBB166_591
; %bb.576:                              ;   in Loop: Header=BB166_17 Depth=1
	v_cmp_gt_i16_sdwa s[74:75], v9, v22 src0_sel:BYTE_0 src1_sel:DWORD
	s_mov_b64 s[78:79], 0
                                        ; implicit-def: $vgpr66
	s_and_saveexec_b64 s[88:89], s[74:75]
	s_xor_b64 s[74:75], exec, s[88:89]
	s_cbranch_execz .LBB166_586
; %bb.577:                              ;   in Loop: Header=BB166_17 Depth=1
	v_cmp_gt_i16_sdwa s[88:89], v9, v23 src0_sel:BYTE_0 src1_sel:DWORD
                                        ; implicit-def: $vgpr66
	s_and_saveexec_b64 s[90:91], s[88:89]
	s_xor_b64 s[88:89], exec, s[90:91]
	s_cbranch_execz .LBB166_581
; %bb.578:                              ;   in Loop: Header=BB166_17 Depth=1
	v_cmp_eq_u16_sdwa s[92:93], v9, v24 src0_sel:BYTE_0 src1_sel:DWORD
                                        ; implicit-def: $vgpr66
	s_and_saveexec_b64 s[90:91], s[92:93]
	s_cbranch_execz .LBB166_580
; %bb.579:                              ;   in Loop: Header=BB166_17 Depth=1
	flat_load_dword v15, v[15:16]
	s_mov_b64 s[78:79], exec
	s_waitcnt vmcnt(0) lgkmcnt(0)
	v_lshlrev_b32_e32 v66, 16, v15
.LBB166_580:                            ;   in Loop: Header=BB166_17 Depth=1
	s_or_b64 exec, exec, s[90:91]
	s_and_b64 s[78:79], s[78:79], exec
                                        ; implicit-def: $vgpr15_vgpr16
.LBB166_581:                            ;   in Loop: Header=BB166_17 Depth=1
	s_andn2_saveexec_b64 s[88:89], s[88:89]
	s_cbranch_execz .LBB166_585
; %bb.582:                              ;   in Loop: Header=BB166_17 Depth=1
	v_cmp_eq_u16_sdwa s[94:95], v9, v25 src0_sel:BYTE_0 src1_sel:DWORD
	s_mov_b64 s[92:93], s[78:79]
                                        ; implicit-def: $vgpr66
	s_and_saveexec_b64 s[90:91], s[94:95]
	s_cbranch_execz .LBB166_584
; %bb.583:                              ;   in Loop: Header=BB166_17 Depth=1
	flat_load_ubyte v15, v[15:16]
	s_movk_i32 s92, 0xff
	s_waitcnt vmcnt(0) lgkmcnt(0)
	v_lshlrev_b32_e32 v16, 23, v15
	v_cmp_ne_u32_e32 vcc, s92, v15
	v_cndmask_b32_e32 v16, v26, v16, vcc
	v_cmp_ne_u32_e32 vcc, 0, v15
	v_cndmask_b32_e32 v66, v27, v16, vcc
	s_or_b64 s[92:93], s[78:79], exec
.LBB166_584:                            ;   in Loop: Header=BB166_17 Depth=1
	s_or_b64 exec, exec, s[90:91]
	s_andn2_b64 s[78:79], s[78:79], exec
	s_and_b64 s[90:91], s[92:93], exec
	s_or_b64 s[78:79], s[78:79], s[90:91]
.LBB166_585:                            ;   in Loop: Header=BB166_17 Depth=1
	s_or_b64 exec, exec, s[88:89]
	s_and_b64 s[78:79], s[78:79], exec
                                        ; implicit-def: $vgpr15_vgpr16
.LBB166_586:                            ;   in Loop: Header=BB166_17 Depth=1
	s_andn2_saveexec_b64 s[74:75], s[74:75]
	s_cbranch_execz .LBB166_590
; %bb.587:                              ;   in Loop: Header=BB166_17 Depth=1
	v_cmp_eq_u16_sdwa s[92:93], v9, v28 src0_sel:BYTE_0 src1_sel:DWORD
	s_mov_b64 s[90:91], s[78:79]
                                        ; implicit-def: $vgpr66
	s_and_saveexec_b64 s[88:89], s[92:93]
	s_cbranch_execz .LBB166_589
; %bb.588:                              ;   in Loop: Header=BB166_17 Depth=1
	flat_load_dwordx2 v[15:16], v[15:16]
	s_or_b64 s[90:91], s[78:79], exec
	s_waitcnt vmcnt(0) lgkmcnt(0)
	v_ffbh_u32_e32 v66, v16
	v_min_u32_e32 v66, 32, v66
	v_lshlrev_b64 v[15:16], v66, v[15:16]
	v_min_u32_e32 v15, 1, v15
	v_or_b32_e32 v15, v16, v15
	v_cvt_f32_u32_e32 v15, v15
	v_sub_u32_e32 v16, 32, v66
	v_ldexp_f32 v66, v15, v16
.LBB166_589:                            ;   in Loop: Header=BB166_17 Depth=1
	s_or_b64 exec, exec, s[88:89]
	s_andn2_b64 s[78:79], s[78:79], exec
	s_and_b64 s[88:89], s[90:91], exec
	s_or_b64 s[78:79], s[78:79], s[88:89]
.LBB166_590:                            ;   in Loop: Header=BB166_17 Depth=1
	s_or_b64 exec, exec, s[74:75]
	s_and_b64 s[74:75], s[78:79], exec
                                        ; implicit-def: $vgpr15_vgpr16
.LBB166_591:                            ;   in Loop: Header=BB166_17 Depth=1
	s_andn2_saveexec_b64 s[76:77], s[76:77]
	s_cbranch_execz .LBB166_605
; %bb.592:                              ;   in Loop: Header=BB166_17 Depth=1
	v_cmp_gt_i16_sdwa s[78:79], v9, v29 src0_sel:BYTE_0 src1_sel:DWORD
                                        ; implicit-def: $vgpr66
	s_and_saveexec_b64 s[88:89], s[78:79]
	s_xor_b64 s[78:79], exec, s[88:89]
	s_cbranch_execz .LBB166_598
; %bb.593:                              ;   in Loop: Header=BB166_17 Depth=1
	v_cmp_gt_i16_sdwa s[88:89], v9, v30 src0_sel:BYTE_0 src1_sel:DWORD
                                        ; implicit-def: $vgpr66
	s_and_saveexec_b64 s[90:91], s[88:89]
	s_xor_b64 s[88:89], exec, s[90:91]
	s_cbranch_execz .LBB166_595
; %bb.594:                              ;   in Loop: Header=BB166_17 Depth=1
	flat_load_dword v15, v[15:16]
	s_waitcnt vmcnt(0) lgkmcnt(0)
	v_cvt_f32_u32_e32 v66, v15
                                        ; implicit-def: $vgpr15_vgpr16
.LBB166_595:                            ;   in Loop: Header=BB166_17 Depth=1
	s_andn2_saveexec_b64 s[88:89], s[88:89]
	s_cbranch_execz .LBB166_597
; %bb.596:                              ;   in Loop: Header=BB166_17 Depth=1
	flat_load_ushort v15, v[15:16]
	s_waitcnt vmcnt(0) lgkmcnt(0)
	v_cvt_f32_u32_e32 v66, v15
.LBB166_597:                            ;   in Loop: Header=BB166_17 Depth=1
	s_or_b64 exec, exec, s[88:89]
                                        ; implicit-def: $vgpr15_vgpr16
.LBB166_598:                            ;   in Loop: Header=BB166_17 Depth=1
	s_andn2_saveexec_b64 s[78:79], s[78:79]
	s_cbranch_execz .LBB166_604
; %bb.599:                              ;   in Loop: Header=BB166_17 Depth=1
	flat_load_ubyte v15, v[15:16]
	s_movk_i32 s88, 0x7f
	s_waitcnt vmcnt(0) lgkmcnt(0)
	v_cmp_lt_i16_e32 vcc, s88, v15
	s_mov_b64 s[88:89], 0
	s_and_saveexec_b64 s[90:91], vcc
	s_xor_b64 s[90:91], exec, s[90:91]
	s_cbranch_execnz .LBB166_2662
; %bb.600:                              ;   in Loop: Header=BB166_17 Depth=1
	s_or_saveexec_b64 s[90:91], s[90:91]
	v_mov_b32_e32 v66, 0x7f800001
	s_xor_b64 exec, exec, s[90:91]
	s_cbranch_execnz .LBB166_2665
.LBB166_601:                            ;   in Loop: Header=BB166_17 Depth=1
	s_or_b64 exec, exec, s[90:91]
	s_and_saveexec_b64 s[90:91], s[88:89]
	s_cbranch_execz .LBB166_603
.LBB166_602:                            ;   in Loop: Header=BB166_17 Depth=1
	v_lshlrev_b32_e32 v16, 24, v15
	v_and_b32_e32 v15, 0xffff, v15
	v_and_b32_e32 v66, 7, v15
	v_ffbh_u32_e32 v68, v66
	v_min_u32_e32 v68, 32, v68
	v_subrev_u32_e32 v69, 28, v68
	v_bfe_u32 v67, v15, 3, 4
	v_lshlrev_b32_e32 v15, v69, v15
	v_sub_u32_e32 v68, 29, v68
	v_and_b32_e32 v15, 7, v15
	v_cmp_eq_u32_e32 vcc, 0, v67
	v_cndmask_b32_e32 v67, v67, v68, vcc
	v_cndmask_b32_e32 v15, v66, v15, vcc
	v_lshlrev_b32_e32 v15, 20, v15
	v_and_b32_e32 v16, 0x80000000, v16
	v_lshl_add_u32 v66, v67, 23, v31
	v_or3_b32 v66, v16, v66, v15
.LBB166_603:                            ;   in Loop: Header=BB166_17 Depth=1
	s_or_b64 exec, exec, s[90:91]
.LBB166_604:                            ;   in Loop: Header=BB166_17 Depth=1
	s_or_b64 exec, exec, s[78:79]
	s_or_b64 s[74:75], s[74:75], exec
.LBB166_605:                            ;   in Loop: Header=BB166_17 Depth=1
	s_or_b64 exec, exec, s[76:77]
	s_and_b64 s[74:75], s[74:75], exec
                                        ; implicit-def: $vgpr15_vgpr16
.LBB166_606:                            ;   in Loop: Header=BB166_17 Depth=1
	s_andn2_saveexec_b64 s[60:61], s[60:61]
	s_cbranch_execz .LBB166_632
; %bb.607:                              ;   in Loop: Header=BB166_17 Depth=1
	v_cmp_gt_i16_sdwa s[76:77], v9, v32 src0_sel:BYTE_0 src1_sel:DWORD
	s_mov_b64 s[78:79], s[74:75]
                                        ; implicit-def: $vgpr66
	s_and_saveexec_b64 s[88:89], s[76:77]
	s_xor_b64 s[76:77], exec, s[88:89]
	s_cbranch_execz .LBB166_621
; %bb.608:                              ;   in Loop: Header=BB166_17 Depth=1
	v_cmp_gt_i16_sdwa s[78:79], v9, v33 src0_sel:BYTE_0 src1_sel:DWORD
                                        ; implicit-def: $vgpr66
	s_and_saveexec_b64 s[88:89], s[78:79]
	s_xor_b64 s[78:79], exec, s[88:89]
	s_cbranch_execz .LBB166_618
; %bb.609:                              ;   in Loop: Header=BB166_17 Depth=1
	v_cmp_gt_i16_sdwa s[88:89], v9, v34 src0_sel:BYTE_0 src1_sel:DWORD
                                        ; implicit-def: $vgpr66
	s_and_saveexec_b64 s[90:91], s[88:89]
	s_xor_b64 s[88:89], exec, s[90:91]
	s_cbranch_execz .LBB166_615
; %bb.610:                              ;   in Loop: Header=BB166_17 Depth=1
	flat_load_ubyte v15, v[15:16]
	s_movk_i32 s90, 0x7f
	s_waitcnt vmcnt(0) lgkmcnt(0)
	v_cmp_lt_i16_e32 vcc, s90, v15
	s_mov_b64 s[90:91], 0
	s_and_saveexec_b64 s[92:93], vcc
	s_xor_b64 s[92:93], exec, s[92:93]
	s_cbranch_execnz .LBB166_2774
; %bb.611:                              ;   in Loop: Header=BB166_17 Depth=1
	s_or_saveexec_b64 s[92:93], s[92:93]
	v_mov_b32_e32 v66, 0x7f800001
	s_xor_b64 exec, exec, s[92:93]
	s_cbranch_execnz .LBB166_2777
.LBB166_612:                            ;   in Loop: Header=BB166_17 Depth=1
	s_or_b64 exec, exec, s[92:93]
	s_and_saveexec_b64 s[92:93], s[90:91]
	s_cbranch_execz .LBB166_614
.LBB166_613:                            ;   in Loop: Header=BB166_17 Depth=1
	v_lshlrev_b32_e32 v16, 24, v15
	v_and_b32_e32 v15, 0xffff, v15
	v_and_b32_e32 v66, 3, v15
	v_ffbh_u32_e32 v68, v66
	v_min_u32_e32 v68, 32, v68
	v_subrev_u32_e32 v69, 29, v68
	v_bfe_u32 v67, v15, 2, 5
	v_lshlrev_b32_e32 v15, v69, v15
	v_sub_u32_e32 v68, 30, v68
	v_and_b32_e32 v15, 3, v15
	v_cmp_eq_u32_e32 vcc, 0, v67
	v_cndmask_b32_e32 v67, v67, v68, vcc
	v_cndmask_b32_e32 v15, v66, v15, vcc
	v_lshlrev_b32_e32 v15, 21, v15
	v_and_b32_e32 v16, 0x80000000, v16
	v_lshl_add_u32 v66, v67, 23, v35
	v_or3_b32 v66, v16, v66, v15
.LBB166_614:                            ;   in Loop: Header=BB166_17 Depth=1
	s_or_b64 exec, exec, s[92:93]
                                        ; implicit-def: $vgpr15_vgpr16
.LBB166_615:                            ;   in Loop: Header=BB166_17 Depth=1
	s_andn2_saveexec_b64 s[88:89], s[88:89]
	s_cbranch_execz .LBB166_617
; %bb.616:                              ;   in Loop: Header=BB166_17 Depth=1
	flat_load_ubyte v15, v[15:16]
	s_mov_b32 s90, 0x7f800000
	s_waitcnt vmcnt(0) lgkmcnt(0)
	v_lshlrev_b32_e32 v15, 24, v15
	v_and_b32_e32 v16, 0x7f000000, v15
	v_ffbh_u32_e32 v66, v16
	v_min_u32_e32 v66, 32, v66
	v_sub_u32_e64 v66, v66, 4 clamp
	v_lshlrev_b32_e32 v68, v66, v16
	v_lshlrev_b32_e32 v66, 23, v66
	v_lshrrev_b32_e32 v68, 4, v68
	v_add_u32_e32 v67, 0x1000000, v16
	v_sub_u32_e32 v66, v68, v66
	v_ashrrev_i32_e32 v67, 8, v67
	v_add_u32_e32 v66, 0x3c000000, v66
	v_and_or_b32 v66, v67, s90, v66
	v_cmp_ne_u32_e32 vcc, 0, v16
	v_cndmask_b32_e32 v16, 0, v66, vcc
	s_brev_b32 s90, 1
	v_and_or_b32 v66, v15, s90, v16
.LBB166_617:                            ;   in Loop: Header=BB166_17 Depth=1
	s_or_b64 exec, exec, s[88:89]
                                        ; implicit-def: $vgpr15_vgpr16
.LBB166_618:                            ;   in Loop: Header=BB166_17 Depth=1
	s_andn2_saveexec_b64 s[78:79], s[78:79]
	s_cbranch_execz .LBB166_620
; %bb.619:                              ;   in Loop: Header=BB166_17 Depth=1
	flat_load_ubyte v15, v[15:16]
	s_movk_i32 s88, 0x7f00
	s_waitcnt vmcnt(0) lgkmcnt(0)
	v_lshlrev_b16_e32 v16, 8, v15
	v_lshlrev_b32_e32 v15, 25, v15
	v_lshrrev_b32_e32 v66, 4, v15
	v_and_or_b32 v67, v16, s88, 0.5
	v_or_b32_e32 v66, 0x70000000, v66
	s_brev_b32 s88, 16
	v_add_f32_e32 v67, -0.5, v67
	v_mul_f32_e32 v66, 0x7800000, v66
	v_cmp_gt_u32_e32 vcc, s88, v15
	v_cndmask_b32_e32 v15, v66, v67, vcc
	v_bfe_i32 v16, v16, 0, 16
	s_brev_b32 s88, 1
	v_and_or_b32 v66, v16, s88, v15
.LBB166_620:                            ;   in Loop: Header=BB166_17 Depth=1
	s_or_b64 exec, exec, s[78:79]
	s_or_b64 s[78:79], s[74:75], exec
                                        ; implicit-def: $vgpr15_vgpr16
.LBB166_621:                            ;   in Loop: Header=BB166_17 Depth=1
	s_andn2_saveexec_b64 s[76:77], s[76:77]
	s_cbranch_execz .LBB166_631
; %bb.622:                              ;   in Loop: Header=BB166_17 Depth=1
	v_cmp_gt_i16_sdwa s[90:91], v9, v36 src0_sel:BYTE_0 src1_sel:DWORD
	s_mov_b64 s[88:89], s[78:79]
                                        ; implicit-def: $vgpr66
	s_and_saveexec_b64 s[92:93], s[90:91]
	s_xor_b64 s[90:91], exec, s[92:93]
	s_cbranch_execz .LBB166_626
; %bb.623:                              ;   in Loop: Header=BB166_17 Depth=1
	v_cmp_eq_u16_sdwa s[94:95], v9, v37 src0_sel:BYTE_0 src1_sel:DWORD
	s_mov_b64 s[88:89], s[78:79]
                                        ; implicit-def: $vgpr66
	s_and_saveexec_b64 s[92:93], s[94:95]
	s_cbranch_execz .LBB166_625
; %bb.624:                              ;   in Loop: Header=BB166_17 Depth=1
	flat_load_ushort v15, v[15:16]
	s_or_b64 s[88:89], s[78:79], exec
	s_waitcnt vmcnt(0) lgkmcnt(0)
	v_lshlrev_b32_e32 v66, 16, v15
.LBB166_625:                            ;   in Loop: Header=BB166_17 Depth=1
	s_or_b64 exec, exec, s[92:93]
	s_andn2_b64 s[92:93], s[78:79], exec
	s_and_b64 s[88:89], s[88:89], exec
	s_or_b64 s[88:89], s[92:93], s[88:89]
                                        ; implicit-def: $vgpr15_vgpr16
.LBB166_626:                            ;   in Loop: Header=BB166_17 Depth=1
	s_andn2_saveexec_b64 s[90:91], s[90:91]
	s_cbranch_execz .LBB166_630
; %bb.627:                              ;   in Loop: Header=BB166_17 Depth=1
	v_cmp_eq_u16_sdwa vcc, v9, v38 src0_sel:BYTE_0 src1_sel:DWORD
	s_mov_b64 s[92:93], s[88:89]
                                        ; implicit-def: $vgpr66
	s_and_saveexec_b64 s[94:95], vcc
	s_cbranch_execz .LBB166_629
; %bb.628:                              ;   in Loop: Header=BB166_17 Depth=1
	flat_load_ubyte v15, v[15:16]
	s_or_b64 s[92:93], s[88:89], exec
	s_waitcnt vmcnt(0) lgkmcnt(0)
	v_cmp_ne_u16_e32 vcc, 0, v15
	v_cndmask_b32_e64 v66, 0, 1.0, vcc
.LBB166_629:                            ;   in Loop: Header=BB166_17 Depth=1
	s_or_b64 exec, exec, s[94:95]
	s_andn2_b64 s[88:89], s[88:89], exec
	s_and_b64 s[92:93], s[92:93], exec
	s_or_b64 s[88:89], s[88:89], s[92:93]
.LBB166_630:                            ;   in Loop: Header=BB166_17 Depth=1
	s_or_b64 exec, exec, s[90:91]
	s_andn2_b64 s[78:79], s[78:79], exec
	s_and_b64 s[88:89], s[88:89], exec
	s_or_b64 s[78:79], s[78:79], s[88:89]
.LBB166_631:                            ;   in Loop: Header=BB166_17 Depth=1
	s_or_b64 exec, exec, s[76:77]
	s_andn2_b64 s[74:75], s[74:75], exec
	s_and_b64 s[76:77], s[78:79], exec
	s_or_b64 s[74:75], s[74:75], s[76:77]
.LBB166_632:                            ;   in Loop: Header=BB166_17 Depth=1
	s_or_b64 exec, exec, s[60:61]
	s_and_b64 s[76:77], s[74:75], exec
                                        ; implicit-def: $vgpr15_vgpr16
.LBB166_633:                            ;   in Loop: Header=BB166_17 Depth=1
	s_andn2_saveexec_b64 s[58:59], s[58:59]
	s_cbranch_execz .LBB166_675
; %bb.634:                              ;   in Loop: Header=BB166_17 Depth=1
	v_cmp_gt_i16_sdwa s[60:61], v9, v39 src0_sel:BYTE_0 src1_sel:DWORD
                                        ; implicit-def: $vgpr66
	s_and_saveexec_b64 s[74:75], s[60:61]
	s_xor_b64 s[60:61], exec, s[74:75]
	s_cbranch_execz .LBB166_656
; %bb.635:                              ;   in Loop: Header=BB166_17 Depth=1
	v_cmp_gt_i16_sdwa s[74:75], v9, v48 src0_sel:BYTE_0 src1_sel:DWORD
                                        ; implicit-def: $vgpr66
	s_and_saveexec_b64 s[78:79], s[74:75]
	s_xor_b64 s[74:75], exec, s[78:79]
	;; [unrolled: 6-line block ×4, first 2 shown]
	s_cbranch_execz .LBB166_639
; %bb.638:                              ;   in Loop: Header=BB166_17 Depth=1
	flat_load_dwordx2 v[15:16], v[15:16]
	s_waitcnt vmcnt(0) lgkmcnt(0)
	v_cvt_f32_f64_e32 v66, v[15:16]
                                        ; implicit-def: $vgpr15_vgpr16
.LBB166_639:                            ;   in Loop: Header=BB166_17 Depth=1
	s_andn2_saveexec_b64 s[88:89], s[88:89]
	s_cbranch_execz .LBB166_641
; %bb.640:                              ;   in Loop: Header=BB166_17 Depth=1
	flat_load_dword v66, v[15:16]
.LBB166_641:                            ;   in Loop: Header=BB166_17 Depth=1
	s_or_b64 exec, exec, s[88:89]
                                        ; implicit-def: $vgpr15_vgpr16
.LBB166_642:                            ;   in Loop: Header=BB166_17 Depth=1
	s_andn2_saveexec_b64 s[78:79], s[78:79]
	s_cbranch_execz .LBB166_644
; %bb.643:                              ;   in Loop: Header=BB166_17 Depth=1
	flat_load_dword v15, v[15:16]
	s_waitcnt vmcnt(0) lgkmcnt(0)
	v_cvt_f32_f16_e32 v66, v15
.LBB166_644:                            ;   in Loop: Header=BB166_17 Depth=1
	s_or_b64 exec, exec, s[78:79]
                                        ; implicit-def: $vgpr15_vgpr16
.LBB166_645:                            ;   in Loop: Header=BB166_17 Depth=1
	s_andn2_saveexec_b64 s[74:75], s[74:75]
	s_cbranch_execz .LBB166_655
; %bb.646:                              ;   in Loop: Header=BB166_17 Depth=1
	v_cmp_gt_i16_sdwa s[78:79], v9, v51 src0_sel:BYTE_0 src1_sel:DWORD
                                        ; implicit-def: $vgpr66
	s_and_saveexec_b64 s[88:89], s[78:79]
	s_xor_b64 s[78:79], exec, s[88:89]
	s_cbranch_execz .LBB166_652
; %bb.647:                              ;   in Loop: Header=BB166_17 Depth=1
	v_cmp_gt_i16_sdwa s[88:89], v9, v52 src0_sel:BYTE_0 src1_sel:DWORD
                                        ; implicit-def: $vgpr66
	s_and_saveexec_b64 s[90:91], s[88:89]
	s_xor_b64 s[88:89], exec, s[90:91]
	s_cbranch_execz .LBB166_649
; %bb.648:                              ;   in Loop: Header=BB166_17 Depth=1
	flat_load_dwordx2 v[15:16], v[15:16]
	s_waitcnt vmcnt(0) lgkmcnt(0)
	v_cvt_f32_f64_e32 v66, v[15:16]
                                        ; implicit-def: $vgpr15_vgpr16
.LBB166_649:                            ;   in Loop: Header=BB166_17 Depth=1
	s_andn2_saveexec_b64 s[88:89], s[88:89]
	s_cbranch_execz .LBB166_651
; %bb.650:                              ;   in Loop: Header=BB166_17 Depth=1
	s_waitcnt vmcnt(0) lgkmcnt(0)
	flat_load_dword v66, v[15:16]
.LBB166_651:                            ;   in Loop: Header=BB166_17 Depth=1
	s_or_b64 exec, exec, s[88:89]
                                        ; implicit-def: $vgpr15_vgpr16
.LBB166_652:                            ;   in Loop: Header=BB166_17 Depth=1
	s_andn2_saveexec_b64 s[78:79], s[78:79]
	s_cbranch_execz .LBB166_654
; %bb.653:                              ;   in Loop: Header=BB166_17 Depth=1
	flat_load_ushort v15, v[15:16]
	s_waitcnt vmcnt(0) lgkmcnt(0)
	v_cvt_f32_f16_e32 v66, v15
.LBB166_654:                            ;   in Loop: Header=BB166_17 Depth=1
	s_or_b64 exec, exec, s[78:79]
.LBB166_655:                            ;   in Loop: Header=BB166_17 Depth=1
	s_or_b64 exec, exec, s[74:75]
                                        ; implicit-def: $vgpr15_vgpr16
.LBB166_656:                            ;   in Loop: Header=BB166_17 Depth=1
	s_andn2_saveexec_b64 s[60:61], s[60:61]
	s_cbranch_execz .LBB166_674
; %bb.657:                              ;   in Loop: Header=BB166_17 Depth=1
	v_cmp_gt_i16_sdwa s[74:75], v9, v53 src0_sel:BYTE_0 src1_sel:DWORD
                                        ; implicit-def: $vgpr66
	s_and_saveexec_b64 s[78:79], s[74:75]
	s_xor_b64 s[74:75], exec, s[78:79]
	s_cbranch_execz .LBB166_667
; %bb.658:                              ;   in Loop: Header=BB166_17 Depth=1
	v_cmp_gt_i16_sdwa s[78:79], v9, v54 src0_sel:BYTE_0 src1_sel:DWORD
                                        ; implicit-def: $vgpr66
	s_and_saveexec_b64 s[88:89], s[78:79]
	s_xor_b64 s[78:79], exec, s[88:89]
	;; [unrolled: 6-line block ×3, first 2 shown]
	s_cbranch_execz .LBB166_661
; %bb.660:                              ;   in Loop: Header=BB166_17 Depth=1
	flat_load_dwordx2 v[15:16], v[15:16]
	s_waitcnt vmcnt(0) lgkmcnt(0)
	v_xor_b32_e32 v67, v15, v16
	v_ffbh_i32_e32 v66, v16
	v_ashrrev_i32_e32 v67, 31, v67
	v_add_u32_e32 v66, -1, v66
	v_add_u32_e32 v67, 32, v67
	v_min_u32_e32 v66, v66, v67
	v_lshlrev_b64 v[15:16], v66, v[15:16]
	v_min_u32_e32 v15, 1, v15
	v_or_b32_e32 v15, v16, v15
	v_cvt_f32_i32_e32 v15, v15
	v_sub_u32_e32 v16, 32, v66
	v_ldexp_f32 v66, v15, v16
                                        ; implicit-def: $vgpr15_vgpr16
.LBB166_661:                            ;   in Loop: Header=BB166_17 Depth=1
	s_andn2_saveexec_b64 s[88:89], s[88:89]
	s_cbranch_execz .LBB166_663
; %bb.662:                              ;   in Loop: Header=BB166_17 Depth=1
	flat_load_dword v15, v[15:16]
	s_waitcnt vmcnt(0) lgkmcnt(0)
	v_cvt_f32_i32_e32 v66, v15
.LBB166_663:                            ;   in Loop: Header=BB166_17 Depth=1
	s_or_b64 exec, exec, s[88:89]
                                        ; implicit-def: $vgpr15_vgpr16
.LBB166_664:                            ;   in Loop: Header=BB166_17 Depth=1
	s_andn2_saveexec_b64 s[78:79], s[78:79]
	s_cbranch_execz .LBB166_666
; %bb.665:                              ;   in Loop: Header=BB166_17 Depth=1
	flat_load_sshort v15, v[15:16]
	s_waitcnt vmcnt(0) lgkmcnt(0)
	v_cvt_f32_i32_e32 v66, v15
.LBB166_666:                            ;   in Loop: Header=BB166_17 Depth=1
	s_or_b64 exec, exec, s[78:79]
                                        ; implicit-def: $vgpr15_vgpr16
.LBB166_667:                            ;   in Loop: Header=BB166_17 Depth=1
	s_andn2_saveexec_b64 s[74:75], s[74:75]
	s_cbranch_execz .LBB166_673
; %bb.668:                              ;   in Loop: Header=BB166_17 Depth=1
	v_cmp_gt_i16_sdwa s[78:79], v9, v18 src0_sel:BYTE_0 src1_sel:DWORD
                                        ; implicit-def: $vgpr66
	s_and_saveexec_b64 s[88:89], s[78:79]
	s_xor_b64 s[78:79], exec, s[88:89]
	s_cbranch_execz .LBB166_670
; %bb.669:                              ;   in Loop: Header=BB166_17 Depth=1
	flat_load_sbyte v15, v[15:16]
	s_waitcnt vmcnt(0) lgkmcnt(0)
	v_cvt_f32_i32_e32 v66, v15
                                        ; implicit-def: $vgpr15_vgpr16
.LBB166_670:                            ;   in Loop: Header=BB166_17 Depth=1
	s_andn2_saveexec_b64 s[78:79], s[78:79]
	s_cbranch_execz .LBB166_672
; %bb.671:                              ;   in Loop: Header=BB166_17 Depth=1
	flat_load_ubyte v15, v[15:16]
	s_waitcnt vmcnt(0) lgkmcnt(0)
	v_cvt_f32_ubyte0_e32 v66, v15
.LBB166_672:                            ;   in Loop: Header=BB166_17 Depth=1
	s_or_b64 exec, exec, s[78:79]
.LBB166_673:                            ;   in Loop: Header=BB166_17 Depth=1
	s_or_b64 exec, exec, s[74:75]
.LBB166_674:                            ;   in Loop: Header=BB166_17 Depth=1
	s_or_b64 exec, exec, s[60:61]
	s_or_b64 s[76:77], s[76:77], exec
.LBB166_675:                            ;   in Loop: Header=BB166_17 Depth=1
	s_or_b64 exec, exec, s[58:59]
	s_mov_b64 s[58:59], -1
	s_mov_b64 s[78:79], 0
	s_mov_b64 s[60:61], 0
	s_and_saveexec_b64 s[74:75], s[76:77]
	s_cbranch_execz .LBB166_681
; %bb.676:                              ;   in Loop: Header=BB166_17 Depth=1
	v_readlane_b32 s58, v41, 0
	s_lshr_b32 s34, s32, 6
	s_add_i32 s34, s34, s58
	v_mov_b32_e32 v15, s34
	s_waitcnt vmcnt(0) lgkmcnt(0)
	buffer_store_dword v66, v15, s[0:3], 0 offen offset:44
	v_mul_lo_u32 v15, v65, v12
	v_cmp_gt_i16_sdwa s[58:59], v10, v19 src0_sel:BYTE_0 src1_sel:DWORD
                                        ; implicit-def: $vgpr65
	v_add_co_u32_e32 v15, vcc, v6, v15
	v_addc_co_u32_e32 v16, vcc, 0, v7, vcc
	s_and_saveexec_b64 s[76:77], s[58:59]
	s_xor_b64 s[58:59], exec, s[76:77]
	s_cbranch_execnz .LBB166_2318
; %bb.677:                              ;   in Loop: Header=BB166_17 Depth=1
	s_andn2_saveexec_b64 s[58:59], s[58:59]
	s_cbranch_execnz .LBB166_2377
.LBB166_678:                            ;   in Loop: Header=BB166_17 Depth=1
	s_or_b64 exec, exec, s[58:59]
	s_mov_b64 s[76:77], 0
	s_and_saveexec_b64 s[58:59], s[60:61]
	s_cbranch_execz .LBB166_680
.LBB166_679:                            ;   in Loop: Header=BB166_17 Depth=1
	s_mov_b64 s[76:77], exec
	v_mov_b32_e32 v15, s34
	v_add_u32_e32 v64, 0x200, v64
	s_waitcnt vmcnt(0) lgkmcnt(0)
	buffer_store_dword v65, v15, s[0:3], 0 offen offset:40
.LBB166_680:                            ;   in Loop: Header=BB166_17 Depth=1
	s_or_b64 exec, exec, s[58:59]
	s_mov_b64 s[60:61], exec
	s_xor_b64 s[58:59], exec, -1
	s_and_b64 s[78:79], s[76:77], exec
.LBB166_681:                            ;   in Loop: Header=BB166_17 Depth=1
	s_or_b64 exec, exec, s[74:75]
	s_orn2_b64 s[74:75], s[78:79], exec
.LBB166_682:                            ;   in Loop: Header=BB166_17 Depth=1
	s_or_b64 exec, exec, s[62:63]
	s_and_saveexec_b64 s[62:63], s[74:75]
	s_cbranch_execz .LBB166_11
; %bb.683:                              ;   in Loop: Header=BB166_17 Depth=1
	v_cmp_lt_i32_e32 vcc, v64, v8
	s_mov_b64 s[78:79], -1
	s_mov_b64 s[88:89], -1
                                        ; implicit-def: $sgpr72_sgpr73
                                        ; implicit-def: $sgpr74_sgpr75
	s_and_saveexec_b64 s[76:77], vcc
	s_cbranch_execz .LBB166_793
; %bb.684:                              ;   in Loop: Header=BB166_17 Depth=1
	v_readlane_b32 s72, v41, 2
	s_waitcnt vmcnt(0) lgkmcnt(0)
	v_add_u32_e32 v65, s72, v64
	v_mul_lo_u32 v15, v65, v11
	v_cmp_gt_i16_sdwa s[72:73], v9, v19 src0_sel:BYTE_0 src1_sel:DWORD
	s_mov_b64 s[90:91], 0
                                        ; implicit-def: $vgpr66
	v_add_co_u32_e32 v15, vcc, v4, v15
	v_addc_co_u32_e32 v16, vcc, 0, v5, vcc
	s_and_saveexec_b64 s[74:75], s[72:73]
	s_xor_b64 s[72:73], exec, s[74:75]
	s_cbranch_execz .LBB166_744
; %bb.685:                              ;   in Loop: Header=BB166_17 Depth=1
	v_cmp_gt_i16_sdwa s[74:75], v9, v20 src0_sel:BYTE_0 src1_sel:DWORD
	s_mov_b64 s[88:89], 0
                                        ; implicit-def: $vgpr66
	s_and_saveexec_b64 s[90:91], s[74:75]
	s_xor_b64 s[74:75], exec, s[90:91]
	s_cbranch_execz .LBB166_717
; %bb.686:                              ;   in Loop: Header=BB166_17 Depth=1
	v_cmp_gt_i16_sdwa s[90:91], v9, v21 src0_sel:BYTE_0 src1_sel:DWORD
                                        ; implicit-def: $vgpr66
	s_and_saveexec_b64 s[92:93], s[90:91]
	s_xor_b64 s[90:91], exec, s[92:93]
	s_cbranch_execz .LBB166_702
; %bb.687:                              ;   in Loop: Header=BB166_17 Depth=1
	v_cmp_gt_i16_sdwa s[88:89], v9, v22 src0_sel:BYTE_0 src1_sel:DWORD
	s_mov_b64 s[92:93], 0
                                        ; implicit-def: $vgpr66
	s_and_saveexec_b64 s[94:95], s[88:89]
	s_xor_b64 s[88:89], exec, s[94:95]
	s_cbranch_execz .LBB166_697
; %bb.688:                              ;   in Loop: Header=BB166_17 Depth=1
	v_cmp_gt_i16_sdwa s[94:95], v9, v23 src0_sel:BYTE_0 src1_sel:DWORD
                                        ; implicit-def: $vgpr66
	s_and_saveexec_b64 vcc, s[94:95]
	s_xor_b64 s[94:95], exec, vcc
	s_cbranch_execz .LBB166_692
; %bb.689:                              ;   in Loop: Header=BB166_17 Depth=1
	v_cmp_eq_u16_sdwa s[30:31], v9, v24 src0_sel:BYTE_0 src1_sel:DWORD
                                        ; implicit-def: $vgpr66
	s_and_saveexec_b64 vcc, s[30:31]
	s_cbranch_execz .LBB166_691
; %bb.690:                              ;   in Loop: Header=BB166_17 Depth=1
	flat_load_dword v15, v[15:16]
	s_mov_b64 s[92:93], exec
	s_waitcnt vmcnt(0) lgkmcnt(0)
	v_lshlrev_b32_e32 v66, 16, v15
.LBB166_691:                            ;   in Loop: Header=BB166_17 Depth=1
	s_or_b64 exec, exec, vcc
	s_and_b64 s[92:93], s[92:93], exec
                                        ; implicit-def: $vgpr15_vgpr16
.LBB166_692:                            ;   in Loop: Header=BB166_17 Depth=1
	s_andn2_saveexec_b64 s[94:95], s[94:95]
	s_cbranch_execz .LBB166_696
; %bb.693:                              ;   in Loop: Header=BB166_17 Depth=1
	v_cmp_eq_u16_sdwa s[34:35], v9, v25 src0_sel:BYTE_0 src1_sel:DWORD
	s_mov_b64 vcc, s[92:93]
                                        ; implicit-def: $vgpr66
	s_and_saveexec_b64 s[30:31], s[34:35]
	s_cbranch_execz .LBB166_695
; %bb.694:                              ;   in Loop: Header=BB166_17 Depth=1
	flat_load_ubyte v15, v[15:16]
	s_movk_i32 vcc_lo, 0xff
	s_waitcnt vmcnt(0) lgkmcnt(0)
	v_lshlrev_b32_e32 v16, 23, v15
	v_cmp_ne_u32_e32 vcc, vcc_lo, v15
	v_cndmask_b32_e32 v16, v26, v16, vcc
	v_cmp_ne_u32_e32 vcc, 0, v15
	v_cndmask_b32_e32 v66, v27, v16, vcc
	s_or_b64 vcc, s[92:93], exec
.LBB166_695:                            ;   in Loop: Header=BB166_17 Depth=1
	s_or_b64 exec, exec, s[30:31]
	s_andn2_b64 s[92:93], s[92:93], exec
	s_and_b64 vcc, vcc, exec
	s_or_b64 s[92:93], s[92:93], vcc
.LBB166_696:                            ;   in Loop: Header=BB166_17 Depth=1
	s_or_b64 exec, exec, s[94:95]
	s_and_b64 s[92:93], s[92:93], exec
                                        ; implicit-def: $vgpr15_vgpr16
.LBB166_697:                            ;   in Loop: Header=BB166_17 Depth=1
	s_andn2_saveexec_b64 s[88:89], s[88:89]
	s_cbranch_execz .LBB166_701
; %bb.698:                              ;   in Loop: Header=BB166_17 Depth=1
	v_cmp_eq_u16_sdwa s[30:31], v9, v28 src0_sel:BYTE_0 src1_sel:DWORD
	s_mov_b64 vcc, s[92:93]
                                        ; implicit-def: $vgpr66
	s_and_saveexec_b64 s[94:95], s[30:31]
	s_cbranch_execz .LBB166_700
; %bb.699:                              ;   in Loop: Header=BB166_17 Depth=1
	flat_load_dwordx2 v[15:16], v[15:16]
	s_or_b64 vcc, s[92:93], exec
	s_waitcnt vmcnt(0) lgkmcnt(0)
	v_ffbh_u32_e32 v66, v16
	v_min_u32_e32 v66, 32, v66
	v_lshlrev_b64 v[15:16], v66, v[15:16]
	v_min_u32_e32 v15, 1, v15
	v_or_b32_e32 v15, v16, v15
	v_cvt_f32_u32_e32 v15, v15
	v_sub_u32_e32 v16, 32, v66
	v_ldexp_f32 v66, v15, v16
.LBB166_700:                            ;   in Loop: Header=BB166_17 Depth=1
	s_or_b64 exec, exec, s[94:95]
	s_andn2_b64 s[92:93], s[92:93], exec
	s_and_b64 s[94:95], vcc, exec
	s_or_b64 s[92:93], s[92:93], s[94:95]
.LBB166_701:                            ;   in Loop: Header=BB166_17 Depth=1
	s_or_b64 exec, exec, s[88:89]
	s_and_b64 s[88:89], s[92:93], exec
                                        ; implicit-def: $vgpr15_vgpr16
.LBB166_702:                            ;   in Loop: Header=BB166_17 Depth=1
	s_andn2_saveexec_b64 s[90:91], s[90:91]
	s_cbranch_execz .LBB166_716
; %bb.703:                              ;   in Loop: Header=BB166_17 Depth=1
	v_cmp_gt_i16_sdwa s[92:93], v9, v29 src0_sel:BYTE_0 src1_sel:DWORD
                                        ; implicit-def: $vgpr66
	s_and_saveexec_b64 s[94:95], s[92:93]
	s_xor_b64 s[92:93], exec, s[94:95]
	s_cbranch_execz .LBB166_709
; %bb.704:                              ;   in Loop: Header=BB166_17 Depth=1
	v_cmp_gt_i16_sdwa s[94:95], v9, v30 src0_sel:BYTE_0 src1_sel:DWORD
                                        ; implicit-def: $vgpr66
	s_and_saveexec_b64 vcc, s[94:95]
	s_xor_b64 s[94:95], exec, vcc
	s_cbranch_execz .LBB166_706
; %bb.705:                              ;   in Loop: Header=BB166_17 Depth=1
	flat_load_dword v15, v[15:16]
	s_waitcnt vmcnt(0) lgkmcnt(0)
	v_cvt_f32_u32_e32 v66, v15
                                        ; implicit-def: $vgpr15_vgpr16
.LBB166_706:                            ;   in Loop: Header=BB166_17 Depth=1
	s_andn2_saveexec_b64 s[94:95], s[94:95]
	s_cbranch_execz .LBB166_708
; %bb.707:                              ;   in Loop: Header=BB166_17 Depth=1
	flat_load_ushort v15, v[15:16]
	s_waitcnt vmcnt(0) lgkmcnt(0)
	v_cvt_f32_u32_e32 v66, v15
.LBB166_708:                            ;   in Loop: Header=BB166_17 Depth=1
	s_or_b64 exec, exec, s[94:95]
                                        ; implicit-def: $vgpr15_vgpr16
.LBB166_709:                            ;   in Loop: Header=BB166_17 Depth=1
	s_andn2_saveexec_b64 s[92:93], s[92:93]
	s_cbranch_execz .LBB166_715
; %bb.710:                              ;   in Loop: Header=BB166_17 Depth=1
	flat_load_ubyte v15, v[15:16]
	s_movk_i32 s94, 0x7f
	s_waitcnt vmcnt(0) lgkmcnt(0)
	v_cmp_lt_i16_e32 vcc, s94, v15
	s_mov_b64 s[94:95], 0
	s_and_saveexec_b64 s[30:31], vcc
	s_xor_b64 s[30:31], exec, s[30:31]
	s_cbranch_execnz .LBB166_2778
; %bb.711:                              ;   in Loop: Header=BB166_17 Depth=1
	s_or_saveexec_b64 s[30:31], s[30:31]
	v_mov_b32_e32 v66, 0x7f800001
	s_xor_b64 exec, exec, s[30:31]
	s_cbranch_execnz .LBB166_2781
.LBB166_712:                            ;   in Loop: Header=BB166_17 Depth=1
	s_or_b64 exec, exec, s[30:31]
	s_and_saveexec_b64 s[30:31], s[94:95]
	s_cbranch_execz .LBB166_714
.LBB166_713:                            ;   in Loop: Header=BB166_17 Depth=1
	v_lshlrev_b32_e32 v16, 24, v15
	v_and_b32_e32 v15, 0xffff, v15
	v_and_b32_e32 v66, 7, v15
	v_ffbh_u32_e32 v68, v66
	v_min_u32_e32 v68, 32, v68
	v_subrev_u32_e32 v69, 28, v68
	v_bfe_u32 v67, v15, 3, 4
	v_lshlrev_b32_e32 v15, v69, v15
	v_sub_u32_e32 v68, 29, v68
	v_and_b32_e32 v15, 7, v15
	v_cmp_eq_u32_e32 vcc, 0, v67
	v_cndmask_b32_e32 v67, v67, v68, vcc
	v_cndmask_b32_e32 v15, v66, v15, vcc
	v_lshlrev_b32_e32 v15, 20, v15
	v_and_b32_e32 v16, 0x80000000, v16
	v_lshl_add_u32 v66, v67, 23, v31
	v_or3_b32 v66, v16, v66, v15
.LBB166_714:                            ;   in Loop: Header=BB166_17 Depth=1
	s_or_b64 exec, exec, s[30:31]
.LBB166_715:                            ;   in Loop: Header=BB166_17 Depth=1
	s_or_b64 exec, exec, s[92:93]
	s_or_b64 s[88:89], s[88:89], exec
.LBB166_716:                            ;   in Loop: Header=BB166_17 Depth=1
	s_or_b64 exec, exec, s[90:91]
	s_and_b64 s[88:89], s[88:89], exec
                                        ; implicit-def: $vgpr15_vgpr16
.LBB166_717:                            ;   in Loop: Header=BB166_17 Depth=1
	s_andn2_saveexec_b64 s[74:75], s[74:75]
	s_cbranch_execz .LBB166_743
; %bb.718:                              ;   in Loop: Header=BB166_17 Depth=1
	v_cmp_gt_i16_sdwa s[90:91], v9, v32 src0_sel:BYTE_0 src1_sel:DWORD
	s_mov_b64 s[92:93], s[88:89]
                                        ; implicit-def: $vgpr66
	s_and_saveexec_b64 s[94:95], s[90:91]
	s_xor_b64 s[90:91], exec, s[94:95]
	s_cbranch_execz .LBB166_732
; %bb.719:                              ;   in Loop: Header=BB166_17 Depth=1
	v_cmp_gt_i16_sdwa s[92:93], v9, v33 src0_sel:BYTE_0 src1_sel:DWORD
                                        ; implicit-def: $vgpr66
	s_and_saveexec_b64 s[94:95], s[92:93]
	s_xor_b64 s[92:93], exec, s[94:95]
	s_cbranch_execz .LBB166_729
; %bb.720:                              ;   in Loop: Header=BB166_17 Depth=1
	v_cmp_gt_i16_sdwa s[94:95], v9, v34 src0_sel:BYTE_0 src1_sel:DWORD
                                        ; implicit-def: $vgpr66
	s_and_saveexec_b64 vcc, s[94:95]
	s_xor_b64 s[94:95], exec, vcc
	s_cbranch_execz .LBB166_726
; %bb.721:                              ;   in Loop: Header=BB166_17 Depth=1
	flat_load_ubyte v15, v[15:16]
	s_movk_i32 vcc_lo, 0x7f
	s_mov_b64 s[30:31], 0
	s_waitcnt vmcnt(0) lgkmcnt(0)
	v_cmp_lt_i16_e32 vcc, vcc_lo, v15
	s_and_saveexec_b64 s[34:35], vcc
	s_xor_b64 s[34:35], exec, s[34:35]
	s_cbranch_execnz .LBB166_2890
; %bb.722:                              ;   in Loop: Header=BB166_17 Depth=1
	s_or_saveexec_b64 s[34:35], s[34:35]
	v_mov_b32_e32 v66, 0x7f800001
	s_xor_b64 exec, exec, s[34:35]
	s_cbranch_execnz .LBB166_2893
.LBB166_723:                            ;   in Loop: Header=BB166_17 Depth=1
	s_or_b64 exec, exec, s[34:35]
	s_and_saveexec_b64 s[34:35], s[30:31]
	s_cbranch_execz .LBB166_725
.LBB166_724:                            ;   in Loop: Header=BB166_17 Depth=1
	v_lshlrev_b32_e32 v16, 24, v15
	v_and_b32_e32 v15, 0xffff, v15
	v_and_b32_e32 v66, 3, v15
	v_ffbh_u32_e32 v68, v66
	v_min_u32_e32 v68, 32, v68
	v_subrev_u32_e32 v69, 29, v68
	v_bfe_u32 v67, v15, 2, 5
	v_lshlrev_b32_e32 v15, v69, v15
	v_sub_u32_e32 v68, 30, v68
	v_and_b32_e32 v15, 3, v15
	v_cmp_eq_u32_e32 vcc, 0, v67
	v_cndmask_b32_e32 v67, v67, v68, vcc
	v_cndmask_b32_e32 v15, v66, v15, vcc
	v_lshlrev_b32_e32 v15, 21, v15
	v_and_b32_e32 v16, 0x80000000, v16
	v_lshl_add_u32 v66, v67, 23, v35
	v_or3_b32 v66, v16, v66, v15
.LBB166_725:                            ;   in Loop: Header=BB166_17 Depth=1
	s_or_b64 exec, exec, s[34:35]
                                        ; implicit-def: $vgpr15_vgpr16
.LBB166_726:                            ;   in Loop: Header=BB166_17 Depth=1
	s_andn2_saveexec_b64 s[94:95], s[94:95]
	s_cbranch_execz .LBB166_728
; %bb.727:                              ;   in Loop: Header=BB166_17 Depth=1
	flat_load_ubyte v15, v[15:16]
	s_mov_b32 vcc_lo, 0x7f800000
	s_waitcnt vmcnt(0) lgkmcnt(0)
	v_lshlrev_b32_e32 v15, 24, v15
	v_and_b32_e32 v16, 0x7f000000, v15
	v_ffbh_u32_e32 v66, v16
	v_min_u32_e32 v66, 32, v66
	v_sub_u32_e64 v66, v66, 4 clamp
	v_lshlrev_b32_e32 v68, v66, v16
	v_lshlrev_b32_e32 v66, 23, v66
	v_lshrrev_b32_e32 v68, 4, v68
	v_add_u32_e32 v67, 0x1000000, v16
	v_sub_u32_e32 v66, v68, v66
	v_ashrrev_i32_e32 v67, 8, v67
	v_add_u32_e32 v66, 0x3c000000, v66
	v_and_or_b32 v66, v67, vcc_lo, v66
	v_cmp_ne_u32_e32 vcc, 0, v16
	v_cndmask_b32_e32 v16, 0, v66, vcc
	s_brev_b32 vcc_lo, 1
	v_and_or_b32 v66, v15, vcc_lo, v16
.LBB166_728:                            ;   in Loop: Header=BB166_17 Depth=1
	s_or_b64 exec, exec, s[94:95]
                                        ; implicit-def: $vgpr15_vgpr16
.LBB166_729:                            ;   in Loop: Header=BB166_17 Depth=1
	s_andn2_saveexec_b64 s[92:93], s[92:93]
	s_cbranch_execz .LBB166_731
; %bb.730:                              ;   in Loop: Header=BB166_17 Depth=1
	flat_load_ubyte v15, v[15:16]
	s_movk_i32 s94, 0x7f00
	s_waitcnt vmcnt(0) lgkmcnt(0)
	v_lshlrev_b16_e32 v16, 8, v15
	v_lshlrev_b32_e32 v15, 25, v15
	v_lshrrev_b32_e32 v66, 4, v15
	v_and_or_b32 v67, v16, s94, 0.5
	v_or_b32_e32 v66, 0x70000000, v66
	s_brev_b32 s94, 16
	v_add_f32_e32 v67, -0.5, v67
	v_mul_f32_e32 v66, 0x7800000, v66
	v_cmp_gt_u32_e32 vcc, s94, v15
	v_cndmask_b32_e32 v15, v66, v67, vcc
	v_bfe_i32 v16, v16, 0, 16
	s_brev_b32 s94, 1
	v_and_or_b32 v66, v16, s94, v15
.LBB166_731:                            ;   in Loop: Header=BB166_17 Depth=1
	s_or_b64 exec, exec, s[92:93]
	s_or_b64 s[92:93], s[88:89], exec
                                        ; implicit-def: $vgpr15_vgpr16
.LBB166_732:                            ;   in Loop: Header=BB166_17 Depth=1
	s_andn2_saveexec_b64 s[90:91], s[90:91]
	s_cbranch_execz .LBB166_742
; %bb.733:                              ;   in Loop: Header=BB166_17 Depth=1
	v_cmp_gt_i16_sdwa vcc, v9, v36 src0_sel:BYTE_0 src1_sel:DWORD
	s_mov_b64 s[94:95], s[92:93]
                                        ; implicit-def: $vgpr66
	s_and_saveexec_b64 s[30:31], vcc
	s_xor_b64 vcc, exec, s[30:31]
	s_cbranch_execz .LBB166_737
; %bb.734:                              ;   in Loop: Header=BB166_17 Depth=1
	v_cmp_eq_u16_sdwa s[34:35], v9, v37 src0_sel:BYTE_0 src1_sel:DWORD
	s_mov_b64 s[94:95], s[92:93]
                                        ; implicit-def: $vgpr66
	s_and_saveexec_b64 s[30:31], s[34:35]
	s_cbranch_execz .LBB166_736
; %bb.735:                              ;   in Loop: Header=BB166_17 Depth=1
	flat_load_ushort v15, v[15:16]
	s_or_b64 s[94:95], s[92:93], exec
	s_waitcnt vmcnt(0) lgkmcnt(0)
	v_lshlrev_b32_e32 v66, 16, v15
.LBB166_736:                            ;   in Loop: Header=BB166_17 Depth=1
	s_or_b64 exec, exec, s[30:31]
	s_andn2_b64 s[30:31], s[92:93], exec
	s_and_b64 s[94:95], s[94:95], exec
	s_or_b64 s[94:95], s[30:31], s[94:95]
                                        ; implicit-def: $vgpr15_vgpr16
.LBB166_737:                            ;   in Loop: Header=BB166_17 Depth=1
	s_andn2_saveexec_b64 s[30:31], vcc
	s_cbranch_execz .LBB166_741
; %bb.738:                              ;   in Loop: Header=BB166_17 Depth=1
	v_cmp_eq_u16_sdwa s[36:37], v9, v38 src0_sel:BYTE_0 src1_sel:DWORD
	s_mov_b64 vcc, s[94:95]
                                        ; implicit-def: $vgpr66
	s_and_saveexec_b64 s[34:35], s[36:37]
	s_cbranch_execz .LBB166_740
; %bb.739:                              ;   in Loop: Header=BB166_17 Depth=1
	flat_load_ubyte v15, v[15:16]
	s_waitcnt vmcnt(0) lgkmcnt(0)
	v_cmp_ne_u16_e32 vcc, 0, v15
	v_cndmask_b32_e64 v66, 0, 1.0, vcc
	s_or_b64 vcc, s[94:95], exec
.LBB166_740:                            ;   in Loop: Header=BB166_17 Depth=1
	s_or_b64 exec, exec, s[34:35]
	s_andn2_b64 s[94:95], s[94:95], exec
	s_and_b64 vcc, vcc, exec
	s_or_b64 s[94:95], s[94:95], vcc
.LBB166_741:                            ;   in Loop: Header=BB166_17 Depth=1
	s_or_b64 exec, exec, s[30:31]
	s_andn2_b64 s[92:93], s[92:93], exec
	s_and_b64 s[94:95], s[94:95], exec
	s_or_b64 s[92:93], s[92:93], s[94:95]
.LBB166_742:                            ;   in Loop: Header=BB166_17 Depth=1
	s_or_b64 exec, exec, s[90:91]
	s_andn2_b64 s[88:89], s[88:89], exec
	s_and_b64 s[90:91], s[92:93], exec
	s_or_b64 s[88:89], s[88:89], s[90:91]
.LBB166_743:                            ;   in Loop: Header=BB166_17 Depth=1
	s_or_b64 exec, exec, s[74:75]
	s_and_b64 s[90:91], s[88:89], exec
                                        ; implicit-def: $vgpr15_vgpr16
.LBB166_744:                            ;   in Loop: Header=BB166_17 Depth=1
	s_andn2_saveexec_b64 s[72:73], s[72:73]
	s_cbranch_execz .LBB166_786
; %bb.745:                              ;   in Loop: Header=BB166_17 Depth=1
	v_cmp_gt_i16_sdwa s[74:75], v9, v39 src0_sel:BYTE_0 src1_sel:DWORD
                                        ; implicit-def: $vgpr66
	s_and_saveexec_b64 s[88:89], s[74:75]
	s_xor_b64 s[74:75], exec, s[88:89]
	s_cbranch_execz .LBB166_767
; %bb.746:                              ;   in Loop: Header=BB166_17 Depth=1
	v_cmp_gt_i16_sdwa s[88:89], v9, v48 src0_sel:BYTE_0 src1_sel:DWORD
                                        ; implicit-def: $vgpr66
	s_and_saveexec_b64 s[92:93], s[88:89]
	s_xor_b64 s[88:89], exec, s[92:93]
	;; [unrolled: 6-line block ×3, first 2 shown]
	s_cbranch_execz .LBB166_753
; %bb.748:                              ;   in Loop: Header=BB166_17 Depth=1
	v_cmp_gt_i16_sdwa s[94:95], v9, v50 src0_sel:BYTE_0 src1_sel:DWORD
                                        ; implicit-def: $vgpr66
	s_and_saveexec_b64 vcc, s[94:95]
	s_xor_b64 s[94:95], exec, vcc
	s_cbranch_execz .LBB166_750
; %bb.749:                              ;   in Loop: Header=BB166_17 Depth=1
	flat_load_dwordx2 v[15:16], v[15:16]
	s_waitcnt vmcnt(0) lgkmcnt(0)
	v_cvt_f32_f64_e32 v66, v[15:16]
                                        ; implicit-def: $vgpr15_vgpr16
.LBB166_750:                            ;   in Loop: Header=BB166_17 Depth=1
	s_andn2_saveexec_b64 s[94:95], s[94:95]
	s_cbranch_execz .LBB166_752
; %bb.751:                              ;   in Loop: Header=BB166_17 Depth=1
	flat_load_dword v66, v[15:16]
.LBB166_752:                            ;   in Loop: Header=BB166_17 Depth=1
	s_or_b64 exec, exec, s[94:95]
                                        ; implicit-def: $vgpr15_vgpr16
.LBB166_753:                            ;   in Loop: Header=BB166_17 Depth=1
	s_andn2_saveexec_b64 s[92:93], s[92:93]
	s_cbranch_execz .LBB166_755
; %bb.754:                              ;   in Loop: Header=BB166_17 Depth=1
	flat_load_dword v15, v[15:16]
	s_waitcnt vmcnt(0) lgkmcnt(0)
	v_cvt_f32_f16_e32 v66, v15
.LBB166_755:                            ;   in Loop: Header=BB166_17 Depth=1
	s_or_b64 exec, exec, s[92:93]
                                        ; implicit-def: $vgpr15_vgpr16
.LBB166_756:                            ;   in Loop: Header=BB166_17 Depth=1
	s_andn2_saveexec_b64 s[88:89], s[88:89]
	s_cbranch_execz .LBB166_766
; %bb.757:                              ;   in Loop: Header=BB166_17 Depth=1
	v_cmp_gt_i16_sdwa s[92:93], v9, v51 src0_sel:BYTE_0 src1_sel:DWORD
                                        ; implicit-def: $vgpr66
	s_and_saveexec_b64 s[94:95], s[92:93]
	s_xor_b64 s[92:93], exec, s[94:95]
	s_cbranch_execz .LBB166_763
; %bb.758:                              ;   in Loop: Header=BB166_17 Depth=1
	v_cmp_gt_i16_sdwa s[94:95], v9, v52 src0_sel:BYTE_0 src1_sel:DWORD
                                        ; implicit-def: $vgpr66
	s_and_saveexec_b64 vcc, s[94:95]
	s_xor_b64 s[94:95], exec, vcc
	s_cbranch_execz .LBB166_760
; %bb.759:                              ;   in Loop: Header=BB166_17 Depth=1
	flat_load_dwordx2 v[15:16], v[15:16]
	s_waitcnt vmcnt(0) lgkmcnt(0)
	v_cvt_f32_f64_e32 v66, v[15:16]
                                        ; implicit-def: $vgpr15_vgpr16
.LBB166_760:                            ;   in Loop: Header=BB166_17 Depth=1
	s_andn2_saveexec_b64 s[94:95], s[94:95]
	s_cbranch_execz .LBB166_762
; %bb.761:                              ;   in Loop: Header=BB166_17 Depth=1
	s_waitcnt vmcnt(0) lgkmcnt(0)
	flat_load_dword v66, v[15:16]
.LBB166_762:                            ;   in Loop: Header=BB166_17 Depth=1
	s_or_b64 exec, exec, s[94:95]
                                        ; implicit-def: $vgpr15_vgpr16
.LBB166_763:                            ;   in Loop: Header=BB166_17 Depth=1
	s_andn2_saveexec_b64 s[92:93], s[92:93]
	s_cbranch_execz .LBB166_765
; %bb.764:                              ;   in Loop: Header=BB166_17 Depth=1
	flat_load_ushort v15, v[15:16]
	s_waitcnt vmcnt(0) lgkmcnt(0)
	v_cvt_f32_f16_e32 v66, v15
.LBB166_765:                            ;   in Loop: Header=BB166_17 Depth=1
	s_or_b64 exec, exec, s[92:93]
.LBB166_766:                            ;   in Loop: Header=BB166_17 Depth=1
	s_or_b64 exec, exec, s[88:89]
                                        ; implicit-def: $vgpr15_vgpr16
.LBB166_767:                            ;   in Loop: Header=BB166_17 Depth=1
	s_andn2_saveexec_b64 s[74:75], s[74:75]
	s_cbranch_execz .LBB166_785
; %bb.768:                              ;   in Loop: Header=BB166_17 Depth=1
	v_cmp_gt_i16_sdwa s[88:89], v9, v53 src0_sel:BYTE_0 src1_sel:DWORD
                                        ; implicit-def: $vgpr66
	s_and_saveexec_b64 s[92:93], s[88:89]
	s_xor_b64 s[88:89], exec, s[92:93]
	s_cbranch_execz .LBB166_778
; %bb.769:                              ;   in Loop: Header=BB166_17 Depth=1
	v_cmp_gt_i16_sdwa s[92:93], v9, v54 src0_sel:BYTE_0 src1_sel:DWORD
                                        ; implicit-def: $vgpr66
	s_and_saveexec_b64 s[94:95], s[92:93]
	s_xor_b64 s[92:93], exec, s[94:95]
	s_cbranch_execz .LBB166_775
; %bb.770:                              ;   in Loop: Header=BB166_17 Depth=1
	v_cmp_gt_i16_sdwa s[94:95], v9, v55 src0_sel:BYTE_0 src1_sel:DWORD
                                        ; implicit-def: $vgpr66
	s_and_saveexec_b64 vcc, s[94:95]
	s_xor_b64 s[94:95], exec, vcc
	s_cbranch_execz .LBB166_772
; %bb.771:                              ;   in Loop: Header=BB166_17 Depth=1
	flat_load_dwordx2 v[15:16], v[15:16]
	s_waitcnt vmcnt(0) lgkmcnt(0)
	v_xor_b32_e32 v67, v15, v16
	v_ffbh_i32_e32 v66, v16
	v_ashrrev_i32_e32 v67, 31, v67
	v_add_u32_e32 v66, -1, v66
	v_add_u32_e32 v67, 32, v67
	v_min_u32_e32 v66, v66, v67
	v_lshlrev_b64 v[15:16], v66, v[15:16]
	v_min_u32_e32 v15, 1, v15
	v_or_b32_e32 v15, v16, v15
	v_cvt_f32_i32_e32 v15, v15
	v_sub_u32_e32 v16, 32, v66
	v_ldexp_f32 v66, v15, v16
                                        ; implicit-def: $vgpr15_vgpr16
.LBB166_772:                            ;   in Loop: Header=BB166_17 Depth=1
	s_andn2_saveexec_b64 s[94:95], s[94:95]
	s_cbranch_execz .LBB166_774
; %bb.773:                              ;   in Loop: Header=BB166_17 Depth=1
	flat_load_dword v15, v[15:16]
	s_waitcnt vmcnt(0) lgkmcnt(0)
	v_cvt_f32_i32_e32 v66, v15
.LBB166_774:                            ;   in Loop: Header=BB166_17 Depth=1
	s_or_b64 exec, exec, s[94:95]
                                        ; implicit-def: $vgpr15_vgpr16
.LBB166_775:                            ;   in Loop: Header=BB166_17 Depth=1
	s_andn2_saveexec_b64 s[92:93], s[92:93]
	s_cbranch_execz .LBB166_777
; %bb.776:                              ;   in Loop: Header=BB166_17 Depth=1
	flat_load_sshort v15, v[15:16]
	s_waitcnt vmcnt(0) lgkmcnt(0)
	v_cvt_f32_i32_e32 v66, v15
.LBB166_777:                            ;   in Loop: Header=BB166_17 Depth=1
	s_or_b64 exec, exec, s[92:93]
                                        ; implicit-def: $vgpr15_vgpr16
.LBB166_778:                            ;   in Loop: Header=BB166_17 Depth=1
	s_andn2_saveexec_b64 s[88:89], s[88:89]
	s_cbranch_execz .LBB166_784
; %bb.779:                              ;   in Loop: Header=BB166_17 Depth=1
	v_cmp_gt_i16_sdwa s[92:93], v9, v18 src0_sel:BYTE_0 src1_sel:DWORD
                                        ; implicit-def: $vgpr66
	s_and_saveexec_b64 s[94:95], s[92:93]
	s_xor_b64 s[92:93], exec, s[94:95]
	s_cbranch_execz .LBB166_781
; %bb.780:                              ;   in Loop: Header=BB166_17 Depth=1
	flat_load_sbyte v15, v[15:16]
	s_waitcnt vmcnt(0) lgkmcnt(0)
	v_cvt_f32_i32_e32 v66, v15
                                        ; implicit-def: $vgpr15_vgpr16
.LBB166_781:                            ;   in Loop: Header=BB166_17 Depth=1
	s_andn2_saveexec_b64 s[92:93], s[92:93]
	s_cbranch_execz .LBB166_783
; %bb.782:                              ;   in Loop: Header=BB166_17 Depth=1
	flat_load_ubyte v15, v[15:16]
	s_waitcnt vmcnt(0) lgkmcnt(0)
	v_cvt_f32_ubyte0_e32 v66, v15
.LBB166_783:                            ;   in Loop: Header=BB166_17 Depth=1
	s_or_b64 exec, exec, s[92:93]
.LBB166_784:                            ;   in Loop: Header=BB166_17 Depth=1
	s_or_b64 exec, exec, s[88:89]
.LBB166_785:                            ;   in Loop: Header=BB166_17 Depth=1
	s_or_b64 exec, exec, s[74:75]
	s_or_b64 s[90:91], s[90:91], exec
.LBB166_786:                            ;   in Loop: Header=BB166_17 Depth=1
	s_or_b64 exec, exec, s[72:73]
	s_mov_b64 s[72:73], -1
	s_mov_b64 s[92:93], 0
	s_mov_b64 s[74:75], 0
	s_and_saveexec_b64 s[88:89], s[90:91]
	s_cbranch_execz .LBB166_792
; %bb.787:                              ;   in Loop: Header=BB166_17 Depth=1
	v_readlane_b32 s72, v41, 0
	s_lshr_b32 s48, s32, 6
	s_add_i32 s48, s48, s72
	v_mov_b32_e32 v15, s48
	s_waitcnt vmcnt(0) lgkmcnt(0)
	buffer_store_dword v66, v15, s[0:3], 0 offen offset:52
	v_mul_lo_u32 v15, v65, v12
	v_cmp_gt_i16_sdwa s[72:73], v10, v19 src0_sel:BYTE_0 src1_sel:DWORD
                                        ; implicit-def: $vgpr65
	v_add_co_u32_e32 v15, vcc, v6, v15
	v_addc_co_u32_e32 v16, vcc, 0, v7, vcc
	s_and_saveexec_b64 s[90:91], s[72:73]
	s_xor_b64 s[72:73], exec, s[90:91]
	s_cbranch_execnz .LBB166_2434
; %bb.788:                              ;   in Loop: Header=BB166_17 Depth=1
	s_andn2_saveexec_b64 s[72:73], s[72:73]
	s_cbranch_execnz .LBB166_2493
.LBB166_789:                            ;   in Loop: Header=BB166_17 Depth=1
	s_or_b64 exec, exec, s[72:73]
	s_mov_b64 s[90:91], 0
	s_and_saveexec_b64 s[72:73], s[74:75]
	s_cbranch_execz .LBB166_791
.LBB166_790:                            ;   in Loop: Header=BB166_17 Depth=1
	s_mov_b64 s[90:91], exec
	v_mov_b32_e32 v15, s48
	v_add_u32_e32 v64, 0x200, v64
	s_waitcnt vmcnt(0) lgkmcnt(0)
	buffer_store_dword v65, v15, s[0:3], 0 offen offset:48
.LBB166_791:                            ;   in Loop: Header=BB166_17 Depth=1
	s_or_b64 exec, exec, s[72:73]
	s_mov_b64 s[74:75], exec
	s_xor_b64 s[72:73], exec, -1
	s_and_b64 s[92:93], s[90:91], exec
.LBB166_792:                            ;   in Loop: Header=BB166_17 Depth=1
	s_or_b64 exec, exec, s[88:89]
	s_orn2_b64 s[88:89], s[92:93], exec
.LBB166_793:                            ;   in Loop: Header=BB166_17 Depth=1
	s_or_b64 exec, exec, s[76:77]
	s_and_saveexec_b64 s[76:77], s[88:89]
	s_cbranch_execz .LBB166_10
; %bb.794:                              ;   in Loop: Header=BB166_17 Depth=1
	v_cmp_lt_i32_e32 vcc, v64, v8
	s_mov_b64 s[92:93], -1
	s_mov_b64 s[94:95], -1
                                        ; implicit-def: $sgpr78_sgpr79
                                        ; implicit-def: $sgpr88_sgpr89
	s_and_saveexec_b64 s[90:91], vcc
	s_cbranch_execz .LBB166_904
; %bb.795:                              ;   in Loop: Header=BB166_17 Depth=1
	v_readlane_b32 s78, v41, 2
	s_waitcnt vmcnt(0) lgkmcnt(0)
	v_add_u32_e32 v65, s78, v64
	v_mul_lo_u32 v15, v65, v11
	v_cmp_gt_i16_sdwa s[78:79], v9, v19 src0_sel:BYTE_0 src1_sel:DWORD
                                        ; implicit-def: $vgpr66
	v_add_co_u32_e32 v15, vcc, v4, v15
	v_addc_co_u32_e32 v16, vcc, 0, v5, vcc
	s_mov_b64 vcc, 0
	s_and_saveexec_b64 s[88:89], s[78:79]
	s_xor_b64 s[78:79], exec, s[88:89]
	s_cbranch_execz .LBB166_855
; %bb.796:                              ;   in Loop: Header=BB166_17 Depth=1
	v_cmp_gt_i16_sdwa s[88:89], v9, v20 src0_sel:BYTE_0 src1_sel:DWORD
	s_mov_b64 s[94:95], 0
                                        ; implicit-def: $vgpr66
	s_and_saveexec_b64 vcc, s[88:89]
	s_xor_b64 s[88:89], exec, vcc
	s_cbranch_execz .LBB166_828
; %bb.797:                              ;   in Loop: Header=BB166_17 Depth=1
	v_cmp_gt_i16_sdwa vcc, v9, v21 src0_sel:BYTE_0 src1_sel:DWORD
                                        ; implicit-def: $vgpr66
	s_and_saveexec_b64 s[30:31], vcc
	s_xor_b64 s[30:31], exec, s[30:31]
	s_cbranch_execz .LBB166_813
; %bb.798:                              ;   in Loop: Header=BB166_17 Depth=1
	v_cmp_gt_i16_sdwa s[94:95], v9, v22 src0_sel:BYTE_0 src1_sel:DWORD
	s_mov_b64 vcc, 0
                                        ; implicit-def: $vgpr66
	s_and_saveexec_b64 s[34:35], s[94:95]
	s_xor_b64 s[94:95], exec, s[34:35]
	s_cbranch_execz .LBB166_808
; %bb.799:                              ;   in Loop: Header=BB166_17 Depth=1
	v_cmp_gt_i16_sdwa vcc, v9, v23 src0_sel:BYTE_0 src1_sel:DWORD
	s_mov_b64 s[34:35], 0
                                        ; implicit-def: $vgpr66
	s_and_saveexec_b64 s[36:37], vcc
	s_xor_b64 vcc, exec, s[36:37]
	s_cbranch_execz .LBB166_803
; %bb.800:                              ;   in Loop: Header=BB166_17 Depth=1
	v_cmp_eq_u16_sdwa s[38:39], v9, v24 src0_sel:BYTE_0 src1_sel:DWORD
                                        ; implicit-def: $vgpr66
	s_and_saveexec_b64 s[36:37], s[38:39]
	s_cbranch_execz .LBB166_802
; %bb.801:                              ;   in Loop: Header=BB166_17 Depth=1
	flat_load_dword v15, v[15:16]
	s_mov_b64 s[34:35], exec
	s_waitcnt vmcnt(0) lgkmcnt(0)
	v_lshlrev_b32_e32 v66, 16, v15
.LBB166_802:                            ;   in Loop: Header=BB166_17 Depth=1
	s_or_b64 exec, exec, s[36:37]
	s_and_b64 s[34:35], s[34:35], exec
                                        ; implicit-def: $vgpr15_vgpr16
.LBB166_803:                            ;   in Loop: Header=BB166_17 Depth=1
	s_andn2_saveexec_b64 s[36:37], vcc
	s_cbranch_execz .LBB166_807
; %bb.804:                              ;   in Loop: Header=BB166_17 Depth=1
	v_cmp_eq_u16_sdwa s[48:49], v9, v25 src0_sel:BYTE_0 src1_sel:DWORD
	s_mov_b64 vcc, s[34:35]
                                        ; implicit-def: $vgpr66
	s_and_saveexec_b64 s[38:39], s[48:49]
	s_cbranch_execz .LBB166_806
; %bb.805:                              ;   in Loop: Header=BB166_17 Depth=1
	flat_load_ubyte v15, v[15:16]
	s_movk_i32 vcc_lo, 0xff
	s_waitcnt vmcnt(0) lgkmcnt(0)
	v_lshlrev_b32_e32 v16, 23, v15
	v_cmp_ne_u32_e32 vcc, vcc_lo, v15
	v_cndmask_b32_e32 v16, v26, v16, vcc
	v_cmp_ne_u32_e32 vcc, 0, v15
	v_cndmask_b32_e32 v66, v27, v16, vcc
	s_or_b64 vcc, s[34:35], exec
.LBB166_806:                            ;   in Loop: Header=BB166_17 Depth=1
	s_or_b64 exec, exec, s[38:39]
	s_andn2_b64 s[34:35], s[34:35], exec
	s_and_b64 vcc, vcc, exec
	s_or_b64 s[34:35], s[34:35], vcc
.LBB166_807:                            ;   in Loop: Header=BB166_17 Depth=1
	s_or_b64 exec, exec, s[36:37]
	s_and_b64 vcc, s[34:35], exec
                                        ; implicit-def: $vgpr15_vgpr16
.LBB166_808:                            ;   in Loop: Header=BB166_17 Depth=1
	s_andn2_saveexec_b64 s[94:95], s[94:95]
	s_cbranch_execz .LBB166_812
; %bb.809:                              ;   in Loop: Header=BB166_17 Depth=1
	v_cmp_eq_u16_sdwa s[38:39], v9, v28 src0_sel:BYTE_0 src1_sel:DWORD
	s_mov_b64 s[36:37], vcc
                                        ; implicit-def: $vgpr66
	s_and_saveexec_b64 s[34:35], s[38:39]
	s_cbranch_execz .LBB166_811
; %bb.810:                              ;   in Loop: Header=BB166_17 Depth=1
	flat_load_dwordx2 v[15:16], v[15:16]
	s_or_b64 s[36:37], vcc, exec
	s_waitcnt vmcnt(0) lgkmcnt(0)
	v_ffbh_u32_e32 v66, v16
	v_min_u32_e32 v66, 32, v66
	v_lshlrev_b64 v[15:16], v66, v[15:16]
	v_min_u32_e32 v15, 1, v15
	v_or_b32_e32 v15, v16, v15
	v_cvt_f32_u32_e32 v15, v15
	v_sub_u32_e32 v16, 32, v66
	v_ldexp_f32 v66, v15, v16
.LBB166_811:                            ;   in Loop: Header=BB166_17 Depth=1
	s_or_b64 exec, exec, s[34:35]
	s_andn2_b64 vcc, vcc, exec
	s_and_b64 s[34:35], s[36:37], exec
	s_or_b64 vcc, vcc, s[34:35]
.LBB166_812:                            ;   in Loop: Header=BB166_17 Depth=1
	s_or_b64 exec, exec, s[94:95]
	s_and_b64 s[94:95], vcc, exec
                                        ; implicit-def: $vgpr15_vgpr16
.LBB166_813:                            ;   in Loop: Header=BB166_17 Depth=1
	s_andn2_saveexec_b64 s[30:31], s[30:31]
	s_cbranch_execz .LBB166_827
; %bb.814:                              ;   in Loop: Header=BB166_17 Depth=1
	v_cmp_gt_i16_sdwa vcc, v9, v29 src0_sel:BYTE_0 src1_sel:DWORD
                                        ; implicit-def: $vgpr66
	s_and_saveexec_b64 s[34:35], vcc
	s_xor_b64 vcc, exec, s[34:35]
	s_cbranch_execz .LBB166_820
; %bb.815:                              ;   in Loop: Header=BB166_17 Depth=1
	v_cmp_gt_i16_sdwa s[34:35], v9, v30 src0_sel:BYTE_0 src1_sel:DWORD
                                        ; implicit-def: $vgpr66
	s_and_saveexec_b64 s[36:37], s[34:35]
	s_xor_b64 s[34:35], exec, s[36:37]
	s_cbranch_execz .LBB166_817
; %bb.816:                              ;   in Loop: Header=BB166_17 Depth=1
	flat_load_dword v15, v[15:16]
	s_waitcnt vmcnt(0) lgkmcnt(0)
	v_cvt_f32_u32_e32 v66, v15
                                        ; implicit-def: $vgpr15_vgpr16
.LBB166_817:                            ;   in Loop: Header=BB166_17 Depth=1
	s_andn2_saveexec_b64 s[34:35], s[34:35]
	s_cbranch_execz .LBB166_819
; %bb.818:                              ;   in Loop: Header=BB166_17 Depth=1
	flat_load_ushort v15, v[15:16]
	s_waitcnt vmcnt(0) lgkmcnt(0)
	v_cvt_f32_u32_e32 v66, v15
.LBB166_819:                            ;   in Loop: Header=BB166_17 Depth=1
	s_or_b64 exec, exec, s[34:35]
                                        ; implicit-def: $vgpr15_vgpr16
.LBB166_820:                            ;   in Loop: Header=BB166_17 Depth=1
	s_andn2_saveexec_b64 s[34:35], vcc
	s_cbranch_execz .LBB166_826
; %bb.821:                              ;   in Loop: Header=BB166_17 Depth=1
	flat_load_ubyte v15, v[15:16]
	s_movk_i32 vcc_lo, 0x7f
	s_mov_b64 s[36:37], 0
	s_waitcnt vmcnt(0) lgkmcnt(0)
	v_cmp_lt_i16_e32 vcc, vcc_lo, v15
	s_and_saveexec_b64 s[38:39], vcc
	s_xor_b64 s[38:39], exec, s[38:39]
	s_cbranch_execnz .LBB166_2894
; %bb.822:                              ;   in Loop: Header=BB166_17 Depth=1
	s_or_saveexec_b64 s[38:39], s[38:39]
	v_mov_b32_e32 v66, 0x7f800001
	s_xor_b64 exec, exec, s[38:39]
	s_cbranch_execnz .LBB166_2897
.LBB166_823:                            ;   in Loop: Header=BB166_17 Depth=1
	s_or_b64 exec, exec, s[38:39]
	s_and_saveexec_b64 s[38:39], s[36:37]
	s_cbranch_execz .LBB166_825
.LBB166_824:                            ;   in Loop: Header=BB166_17 Depth=1
	v_lshlrev_b32_e32 v16, 24, v15
	v_and_b32_e32 v15, 0xffff, v15
	v_and_b32_e32 v66, 7, v15
	v_ffbh_u32_e32 v68, v66
	v_min_u32_e32 v68, 32, v68
	v_subrev_u32_e32 v69, 28, v68
	v_bfe_u32 v67, v15, 3, 4
	v_lshlrev_b32_e32 v15, v69, v15
	v_sub_u32_e32 v68, 29, v68
	v_and_b32_e32 v15, 7, v15
	v_cmp_eq_u32_e32 vcc, 0, v67
	v_cndmask_b32_e32 v67, v67, v68, vcc
	v_cndmask_b32_e32 v15, v66, v15, vcc
	v_lshlrev_b32_e32 v15, 20, v15
	v_and_b32_e32 v16, 0x80000000, v16
	v_lshl_add_u32 v66, v67, 23, v31
	v_or3_b32 v66, v16, v66, v15
.LBB166_825:                            ;   in Loop: Header=BB166_17 Depth=1
	s_or_b64 exec, exec, s[38:39]
.LBB166_826:                            ;   in Loop: Header=BB166_17 Depth=1
	s_or_b64 exec, exec, s[34:35]
	s_or_b64 s[94:95], s[94:95], exec
.LBB166_827:                            ;   in Loop: Header=BB166_17 Depth=1
	s_or_b64 exec, exec, s[30:31]
	s_and_b64 s[94:95], s[94:95], exec
                                        ; implicit-def: $vgpr15_vgpr16
.LBB166_828:                            ;   in Loop: Header=BB166_17 Depth=1
	s_andn2_saveexec_b64 s[88:89], s[88:89]
	s_cbranch_execz .LBB166_854
; %bb.829:                              ;   in Loop: Header=BB166_17 Depth=1
	v_cmp_gt_i16_sdwa vcc, v9, v32 src0_sel:BYTE_0 src1_sel:DWORD
	s_mov_b64 s[34:35], s[94:95]
                                        ; implicit-def: $vgpr66
	s_and_saveexec_b64 s[30:31], vcc
	s_xor_b64 s[30:31], exec, s[30:31]
	s_cbranch_execz .LBB166_843
; %bb.830:                              ;   in Loop: Header=BB166_17 Depth=1
	v_cmp_gt_i16_sdwa vcc, v9, v33 src0_sel:BYTE_0 src1_sel:DWORD
                                        ; implicit-def: $vgpr66
	s_and_saveexec_b64 s[34:35], vcc
	s_xor_b64 s[34:35], exec, s[34:35]
	s_cbranch_execz .LBB166_840
; %bb.831:                              ;   in Loop: Header=BB166_17 Depth=1
	v_cmp_gt_i16_sdwa vcc, v9, v34 src0_sel:BYTE_0 src1_sel:DWORD
                                        ; implicit-def: $vgpr66
	s_and_saveexec_b64 s[36:37], vcc
	s_xor_b64 s[36:37], exec, s[36:37]
	s_cbranch_execz .LBB166_837
; %bb.832:                              ;   in Loop: Header=BB166_17 Depth=1
	flat_load_ubyte v15, v[15:16]
	s_movk_i32 vcc_lo, 0x7f
	s_mov_b64 s[38:39], 0
	s_waitcnt vmcnt(0) lgkmcnt(0)
	v_cmp_lt_i16_e32 vcc, vcc_lo, v15
	s_and_saveexec_b64 s[48:49], vcc
	s_xor_b64 s[48:49], exec, s[48:49]
	s_cbranch_execnz .LBB166_3006
; %bb.833:                              ;   in Loop: Header=BB166_17 Depth=1
	s_or_saveexec_b64 s[48:49], s[48:49]
	v_mov_b32_e32 v66, 0x7f800001
	s_xor_b64 exec, exec, s[48:49]
	s_cbranch_execnz .LBB166_3009
.LBB166_834:                            ;   in Loop: Header=BB166_17 Depth=1
	s_or_b64 exec, exec, s[48:49]
	s_and_saveexec_b64 s[48:49], s[38:39]
	s_cbranch_execz .LBB166_836
.LBB166_835:                            ;   in Loop: Header=BB166_17 Depth=1
	v_lshlrev_b32_e32 v16, 24, v15
	v_and_b32_e32 v15, 0xffff, v15
	v_and_b32_e32 v66, 3, v15
	v_ffbh_u32_e32 v68, v66
	v_min_u32_e32 v68, 32, v68
	v_subrev_u32_e32 v69, 29, v68
	v_bfe_u32 v67, v15, 2, 5
	v_lshlrev_b32_e32 v15, v69, v15
	v_sub_u32_e32 v68, 30, v68
	v_and_b32_e32 v15, 3, v15
	v_cmp_eq_u32_e32 vcc, 0, v67
	v_cndmask_b32_e32 v67, v67, v68, vcc
	v_cndmask_b32_e32 v15, v66, v15, vcc
	v_lshlrev_b32_e32 v15, 21, v15
	v_and_b32_e32 v16, 0x80000000, v16
	v_lshl_add_u32 v66, v67, 23, v35
	v_or3_b32 v66, v16, v66, v15
.LBB166_836:                            ;   in Loop: Header=BB166_17 Depth=1
	s_or_b64 exec, exec, s[48:49]
                                        ; implicit-def: $vgpr15_vgpr16
.LBB166_837:                            ;   in Loop: Header=BB166_17 Depth=1
	s_andn2_saveexec_b64 s[36:37], s[36:37]
	s_cbranch_execz .LBB166_839
; %bb.838:                              ;   in Loop: Header=BB166_17 Depth=1
	flat_load_ubyte v15, v[15:16]
	s_mov_b32 vcc_lo, 0x7f800000
	s_waitcnt vmcnt(0) lgkmcnt(0)
	v_lshlrev_b32_e32 v15, 24, v15
	v_and_b32_e32 v16, 0x7f000000, v15
	v_ffbh_u32_e32 v66, v16
	v_min_u32_e32 v66, 32, v66
	v_sub_u32_e64 v66, v66, 4 clamp
	v_lshlrev_b32_e32 v68, v66, v16
	v_lshlrev_b32_e32 v66, 23, v66
	v_lshrrev_b32_e32 v68, 4, v68
	v_add_u32_e32 v67, 0x1000000, v16
	v_sub_u32_e32 v66, v68, v66
	v_ashrrev_i32_e32 v67, 8, v67
	v_add_u32_e32 v66, 0x3c000000, v66
	v_and_or_b32 v66, v67, vcc_lo, v66
	v_cmp_ne_u32_e32 vcc, 0, v16
	v_cndmask_b32_e32 v16, 0, v66, vcc
	s_brev_b32 vcc_lo, 1
	v_and_or_b32 v66, v15, vcc_lo, v16
.LBB166_839:                            ;   in Loop: Header=BB166_17 Depth=1
	s_or_b64 exec, exec, s[36:37]
                                        ; implicit-def: $vgpr15_vgpr16
.LBB166_840:                            ;   in Loop: Header=BB166_17 Depth=1
	s_andn2_saveexec_b64 s[34:35], s[34:35]
	s_cbranch_execz .LBB166_842
; %bb.841:                              ;   in Loop: Header=BB166_17 Depth=1
	flat_load_ubyte v15, v[15:16]
	s_movk_i32 vcc_lo, 0x7f00
	s_waitcnt vmcnt(0) lgkmcnt(0)
	v_lshlrev_b16_e32 v16, 8, v15
	v_lshlrev_b32_e32 v15, 25, v15
	v_lshrrev_b32_e32 v66, 4, v15
	v_and_or_b32 v67, v16, vcc_lo, 0.5
	v_or_b32_e32 v66, 0x70000000, v66
	s_brev_b32 vcc_lo, 16
	v_add_f32_e32 v67, -0.5, v67
	v_mul_f32_e32 v66, 0x7800000, v66
	v_cmp_gt_u32_e32 vcc, vcc_lo, v15
	v_cndmask_b32_e32 v15, v66, v67, vcc
	v_bfe_i32 v16, v16, 0, 16
	s_brev_b32 vcc_lo, 1
	v_and_or_b32 v66, v16, vcc_lo, v15
.LBB166_842:                            ;   in Loop: Header=BB166_17 Depth=1
	s_or_b64 exec, exec, s[34:35]
	s_or_b64 s[34:35], s[94:95], exec
                                        ; implicit-def: $vgpr15_vgpr16
.LBB166_843:                            ;   in Loop: Header=BB166_17 Depth=1
	s_andn2_saveexec_b64 s[30:31], s[30:31]
	s_cbranch_execz .LBB166_853
; %bb.844:                              ;   in Loop: Header=BB166_17 Depth=1
	v_cmp_gt_i16_sdwa vcc, v9, v36 src0_sel:BYTE_0 src1_sel:DWORD
	s_mov_b64 s[36:37], s[34:35]
                                        ; implicit-def: $vgpr66
	s_and_saveexec_b64 s[38:39], vcc
	s_xor_b64 vcc, exec, s[38:39]
	s_cbranch_execz .LBB166_848
; %bb.845:                              ;   in Loop: Header=BB166_17 Depth=1
	v_cmp_eq_u16_sdwa s[48:49], v9, v37 src0_sel:BYTE_0 src1_sel:DWORD
	s_mov_b64 s[36:37], s[34:35]
                                        ; implicit-def: $vgpr66
	s_and_saveexec_b64 s[38:39], s[48:49]
	s_cbranch_execz .LBB166_847
; %bb.846:                              ;   in Loop: Header=BB166_17 Depth=1
	flat_load_ushort v15, v[15:16]
	s_or_b64 s[36:37], s[34:35], exec
	s_waitcnt vmcnt(0) lgkmcnt(0)
	v_lshlrev_b32_e32 v66, 16, v15
.LBB166_847:                            ;   in Loop: Header=BB166_17 Depth=1
	s_or_b64 exec, exec, s[38:39]
	s_andn2_b64 s[38:39], s[34:35], exec
	s_and_b64 s[36:37], s[36:37], exec
	s_or_b64 s[36:37], s[38:39], s[36:37]
                                        ; implicit-def: $vgpr15_vgpr16
.LBB166_848:                            ;   in Loop: Header=BB166_17 Depth=1
	s_andn2_saveexec_b64 s[38:39], vcc
	s_cbranch_execz .LBB166_852
; %bb.849:                              ;   in Loop: Header=BB166_17 Depth=1
	v_cmp_eq_u16_sdwa s[50:51], v9, v38 src0_sel:BYTE_0 src1_sel:DWORD
	s_mov_b64 vcc, s[36:37]
                                        ; implicit-def: $vgpr66
	s_and_saveexec_b64 s[48:49], s[50:51]
	s_cbranch_execz .LBB166_851
; %bb.850:                              ;   in Loop: Header=BB166_17 Depth=1
	flat_load_ubyte v15, v[15:16]
	s_waitcnt vmcnt(0) lgkmcnt(0)
	v_cmp_ne_u16_e32 vcc, 0, v15
	v_cndmask_b32_e64 v66, 0, 1.0, vcc
	s_or_b64 vcc, s[36:37], exec
.LBB166_851:                            ;   in Loop: Header=BB166_17 Depth=1
	s_or_b64 exec, exec, s[48:49]
	s_andn2_b64 s[36:37], s[36:37], exec
	s_and_b64 vcc, vcc, exec
	s_or_b64 s[36:37], s[36:37], vcc
.LBB166_852:                            ;   in Loop: Header=BB166_17 Depth=1
	s_or_b64 exec, exec, s[38:39]
	s_andn2_b64 vcc, s[34:35], exec
	s_and_b64 s[34:35], s[36:37], exec
	s_or_b64 s[34:35], vcc, s[34:35]
.LBB166_853:                            ;   in Loop: Header=BB166_17 Depth=1
	s_or_b64 exec, exec, s[30:31]
	s_andn2_b64 s[94:95], s[94:95], exec
	s_and_b64 vcc, s[34:35], exec
	s_or_b64 s[94:95], s[94:95], vcc
.LBB166_854:                            ;   in Loop: Header=BB166_17 Depth=1
	s_or_b64 exec, exec, s[88:89]
	s_and_b64 vcc, s[94:95], exec
                                        ; implicit-def: $vgpr15_vgpr16
.LBB166_855:                            ;   in Loop: Header=BB166_17 Depth=1
	s_andn2_saveexec_b64 s[78:79], s[78:79]
	s_cbranch_execz .LBB166_897
; %bb.856:                              ;   in Loop: Header=BB166_17 Depth=1
	v_cmp_gt_i16_sdwa s[88:89], v9, v39 src0_sel:BYTE_0 src1_sel:DWORD
                                        ; implicit-def: $vgpr66
	s_and_saveexec_b64 s[94:95], s[88:89]
	s_xor_b64 s[88:89], exec, s[94:95]
	s_cbranch_execz .LBB166_878
; %bb.857:                              ;   in Loop: Header=BB166_17 Depth=1
	v_cmp_gt_i16_sdwa s[94:95], v9, v48 src0_sel:BYTE_0 src1_sel:DWORD
                                        ; implicit-def: $vgpr66
	s_and_saveexec_b64 s[30:31], s[94:95]
	s_xor_b64 s[94:95], exec, s[30:31]
	;; [unrolled: 6-line block ×4, first 2 shown]
	s_cbranch_execz .LBB166_861
; %bb.860:                              ;   in Loop: Header=BB166_17 Depth=1
	flat_load_dwordx2 v[15:16], v[15:16]
	s_waitcnt vmcnt(0) lgkmcnt(0)
	v_cvt_f32_f64_e32 v66, v[15:16]
                                        ; implicit-def: $vgpr15_vgpr16
.LBB166_861:                            ;   in Loop: Header=BB166_17 Depth=1
	s_andn2_saveexec_b64 s[34:35], s[34:35]
	s_cbranch_execz .LBB166_863
; %bb.862:                              ;   in Loop: Header=BB166_17 Depth=1
	flat_load_dword v66, v[15:16]
.LBB166_863:                            ;   in Loop: Header=BB166_17 Depth=1
	s_or_b64 exec, exec, s[34:35]
                                        ; implicit-def: $vgpr15_vgpr16
.LBB166_864:                            ;   in Loop: Header=BB166_17 Depth=1
	s_andn2_saveexec_b64 s[30:31], s[30:31]
	s_cbranch_execz .LBB166_866
; %bb.865:                              ;   in Loop: Header=BB166_17 Depth=1
	flat_load_dword v15, v[15:16]
	s_waitcnt vmcnt(0) lgkmcnt(0)
	v_cvt_f32_f16_e32 v66, v15
.LBB166_866:                            ;   in Loop: Header=BB166_17 Depth=1
	s_or_b64 exec, exec, s[30:31]
                                        ; implicit-def: $vgpr15_vgpr16
.LBB166_867:                            ;   in Loop: Header=BB166_17 Depth=1
	s_andn2_saveexec_b64 s[94:95], s[94:95]
	s_cbranch_execz .LBB166_877
; %bb.868:                              ;   in Loop: Header=BB166_17 Depth=1
	v_cmp_gt_i16_sdwa s[30:31], v9, v51 src0_sel:BYTE_0 src1_sel:DWORD
                                        ; implicit-def: $vgpr66
	s_and_saveexec_b64 s[34:35], s[30:31]
	s_xor_b64 s[30:31], exec, s[34:35]
	s_cbranch_execz .LBB166_874
; %bb.869:                              ;   in Loop: Header=BB166_17 Depth=1
	v_cmp_gt_i16_sdwa s[34:35], v9, v52 src0_sel:BYTE_0 src1_sel:DWORD
                                        ; implicit-def: $vgpr66
	s_and_saveexec_b64 s[36:37], s[34:35]
	s_xor_b64 s[34:35], exec, s[36:37]
	s_cbranch_execz .LBB166_871
; %bb.870:                              ;   in Loop: Header=BB166_17 Depth=1
	flat_load_dwordx2 v[15:16], v[15:16]
	s_waitcnt vmcnt(0) lgkmcnt(0)
	v_cvt_f32_f64_e32 v66, v[15:16]
                                        ; implicit-def: $vgpr15_vgpr16
.LBB166_871:                            ;   in Loop: Header=BB166_17 Depth=1
	s_andn2_saveexec_b64 s[34:35], s[34:35]
	s_cbranch_execz .LBB166_873
; %bb.872:                              ;   in Loop: Header=BB166_17 Depth=1
	s_waitcnt vmcnt(0) lgkmcnt(0)
	flat_load_dword v66, v[15:16]
.LBB166_873:                            ;   in Loop: Header=BB166_17 Depth=1
	s_or_b64 exec, exec, s[34:35]
                                        ; implicit-def: $vgpr15_vgpr16
.LBB166_874:                            ;   in Loop: Header=BB166_17 Depth=1
	s_andn2_saveexec_b64 s[30:31], s[30:31]
	s_cbranch_execz .LBB166_876
; %bb.875:                              ;   in Loop: Header=BB166_17 Depth=1
	flat_load_ushort v15, v[15:16]
	s_waitcnt vmcnt(0) lgkmcnt(0)
	v_cvt_f32_f16_e32 v66, v15
.LBB166_876:                            ;   in Loop: Header=BB166_17 Depth=1
	s_or_b64 exec, exec, s[30:31]
.LBB166_877:                            ;   in Loop: Header=BB166_17 Depth=1
	s_or_b64 exec, exec, s[94:95]
                                        ; implicit-def: $vgpr15_vgpr16
.LBB166_878:                            ;   in Loop: Header=BB166_17 Depth=1
	s_andn2_saveexec_b64 s[88:89], s[88:89]
	s_cbranch_execz .LBB166_896
; %bb.879:                              ;   in Loop: Header=BB166_17 Depth=1
	v_cmp_gt_i16_sdwa s[94:95], v9, v53 src0_sel:BYTE_0 src1_sel:DWORD
                                        ; implicit-def: $vgpr66
	s_and_saveexec_b64 s[30:31], s[94:95]
	s_xor_b64 s[94:95], exec, s[30:31]
	s_cbranch_execz .LBB166_889
; %bb.880:                              ;   in Loop: Header=BB166_17 Depth=1
	v_cmp_gt_i16_sdwa s[30:31], v9, v54 src0_sel:BYTE_0 src1_sel:DWORD
                                        ; implicit-def: $vgpr66
	s_and_saveexec_b64 s[34:35], s[30:31]
	s_xor_b64 s[30:31], exec, s[34:35]
	;; [unrolled: 6-line block ×3, first 2 shown]
	s_cbranch_execz .LBB166_883
; %bb.882:                              ;   in Loop: Header=BB166_17 Depth=1
	flat_load_dwordx2 v[15:16], v[15:16]
	s_waitcnt vmcnt(0) lgkmcnt(0)
	v_xor_b32_e32 v67, v15, v16
	v_ffbh_i32_e32 v66, v16
	v_ashrrev_i32_e32 v67, 31, v67
	v_add_u32_e32 v66, -1, v66
	v_add_u32_e32 v67, 32, v67
	v_min_u32_e32 v66, v66, v67
	v_lshlrev_b64 v[15:16], v66, v[15:16]
	v_min_u32_e32 v15, 1, v15
	v_or_b32_e32 v15, v16, v15
	v_cvt_f32_i32_e32 v15, v15
	v_sub_u32_e32 v16, 32, v66
	v_ldexp_f32 v66, v15, v16
                                        ; implicit-def: $vgpr15_vgpr16
.LBB166_883:                            ;   in Loop: Header=BB166_17 Depth=1
	s_andn2_saveexec_b64 s[34:35], s[34:35]
	s_cbranch_execz .LBB166_885
; %bb.884:                              ;   in Loop: Header=BB166_17 Depth=1
	flat_load_dword v15, v[15:16]
	s_waitcnt vmcnt(0) lgkmcnt(0)
	v_cvt_f32_i32_e32 v66, v15
.LBB166_885:                            ;   in Loop: Header=BB166_17 Depth=1
	s_or_b64 exec, exec, s[34:35]
                                        ; implicit-def: $vgpr15_vgpr16
.LBB166_886:                            ;   in Loop: Header=BB166_17 Depth=1
	s_andn2_saveexec_b64 s[30:31], s[30:31]
	s_cbranch_execz .LBB166_888
; %bb.887:                              ;   in Loop: Header=BB166_17 Depth=1
	flat_load_sshort v15, v[15:16]
	s_waitcnt vmcnt(0) lgkmcnt(0)
	v_cvt_f32_i32_e32 v66, v15
.LBB166_888:                            ;   in Loop: Header=BB166_17 Depth=1
	s_or_b64 exec, exec, s[30:31]
                                        ; implicit-def: $vgpr15_vgpr16
.LBB166_889:                            ;   in Loop: Header=BB166_17 Depth=1
	s_andn2_saveexec_b64 s[94:95], s[94:95]
	s_cbranch_execz .LBB166_895
; %bb.890:                              ;   in Loop: Header=BB166_17 Depth=1
	v_cmp_gt_i16_sdwa s[30:31], v9, v18 src0_sel:BYTE_0 src1_sel:DWORD
                                        ; implicit-def: $vgpr66
	s_and_saveexec_b64 s[34:35], s[30:31]
	s_xor_b64 s[30:31], exec, s[34:35]
	s_cbranch_execz .LBB166_892
; %bb.891:                              ;   in Loop: Header=BB166_17 Depth=1
	flat_load_sbyte v15, v[15:16]
	s_waitcnt vmcnt(0) lgkmcnt(0)
	v_cvt_f32_i32_e32 v66, v15
                                        ; implicit-def: $vgpr15_vgpr16
.LBB166_892:                            ;   in Loop: Header=BB166_17 Depth=1
	s_andn2_saveexec_b64 s[30:31], s[30:31]
	s_cbranch_execz .LBB166_894
; %bb.893:                              ;   in Loop: Header=BB166_17 Depth=1
	flat_load_ubyte v15, v[15:16]
	s_waitcnt vmcnt(0) lgkmcnt(0)
	v_cvt_f32_ubyte0_e32 v66, v15
.LBB166_894:                            ;   in Loop: Header=BB166_17 Depth=1
	s_or_b64 exec, exec, s[30:31]
.LBB166_895:                            ;   in Loop: Header=BB166_17 Depth=1
	s_or_b64 exec, exec, s[94:95]
.LBB166_896:                            ;   in Loop: Header=BB166_17 Depth=1
	s_or_b64 exec, exec, s[88:89]
	s_or_b64 vcc, vcc, exec
.LBB166_897:                            ;   in Loop: Header=BB166_17 Depth=1
	s_or_b64 exec, exec, s[78:79]
	s_mov_b64 s[78:79], -1
	s_mov_b64 s[30:31], 0
	s_mov_b64 s[88:89], 0
	s_and_saveexec_b64 s[94:95], vcc
	s_cbranch_execz .LBB166_903
; %bb.898:                              ;   in Loop: Header=BB166_17 Depth=1
	v_readlane_b32 s78, v41, 0
	s_lshr_b32 s54, s32, 6
	s_add_i32 s54, s54, s78
	v_mov_b32_e32 v15, s54
	s_waitcnt vmcnt(0) lgkmcnt(0)
	buffer_store_dword v66, v15, s[0:3], 0 offen offset:60
	v_mul_lo_u32 v15, v65, v12
	v_cmp_gt_i16_sdwa s[78:79], v10, v19 src0_sel:BYTE_0 src1_sel:DWORD
                                        ; implicit-def: $vgpr65
	v_add_co_u32_e32 v15, vcc, v6, v15
	v_addc_co_u32_e32 v16, vcc, 0, v7, vcc
	s_and_saveexec_b64 vcc, s[78:79]
	s_xor_b64 s[78:79], exec, vcc
	s_cbranch_execnz .LBB166_2550
; %bb.899:                              ;   in Loop: Header=BB166_17 Depth=1
	s_andn2_saveexec_b64 s[78:79], s[78:79]
	s_cbranch_execnz .LBB166_2609
.LBB166_900:                            ;   in Loop: Header=BB166_17 Depth=1
	s_or_b64 exec, exec, s[78:79]
	s_mov_b64 vcc, 0
	s_and_saveexec_b64 s[78:79], s[88:89]
	s_cbranch_execz .LBB166_902
.LBB166_901:                            ;   in Loop: Header=BB166_17 Depth=1
	s_mov_b64 vcc, exec
	v_mov_b32_e32 v15, s54
	v_add_u32_e32 v64, 0x200, v64
	s_waitcnt vmcnt(0) lgkmcnt(0)
	buffer_store_dword v65, v15, s[0:3], 0 offen offset:56
.LBB166_902:                            ;   in Loop: Header=BB166_17 Depth=1
	s_or_b64 exec, exec, s[78:79]
	s_mov_b64 s[88:89], exec
	s_xor_b64 s[78:79], exec, -1
	s_and_b64 s[30:31], vcc, exec
.LBB166_903:                            ;   in Loop: Header=BB166_17 Depth=1
	s_or_b64 exec, exec, s[94:95]
	s_orn2_b64 s[94:95], s[30:31], exec
.LBB166_904:                            ;   in Loop: Header=BB166_17 Depth=1
	s_or_b64 exec, exec, s[90:91]
	s_and_saveexec_b64 s[90:91], s[94:95]
	s_cbranch_execz .LBB166_9
; %bb.905:                              ;   in Loop: Header=BB166_17 Depth=1
	v_cmp_lt_i32_e32 vcc, v64, v8
	s_mov_b64 s[34:35], -1
	s_mov_b64 s[36:37], -1
                                        ; implicit-def: $sgpr92_sgpr93
                                        ; implicit-def: $sgpr94_sgpr95
	s_and_saveexec_b64 s[30:31], vcc
	s_cbranch_execz .LBB166_1015
; %bb.906:                              ;   in Loop: Header=BB166_17 Depth=1
	v_readlane_b32 s92, v41, 2
	s_waitcnt vmcnt(0) lgkmcnt(0)
	v_add_u32_e32 v65, s92, v64
	v_mul_lo_u32 v15, v65, v11
	v_cmp_gt_i16_sdwa s[92:93], v9, v19 src0_sel:BYTE_0 src1_sel:DWORD
                                        ; implicit-def: $vgpr66
	v_add_co_u32_e32 v15, vcc, v4, v15
	v_addc_co_u32_e32 v16, vcc, 0, v5, vcc
	s_mov_b64 vcc, 0
	s_and_saveexec_b64 s[94:95], s[92:93]
	s_xor_b64 s[92:93], exec, s[94:95]
	s_cbranch_execz .LBB166_966
; %bb.907:                              ;   in Loop: Header=BB166_17 Depth=1
	v_cmp_gt_i16_sdwa s[94:95], v9, v20 src0_sel:BYTE_0 src1_sel:DWORD
	s_mov_b64 s[36:37], 0
                                        ; implicit-def: $vgpr66
	s_and_saveexec_b64 vcc, s[94:95]
	s_xor_b64 s[94:95], exec, vcc
	s_cbranch_execz .LBB166_939
; %bb.908:                              ;   in Loop: Header=BB166_17 Depth=1
	v_cmp_gt_i16_sdwa vcc, v9, v21 src0_sel:BYTE_0 src1_sel:DWORD
                                        ; implicit-def: $vgpr66
	s_and_saveexec_b64 s[38:39], vcc
	s_xor_b64 s[38:39], exec, s[38:39]
	s_cbranch_execz .LBB166_924
; %bb.909:                              ;   in Loop: Header=BB166_17 Depth=1
	v_cmp_gt_i16_sdwa s[36:37], v9, v22 src0_sel:BYTE_0 src1_sel:DWORD
	s_mov_b64 vcc, 0
                                        ; implicit-def: $vgpr66
	s_and_saveexec_b64 s[48:49], s[36:37]
	s_xor_b64 s[36:37], exec, s[48:49]
	s_cbranch_execz .LBB166_919
; %bb.910:                              ;   in Loop: Header=BB166_17 Depth=1
	v_cmp_gt_i16_sdwa vcc, v9, v23 src0_sel:BYTE_0 src1_sel:DWORD
	s_mov_b64 s[48:49], 0
                                        ; implicit-def: $vgpr66
	s_and_saveexec_b64 s[50:51], vcc
	s_xor_b64 vcc, exec, s[50:51]
	s_cbranch_execz .LBB166_914
; %bb.911:                              ;   in Loop: Header=BB166_17 Depth=1
	v_cmp_eq_u16_sdwa s[52:53], v9, v24 src0_sel:BYTE_0 src1_sel:DWORD
                                        ; implicit-def: $vgpr66
	s_and_saveexec_b64 s[50:51], s[52:53]
	s_cbranch_execz .LBB166_913
; %bb.912:                              ;   in Loop: Header=BB166_17 Depth=1
	flat_load_dword v15, v[15:16]
	s_mov_b64 s[48:49], exec
	s_waitcnt vmcnt(0) lgkmcnt(0)
	v_lshlrev_b32_e32 v66, 16, v15
.LBB166_913:                            ;   in Loop: Header=BB166_17 Depth=1
	s_or_b64 exec, exec, s[50:51]
	s_and_b64 s[48:49], s[48:49], exec
                                        ; implicit-def: $vgpr15_vgpr16
.LBB166_914:                            ;   in Loop: Header=BB166_17 Depth=1
	s_andn2_saveexec_b64 s[50:51], vcc
	s_cbranch_execz .LBB166_918
; %bb.915:                              ;   in Loop: Header=BB166_17 Depth=1
	v_cmp_eq_u16_sdwa s[54:55], v9, v25 src0_sel:BYTE_0 src1_sel:DWORD
	s_mov_b64 vcc, s[48:49]
                                        ; implicit-def: $vgpr66
	s_and_saveexec_b64 s[52:53], s[54:55]
	s_cbranch_execz .LBB166_917
; %bb.916:                              ;   in Loop: Header=BB166_17 Depth=1
	flat_load_ubyte v15, v[15:16]
	s_movk_i32 vcc_lo, 0xff
	s_waitcnt vmcnt(0) lgkmcnt(0)
	v_lshlrev_b32_e32 v16, 23, v15
	v_cmp_ne_u32_e32 vcc, vcc_lo, v15
	v_cndmask_b32_e32 v16, v26, v16, vcc
	v_cmp_ne_u32_e32 vcc, 0, v15
	v_cndmask_b32_e32 v66, v27, v16, vcc
	s_or_b64 vcc, s[48:49], exec
.LBB166_917:                            ;   in Loop: Header=BB166_17 Depth=1
	s_or_b64 exec, exec, s[52:53]
	s_andn2_b64 s[48:49], s[48:49], exec
	s_and_b64 vcc, vcc, exec
	s_or_b64 s[48:49], s[48:49], vcc
.LBB166_918:                            ;   in Loop: Header=BB166_17 Depth=1
	s_or_b64 exec, exec, s[50:51]
	s_and_b64 vcc, s[48:49], exec
                                        ; implicit-def: $vgpr15_vgpr16
.LBB166_919:                            ;   in Loop: Header=BB166_17 Depth=1
	s_andn2_saveexec_b64 s[36:37], s[36:37]
	s_cbranch_execz .LBB166_923
; %bb.920:                              ;   in Loop: Header=BB166_17 Depth=1
	v_cmp_eq_u16_sdwa s[52:53], v9, v28 src0_sel:BYTE_0 src1_sel:DWORD
	s_mov_b64 s[50:51], vcc
                                        ; implicit-def: $vgpr66
	s_and_saveexec_b64 s[48:49], s[52:53]
	s_cbranch_execz .LBB166_922
; %bb.921:                              ;   in Loop: Header=BB166_17 Depth=1
	flat_load_dwordx2 v[15:16], v[15:16]
	s_or_b64 s[50:51], vcc, exec
	s_waitcnt vmcnt(0) lgkmcnt(0)
	v_ffbh_u32_e32 v66, v16
	v_min_u32_e32 v66, 32, v66
	v_lshlrev_b64 v[15:16], v66, v[15:16]
	v_min_u32_e32 v15, 1, v15
	v_or_b32_e32 v15, v16, v15
	v_cvt_f32_u32_e32 v15, v15
	v_sub_u32_e32 v16, 32, v66
	v_ldexp_f32 v66, v15, v16
.LBB166_922:                            ;   in Loop: Header=BB166_17 Depth=1
	s_or_b64 exec, exec, s[48:49]
	s_andn2_b64 vcc, vcc, exec
	s_and_b64 s[48:49], s[50:51], exec
	s_or_b64 vcc, vcc, s[48:49]
.LBB166_923:                            ;   in Loop: Header=BB166_17 Depth=1
	s_or_b64 exec, exec, s[36:37]
	s_and_b64 s[36:37], vcc, exec
                                        ; implicit-def: $vgpr15_vgpr16
.LBB166_924:                            ;   in Loop: Header=BB166_17 Depth=1
	s_andn2_saveexec_b64 s[38:39], s[38:39]
	s_cbranch_execz .LBB166_938
; %bb.925:                              ;   in Loop: Header=BB166_17 Depth=1
	v_cmp_gt_i16_sdwa vcc, v9, v29 src0_sel:BYTE_0 src1_sel:DWORD
                                        ; implicit-def: $vgpr66
	s_and_saveexec_b64 s[48:49], vcc
	s_xor_b64 vcc, exec, s[48:49]
	s_cbranch_execz .LBB166_931
; %bb.926:                              ;   in Loop: Header=BB166_17 Depth=1
	v_cmp_gt_i16_sdwa s[48:49], v9, v30 src0_sel:BYTE_0 src1_sel:DWORD
                                        ; implicit-def: $vgpr66
	s_and_saveexec_b64 s[50:51], s[48:49]
	s_xor_b64 s[48:49], exec, s[50:51]
	s_cbranch_execz .LBB166_928
; %bb.927:                              ;   in Loop: Header=BB166_17 Depth=1
	flat_load_dword v15, v[15:16]
	s_waitcnt vmcnt(0) lgkmcnt(0)
	v_cvt_f32_u32_e32 v66, v15
                                        ; implicit-def: $vgpr15_vgpr16
.LBB166_928:                            ;   in Loop: Header=BB166_17 Depth=1
	s_andn2_saveexec_b64 s[48:49], s[48:49]
	s_cbranch_execz .LBB166_930
; %bb.929:                              ;   in Loop: Header=BB166_17 Depth=1
	flat_load_ushort v15, v[15:16]
	s_waitcnt vmcnt(0) lgkmcnt(0)
	v_cvt_f32_u32_e32 v66, v15
.LBB166_930:                            ;   in Loop: Header=BB166_17 Depth=1
	s_or_b64 exec, exec, s[48:49]
                                        ; implicit-def: $vgpr15_vgpr16
.LBB166_931:                            ;   in Loop: Header=BB166_17 Depth=1
	s_andn2_saveexec_b64 s[48:49], vcc
	s_cbranch_execz .LBB166_937
; %bb.932:                              ;   in Loop: Header=BB166_17 Depth=1
	flat_load_ubyte v15, v[15:16]
	s_movk_i32 vcc_lo, 0x7f
	s_mov_b64 s[50:51], 0
	s_waitcnt vmcnt(0) lgkmcnt(0)
	v_cmp_lt_i16_e32 vcc, vcc_lo, v15
	s_and_saveexec_b64 s[52:53], vcc
	s_xor_b64 s[52:53], exec, s[52:53]
	s_cbranch_execnz .LBB166_3010
; %bb.933:                              ;   in Loop: Header=BB166_17 Depth=1
	s_or_saveexec_b64 s[52:53], s[52:53]
	v_mov_b32_e32 v66, 0x7f800001
	s_xor_b64 exec, exec, s[52:53]
	s_cbranch_execnz .LBB166_3013
.LBB166_934:                            ;   in Loop: Header=BB166_17 Depth=1
	s_or_b64 exec, exec, s[52:53]
	s_and_saveexec_b64 s[52:53], s[50:51]
	s_cbranch_execz .LBB166_936
.LBB166_935:                            ;   in Loop: Header=BB166_17 Depth=1
	v_lshlrev_b32_e32 v16, 24, v15
	v_and_b32_e32 v15, 0xffff, v15
	v_and_b32_e32 v66, 7, v15
	v_ffbh_u32_e32 v68, v66
	v_min_u32_e32 v68, 32, v68
	v_subrev_u32_e32 v69, 28, v68
	v_bfe_u32 v67, v15, 3, 4
	v_lshlrev_b32_e32 v15, v69, v15
	v_sub_u32_e32 v68, 29, v68
	v_and_b32_e32 v15, 7, v15
	v_cmp_eq_u32_e32 vcc, 0, v67
	v_cndmask_b32_e32 v67, v67, v68, vcc
	v_cndmask_b32_e32 v15, v66, v15, vcc
	v_lshlrev_b32_e32 v15, 20, v15
	v_and_b32_e32 v16, 0x80000000, v16
	v_lshl_add_u32 v66, v67, 23, v31
	v_or3_b32 v66, v16, v66, v15
.LBB166_936:                            ;   in Loop: Header=BB166_17 Depth=1
	s_or_b64 exec, exec, s[52:53]
.LBB166_937:                            ;   in Loop: Header=BB166_17 Depth=1
	s_or_b64 exec, exec, s[48:49]
	s_or_b64 s[36:37], s[36:37], exec
.LBB166_938:                            ;   in Loop: Header=BB166_17 Depth=1
	s_or_b64 exec, exec, s[38:39]
	s_and_b64 s[36:37], s[36:37], exec
                                        ; implicit-def: $vgpr15_vgpr16
.LBB166_939:                            ;   in Loop: Header=BB166_17 Depth=1
	s_andn2_saveexec_b64 s[94:95], s[94:95]
	s_cbranch_execz .LBB166_965
; %bb.940:                              ;   in Loop: Header=BB166_17 Depth=1
	v_cmp_gt_i16_sdwa vcc, v9, v32 src0_sel:BYTE_0 src1_sel:DWORD
	s_mov_b64 s[48:49], s[36:37]
                                        ; implicit-def: $vgpr66
	s_and_saveexec_b64 s[38:39], vcc
	s_xor_b64 s[38:39], exec, s[38:39]
	s_cbranch_execz .LBB166_954
; %bb.941:                              ;   in Loop: Header=BB166_17 Depth=1
	v_cmp_gt_i16_sdwa vcc, v9, v33 src0_sel:BYTE_0 src1_sel:DWORD
                                        ; implicit-def: $vgpr66
	s_and_saveexec_b64 s[48:49], vcc
	s_xor_b64 s[48:49], exec, s[48:49]
	s_cbranch_execz .LBB166_951
; %bb.942:                              ;   in Loop: Header=BB166_17 Depth=1
	v_cmp_gt_i16_sdwa vcc, v9, v34 src0_sel:BYTE_0 src1_sel:DWORD
                                        ; implicit-def: $vgpr66
	s_and_saveexec_b64 s[50:51], vcc
	s_xor_b64 s[50:51], exec, s[50:51]
	s_cbranch_execz .LBB166_948
; %bb.943:                              ;   in Loop: Header=BB166_17 Depth=1
	flat_load_ubyte v15, v[15:16]
	s_movk_i32 vcc_lo, 0x7f
	s_mov_b64 s[52:53], 0
	s_waitcnt vmcnt(0) lgkmcnt(0)
	v_cmp_lt_i16_e32 vcc, vcc_lo, v15
	s_and_saveexec_b64 s[54:55], vcc
	s_xor_b64 s[54:55], exec, s[54:55]
	s_cbranch_execnz .LBB166_3122
; %bb.944:                              ;   in Loop: Header=BB166_17 Depth=1
	s_or_saveexec_b64 s[54:55], s[54:55]
	v_mov_b32_e32 v66, 0x7f800001
	s_xor_b64 exec, exec, s[54:55]
	s_cbranch_execnz .LBB166_3125
.LBB166_945:                            ;   in Loop: Header=BB166_17 Depth=1
	s_or_b64 exec, exec, s[54:55]
	s_and_saveexec_b64 s[54:55], s[52:53]
	s_cbranch_execz .LBB166_947
.LBB166_946:                            ;   in Loop: Header=BB166_17 Depth=1
	v_lshlrev_b32_e32 v16, 24, v15
	v_and_b32_e32 v15, 0xffff, v15
	v_and_b32_e32 v66, 3, v15
	v_ffbh_u32_e32 v68, v66
	v_min_u32_e32 v68, 32, v68
	v_subrev_u32_e32 v69, 29, v68
	v_bfe_u32 v67, v15, 2, 5
	v_lshlrev_b32_e32 v15, v69, v15
	v_sub_u32_e32 v68, 30, v68
	v_and_b32_e32 v15, 3, v15
	v_cmp_eq_u32_e32 vcc, 0, v67
	v_cndmask_b32_e32 v67, v67, v68, vcc
	v_cndmask_b32_e32 v15, v66, v15, vcc
	v_lshlrev_b32_e32 v15, 21, v15
	v_and_b32_e32 v16, 0x80000000, v16
	v_lshl_add_u32 v66, v67, 23, v35
	v_or3_b32 v66, v16, v66, v15
.LBB166_947:                            ;   in Loop: Header=BB166_17 Depth=1
	s_or_b64 exec, exec, s[54:55]
                                        ; implicit-def: $vgpr15_vgpr16
.LBB166_948:                            ;   in Loop: Header=BB166_17 Depth=1
	s_andn2_saveexec_b64 s[50:51], s[50:51]
	s_cbranch_execz .LBB166_950
; %bb.949:                              ;   in Loop: Header=BB166_17 Depth=1
	flat_load_ubyte v15, v[15:16]
	s_mov_b32 vcc_lo, 0x7f800000
	s_waitcnt vmcnt(0) lgkmcnt(0)
	v_lshlrev_b32_e32 v15, 24, v15
	v_and_b32_e32 v16, 0x7f000000, v15
	v_ffbh_u32_e32 v66, v16
	v_min_u32_e32 v66, 32, v66
	v_sub_u32_e64 v66, v66, 4 clamp
	v_lshlrev_b32_e32 v68, v66, v16
	v_lshlrev_b32_e32 v66, 23, v66
	v_lshrrev_b32_e32 v68, 4, v68
	v_add_u32_e32 v67, 0x1000000, v16
	v_sub_u32_e32 v66, v68, v66
	v_ashrrev_i32_e32 v67, 8, v67
	v_add_u32_e32 v66, 0x3c000000, v66
	v_and_or_b32 v66, v67, vcc_lo, v66
	v_cmp_ne_u32_e32 vcc, 0, v16
	v_cndmask_b32_e32 v16, 0, v66, vcc
	s_brev_b32 vcc_lo, 1
	v_and_or_b32 v66, v15, vcc_lo, v16
.LBB166_950:                            ;   in Loop: Header=BB166_17 Depth=1
	s_or_b64 exec, exec, s[50:51]
                                        ; implicit-def: $vgpr15_vgpr16
.LBB166_951:                            ;   in Loop: Header=BB166_17 Depth=1
	s_andn2_saveexec_b64 s[48:49], s[48:49]
	s_cbranch_execz .LBB166_953
; %bb.952:                              ;   in Loop: Header=BB166_17 Depth=1
	flat_load_ubyte v15, v[15:16]
	s_movk_i32 vcc_lo, 0x7f00
	s_waitcnt vmcnt(0) lgkmcnt(0)
	v_lshlrev_b16_e32 v16, 8, v15
	v_lshlrev_b32_e32 v15, 25, v15
	v_lshrrev_b32_e32 v66, 4, v15
	v_and_or_b32 v67, v16, vcc_lo, 0.5
	v_or_b32_e32 v66, 0x70000000, v66
	s_brev_b32 vcc_lo, 16
	v_add_f32_e32 v67, -0.5, v67
	v_mul_f32_e32 v66, 0x7800000, v66
	v_cmp_gt_u32_e32 vcc, vcc_lo, v15
	v_cndmask_b32_e32 v15, v66, v67, vcc
	v_bfe_i32 v16, v16, 0, 16
	s_brev_b32 vcc_lo, 1
	v_and_or_b32 v66, v16, vcc_lo, v15
.LBB166_953:                            ;   in Loop: Header=BB166_17 Depth=1
	s_or_b64 exec, exec, s[48:49]
	s_or_b64 s[48:49], s[36:37], exec
                                        ; implicit-def: $vgpr15_vgpr16
.LBB166_954:                            ;   in Loop: Header=BB166_17 Depth=1
	s_andn2_saveexec_b64 s[38:39], s[38:39]
	s_cbranch_execz .LBB166_964
; %bb.955:                              ;   in Loop: Header=BB166_17 Depth=1
	v_cmp_gt_i16_sdwa vcc, v9, v36 src0_sel:BYTE_0 src1_sel:DWORD
	s_mov_b64 s[50:51], s[48:49]
                                        ; implicit-def: $vgpr66
	s_and_saveexec_b64 s[52:53], vcc
	s_xor_b64 vcc, exec, s[52:53]
	s_cbranch_execz .LBB166_959
; %bb.956:                              ;   in Loop: Header=BB166_17 Depth=1
	v_cmp_eq_u16_sdwa s[54:55], v9, v37 src0_sel:BYTE_0 src1_sel:DWORD
	s_mov_b64 s[50:51], s[48:49]
                                        ; implicit-def: $vgpr66
	s_and_saveexec_b64 s[52:53], s[54:55]
	s_cbranch_execz .LBB166_958
; %bb.957:                              ;   in Loop: Header=BB166_17 Depth=1
	flat_load_ushort v15, v[15:16]
	s_or_b64 s[50:51], s[48:49], exec
	s_waitcnt vmcnt(0) lgkmcnt(0)
	v_lshlrev_b32_e32 v66, 16, v15
.LBB166_958:                            ;   in Loop: Header=BB166_17 Depth=1
	s_or_b64 exec, exec, s[52:53]
	s_andn2_b64 s[52:53], s[48:49], exec
	s_and_b64 s[50:51], s[50:51], exec
	s_or_b64 s[50:51], s[52:53], s[50:51]
                                        ; implicit-def: $vgpr15_vgpr16
.LBB166_959:                            ;   in Loop: Header=BB166_17 Depth=1
	s_andn2_saveexec_b64 s[52:53], vcc
	s_cbranch_execz .LBB166_963
; %bb.960:                              ;   in Loop: Header=BB166_17 Depth=1
	v_cmp_eq_u16_sdwa s[64:65], v9, v38 src0_sel:BYTE_0 src1_sel:DWORD
	s_mov_b64 vcc, s[50:51]
                                        ; implicit-def: $vgpr66
	s_and_saveexec_b64 s[54:55], s[64:65]
	s_cbranch_execz .LBB166_962
; %bb.961:                              ;   in Loop: Header=BB166_17 Depth=1
	flat_load_ubyte v15, v[15:16]
	s_waitcnt vmcnt(0) lgkmcnt(0)
	v_cmp_ne_u16_e32 vcc, 0, v15
	v_cndmask_b32_e64 v66, 0, 1.0, vcc
	s_or_b64 vcc, s[50:51], exec
.LBB166_962:                            ;   in Loop: Header=BB166_17 Depth=1
	s_or_b64 exec, exec, s[54:55]
	s_andn2_b64 s[50:51], s[50:51], exec
	s_and_b64 vcc, vcc, exec
	s_or_b64 s[50:51], s[50:51], vcc
.LBB166_963:                            ;   in Loop: Header=BB166_17 Depth=1
	s_or_b64 exec, exec, s[52:53]
	s_andn2_b64 vcc, s[48:49], exec
	s_and_b64 s[48:49], s[50:51], exec
	s_or_b64 s[48:49], vcc, s[48:49]
.LBB166_964:                            ;   in Loop: Header=BB166_17 Depth=1
	s_or_b64 exec, exec, s[38:39]
	s_andn2_b64 vcc, s[36:37], exec
	s_and_b64 s[36:37], s[48:49], exec
	s_or_b64 s[36:37], vcc, s[36:37]
.LBB166_965:                            ;   in Loop: Header=BB166_17 Depth=1
	s_or_b64 exec, exec, s[94:95]
	s_and_b64 vcc, s[36:37], exec
                                        ; implicit-def: $vgpr15_vgpr16
.LBB166_966:                            ;   in Loop: Header=BB166_17 Depth=1
	s_andn2_saveexec_b64 s[92:93], s[92:93]
	s_cbranch_execz .LBB166_1008
; %bb.967:                              ;   in Loop: Header=BB166_17 Depth=1
	v_cmp_gt_i16_sdwa s[94:95], v9, v39 src0_sel:BYTE_0 src1_sel:DWORD
                                        ; implicit-def: $vgpr66
	s_and_saveexec_b64 s[36:37], s[94:95]
	s_xor_b64 s[94:95], exec, s[36:37]
	s_cbranch_execz .LBB166_989
; %bb.968:                              ;   in Loop: Header=BB166_17 Depth=1
	v_cmp_gt_i16_sdwa s[36:37], v9, v48 src0_sel:BYTE_0 src1_sel:DWORD
                                        ; implicit-def: $vgpr66
	s_and_saveexec_b64 s[38:39], s[36:37]
	s_xor_b64 s[36:37], exec, s[38:39]
	s_cbranch_execz .LBB166_978
; %bb.969:                              ;   in Loop: Header=BB166_17 Depth=1
	v_cmp_gt_i16_sdwa s[38:39], v9, v49 src0_sel:BYTE_0 src1_sel:DWORD
                                        ; implicit-def: $vgpr66
	s_and_saveexec_b64 s[48:49], s[38:39]
	s_xor_b64 s[38:39], exec, s[48:49]
	s_cbranch_execz .LBB166_975
; %bb.970:                              ;   in Loop: Header=BB166_17 Depth=1
	v_cmp_gt_i16_sdwa s[48:49], v9, v50 src0_sel:BYTE_0 src1_sel:DWORD
                                        ; implicit-def: $vgpr66
	s_and_saveexec_b64 s[50:51], s[48:49]
	s_xor_b64 s[48:49], exec, s[50:51]
	s_cbranch_execz .LBB166_972
; %bb.971:                              ;   in Loop: Header=BB166_17 Depth=1
	flat_load_dwordx2 v[15:16], v[15:16]
	s_waitcnt vmcnt(0) lgkmcnt(0)
	v_cvt_f32_f64_e32 v66, v[15:16]
                                        ; implicit-def: $vgpr15_vgpr16
.LBB166_972:                            ;   in Loop: Header=BB166_17 Depth=1
	s_andn2_saveexec_b64 s[48:49], s[48:49]
	s_cbranch_execz .LBB166_974
; %bb.973:                              ;   in Loop: Header=BB166_17 Depth=1
	flat_load_dword v66, v[15:16]
.LBB166_974:                            ;   in Loop: Header=BB166_17 Depth=1
	s_or_b64 exec, exec, s[48:49]
                                        ; implicit-def: $vgpr15_vgpr16
.LBB166_975:                            ;   in Loop: Header=BB166_17 Depth=1
	s_andn2_saveexec_b64 s[38:39], s[38:39]
	s_cbranch_execz .LBB166_977
; %bb.976:                              ;   in Loop: Header=BB166_17 Depth=1
	flat_load_dword v15, v[15:16]
	s_waitcnt vmcnt(0) lgkmcnt(0)
	v_cvt_f32_f16_e32 v66, v15
.LBB166_977:                            ;   in Loop: Header=BB166_17 Depth=1
	s_or_b64 exec, exec, s[38:39]
                                        ; implicit-def: $vgpr15_vgpr16
.LBB166_978:                            ;   in Loop: Header=BB166_17 Depth=1
	s_andn2_saveexec_b64 s[36:37], s[36:37]
	s_cbranch_execz .LBB166_988
; %bb.979:                              ;   in Loop: Header=BB166_17 Depth=1
	v_cmp_gt_i16_sdwa s[38:39], v9, v51 src0_sel:BYTE_0 src1_sel:DWORD
                                        ; implicit-def: $vgpr66
	s_and_saveexec_b64 s[48:49], s[38:39]
	s_xor_b64 s[38:39], exec, s[48:49]
	s_cbranch_execz .LBB166_985
; %bb.980:                              ;   in Loop: Header=BB166_17 Depth=1
	v_cmp_gt_i16_sdwa s[48:49], v9, v52 src0_sel:BYTE_0 src1_sel:DWORD
                                        ; implicit-def: $vgpr66
	s_and_saveexec_b64 s[50:51], s[48:49]
	s_xor_b64 s[48:49], exec, s[50:51]
	s_cbranch_execz .LBB166_982
; %bb.981:                              ;   in Loop: Header=BB166_17 Depth=1
	flat_load_dwordx2 v[15:16], v[15:16]
	s_waitcnt vmcnt(0) lgkmcnt(0)
	v_cvt_f32_f64_e32 v66, v[15:16]
                                        ; implicit-def: $vgpr15_vgpr16
.LBB166_982:                            ;   in Loop: Header=BB166_17 Depth=1
	s_andn2_saveexec_b64 s[48:49], s[48:49]
	s_cbranch_execz .LBB166_984
; %bb.983:                              ;   in Loop: Header=BB166_17 Depth=1
	s_waitcnt vmcnt(0) lgkmcnt(0)
	flat_load_dword v66, v[15:16]
.LBB166_984:                            ;   in Loop: Header=BB166_17 Depth=1
	s_or_b64 exec, exec, s[48:49]
                                        ; implicit-def: $vgpr15_vgpr16
.LBB166_985:                            ;   in Loop: Header=BB166_17 Depth=1
	s_andn2_saveexec_b64 s[38:39], s[38:39]
	s_cbranch_execz .LBB166_987
; %bb.986:                              ;   in Loop: Header=BB166_17 Depth=1
	flat_load_ushort v15, v[15:16]
	s_waitcnt vmcnt(0) lgkmcnt(0)
	v_cvt_f32_f16_e32 v66, v15
.LBB166_987:                            ;   in Loop: Header=BB166_17 Depth=1
	s_or_b64 exec, exec, s[38:39]
.LBB166_988:                            ;   in Loop: Header=BB166_17 Depth=1
	s_or_b64 exec, exec, s[36:37]
                                        ; implicit-def: $vgpr15_vgpr16
.LBB166_989:                            ;   in Loop: Header=BB166_17 Depth=1
	s_andn2_saveexec_b64 s[94:95], s[94:95]
	s_cbranch_execz .LBB166_1007
; %bb.990:                              ;   in Loop: Header=BB166_17 Depth=1
	v_cmp_gt_i16_sdwa s[36:37], v9, v53 src0_sel:BYTE_0 src1_sel:DWORD
                                        ; implicit-def: $vgpr66
	s_and_saveexec_b64 s[38:39], s[36:37]
	s_xor_b64 s[36:37], exec, s[38:39]
	s_cbranch_execz .LBB166_1000
; %bb.991:                              ;   in Loop: Header=BB166_17 Depth=1
	v_cmp_gt_i16_sdwa s[38:39], v9, v54 src0_sel:BYTE_0 src1_sel:DWORD
                                        ; implicit-def: $vgpr66
	s_and_saveexec_b64 s[48:49], s[38:39]
	s_xor_b64 s[38:39], exec, s[48:49]
	;; [unrolled: 6-line block ×3, first 2 shown]
	s_cbranch_execz .LBB166_994
; %bb.993:                              ;   in Loop: Header=BB166_17 Depth=1
	flat_load_dwordx2 v[15:16], v[15:16]
	s_waitcnt vmcnt(0) lgkmcnt(0)
	v_xor_b32_e32 v67, v15, v16
	v_ffbh_i32_e32 v66, v16
	v_ashrrev_i32_e32 v67, 31, v67
	v_add_u32_e32 v66, -1, v66
	v_add_u32_e32 v67, 32, v67
	v_min_u32_e32 v66, v66, v67
	v_lshlrev_b64 v[15:16], v66, v[15:16]
	v_min_u32_e32 v15, 1, v15
	v_or_b32_e32 v15, v16, v15
	v_cvt_f32_i32_e32 v15, v15
	v_sub_u32_e32 v16, 32, v66
	v_ldexp_f32 v66, v15, v16
                                        ; implicit-def: $vgpr15_vgpr16
.LBB166_994:                            ;   in Loop: Header=BB166_17 Depth=1
	s_andn2_saveexec_b64 s[48:49], s[48:49]
	s_cbranch_execz .LBB166_996
; %bb.995:                              ;   in Loop: Header=BB166_17 Depth=1
	flat_load_dword v15, v[15:16]
	s_waitcnt vmcnt(0) lgkmcnt(0)
	v_cvt_f32_i32_e32 v66, v15
.LBB166_996:                            ;   in Loop: Header=BB166_17 Depth=1
	s_or_b64 exec, exec, s[48:49]
                                        ; implicit-def: $vgpr15_vgpr16
.LBB166_997:                            ;   in Loop: Header=BB166_17 Depth=1
	s_andn2_saveexec_b64 s[38:39], s[38:39]
	s_cbranch_execz .LBB166_999
; %bb.998:                              ;   in Loop: Header=BB166_17 Depth=1
	flat_load_sshort v15, v[15:16]
	s_waitcnt vmcnt(0) lgkmcnt(0)
	v_cvt_f32_i32_e32 v66, v15
.LBB166_999:                            ;   in Loop: Header=BB166_17 Depth=1
	s_or_b64 exec, exec, s[38:39]
                                        ; implicit-def: $vgpr15_vgpr16
.LBB166_1000:                           ;   in Loop: Header=BB166_17 Depth=1
	s_andn2_saveexec_b64 s[36:37], s[36:37]
	s_cbranch_execz .LBB166_1006
; %bb.1001:                             ;   in Loop: Header=BB166_17 Depth=1
	v_cmp_gt_i16_sdwa s[38:39], v9, v18 src0_sel:BYTE_0 src1_sel:DWORD
                                        ; implicit-def: $vgpr66
	s_and_saveexec_b64 s[48:49], s[38:39]
	s_xor_b64 s[38:39], exec, s[48:49]
	s_cbranch_execz .LBB166_1003
; %bb.1002:                             ;   in Loop: Header=BB166_17 Depth=1
	flat_load_sbyte v15, v[15:16]
	s_waitcnt vmcnt(0) lgkmcnt(0)
	v_cvt_f32_i32_e32 v66, v15
                                        ; implicit-def: $vgpr15_vgpr16
.LBB166_1003:                           ;   in Loop: Header=BB166_17 Depth=1
	s_andn2_saveexec_b64 s[38:39], s[38:39]
	s_cbranch_execz .LBB166_1005
; %bb.1004:                             ;   in Loop: Header=BB166_17 Depth=1
	flat_load_ubyte v15, v[15:16]
	s_waitcnt vmcnt(0) lgkmcnt(0)
	v_cvt_f32_ubyte0_e32 v66, v15
.LBB166_1005:                           ;   in Loop: Header=BB166_17 Depth=1
	s_or_b64 exec, exec, s[38:39]
.LBB166_1006:                           ;   in Loop: Header=BB166_17 Depth=1
	s_or_b64 exec, exec, s[36:37]
.LBB166_1007:                           ;   in Loop: Header=BB166_17 Depth=1
	s_or_b64 exec, exec, s[94:95]
	s_or_b64 vcc, vcc, exec
.LBB166_1008:                           ;   in Loop: Header=BB166_17 Depth=1
	s_or_b64 exec, exec, s[92:93]
	s_mov_b64 s[92:93], -1
	s_mov_b64 s[38:39], 0
	s_mov_b64 s[94:95], 0
	s_and_saveexec_b64 s[36:37], vcc
	s_cbranch_execz .LBB166_1014
; %bb.1009:                             ;   in Loop: Header=BB166_17 Depth=1
	v_readlane_b32 s92, v41, 0
	s_lshr_b32 s68, s32, 6
	s_add_i32 s68, s68, s92
	v_mov_b32_e32 v15, s68
	s_waitcnt vmcnt(0) lgkmcnt(0)
	buffer_store_dword v66, v15, s[0:3], 0 offen offset:68
	v_mul_lo_u32 v15, v65, v12
	v_cmp_gt_i16_sdwa s[92:93], v10, v19 src0_sel:BYTE_0 src1_sel:DWORD
                                        ; implicit-def: $vgpr65
	v_add_co_u32_e32 v15, vcc, v6, v15
	v_addc_co_u32_e32 v16, vcc, 0, v7, vcc
	s_and_saveexec_b64 vcc, s[92:93]
	s_xor_b64 s[92:93], exec, vcc
	s_cbranch_execnz .LBB166_2666
; %bb.1010:                             ;   in Loop: Header=BB166_17 Depth=1
	s_andn2_saveexec_b64 s[92:93], s[92:93]
	s_cbranch_execnz .LBB166_2725
.LBB166_1011:                           ;   in Loop: Header=BB166_17 Depth=1
	s_or_b64 exec, exec, s[92:93]
	s_mov_b64 vcc, 0
	s_and_saveexec_b64 s[92:93], s[94:95]
	s_cbranch_execz .LBB166_1013
.LBB166_1012:                           ;   in Loop: Header=BB166_17 Depth=1
	s_mov_b64 vcc, exec
	v_mov_b32_e32 v15, s68
	v_add_u32_e32 v64, 0x200, v64
	s_waitcnt vmcnt(0) lgkmcnt(0)
	buffer_store_dword v65, v15, s[0:3], 0 offen offset:64
.LBB166_1013:                           ;   in Loop: Header=BB166_17 Depth=1
	s_or_b64 exec, exec, s[92:93]
	s_mov_b64 s[94:95], exec
	s_xor_b64 s[92:93], exec, -1
	s_and_b64 s[38:39], vcc, exec
.LBB166_1014:                           ;   in Loop: Header=BB166_17 Depth=1
	s_or_b64 exec, exec, s[36:37]
	s_orn2_b64 s[36:37], s[38:39], exec
.LBB166_1015:                           ;   in Loop: Header=BB166_17 Depth=1
	s_or_b64 exec, exec, s[30:31]
	s_and_saveexec_b64 s[30:31], s[36:37]
	s_cbranch_execz .LBB166_8
; %bb.1016:                             ;   in Loop: Header=BB166_17 Depth=1
	v_cmp_lt_i32_e32 vcc, v64, v8
	s_mov_b64 s[48:49], -1
	s_mov_b64 s[50:51], -1
                                        ; implicit-def: $sgpr34_sgpr35
                                        ; implicit-def: $sgpr36_sgpr37
	s_and_saveexec_b64 s[38:39], vcc
	s_cbranch_execz .LBB166_1126
; %bb.1017:                             ;   in Loop: Header=BB166_17 Depth=1
	v_readlane_b32 vcc_lo, v41, 2
	s_waitcnt vmcnt(0) lgkmcnt(0)
	v_add_u32_e32 v65, vcc_lo, v64
	v_mul_lo_u32 v15, v65, v11
	v_cmp_gt_i16_sdwa s[34:35], v9, v19 src0_sel:BYTE_0 src1_sel:DWORD
                                        ; implicit-def: $vgpr66
	v_add_co_u32_e32 v15, vcc, v4, v15
	v_addc_co_u32_e32 v16, vcc, 0, v5, vcc
	s_mov_b64 vcc, 0
	s_and_saveexec_b64 s[36:37], s[34:35]
	s_xor_b64 s[34:35], exec, s[36:37]
	s_cbranch_execz .LBB166_1077
; %bb.1018:                             ;   in Loop: Header=BB166_17 Depth=1
	v_cmp_gt_i16_sdwa vcc, v9, v20 src0_sel:BYTE_0 src1_sel:DWORD
	s_mov_b64 s[50:51], 0
                                        ; implicit-def: $vgpr66
	s_and_saveexec_b64 s[36:37], vcc
	s_xor_b64 s[36:37], exec, s[36:37]
	s_cbranch_execz .LBB166_1050
; %bb.1019:                             ;   in Loop: Header=BB166_17 Depth=1
	v_cmp_gt_i16_sdwa vcc, v9, v21 src0_sel:BYTE_0 src1_sel:DWORD
                                        ; implicit-def: $vgpr66
	s_and_saveexec_b64 s[52:53], vcc
	s_xor_b64 s[52:53], exec, s[52:53]
	s_cbranch_execz .LBB166_1035
; %bb.1020:                             ;   in Loop: Header=BB166_17 Depth=1
	v_cmp_gt_i16_sdwa s[50:51], v9, v22 src0_sel:BYTE_0 src1_sel:DWORD
	s_mov_b64 vcc, 0
                                        ; implicit-def: $vgpr66
	s_and_saveexec_b64 s[54:55], s[50:51]
	s_xor_b64 s[50:51], exec, s[54:55]
	s_cbranch_execz .LBB166_1030
; %bb.1021:                             ;   in Loop: Header=BB166_17 Depth=1
	v_cmp_gt_i16_sdwa vcc, v9, v23 src0_sel:BYTE_0 src1_sel:DWORD
	s_mov_b64 s[54:55], 0
                                        ; implicit-def: $vgpr66
	s_and_saveexec_b64 s[64:65], vcc
	s_xor_b64 vcc, exec, s[64:65]
	s_cbranch_execz .LBB166_1025
; %bb.1022:                             ;   in Loop: Header=BB166_17 Depth=1
	v_cmp_eq_u16_sdwa s[66:67], v9, v24 src0_sel:BYTE_0 src1_sel:DWORD
                                        ; implicit-def: $vgpr66
	s_and_saveexec_b64 s[64:65], s[66:67]
	s_cbranch_execz .LBB166_1024
; %bb.1023:                             ;   in Loop: Header=BB166_17 Depth=1
	flat_load_dword v15, v[15:16]
	s_mov_b64 s[54:55], exec
	s_waitcnt vmcnt(0) lgkmcnt(0)
	v_lshlrev_b32_e32 v66, 16, v15
.LBB166_1024:                           ;   in Loop: Header=BB166_17 Depth=1
	s_or_b64 exec, exec, s[64:65]
	s_and_b64 s[54:55], s[54:55], exec
                                        ; implicit-def: $vgpr15_vgpr16
.LBB166_1025:                           ;   in Loop: Header=BB166_17 Depth=1
	s_andn2_saveexec_b64 s[64:65], vcc
	s_cbranch_execz .LBB166_1029
; %bb.1026:                             ;   in Loop: Header=BB166_17 Depth=1
	v_cmp_eq_u16_sdwa s[68:69], v9, v25 src0_sel:BYTE_0 src1_sel:DWORD
	s_mov_b64 vcc, s[54:55]
                                        ; implicit-def: $vgpr66
	s_and_saveexec_b64 s[66:67], s[68:69]
	s_cbranch_execz .LBB166_1028
; %bb.1027:                             ;   in Loop: Header=BB166_17 Depth=1
	flat_load_ubyte v15, v[15:16]
	s_movk_i32 vcc_lo, 0xff
	s_waitcnt vmcnt(0) lgkmcnt(0)
	v_lshlrev_b32_e32 v16, 23, v15
	v_cmp_ne_u32_e32 vcc, vcc_lo, v15
	v_cndmask_b32_e32 v16, v26, v16, vcc
	v_cmp_ne_u32_e32 vcc, 0, v15
	v_cndmask_b32_e32 v66, v27, v16, vcc
	s_or_b64 vcc, s[54:55], exec
.LBB166_1028:                           ;   in Loop: Header=BB166_17 Depth=1
	s_or_b64 exec, exec, s[66:67]
	s_andn2_b64 s[54:55], s[54:55], exec
	s_and_b64 vcc, vcc, exec
	s_or_b64 s[54:55], s[54:55], vcc
.LBB166_1029:                           ;   in Loop: Header=BB166_17 Depth=1
	s_or_b64 exec, exec, s[64:65]
	s_and_b64 vcc, s[54:55], exec
                                        ; implicit-def: $vgpr15_vgpr16
.LBB166_1030:                           ;   in Loop: Header=BB166_17 Depth=1
	s_andn2_saveexec_b64 s[50:51], s[50:51]
	s_cbranch_execz .LBB166_1034
; %bb.1031:                             ;   in Loop: Header=BB166_17 Depth=1
	v_cmp_eq_u16_sdwa s[66:67], v9, v28 src0_sel:BYTE_0 src1_sel:DWORD
	s_mov_b64 s[64:65], vcc
                                        ; implicit-def: $vgpr66
	s_and_saveexec_b64 s[54:55], s[66:67]
	s_cbranch_execz .LBB166_1033
; %bb.1032:                             ;   in Loop: Header=BB166_17 Depth=1
	flat_load_dwordx2 v[15:16], v[15:16]
	s_or_b64 s[64:65], vcc, exec
	s_waitcnt vmcnt(0) lgkmcnt(0)
	v_ffbh_u32_e32 v66, v16
	v_min_u32_e32 v66, 32, v66
	v_lshlrev_b64 v[15:16], v66, v[15:16]
	v_min_u32_e32 v15, 1, v15
	v_or_b32_e32 v15, v16, v15
	v_cvt_f32_u32_e32 v15, v15
	v_sub_u32_e32 v16, 32, v66
	v_ldexp_f32 v66, v15, v16
.LBB166_1033:                           ;   in Loop: Header=BB166_17 Depth=1
	s_or_b64 exec, exec, s[54:55]
	s_andn2_b64 vcc, vcc, exec
	s_and_b64 s[54:55], s[64:65], exec
	s_or_b64 vcc, vcc, s[54:55]
.LBB166_1034:                           ;   in Loop: Header=BB166_17 Depth=1
	s_or_b64 exec, exec, s[50:51]
	s_and_b64 s[50:51], vcc, exec
                                        ; implicit-def: $vgpr15_vgpr16
.LBB166_1035:                           ;   in Loop: Header=BB166_17 Depth=1
	s_andn2_saveexec_b64 s[52:53], s[52:53]
	s_cbranch_execz .LBB166_1049
; %bb.1036:                             ;   in Loop: Header=BB166_17 Depth=1
	v_cmp_gt_i16_sdwa vcc, v9, v29 src0_sel:BYTE_0 src1_sel:DWORD
                                        ; implicit-def: $vgpr66
	s_and_saveexec_b64 s[54:55], vcc
	s_xor_b64 vcc, exec, s[54:55]
	s_cbranch_execz .LBB166_1042
; %bb.1037:                             ;   in Loop: Header=BB166_17 Depth=1
	v_cmp_gt_i16_sdwa s[54:55], v9, v30 src0_sel:BYTE_0 src1_sel:DWORD
                                        ; implicit-def: $vgpr66
	s_and_saveexec_b64 s[64:65], s[54:55]
	s_xor_b64 s[54:55], exec, s[64:65]
	s_cbranch_execz .LBB166_1039
; %bb.1038:                             ;   in Loop: Header=BB166_17 Depth=1
	flat_load_dword v15, v[15:16]
	s_waitcnt vmcnt(0) lgkmcnt(0)
	v_cvt_f32_u32_e32 v66, v15
                                        ; implicit-def: $vgpr15_vgpr16
.LBB166_1039:                           ;   in Loop: Header=BB166_17 Depth=1
	s_andn2_saveexec_b64 s[54:55], s[54:55]
	s_cbranch_execz .LBB166_1041
; %bb.1040:                             ;   in Loop: Header=BB166_17 Depth=1
	flat_load_ushort v15, v[15:16]
	s_waitcnt vmcnt(0) lgkmcnt(0)
	v_cvt_f32_u32_e32 v66, v15
.LBB166_1041:                           ;   in Loop: Header=BB166_17 Depth=1
	s_or_b64 exec, exec, s[54:55]
                                        ; implicit-def: $vgpr15_vgpr16
.LBB166_1042:                           ;   in Loop: Header=BB166_17 Depth=1
	s_andn2_saveexec_b64 s[54:55], vcc
	s_cbranch_execz .LBB166_1048
; %bb.1043:                             ;   in Loop: Header=BB166_17 Depth=1
	flat_load_ubyte v15, v[15:16]
	s_movk_i32 vcc_lo, 0x7f
	s_mov_b64 s[64:65], 0
	s_waitcnt vmcnt(0) lgkmcnt(0)
	v_cmp_lt_i16_e32 vcc, vcc_lo, v15
	s_and_saveexec_b64 s[66:67], vcc
	s_xor_b64 s[66:67], exec, s[66:67]
	s_cbranch_execnz .LBB166_3126
; %bb.1044:                             ;   in Loop: Header=BB166_17 Depth=1
	s_or_saveexec_b64 s[66:67], s[66:67]
	v_mov_b32_e32 v66, 0x7f800001
	s_xor_b64 exec, exec, s[66:67]
	s_cbranch_execnz .LBB166_3129
.LBB166_1045:                           ;   in Loop: Header=BB166_17 Depth=1
	s_or_b64 exec, exec, s[66:67]
	s_and_saveexec_b64 s[66:67], s[64:65]
	s_cbranch_execz .LBB166_1047
.LBB166_1046:                           ;   in Loop: Header=BB166_17 Depth=1
	v_lshlrev_b32_e32 v16, 24, v15
	v_and_b32_e32 v15, 0xffff, v15
	v_and_b32_e32 v66, 7, v15
	v_ffbh_u32_e32 v68, v66
	v_min_u32_e32 v68, 32, v68
	v_subrev_u32_e32 v69, 28, v68
	v_bfe_u32 v67, v15, 3, 4
	v_lshlrev_b32_e32 v15, v69, v15
	v_sub_u32_e32 v68, 29, v68
	v_and_b32_e32 v15, 7, v15
	v_cmp_eq_u32_e32 vcc, 0, v67
	v_cndmask_b32_e32 v67, v67, v68, vcc
	v_cndmask_b32_e32 v15, v66, v15, vcc
	v_lshlrev_b32_e32 v15, 20, v15
	v_and_b32_e32 v16, 0x80000000, v16
	v_lshl_add_u32 v66, v67, 23, v31
	v_or3_b32 v66, v16, v66, v15
.LBB166_1047:                           ;   in Loop: Header=BB166_17 Depth=1
	s_or_b64 exec, exec, s[66:67]
.LBB166_1048:                           ;   in Loop: Header=BB166_17 Depth=1
	s_or_b64 exec, exec, s[54:55]
	s_or_b64 s[50:51], s[50:51], exec
.LBB166_1049:                           ;   in Loop: Header=BB166_17 Depth=1
	s_or_b64 exec, exec, s[52:53]
	s_and_b64 s[50:51], s[50:51], exec
                                        ; implicit-def: $vgpr15_vgpr16
.LBB166_1050:                           ;   in Loop: Header=BB166_17 Depth=1
	s_andn2_saveexec_b64 s[36:37], s[36:37]
	s_cbranch_execz .LBB166_1076
; %bb.1051:                             ;   in Loop: Header=BB166_17 Depth=1
	v_cmp_gt_i16_sdwa vcc, v9, v32 src0_sel:BYTE_0 src1_sel:DWORD
	s_mov_b64 s[54:55], s[50:51]
                                        ; implicit-def: $vgpr66
	s_and_saveexec_b64 s[52:53], vcc
	s_xor_b64 s[52:53], exec, s[52:53]
	s_cbranch_execz .LBB166_1065
; %bb.1052:                             ;   in Loop: Header=BB166_17 Depth=1
	v_cmp_gt_i16_sdwa vcc, v9, v33 src0_sel:BYTE_0 src1_sel:DWORD
                                        ; implicit-def: $vgpr66
	s_and_saveexec_b64 s[54:55], vcc
	s_xor_b64 s[54:55], exec, s[54:55]
	s_cbranch_execz .LBB166_1062
; %bb.1053:                             ;   in Loop: Header=BB166_17 Depth=1
	v_cmp_gt_i16_sdwa vcc, v9, v34 src0_sel:BYTE_0 src1_sel:DWORD
                                        ; implicit-def: $vgpr66
	s_and_saveexec_b64 s[64:65], vcc
	s_xor_b64 s[64:65], exec, s[64:65]
	s_cbranch_execz .LBB166_1059
; %bb.1054:                             ;   in Loop: Header=BB166_17 Depth=1
	flat_load_ubyte v15, v[15:16]
	s_movk_i32 vcc_lo, 0x7f
	s_mov_b64 s[66:67], 0
	s_waitcnt vmcnt(0) lgkmcnt(0)
	v_cmp_lt_i16_e32 vcc, vcc_lo, v15
	s_and_saveexec_b64 s[68:69], vcc
	s_xor_b64 s[68:69], exec, s[68:69]
	s_cbranch_execnz .LBB166_3238
; %bb.1055:                             ;   in Loop: Header=BB166_17 Depth=1
	s_or_saveexec_b64 s[68:69], s[68:69]
	v_mov_b32_e32 v66, 0x7f800001
	s_xor_b64 exec, exec, s[68:69]
	s_cbranch_execnz .LBB166_3241
.LBB166_1056:                           ;   in Loop: Header=BB166_17 Depth=1
	s_or_b64 exec, exec, s[68:69]
	s_and_saveexec_b64 s[68:69], s[66:67]
	s_cbranch_execz .LBB166_1058
.LBB166_1057:                           ;   in Loop: Header=BB166_17 Depth=1
	v_lshlrev_b32_e32 v16, 24, v15
	v_and_b32_e32 v15, 0xffff, v15
	v_and_b32_e32 v66, 3, v15
	v_ffbh_u32_e32 v68, v66
	v_min_u32_e32 v68, 32, v68
	v_subrev_u32_e32 v69, 29, v68
	v_bfe_u32 v67, v15, 2, 5
	v_lshlrev_b32_e32 v15, v69, v15
	v_sub_u32_e32 v68, 30, v68
	v_and_b32_e32 v15, 3, v15
	v_cmp_eq_u32_e32 vcc, 0, v67
	v_cndmask_b32_e32 v67, v67, v68, vcc
	v_cndmask_b32_e32 v15, v66, v15, vcc
	v_lshlrev_b32_e32 v15, 21, v15
	v_and_b32_e32 v16, 0x80000000, v16
	v_lshl_add_u32 v66, v67, 23, v35
	v_or3_b32 v66, v16, v66, v15
.LBB166_1058:                           ;   in Loop: Header=BB166_17 Depth=1
	s_or_b64 exec, exec, s[68:69]
                                        ; implicit-def: $vgpr15_vgpr16
.LBB166_1059:                           ;   in Loop: Header=BB166_17 Depth=1
	s_andn2_saveexec_b64 s[64:65], s[64:65]
	s_cbranch_execz .LBB166_1061
; %bb.1060:                             ;   in Loop: Header=BB166_17 Depth=1
	flat_load_ubyte v15, v[15:16]
	s_mov_b32 vcc_lo, 0x7f800000
	s_waitcnt vmcnt(0) lgkmcnt(0)
	v_lshlrev_b32_e32 v15, 24, v15
	v_and_b32_e32 v16, 0x7f000000, v15
	v_ffbh_u32_e32 v66, v16
	v_min_u32_e32 v66, 32, v66
	v_sub_u32_e64 v66, v66, 4 clamp
	v_lshlrev_b32_e32 v68, v66, v16
	v_lshlrev_b32_e32 v66, 23, v66
	v_lshrrev_b32_e32 v68, 4, v68
	v_add_u32_e32 v67, 0x1000000, v16
	v_sub_u32_e32 v66, v68, v66
	v_ashrrev_i32_e32 v67, 8, v67
	v_add_u32_e32 v66, 0x3c000000, v66
	v_and_or_b32 v66, v67, vcc_lo, v66
	v_cmp_ne_u32_e32 vcc, 0, v16
	v_cndmask_b32_e32 v16, 0, v66, vcc
	s_brev_b32 vcc_lo, 1
	v_and_or_b32 v66, v15, vcc_lo, v16
.LBB166_1061:                           ;   in Loop: Header=BB166_17 Depth=1
	s_or_b64 exec, exec, s[64:65]
                                        ; implicit-def: $vgpr15_vgpr16
.LBB166_1062:                           ;   in Loop: Header=BB166_17 Depth=1
	s_andn2_saveexec_b64 s[54:55], s[54:55]
	s_cbranch_execz .LBB166_1064
; %bb.1063:                             ;   in Loop: Header=BB166_17 Depth=1
	flat_load_ubyte v15, v[15:16]
	s_movk_i32 vcc_lo, 0x7f00
	s_waitcnt vmcnt(0) lgkmcnt(0)
	v_lshlrev_b16_e32 v16, 8, v15
	v_lshlrev_b32_e32 v15, 25, v15
	v_lshrrev_b32_e32 v66, 4, v15
	v_and_or_b32 v67, v16, vcc_lo, 0.5
	v_or_b32_e32 v66, 0x70000000, v66
	s_brev_b32 vcc_lo, 16
	v_add_f32_e32 v67, -0.5, v67
	v_mul_f32_e32 v66, 0x7800000, v66
	v_cmp_gt_u32_e32 vcc, vcc_lo, v15
	v_cndmask_b32_e32 v15, v66, v67, vcc
	v_bfe_i32 v16, v16, 0, 16
	s_brev_b32 vcc_lo, 1
	v_and_or_b32 v66, v16, vcc_lo, v15
.LBB166_1064:                           ;   in Loop: Header=BB166_17 Depth=1
	s_or_b64 exec, exec, s[54:55]
	s_or_b64 s[54:55], s[50:51], exec
                                        ; implicit-def: $vgpr15_vgpr16
.LBB166_1065:                           ;   in Loop: Header=BB166_17 Depth=1
	s_andn2_saveexec_b64 s[52:53], s[52:53]
	s_cbranch_execz .LBB166_1075
; %bb.1066:                             ;   in Loop: Header=BB166_17 Depth=1
	v_cmp_gt_i16_sdwa vcc, v9, v36 src0_sel:BYTE_0 src1_sel:DWORD
	s_mov_b64 s[64:65], s[54:55]
                                        ; implicit-def: $vgpr66
	s_and_saveexec_b64 s[66:67], vcc
	s_xor_b64 vcc, exec, s[66:67]
	s_cbranch_execz .LBB166_1070
; %bb.1067:                             ;   in Loop: Header=BB166_17 Depth=1
	v_cmp_eq_u16_sdwa s[68:69], v9, v37 src0_sel:BYTE_0 src1_sel:DWORD
	s_mov_b64 s[64:65], s[54:55]
                                        ; implicit-def: $vgpr66
	s_and_saveexec_b64 s[66:67], s[68:69]
	s_cbranch_execz .LBB166_1069
; %bb.1068:                             ;   in Loop: Header=BB166_17 Depth=1
	flat_load_ushort v15, v[15:16]
	s_or_b64 s[64:65], s[54:55], exec
	s_waitcnt vmcnt(0) lgkmcnt(0)
	v_lshlrev_b32_e32 v66, 16, v15
.LBB166_1069:                           ;   in Loop: Header=BB166_17 Depth=1
	s_or_b64 exec, exec, s[66:67]
	s_andn2_b64 s[66:67], s[54:55], exec
	s_and_b64 s[64:65], s[64:65], exec
	s_or_b64 s[64:65], s[66:67], s[64:65]
                                        ; implicit-def: $vgpr15_vgpr16
.LBB166_1070:                           ;   in Loop: Header=BB166_17 Depth=1
	s_andn2_saveexec_b64 s[66:67], vcc
	s_cbranch_execz .LBB166_1074
; %bb.1071:                             ;   in Loop: Header=BB166_17 Depth=1
	v_cmp_eq_u16_sdwa s[70:71], v9, v38 src0_sel:BYTE_0 src1_sel:DWORD
	s_mov_b64 vcc, s[64:65]
                                        ; implicit-def: $vgpr66
	s_and_saveexec_b64 s[68:69], s[70:71]
	s_cbranch_execz .LBB166_1073
; %bb.1072:                             ;   in Loop: Header=BB166_17 Depth=1
	flat_load_ubyte v15, v[15:16]
	s_waitcnt vmcnt(0) lgkmcnt(0)
	v_cmp_ne_u16_e32 vcc, 0, v15
	v_cndmask_b32_e64 v66, 0, 1.0, vcc
	s_or_b64 vcc, s[64:65], exec
.LBB166_1073:                           ;   in Loop: Header=BB166_17 Depth=1
	s_or_b64 exec, exec, s[68:69]
	s_andn2_b64 s[64:65], s[64:65], exec
	s_and_b64 vcc, vcc, exec
	s_or_b64 s[64:65], s[64:65], vcc
.LBB166_1074:                           ;   in Loop: Header=BB166_17 Depth=1
	s_or_b64 exec, exec, s[66:67]
	s_andn2_b64 vcc, s[54:55], exec
	s_and_b64 s[54:55], s[64:65], exec
	s_or_b64 s[54:55], vcc, s[54:55]
.LBB166_1075:                           ;   in Loop: Header=BB166_17 Depth=1
	s_or_b64 exec, exec, s[52:53]
	s_andn2_b64 vcc, s[50:51], exec
	s_and_b64 s[50:51], s[54:55], exec
	s_or_b64 s[50:51], vcc, s[50:51]
.LBB166_1076:                           ;   in Loop: Header=BB166_17 Depth=1
	s_or_b64 exec, exec, s[36:37]
	s_and_b64 vcc, s[50:51], exec
                                        ; implicit-def: $vgpr15_vgpr16
.LBB166_1077:                           ;   in Loop: Header=BB166_17 Depth=1
	s_andn2_saveexec_b64 s[34:35], s[34:35]
	s_cbranch_execz .LBB166_1119
; %bb.1078:                             ;   in Loop: Header=BB166_17 Depth=1
	v_cmp_gt_i16_sdwa s[36:37], v9, v39 src0_sel:BYTE_0 src1_sel:DWORD
                                        ; implicit-def: $vgpr66
	s_and_saveexec_b64 s[50:51], s[36:37]
	s_xor_b64 s[36:37], exec, s[50:51]
	s_cbranch_execz .LBB166_1100
; %bb.1079:                             ;   in Loop: Header=BB166_17 Depth=1
	v_cmp_gt_i16_sdwa s[50:51], v9, v48 src0_sel:BYTE_0 src1_sel:DWORD
                                        ; implicit-def: $vgpr66
	s_and_saveexec_b64 s[52:53], s[50:51]
	s_xor_b64 s[50:51], exec, s[52:53]
	;; [unrolled: 6-line block ×4, first 2 shown]
	s_cbranch_execz .LBB166_1083
; %bb.1082:                             ;   in Loop: Header=BB166_17 Depth=1
	flat_load_dwordx2 v[15:16], v[15:16]
	s_waitcnt vmcnt(0) lgkmcnt(0)
	v_cvt_f32_f64_e32 v66, v[15:16]
                                        ; implicit-def: $vgpr15_vgpr16
.LBB166_1083:                           ;   in Loop: Header=BB166_17 Depth=1
	s_andn2_saveexec_b64 s[54:55], s[54:55]
	s_cbranch_execz .LBB166_1085
; %bb.1084:                             ;   in Loop: Header=BB166_17 Depth=1
	flat_load_dword v66, v[15:16]
.LBB166_1085:                           ;   in Loop: Header=BB166_17 Depth=1
	s_or_b64 exec, exec, s[54:55]
                                        ; implicit-def: $vgpr15_vgpr16
.LBB166_1086:                           ;   in Loop: Header=BB166_17 Depth=1
	s_andn2_saveexec_b64 s[52:53], s[52:53]
	s_cbranch_execz .LBB166_1088
; %bb.1087:                             ;   in Loop: Header=BB166_17 Depth=1
	flat_load_dword v15, v[15:16]
	s_waitcnt vmcnt(0) lgkmcnt(0)
	v_cvt_f32_f16_e32 v66, v15
.LBB166_1088:                           ;   in Loop: Header=BB166_17 Depth=1
	s_or_b64 exec, exec, s[52:53]
                                        ; implicit-def: $vgpr15_vgpr16
.LBB166_1089:                           ;   in Loop: Header=BB166_17 Depth=1
	s_andn2_saveexec_b64 s[50:51], s[50:51]
	s_cbranch_execz .LBB166_1099
; %bb.1090:                             ;   in Loop: Header=BB166_17 Depth=1
	v_cmp_gt_i16_sdwa s[52:53], v9, v51 src0_sel:BYTE_0 src1_sel:DWORD
                                        ; implicit-def: $vgpr66
	s_and_saveexec_b64 s[54:55], s[52:53]
	s_xor_b64 s[52:53], exec, s[54:55]
	s_cbranch_execz .LBB166_1096
; %bb.1091:                             ;   in Loop: Header=BB166_17 Depth=1
	v_cmp_gt_i16_sdwa s[54:55], v9, v52 src0_sel:BYTE_0 src1_sel:DWORD
                                        ; implicit-def: $vgpr66
	s_and_saveexec_b64 s[64:65], s[54:55]
	s_xor_b64 s[54:55], exec, s[64:65]
	s_cbranch_execz .LBB166_1093
; %bb.1092:                             ;   in Loop: Header=BB166_17 Depth=1
	flat_load_dwordx2 v[15:16], v[15:16]
	s_waitcnt vmcnt(0) lgkmcnt(0)
	v_cvt_f32_f64_e32 v66, v[15:16]
                                        ; implicit-def: $vgpr15_vgpr16
.LBB166_1093:                           ;   in Loop: Header=BB166_17 Depth=1
	s_andn2_saveexec_b64 s[54:55], s[54:55]
	s_cbranch_execz .LBB166_1095
; %bb.1094:                             ;   in Loop: Header=BB166_17 Depth=1
	s_waitcnt vmcnt(0) lgkmcnt(0)
	flat_load_dword v66, v[15:16]
.LBB166_1095:                           ;   in Loop: Header=BB166_17 Depth=1
	s_or_b64 exec, exec, s[54:55]
                                        ; implicit-def: $vgpr15_vgpr16
.LBB166_1096:                           ;   in Loop: Header=BB166_17 Depth=1
	s_andn2_saveexec_b64 s[52:53], s[52:53]
	s_cbranch_execz .LBB166_1098
; %bb.1097:                             ;   in Loop: Header=BB166_17 Depth=1
	flat_load_ushort v15, v[15:16]
	s_waitcnt vmcnt(0) lgkmcnt(0)
	v_cvt_f32_f16_e32 v66, v15
.LBB166_1098:                           ;   in Loop: Header=BB166_17 Depth=1
	s_or_b64 exec, exec, s[52:53]
.LBB166_1099:                           ;   in Loop: Header=BB166_17 Depth=1
	s_or_b64 exec, exec, s[50:51]
                                        ; implicit-def: $vgpr15_vgpr16
.LBB166_1100:                           ;   in Loop: Header=BB166_17 Depth=1
	s_andn2_saveexec_b64 s[36:37], s[36:37]
	s_cbranch_execz .LBB166_1118
; %bb.1101:                             ;   in Loop: Header=BB166_17 Depth=1
	v_cmp_gt_i16_sdwa s[50:51], v9, v53 src0_sel:BYTE_0 src1_sel:DWORD
                                        ; implicit-def: $vgpr66
	s_and_saveexec_b64 s[52:53], s[50:51]
	s_xor_b64 s[50:51], exec, s[52:53]
	s_cbranch_execz .LBB166_1111
; %bb.1102:                             ;   in Loop: Header=BB166_17 Depth=1
	v_cmp_gt_i16_sdwa s[52:53], v9, v54 src0_sel:BYTE_0 src1_sel:DWORD
                                        ; implicit-def: $vgpr66
	s_and_saveexec_b64 s[54:55], s[52:53]
	s_xor_b64 s[52:53], exec, s[54:55]
	;; [unrolled: 6-line block ×3, first 2 shown]
	s_cbranch_execz .LBB166_1105
; %bb.1104:                             ;   in Loop: Header=BB166_17 Depth=1
	flat_load_dwordx2 v[15:16], v[15:16]
	s_waitcnt vmcnt(0) lgkmcnt(0)
	v_xor_b32_e32 v67, v15, v16
	v_ffbh_i32_e32 v66, v16
	v_ashrrev_i32_e32 v67, 31, v67
	v_add_u32_e32 v66, -1, v66
	v_add_u32_e32 v67, 32, v67
	v_min_u32_e32 v66, v66, v67
	v_lshlrev_b64 v[15:16], v66, v[15:16]
	v_min_u32_e32 v15, 1, v15
	v_or_b32_e32 v15, v16, v15
	v_cvt_f32_i32_e32 v15, v15
	v_sub_u32_e32 v16, 32, v66
	v_ldexp_f32 v66, v15, v16
                                        ; implicit-def: $vgpr15_vgpr16
.LBB166_1105:                           ;   in Loop: Header=BB166_17 Depth=1
	s_andn2_saveexec_b64 s[54:55], s[54:55]
	s_cbranch_execz .LBB166_1107
; %bb.1106:                             ;   in Loop: Header=BB166_17 Depth=1
	flat_load_dword v15, v[15:16]
	s_waitcnt vmcnt(0) lgkmcnt(0)
	v_cvt_f32_i32_e32 v66, v15
.LBB166_1107:                           ;   in Loop: Header=BB166_17 Depth=1
	s_or_b64 exec, exec, s[54:55]
                                        ; implicit-def: $vgpr15_vgpr16
.LBB166_1108:                           ;   in Loop: Header=BB166_17 Depth=1
	s_andn2_saveexec_b64 s[52:53], s[52:53]
	s_cbranch_execz .LBB166_1110
; %bb.1109:                             ;   in Loop: Header=BB166_17 Depth=1
	flat_load_sshort v15, v[15:16]
	s_waitcnt vmcnt(0) lgkmcnt(0)
	v_cvt_f32_i32_e32 v66, v15
.LBB166_1110:                           ;   in Loop: Header=BB166_17 Depth=1
	s_or_b64 exec, exec, s[52:53]
                                        ; implicit-def: $vgpr15_vgpr16
.LBB166_1111:                           ;   in Loop: Header=BB166_17 Depth=1
	s_andn2_saveexec_b64 s[50:51], s[50:51]
	s_cbranch_execz .LBB166_1117
; %bb.1112:                             ;   in Loop: Header=BB166_17 Depth=1
	v_cmp_gt_i16_sdwa s[52:53], v9, v18 src0_sel:BYTE_0 src1_sel:DWORD
                                        ; implicit-def: $vgpr66
	s_and_saveexec_b64 s[54:55], s[52:53]
	s_xor_b64 s[52:53], exec, s[54:55]
	s_cbranch_execz .LBB166_1114
; %bb.1113:                             ;   in Loop: Header=BB166_17 Depth=1
	flat_load_sbyte v15, v[15:16]
	s_waitcnt vmcnt(0) lgkmcnt(0)
	v_cvt_f32_i32_e32 v66, v15
                                        ; implicit-def: $vgpr15_vgpr16
.LBB166_1114:                           ;   in Loop: Header=BB166_17 Depth=1
	s_andn2_saveexec_b64 s[52:53], s[52:53]
	s_cbranch_execz .LBB166_1116
; %bb.1115:                             ;   in Loop: Header=BB166_17 Depth=1
	flat_load_ubyte v15, v[15:16]
	s_waitcnt vmcnt(0) lgkmcnt(0)
	v_cvt_f32_ubyte0_e32 v66, v15
.LBB166_1116:                           ;   in Loop: Header=BB166_17 Depth=1
	s_or_b64 exec, exec, s[52:53]
.LBB166_1117:                           ;   in Loop: Header=BB166_17 Depth=1
	s_or_b64 exec, exec, s[50:51]
.LBB166_1118:                           ;   in Loop: Header=BB166_17 Depth=1
	s_or_b64 exec, exec, s[36:37]
	s_or_b64 vcc, vcc, exec
.LBB166_1119:                           ;   in Loop: Header=BB166_17 Depth=1
	s_or_b64 exec, exec, s[34:35]
	s_mov_b64 s[34:35], -1
	s_mov_b64 s[52:53], 0
	s_mov_b64 s[36:37], 0
	s_and_saveexec_b64 s[50:51], vcc
	s_cbranch_execz .LBB166_1125
; %bb.1120:                             ;   in Loop: Header=BB166_17 Depth=1
	v_readlane_b32 s34, v41, 0
	s_lshr_b32 s82, s32, 6
	s_add_i32 s82, s82, s34
	v_mov_b32_e32 v15, s82
	s_waitcnt vmcnt(0) lgkmcnt(0)
	buffer_store_dword v66, v15, s[0:3], 0 offen offset:76
	v_mul_lo_u32 v15, v65, v12
	v_cmp_gt_i16_sdwa s[34:35], v10, v19 src0_sel:BYTE_0 src1_sel:DWORD
                                        ; implicit-def: $vgpr65
	v_add_co_u32_e32 v15, vcc, v6, v15
	v_addc_co_u32_e32 v16, vcc, 0, v7, vcc
	s_mov_b64 vcc, 0
	s_and_saveexec_b64 s[36:37], s[34:35]
	s_xor_b64 s[34:35], exec, s[36:37]
	s_cbranch_execnz .LBB166_2782
; %bb.1121:                             ;   in Loop: Header=BB166_17 Depth=1
	s_andn2_saveexec_b64 s[34:35], s[34:35]
	s_cbranch_execnz .LBB166_2841
.LBB166_1122:                           ;   in Loop: Header=BB166_17 Depth=1
	s_or_b64 exec, exec, s[34:35]
	s_mov_b64 s[52:53], 0
	s_and_saveexec_b64 s[34:35], vcc
	s_cbranch_execz .LBB166_1124
.LBB166_1123:                           ;   in Loop: Header=BB166_17 Depth=1
	s_mov_b64 s[52:53], exec
	v_mov_b32_e32 v15, s82
	v_add_u32_e32 v64, 0x200, v64
	s_waitcnt vmcnt(0) lgkmcnt(0)
	buffer_store_dword v65, v15, s[0:3], 0 offen offset:72
.LBB166_1124:                           ;   in Loop: Header=BB166_17 Depth=1
	s_or_b64 exec, exec, s[34:35]
	s_mov_b64 s[36:37], exec
	s_xor_b64 s[34:35], exec, -1
	s_and_b64 s[52:53], s[52:53], exec
.LBB166_1125:                           ;   in Loop: Header=BB166_17 Depth=1
	s_or_b64 exec, exec, s[50:51]
	s_orn2_b64 s[50:51], s[52:53], exec
.LBB166_1126:                           ;   in Loop: Header=BB166_17 Depth=1
	s_or_b64 exec, exec, s[38:39]
	s_and_saveexec_b64 s[38:39], s[50:51]
	s_cbranch_execz .LBB166_7
; %bb.1127:                             ;   in Loop: Header=BB166_17 Depth=1
	v_cmp_lt_i32_e32 vcc, v64, v8
	s_mov_b64 s[54:55], -1
	s_mov_b64 s[64:65], -1
                                        ; implicit-def: $sgpr48_sgpr49
                                        ; implicit-def: $sgpr50_sgpr51
                                        ; kill: killed $sgpr50_sgpr51
	s_and_saveexec_b64 s[52:53], vcc
	s_cbranch_execz .LBB166_1237
; %bb.1128:                             ;   in Loop: Header=BB166_17 Depth=1
	v_readlane_b32 vcc_lo, v41, 2
	s_waitcnt vmcnt(0) lgkmcnt(0)
	v_add_u32_e32 v65, vcc_lo, v64
	v_mul_lo_u32 v15, v65, v11
	v_cmp_gt_i16_sdwa s[48:49], v9, v19 src0_sel:BYTE_0 src1_sel:DWORD
                                        ; implicit-def: $vgpr66
	v_add_co_u32_e32 v15, vcc, v4, v15
	v_addc_co_u32_e32 v16, vcc, 0, v5, vcc
	s_mov_b64 vcc, 0
	s_and_saveexec_b64 s[50:51], s[48:49]
	s_xor_b64 s[48:49], exec, s[50:51]
	s_cbranch_execz .LBB166_1188
; %bb.1129:                             ;   in Loop: Header=BB166_17 Depth=1
	v_cmp_gt_i16_sdwa vcc, v9, v20 src0_sel:BYTE_0 src1_sel:DWORD
	s_mov_b64 s[64:65], 0
                                        ; implicit-def: $vgpr66
	s_and_saveexec_b64 s[50:51], vcc
	s_xor_b64 s[50:51], exec, s[50:51]
	s_cbranch_execz .LBB166_1161
; %bb.1130:                             ;   in Loop: Header=BB166_17 Depth=1
	v_cmp_gt_i16_sdwa vcc, v9, v21 src0_sel:BYTE_0 src1_sel:DWORD
                                        ; implicit-def: $vgpr66
	s_and_saveexec_b64 s[66:67], vcc
	s_xor_b64 s[66:67], exec, s[66:67]
	s_cbranch_execz .LBB166_1146
; %bb.1131:                             ;   in Loop: Header=BB166_17 Depth=1
	v_cmp_gt_i16_sdwa s[64:65], v9, v22 src0_sel:BYTE_0 src1_sel:DWORD
	s_mov_b64 vcc, 0
                                        ; implicit-def: $vgpr66
	s_and_saveexec_b64 s[68:69], s[64:65]
	s_xor_b64 s[64:65], exec, s[68:69]
	s_cbranch_execz .LBB166_1141
; %bb.1132:                             ;   in Loop: Header=BB166_17 Depth=1
	v_cmp_gt_i16_sdwa vcc, v9, v23 src0_sel:BYTE_0 src1_sel:DWORD
	s_mov_b64 s[68:69], 0
                                        ; implicit-def: $vgpr66
	s_and_saveexec_b64 s[70:71], vcc
	s_xor_b64 vcc, exec, s[70:71]
	s_cbranch_execz .LBB166_1136
; %bb.1133:                             ;   in Loop: Header=BB166_17 Depth=1
	v_cmp_eq_u16_sdwa s[80:81], v9, v24 src0_sel:BYTE_0 src1_sel:DWORD
                                        ; implicit-def: $vgpr66
	s_and_saveexec_b64 s[70:71], s[80:81]
	s_cbranch_execz .LBB166_1135
; %bb.1134:                             ;   in Loop: Header=BB166_17 Depth=1
	flat_load_dword v15, v[15:16]
	s_mov_b64 s[68:69], exec
	s_waitcnt vmcnt(0) lgkmcnt(0)
	v_lshlrev_b32_e32 v66, 16, v15
.LBB166_1135:                           ;   in Loop: Header=BB166_17 Depth=1
	s_or_b64 exec, exec, s[70:71]
	s_and_b64 s[68:69], s[68:69], exec
                                        ; implicit-def: $vgpr15_vgpr16
.LBB166_1136:                           ;   in Loop: Header=BB166_17 Depth=1
	s_andn2_saveexec_b64 s[70:71], vcc
	s_cbranch_execz .LBB166_1140
; %bb.1137:                             ;   in Loop: Header=BB166_17 Depth=1
	v_cmp_eq_u16_sdwa s[82:83], v9, v25 src0_sel:BYTE_0 src1_sel:DWORD
	s_mov_b64 vcc, s[68:69]
                                        ; implicit-def: $vgpr66
	s_and_saveexec_b64 s[80:81], s[82:83]
	s_cbranch_execz .LBB166_1139
; %bb.1138:                             ;   in Loop: Header=BB166_17 Depth=1
	flat_load_ubyte v15, v[15:16]
	s_movk_i32 vcc_lo, 0xff
	s_waitcnt vmcnt(0) lgkmcnt(0)
	v_lshlrev_b32_e32 v16, 23, v15
	v_cmp_ne_u32_e32 vcc, vcc_lo, v15
	v_cndmask_b32_e32 v16, v26, v16, vcc
	v_cmp_ne_u32_e32 vcc, 0, v15
	v_cndmask_b32_e32 v66, v27, v16, vcc
	s_or_b64 vcc, s[68:69], exec
.LBB166_1139:                           ;   in Loop: Header=BB166_17 Depth=1
	s_or_b64 exec, exec, s[80:81]
	s_andn2_b64 s[68:69], s[68:69], exec
	s_and_b64 vcc, vcc, exec
	s_or_b64 s[68:69], s[68:69], vcc
.LBB166_1140:                           ;   in Loop: Header=BB166_17 Depth=1
	s_or_b64 exec, exec, s[70:71]
	s_and_b64 vcc, s[68:69], exec
                                        ; implicit-def: $vgpr15_vgpr16
.LBB166_1141:                           ;   in Loop: Header=BB166_17 Depth=1
	s_andn2_saveexec_b64 s[64:65], s[64:65]
	s_cbranch_execz .LBB166_1145
; %bb.1142:                             ;   in Loop: Header=BB166_17 Depth=1
	v_cmp_eq_u16_sdwa s[80:81], v9, v28 src0_sel:BYTE_0 src1_sel:DWORD
	s_mov_b64 s[70:71], vcc
                                        ; implicit-def: $vgpr66
	s_and_saveexec_b64 s[68:69], s[80:81]
	s_cbranch_execz .LBB166_1144
; %bb.1143:                             ;   in Loop: Header=BB166_17 Depth=1
	flat_load_dwordx2 v[15:16], v[15:16]
	s_or_b64 s[70:71], vcc, exec
	s_waitcnt vmcnt(0) lgkmcnt(0)
	v_ffbh_u32_e32 v66, v16
	v_min_u32_e32 v66, 32, v66
	v_lshlrev_b64 v[15:16], v66, v[15:16]
	v_min_u32_e32 v15, 1, v15
	v_or_b32_e32 v15, v16, v15
	v_cvt_f32_u32_e32 v15, v15
	v_sub_u32_e32 v16, 32, v66
	v_ldexp_f32 v66, v15, v16
.LBB166_1144:                           ;   in Loop: Header=BB166_17 Depth=1
	s_or_b64 exec, exec, s[68:69]
	s_andn2_b64 vcc, vcc, exec
	s_and_b64 s[68:69], s[70:71], exec
	s_or_b64 vcc, vcc, s[68:69]
.LBB166_1145:                           ;   in Loop: Header=BB166_17 Depth=1
	s_or_b64 exec, exec, s[64:65]
	s_and_b64 s[64:65], vcc, exec
                                        ; implicit-def: $vgpr15_vgpr16
.LBB166_1146:                           ;   in Loop: Header=BB166_17 Depth=1
	s_andn2_saveexec_b64 s[66:67], s[66:67]
	s_cbranch_execz .LBB166_1160
; %bb.1147:                             ;   in Loop: Header=BB166_17 Depth=1
	v_cmp_gt_i16_sdwa vcc, v9, v29 src0_sel:BYTE_0 src1_sel:DWORD
                                        ; implicit-def: $vgpr66
	s_and_saveexec_b64 s[68:69], vcc
	s_xor_b64 vcc, exec, s[68:69]
	s_cbranch_execz .LBB166_1153
; %bb.1148:                             ;   in Loop: Header=BB166_17 Depth=1
	v_cmp_gt_i16_sdwa s[68:69], v9, v30 src0_sel:BYTE_0 src1_sel:DWORD
                                        ; implicit-def: $vgpr66
	s_and_saveexec_b64 s[70:71], s[68:69]
	s_xor_b64 s[68:69], exec, s[70:71]
	s_cbranch_execz .LBB166_1150
; %bb.1149:                             ;   in Loop: Header=BB166_17 Depth=1
	flat_load_dword v15, v[15:16]
	s_waitcnt vmcnt(0) lgkmcnt(0)
	v_cvt_f32_u32_e32 v66, v15
                                        ; implicit-def: $vgpr15_vgpr16
.LBB166_1150:                           ;   in Loop: Header=BB166_17 Depth=1
	s_andn2_saveexec_b64 s[68:69], s[68:69]
	s_cbranch_execz .LBB166_1152
; %bb.1151:                             ;   in Loop: Header=BB166_17 Depth=1
	flat_load_ushort v15, v[15:16]
	s_waitcnt vmcnt(0) lgkmcnt(0)
	v_cvt_f32_u32_e32 v66, v15
.LBB166_1152:                           ;   in Loop: Header=BB166_17 Depth=1
	s_or_b64 exec, exec, s[68:69]
                                        ; implicit-def: $vgpr15_vgpr16
.LBB166_1153:                           ;   in Loop: Header=BB166_17 Depth=1
	s_andn2_saveexec_b64 s[68:69], vcc
	s_cbranch_execz .LBB166_1159
; %bb.1154:                             ;   in Loop: Header=BB166_17 Depth=1
	flat_load_ubyte v15, v[15:16]
	s_movk_i32 vcc_lo, 0x7f
	s_mov_b64 s[70:71], 0
	s_waitcnt vmcnt(0) lgkmcnt(0)
	v_cmp_lt_i16_e32 vcc, vcc_lo, v15
	s_and_saveexec_b64 s[80:81], vcc
	s_xor_b64 s[80:81], exec, s[80:81]
	s_cbranch_execnz .LBB166_3242
; %bb.1155:                             ;   in Loop: Header=BB166_17 Depth=1
	s_or_saveexec_b64 s[80:81], s[80:81]
	v_mov_b32_e32 v66, 0x7f800001
	s_xor_b64 exec, exec, s[80:81]
	s_cbranch_execnz .LBB166_3245
.LBB166_1156:                           ;   in Loop: Header=BB166_17 Depth=1
	s_or_b64 exec, exec, s[80:81]
	s_and_saveexec_b64 s[80:81], s[70:71]
	s_cbranch_execz .LBB166_1158
.LBB166_1157:                           ;   in Loop: Header=BB166_17 Depth=1
	v_lshlrev_b32_e32 v16, 24, v15
	v_and_b32_e32 v15, 0xffff, v15
	v_and_b32_e32 v66, 7, v15
	v_ffbh_u32_e32 v68, v66
	v_min_u32_e32 v68, 32, v68
	v_subrev_u32_e32 v69, 28, v68
	v_bfe_u32 v67, v15, 3, 4
	v_lshlrev_b32_e32 v15, v69, v15
	v_sub_u32_e32 v68, 29, v68
	v_and_b32_e32 v15, 7, v15
	v_cmp_eq_u32_e32 vcc, 0, v67
	v_cndmask_b32_e32 v67, v67, v68, vcc
	v_cndmask_b32_e32 v15, v66, v15, vcc
	v_lshlrev_b32_e32 v15, 20, v15
	v_and_b32_e32 v16, 0x80000000, v16
	v_lshl_add_u32 v66, v67, 23, v31
	v_or3_b32 v66, v16, v66, v15
.LBB166_1158:                           ;   in Loop: Header=BB166_17 Depth=1
	s_or_b64 exec, exec, s[80:81]
.LBB166_1159:                           ;   in Loop: Header=BB166_17 Depth=1
	s_or_b64 exec, exec, s[68:69]
	s_or_b64 s[64:65], s[64:65], exec
.LBB166_1160:                           ;   in Loop: Header=BB166_17 Depth=1
	s_or_b64 exec, exec, s[66:67]
	s_and_b64 s[64:65], s[64:65], exec
                                        ; implicit-def: $vgpr15_vgpr16
.LBB166_1161:                           ;   in Loop: Header=BB166_17 Depth=1
	s_andn2_saveexec_b64 s[50:51], s[50:51]
	s_cbranch_execz .LBB166_1187
; %bb.1162:                             ;   in Loop: Header=BB166_17 Depth=1
	v_cmp_gt_i16_sdwa vcc, v9, v32 src0_sel:BYTE_0 src1_sel:DWORD
	s_mov_b64 s[68:69], s[64:65]
                                        ; implicit-def: $vgpr66
	s_and_saveexec_b64 s[66:67], vcc
	s_xor_b64 s[66:67], exec, s[66:67]
	s_cbranch_execz .LBB166_1176
; %bb.1163:                             ;   in Loop: Header=BB166_17 Depth=1
	v_cmp_gt_i16_sdwa vcc, v9, v33 src0_sel:BYTE_0 src1_sel:DWORD
                                        ; implicit-def: $vgpr66
	s_and_saveexec_b64 s[68:69], vcc
	s_xor_b64 s[68:69], exec, s[68:69]
	s_cbranch_execz .LBB166_1173
; %bb.1164:                             ;   in Loop: Header=BB166_17 Depth=1
	v_cmp_gt_i16_sdwa vcc, v9, v34 src0_sel:BYTE_0 src1_sel:DWORD
                                        ; implicit-def: $vgpr66
	s_and_saveexec_b64 s[70:71], vcc
	s_xor_b64 s[70:71], exec, s[70:71]
	s_cbranch_execz .LBB166_1170
; %bb.1165:                             ;   in Loop: Header=BB166_17 Depth=1
	flat_load_ubyte v15, v[15:16]
	s_movk_i32 vcc_lo, 0x7f
	s_mov_b64 s[80:81], 0
	s_waitcnt vmcnt(0) lgkmcnt(0)
	v_cmp_lt_i16_e32 vcc, vcc_lo, v15
	s_and_saveexec_b64 s[82:83], vcc
	s_xor_b64 s[82:83], exec, s[82:83]
	s_cbranch_execnz .LBB166_3354
; %bb.1166:                             ;   in Loop: Header=BB166_17 Depth=1
	s_or_saveexec_b64 s[82:83], s[82:83]
	v_mov_b32_e32 v66, 0x7f800001
	s_xor_b64 exec, exec, s[82:83]
	s_cbranch_execnz .LBB166_3357
.LBB166_1167:                           ;   in Loop: Header=BB166_17 Depth=1
	s_or_b64 exec, exec, s[82:83]
	s_and_saveexec_b64 s[82:83], s[80:81]
	s_cbranch_execz .LBB166_1169
.LBB166_1168:                           ;   in Loop: Header=BB166_17 Depth=1
	v_lshlrev_b32_e32 v16, 24, v15
	v_and_b32_e32 v15, 0xffff, v15
	v_and_b32_e32 v66, 3, v15
	v_ffbh_u32_e32 v68, v66
	v_min_u32_e32 v68, 32, v68
	v_subrev_u32_e32 v69, 29, v68
	v_bfe_u32 v67, v15, 2, 5
	v_lshlrev_b32_e32 v15, v69, v15
	v_sub_u32_e32 v68, 30, v68
	v_and_b32_e32 v15, 3, v15
	v_cmp_eq_u32_e32 vcc, 0, v67
	v_cndmask_b32_e32 v67, v67, v68, vcc
	v_cndmask_b32_e32 v15, v66, v15, vcc
	v_lshlrev_b32_e32 v15, 21, v15
	v_and_b32_e32 v16, 0x80000000, v16
	v_lshl_add_u32 v66, v67, 23, v35
	v_or3_b32 v66, v16, v66, v15
.LBB166_1169:                           ;   in Loop: Header=BB166_17 Depth=1
	s_or_b64 exec, exec, s[82:83]
                                        ; implicit-def: $vgpr15_vgpr16
.LBB166_1170:                           ;   in Loop: Header=BB166_17 Depth=1
	s_andn2_saveexec_b64 s[70:71], s[70:71]
	s_cbranch_execz .LBB166_1172
; %bb.1171:                             ;   in Loop: Header=BB166_17 Depth=1
	flat_load_ubyte v15, v[15:16]
	s_mov_b32 vcc_lo, 0x7f800000
	s_waitcnt vmcnt(0) lgkmcnt(0)
	v_lshlrev_b32_e32 v15, 24, v15
	v_and_b32_e32 v16, 0x7f000000, v15
	v_ffbh_u32_e32 v66, v16
	v_min_u32_e32 v66, 32, v66
	v_sub_u32_e64 v66, v66, 4 clamp
	v_lshlrev_b32_e32 v68, v66, v16
	v_lshlrev_b32_e32 v66, 23, v66
	v_lshrrev_b32_e32 v68, 4, v68
	v_add_u32_e32 v67, 0x1000000, v16
	v_sub_u32_e32 v66, v68, v66
	v_ashrrev_i32_e32 v67, 8, v67
	v_add_u32_e32 v66, 0x3c000000, v66
	v_and_or_b32 v66, v67, vcc_lo, v66
	v_cmp_ne_u32_e32 vcc, 0, v16
	v_cndmask_b32_e32 v16, 0, v66, vcc
	s_brev_b32 vcc_lo, 1
	v_and_or_b32 v66, v15, vcc_lo, v16
.LBB166_1172:                           ;   in Loop: Header=BB166_17 Depth=1
	s_or_b64 exec, exec, s[70:71]
                                        ; implicit-def: $vgpr15_vgpr16
.LBB166_1173:                           ;   in Loop: Header=BB166_17 Depth=1
	s_andn2_saveexec_b64 s[68:69], s[68:69]
	s_cbranch_execz .LBB166_1175
; %bb.1174:                             ;   in Loop: Header=BB166_17 Depth=1
	flat_load_ubyte v15, v[15:16]
	s_movk_i32 vcc_lo, 0x7f00
	s_waitcnt vmcnt(0) lgkmcnt(0)
	v_lshlrev_b16_e32 v16, 8, v15
	v_lshlrev_b32_e32 v15, 25, v15
	v_lshrrev_b32_e32 v66, 4, v15
	v_and_or_b32 v67, v16, vcc_lo, 0.5
	v_or_b32_e32 v66, 0x70000000, v66
	s_brev_b32 vcc_lo, 16
	v_add_f32_e32 v67, -0.5, v67
	v_mul_f32_e32 v66, 0x7800000, v66
	v_cmp_gt_u32_e32 vcc, vcc_lo, v15
	v_cndmask_b32_e32 v15, v66, v67, vcc
	v_bfe_i32 v16, v16, 0, 16
	s_brev_b32 vcc_lo, 1
	v_and_or_b32 v66, v16, vcc_lo, v15
.LBB166_1175:                           ;   in Loop: Header=BB166_17 Depth=1
	s_or_b64 exec, exec, s[68:69]
	s_or_b64 s[68:69], s[64:65], exec
                                        ; implicit-def: $vgpr15_vgpr16
.LBB166_1176:                           ;   in Loop: Header=BB166_17 Depth=1
	s_andn2_saveexec_b64 s[66:67], s[66:67]
	s_cbranch_execz .LBB166_1186
; %bb.1177:                             ;   in Loop: Header=BB166_17 Depth=1
	v_cmp_gt_i16_sdwa vcc, v9, v36 src0_sel:BYTE_0 src1_sel:DWORD
	s_mov_b64 s[70:71], s[68:69]
                                        ; implicit-def: $vgpr66
	s_and_saveexec_b64 s[80:81], vcc
	s_xor_b64 vcc, exec, s[80:81]
	s_cbranch_execz .LBB166_1181
; %bb.1178:                             ;   in Loop: Header=BB166_17 Depth=1
	v_cmp_eq_u16_sdwa s[82:83], v9, v37 src0_sel:BYTE_0 src1_sel:DWORD
	s_mov_b64 s[70:71], s[68:69]
                                        ; implicit-def: $vgpr66
	s_and_saveexec_b64 s[80:81], s[82:83]
	s_cbranch_execz .LBB166_1180
; %bb.1179:                             ;   in Loop: Header=BB166_17 Depth=1
	flat_load_ushort v15, v[15:16]
	s_or_b64 s[70:71], s[68:69], exec
	s_waitcnt vmcnt(0) lgkmcnt(0)
	v_lshlrev_b32_e32 v66, 16, v15
.LBB166_1180:                           ;   in Loop: Header=BB166_17 Depth=1
	s_or_b64 exec, exec, s[80:81]
	s_andn2_b64 s[80:81], s[68:69], exec
	s_and_b64 s[70:71], s[70:71], exec
	s_or_b64 s[70:71], s[80:81], s[70:71]
                                        ; implicit-def: $vgpr15_vgpr16
.LBB166_1181:                           ;   in Loop: Header=BB166_17 Depth=1
	s_andn2_saveexec_b64 s[80:81], vcc
	s_cbranch_execz .LBB166_1185
; %bb.1182:                             ;   in Loop: Header=BB166_17 Depth=1
	v_cmp_eq_u16_sdwa s[84:85], v9, v38 src0_sel:BYTE_0 src1_sel:DWORD
	s_mov_b64 vcc, s[70:71]
                                        ; implicit-def: $vgpr66
	s_and_saveexec_b64 s[82:83], s[84:85]
	s_cbranch_execz .LBB166_1184
; %bb.1183:                             ;   in Loop: Header=BB166_17 Depth=1
	flat_load_ubyte v15, v[15:16]
	s_waitcnt vmcnt(0) lgkmcnt(0)
	v_cmp_ne_u16_e32 vcc, 0, v15
	v_cndmask_b32_e64 v66, 0, 1.0, vcc
	s_or_b64 vcc, s[70:71], exec
.LBB166_1184:                           ;   in Loop: Header=BB166_17 Depth=1
	s_or_b64 exec, exec, s[82:83]
	s_andn2_b64 s[70:71], s[70:71], exec
	s_and_b64 vcc, vcc, exec
	s_or_b64 s[70:71], s[70:71], vcc
.LBB166_1185:                           ;   in Loop: Header=BB166_17 Depth=1
	s_or_b64 exec, exec, s[80:81]
	s_andn2_b64 vcc, s[68:69], exec
	s_and_b64 s[68:69], s[70:71], exec
	s_or_b64 s[68:69], vcc, s[68:69]
.LBB166_1186:                           ;   in Loop: Header=BB166_17 Depth=1
	s_or_b64 exec, exec, s[66:67]
	s_andn2_b64 vcc, s[64:65], exec
	s_and_b64 s[64:65], s[68:69], exec
	s_or_b64 s[64:65], vcc, s[64:65]
.LBB166_1187:                           ;   in Loop: Header=BB166_17 Depth=1
	s_or_b64 exec, exec, s[50:51]
	s_and_b64 vcc, s[64:65], exec
                                        ; implicit-def: $vgpr15_vgpr16
.LBB166_1188:                           ;   in Loop: Header=BB166_17 Depth=1
	s_andn2_saveexec_b64 s[48:49], s[48:49]
	s_cbranch_execz .LBB166_1230
; %bb.1189:                             ;   in Loop: Header=BB166_17 Depth=1
	v_cmp_gt_i16_sdwa s[50:51], v9, v39 src0_sel:BYTE_0 src1_sel:DWORD
                                        ; implicit-def: $vgpr66
	s_and_saveexec_b64 s[64:65], s[50:51]
	s_xor_b64 s[50:51], exec, s[64:65]
	s_cbranch_execz .LBB166_1211
; %bb.1190:                             ;   in Loop: Header=BB166_17 Depth=1
	v_cmp_gt_i16_sdwa s[64:65], v9, v48 src0_sel:BYTE_0 src1_sel:DWORD
                                        ; implicit-def: $vgpr66
	s_and_saveexec_b64 s[66:67], s[64:65]
	s_xor_b64 s[64:65], exec, s[66:67]
	;; [unrolled: 6-line block ×4, first 2 shown]
	s_cbranch_execz .LBB166_1194
; %bb.1193:                             ;   in Loop: Header=BB166_17 Depth=1
	flat_load_dwordx2 v[15:16], v[15:16]
	s_waitcnt vmcnt(0) lgkmcnt(0)
	v_cvt_f32_f64_e32 v66, v[15:16]
                                        ; implicit-def: $vgpr15_vgpr16
.LBB166_1194:                           ;   in Loop: Header=BB166_17 Depth=1
	s_andn2_saveexec_b64 s[68:69], s[68:69]
	s_cbranch_execz .LBB166_1196
; %bb.1195:                             ;   in Loop: Header=BB166_17 Depth=1
	flat_load_dword v66, v[15:16]
.LBB166_1196:                           ;   in Loop: Header=BB166_17 Depth=1
	s_or_b64 exec, exec, s[68:69]
                                        ; implicit-def: $vgpr15_vgpr16
.LBB166_1197:                           ;   in Loop: Header=BB166_17 Depth=1
	s_andn2_saveexec_b64 s[66:67], s[66:67]
	s_cbranch_execz .LBB166_1199
; %bb.1198:                             ;   in Loop: Header=BB166_17 Depth=1
	flat_load_dword v15, v[15:16]
	s_waitcnt vmcnt(0) lgkmcnt(0)
	v_cvt_f32_f16_e32 v66, v15
.LBB166_1199:                           ;   in Loop: Header=BB166_17 Depth=1
	s_or_b64 exec, exec, s[66:67]
                                        ; implicit-def: $vgpr15_vgpr16
.LBB166_1200:                           ;   in Loop: Header=BB166_17 Depth=1
	s_andn2_saveexec_b64 s[64:65], s[64:65]
	s_cbranch_execz .LBB166_1210
; %bb.1201:                             ;   in Loop: Header=BB166_17 Depth=1
	v_cmp_gt_i16_sdwa s[66:67], v9, v51 src0_sel:BYTE_0 src1_sel:DWORD
                                        ; implicit-def: $vgpr66
	s_and_saveexec_b64 s[68:69], s[66:67]
	s_xor_b64 s[66:67], exec, s[68:69]
	s_cbranch_execz .LBB166_1207
; %bb.1202:                             ;   in Loop: Header=BB166_17 Depth=1
	v_cmp_gt_i16_sdwa s[68:69], v9, v52 src0_sel:BYTE_0 src1_sel:DWORD
                                        ; implicit-def: $vgpr66
	s_and_saveexec_b64 s[70:71], s[68:69]
	s_xor_b64 s[68:69], exec, s[70:71]
	s_cbranch_execz .LBB166_1204
; %bb.1203:                             ;   in Loop: Header=BB166_17 Depth=1
	flat_load_dwordx2 v[15:16], v[15:16]
	s_waitcnt vmcnt(0) lgkmcnt(0)
	v_cvt_f32_f64_e32 v66, v[15:16]
                                        ; implicit-def: $vgpr15_vgpr16
.LBB166_1204:                           ;   in Loop: Header=BB166_17 Depth=1
	s_andn2_saveexec_b64 s[68:69], s[68:69]
	s_cbranch_execz .LBB166_1206
; %bb.1205:                             ;   in Loop: Header=BB166_17 Depth=1
	s_waitcnt vmcnt(0) lgkmcnt(0)
	flat_load_dword v66, v[15:16]
.LBB166_1206:                           ;   in Loop: Header=BB166_17 Depth=1
	s_or_b64 exec, exec, s[68:69]
                                        ; implicit-def: $vgpr15_vgpr16
.LBB166_1207:                           ;   in Loop: Header=BB166_17 Depth=1
	s_andn2_saveexec_b64 s[66:67], s[66:67]
	s_cbranch_execz .LBB166_1209
; %bb.1208:                             ;   in Loop: Header=BB166_17 Depth=1
	flat_load_ushort v15, v[15:16]
	s_waitcnt vmcnt(0) lgkmcnt(0)
	v_cvt_f32_f16_e32 v66, v15
.LBB166_1209:                           ;   in Loop: Header=BB166_17 Depth=1
	s_or_b64 exec, exec, s[66:67]
.LBB166_1210:                           ;   in Loop: Header=BB166_17 Depth=1
	s_or_b64 exec, exec, s[64:65]
                                        ; implicit-def: $vgpr15_vgpr16
.LBB166_1211:                           ;   in Loop: Header=BB166_17 Depth=1
	s_andn2_saveexec_b64 s[50:51], s[50:51]
	s_cbranch_execz .LBB166_1229
; %bb.1212:                             ;   in Loop: Header=BB166_17 Depth=1
	v_cmp_gt_i16_sdwa s[64:65], v9, v53 src0_sel:BYTE_0 src1_sel:DWORD
                                        ; implicit-def: $vgpr66
	s_and_saveexec_b64 s[66:67], s[64:65]
	s_xor_b64 s[64:65], exec, s[66:67]
	s_cbranch_execz .LBB166_1222
; %bb.1213:                             ;   in Loop: Header=BB166_17 Depth=1
	v_cmp_gt_i16_sdwa s[66:67], v9, v54 src0_sel:BYTE_0 src1_sel:DWORD
                                        ; implicit-def: $vgpr66
	s_and_saveexec_b64 s[68:69], s[66:67]
	s_xor_b64 s[66:67], exec, s[68:69]
	;; [unrolled: 6-line block ×3, first 2 shown]
	s_cbranch_execz .LBB166_1216
; %bb.1215:                             ;   in Loop: Header=BB166_17 Depth=1
	flat_load_dwordx2 v[15:16], v[15:16]
	s_waitcnt vmcnt(0) lgkmcnt(0)
	v_xor_b32_e32 v67, v15, v16
	v_ffbh_i32_e32 v66, v16
	v_ashrrev_i32_e32 v67, 31, v67
	v_add_u32_e32 v66, -1, v66
	v_add_u32_e32 v67, 32, v67
	v_min_u32_e32 v66, v66, v67
	v_lshlrev_b64 v[15:16], v66, v[15:16]
	v_min_u32_e32 v15, 1, v15
	v_or_b32_e32 v15, v16, v15
	v_cvt_f32_i32_e32 v15, v15
	v_sub_u32_e32 v16, 32, v66
	v_ldexp_f32 v66, v15, v16
                                        ; implicit-def: $vgpr15_vgpr16
.LBB166_1216:                           ;   in Loop: Header=BB166_17 Depth=1
	s_andn2_saveexec_b64 s[68:69], s[68:69]
	s_cbranch_execz .LBB166_1218
; %bb.1217:                             ;   in Loop: Header=BB166_17 Depth=1
	flat_load_dword v15, v[15:16]
	s_waitcnt vmcnt(0) lgkmcnt(0)
	v_cvt_f32_i32_e32 v66, v15
.LBB166_1218:                           ;   in Loop: Header=BB166_17 Depth=1
	s_or_b64 exec, exec, s[68:69]
                                        ; implicit-def: $vgpr15_vgpr16
.LBB166_1219:                           ;   in Loop: Header=BB166_17 Depth=1
	s_andn2_saveexec_b64 s[66:67], s[66:67]
	s_cbranch_execz .LBB166_1221
; %bb.1220:                             ;   in Loop: Header=BB166_17 Depth=1
	flat_load_sshort v15, v[15:16]
	s_waitcnt vmcnt(0) lgkmcnt(0)
	v_cvt_f32_i32_e32 v66, v15
.LBB166_1221:                           ;   in Loop: Header=BB166_17 Depth=1
	s_or_b64 exec, exec, s[66:67]
                                        ; implicit-def: $vgpr15_vgpr16
.LBB166_1222:                           ;   in Loop: Header=BB166_17 Depth=1
	s_andn2_saveexec_b64 s[64:65], s[64:65]
	s_cbranch_execz .LBB166_1228
; %bb.1223:                             ;   in Loop: Header=BB166_17 Depth=1
	v_cmp_gt_i16_sdwa s[66:67], v9, v18 src0_sel:BYTE_0 src1_sel:DWORD
                                        ; implicit-def: $vgpr66
	s_and_saveexec_b64 s[68:69], s[66:67]
	s_xor_b64 s[66:67], exec, s[68:69]
	s_cbranch_execz .LBB166_1225
; %bb.1224:                             ;   in Loop: Header=BB166_17 Depth=1
	flat_load_sbyte v15, v[15:16]
	s_waitcnt vmcnt(0) lgkmcnt(0)
	v_cvt_f32_i32_e32 v66, v15
                                        ; implicit-def: $vgpr15_vgpr16
.LBB166_1225:                           ;   in Loop: Header=BB166_17 Depth=1
	s_andn2_saveexec_b64 s[66:67], s[66:67]
	s_cbranch_execz .LBB166_1227
; %bb.1226:                             ;   in Loop: Header=BB166_17 Depth=1
	flat_load_ubyte v15, v[15:16]
	s_waitcnt vmcnt(0) lgkmcnt(0)
	v_cvt_f32_ubyte0_e32 v66, v15
.LBB166_1227:                           ;   in Loop: Header=BB166_17 Depth=1
	s_or_b64 exec, exec, s[66:67]
.LBB166_1228:                           ;   in Loop: Header=BB166_17 Depth=1
	s_or_b64 exec, exec, s[64:65]
.LBB166_1229:                           ;   in Loop: Header=BB166_17 Depth=1
	s_or_b64 exec, exec, s[50:51]
	s_or_b64 vcc, vcc, exec
.LBB166_1230:                           ;   in Loop: Header=BB166_17 Depth=1
	s_or_b64 exec, exec, s[48:49]
	s_mov_b64 s[50:51], 0
	s_mov_b64 s[48:49], -1
	s_mov_b64 s[66:67], 0
	v_writelane_b32 v41, s50, 4
	v_writelane_b32 v41, s51, 5
	s_and_saveexec_b64 s[64:65], vcc
	s_cbranch_execz .LBB166_1236
; %bb.1231:                             ;   in Loop: Header=BB166_17 Depth=1
	v_readlane_b32 s48, v41, 0
	s_lshr_b32 s96, s32, 6
	s_add_i32 s96, s96, s48
	v_mov_b32_e32 v15, s96
	s_waitcnt vmcnt(0) lgkmcnt(0)
	buffer_store_dword v66, v15, s[0:3], 0 offen offset:84
	v_mul_lo_u32 v15, v65, v12
	v_cmp_gt_i16_sdwa s[48:49], v10, v19 src0_sel:BYTE_0 src1_sel:DWORD
                                        ; implicit-def: $vgpr65
	v_add_co_u32_e32 v15, vcc, v6, v15
	v_addc_co_u32_e32 v16, vcc, 0, v7, vcc
	s_mov_b64 vcc, 0
	s_and_saveexec_b64 s[50:51], s[48:49]
	s_xor_b64 s[48:49], exec, s[50:51]
	s_cbranch_execnz .LBB166_2898
; %bb.1232:                             ;   in Loop: Header=BB166_17 Depth=1
	s_andn2_saveexec_b64 s[48:49], s[48:49]
	s_cbranch_execnz .LBB166_2957
.LBB166_1233:                           ;   in Loop: Header=BB166_17 Depth=1
	s_or_b64 exec, exec, s[48:49]
	s_mov_b64 s[66:67], 0
	s_and_saveexec_b64 s[48:49], vcc
	s_cbranch_execz .LBB166_1235
.LBB166_1234:                           ;   in Loop: Header=BB166_17 Depth=1
	s_mov_b64 s[66:67], exec
	v_mov_b32_e32 v15, s96
	v_add_u32_e32 v64, 0x200, v64
	s_waitcnt vmcnt(0) lgkmcnt(0)
	buffer_store_dword v65, v15, s[0:3], 0 offen offset:80
.LBB166_1235:                           ;   in Loop: Header=BB166_17 Depth=1
	s_or_b64 exec, exec, s[48:49]
	s_mov_b64 vcc, exec
	v_writelane_b32 v41, vcc_lo, 4
	s_xor_b64 s[48:49], exec, -1
	s_and_b64 s[66:67], s[66:67], exec
	v_writelane_b32 v41, vcc_hi, 5
.LBB166_1236:                           ;   in Loop: Header=BB166_17 Depth=1
	s_or_b64 exec, exec, s[64:65]
	s_orn2_b64 s[64:65], s[66:67], exec
.LBB166_1237:                           ;   in Loop: Header=BB166_17 Depth=1
	s_or_b64 exec, exec, s[52:53]
	s_and_saveexec_b64 s[52:53], s[64:65]
	s_cbranch_execz .LBB166_6
; %bb.1238:                             ;   in Loop: Header=BB166_17 Depth=1
	v_writelane_b32 v41, s48, 6
	v_cmp_lt_i32_e32 vcc, v64, v8
	s_mov_b64 s[68:69], -1
	v_writelane_b32 v41, s49, 7
                                        ; implicit-def: $sgpr50_sgpr51
                                        ; implicit-def: $sgpr48_sgpr49
                                        ; kill: killed $sgpr48_sgpr49
	s_and_saveexec_b64 s[66:67], vcc
	s_cbranch_execz .LBB166_1348
; %bb.1239:                             ;   in Loop: Header=BB166_17 Depth=1
	v_readlane_b32 vcc_lo, v41, 2
	s_waitcnt vmcnt(0) lgkmcnt(0)
	v_add_u32_e32 v65, vcc_lo, v64
	v_mul_lo_u32 v15, v65, v11
	v_cmp_gt_i16_sdwa s[48:49], v9, v19 src0_sel:BYTE_0 src1_sel:DWORD
                                        ; implicit-def: $vgpr66
	v_add_co_u32_e32 v15, vcc, v4, v15
	v_addc_co_u32_e32 v16, vcc, 0, v5, vcc
	s_mov_b64 vcc, 0
	s_and_saveexec_b64 s[50:51], s[48:49]
	s_xor_b64 s[54:55], exec, s[50:51]
	s_cbranch_execz .LBB166_1299
; %bb.1240:                             ;   in Loop: Header=BB166_17 Depth=1
	v_cmp_gt_i16_sdwa vcc, v9, v20 src0_sel:BYTE_0 src1_sel:DWORD
	s_mov_b64 s[70:71], 0
                                        ; implicit-def: $vgpr66
	s_and_saveexec_b64 s[48:49], vcc
	s_xor_b64 s[64:65], exec, s[48:49]
	s_cbranch_execz .LBB166_1272
; %bb.1241:                             ;   in Loop: Header=BB166_17 Depth=1
	v_cmp_gt_i16_sdwa vcc, v9, v21 src0_sel:BYTE_0 src1_sel:DWORD
                                        ; implicit-def: $vgpr66
	s_and_saveexec_b64 s[48:49], vcc
	s_xor_b64 s[80:81], exec, s[48:49]
	s_cbranch_execz .LBB166_1257
; %bb.1242:                             ;   in Loop: Header=BB166_17 Depth=1
	v_cmp_gt_i16_sdwa s[48:49], v9, v22 src0_sel:BYTE_0 src1_sel:DWORD
	s_mov_b64 vcc, 0
                                        ; implicit-def: $vgpr66
	s_and_saveexec_b64 s[50:51], s[48:49]
	s_xor_b64 s[70:71], exec, s[50:51]
	s_cbranch_execz .LBB166_1252
; %bb.1243:                             ;   in Loop: Header=BB166_17 Depth=1
	v_cmp_gt_i16_sdwa vcc, v9, v23 src0_sel:BYTE_0 src1_sel:DWORD
	s_mov_b64 s[82:83], 0
                                        ; implicit-def: $vgpr66
	s_and_saveexec_b64 s[48:49], vcc
	s_xor_b64 vcc, exec, s[48:49]
	s_cbranch_execz .LBB166_1247
; %bb.1244:                             ;   in Loop: Header=BB166_17 Depth=1
	v_cmp_eq_u16_sdwa s[48:49], v9, v24 src0_sel:BYTE_0 src1_sel:DWORD
                                        ; implicit-def: $vgpr66
	s_and_saveexec_b64 s[84:85], s[48:49]
	s_cbranch_execz .LBB166_1246
; %bb.1245:                             ;   in Loop: Header=BB166_17 Depth=1
	flat_load_dword v15, v[15:16]
	s_mov_b64 s[82:83], exec
	s_waitcnt vmcnt(0) lgkmcnt(0)
	v_lshlrev_b32_e32 v66, 16, v15
.LBB166_1246:                           ;   in Loop: Header=BB166_17 Depth=1
	s_or_b64 exec, exec, s[84:85]
	s_and_b64 s[82:83], s[82:83], exec
                                        ; implicit-def: $vgpr15_vgpr16
.LBB166_1247:                           ;   in Loop: Header=BB166_17 Depth=1
	s_andn2_saveexec_b64 s[84:85], vcc
	s_cbranch_execz .LBB166_1251
; %bb.1248:                             ;   in Loop: Header=BB166_17 Depth=1
	v_cmp_eq_u16_sdwa s[48:49], v9, v25 src0_sel:BYTE_0 src1_sel:DWORD
	s_mov_b64 vcc, s[82:83]
                                        ; implicit-def: $vgpr66
	s_and_saveexec_b64 s[86:87], s[48:49]
	s_cbranch_execz .LBB166_1250
; %bb.1249:                             ;   in Loop: Header=BB166_17 Depth=1
	flat_load_ubyte v15, v[15:16]
	s_movk_i32 vcc_lo, 0xff
	s_waitcnt vmcnt(0) lgkmcnt(0)
	v_lshlrev_b32_e32 v16, 23, v15
	v_cmp_ne_u32_e32 vcc, vcc_lo, v15
	v_cndmask_b32_e32 v16, v26, v16, vcc
	v_cmp_ne_u32_e32 vcc, 0, v15
	v_cndmask_b32_e32 v66, v27, v16, vcc
	s_or_b64 vcc, s[82:83], exec
.LBB166_1250:                           ;   in Loop: Header=BB166_17 Depth=1
	s_or_b64 exec, exec, s[86:87]
	s_andn2_b64 s[48:49], s[82:83], exec
	s_and_b64 vcc, vcc, exec
	s_or_b64 s[82:83], s[48:49], vcc
.LBB166_1251:                           ;   in Loop: Header=BB166_17 Depth=1
	s_or_b64 exec, exec, s[84:85]
	s_and_b64 vcc, s[82:83], exec
                                        ; implicit-def: $vgpr15_vgpr16
.LBB166_1252:                           ;   in Loop: Header=BB166_17 Depth=1
	s_andn2_saveexec_b64 s[70:71], s[70:71]
	s_cbranch_execz .LBB166_1256
; %bb.1253:                             ;   in Loop: Header=BB166_17 Depth=1
	v_cmp_eq_u16_sdwa s[48:49], v9, v28 src0_sel:BYTE_0 src1_sel:DWORD
	s_mov_b64 s[84:85], vcc
                                        ; implicit-def: $vgpr66
	s_and_saveexec_b64 s[82:83], s[48:49]
	s_cbranch_execz .LBB166_1255
; %bb.1254:                             ;   in Loop: Header=BB166_17 Depth=1
	flat_load_dwordx2 v[15:16], v[15:16]
	s_or_b64 s[84:85], vcc, exec
	s_waitcnt vmcnt(0) lgkmcnt(0)
	v_ffbh_u32_e32 v66, v16
	v_min_u32_e32 v66, 32, v66
	v_lshlrev_b64 v[15:16], v66, v[15:16]
	v_min_u32_e32 v15, 1, v15
	v_or_b32_e32 v15, v16, v15
	v_cvt_f32_u32_e32 v15, v15
	v_sub_u32_e32 v16, 32, v66
	v_ldexp_f32 v66, v15, v16
.LBB166_1255:                           ;   in Loop: Header=BB166_17 Depth=1
	s_or_b64 exec, exec, s[82:83]
	s_andn2_b64 vcc, vcc, exec
	s_and_b64 s[48:49], s[84:85], exec
	s_or_b64 vcc, vcc, s[48:49]
.LBB166_1256:                           ;   in Loop: Header=BB166_17 Depth=1
	s_or_b64 exec, exec, s[70:71]
	s_and_b64 s[70:71], vcc, exec
                                        ; implicit-def: $vgpr15_vgpr16
.LBB166_1257:                           ;   in Loop: Header=BB166_17 Depth=1
	s_andn2_saveexec_b64 s[80:81], s[80:81]
	s_cbranch_execz .LBB166_1271
; %bb.1258:                             ;   in Loop: Header=BB166_17 Depth=1
	v_cmp_gt_i16_sdwa vcc, v9, v29 src0_sel:BYTE_0 src1_sel:DWORD
                                        ; implicit-def: $vgpr66
	s_and_saveexec_b64 s[48:49], vcc
	s_xor_b64 vcc, exec, s[48:49]
	s_cbranch_execz .LBB166_1264
; %bb.1259:                             ;   in Loop: Header=BB166_17 Depth=1
	v_cmp_gt_i16_sdwa s[48:49], v9, v30 src0_sel:BYTE_0 src1_sel:DWORD
                                        ; implicit-def: $vgpr66
	s_and_saveexec_b64 s[50:51], s[48:49]
	s_xor_b64 s[48:49], exec, s[50:51]
	s_cbranch_execz .LBB166_1261
; %bb.1260:                             ;   in Loop: Header=BB166_17 Depth=1
	flat_load_dword v15, v[15:16]
	s_waitcnt vmcnt(0) lgkmcnt(0)
	v_cvt_f32_u32_e32 v66, v15
                                        ; implicit-def: $vgpr15_vgpr16
.LBB166_1261:                           ;   in Loop: Header=BB166_17 Depth=1
	s_andn2_saveexec_b64 s[82:83], s[48:49]
	s_cbranch_execz .LBB166_1263
; %bb.1262:                             ;   in Loop: Header=BB166_17 Depth=1
	flat_load_ushort v15, v[15:16]
	s_waitcnt vmcnt(0) lgkmcnt(0)
	v_cvt_f32_u32_e32 v66, v15
.LBB166_1263:                           ;   in Loop: Header=BB166_17 Depth=1
	s_or_b64 exec, exec, s[82:83]
                                        ; implicit-def: $vgpr15_vgpr16
.LBB166_1264:                           ;   in Loop: Header=BB166_17 Depth=1
	s_andn2_saveexec_b64 s[82:83], vcc
	s_cbranch_execz .LBB166_1270
; %bb.1265:                             ;   in Loop: Header=BB166_17 Depth=1
	flat_load_ubyte v15, v[15:16]
	s_movk_i32 vcc_lo, 0x7f
	s_mov_b64 s[84:85], 0
	s_waitcnt vmcnt(0) lgkmcnt(0)
	v_cmp_lt_i16_e32 vcc, vcc_lo, v15
	s_and_saveexec_b64 s[48:49], vcc
	s_xor_b64 s[86:87], exec, s[48:49]
	s_cbranch_execnz .LBB166_3358
; %bb.1266:                             ;   in Loop: Header=BB166_17 Depth=1
	s_or_saveexec_b64 s[86:87], s[86:87]
	v_mov_b32_e32 v66, 0x7f800001
	s_xor_b64 exec, exec, s[86:87]
	s_cbranch_execnz .LBB166_3361
.LBB166_1267:                           ;   in Loop: Header=BB166_17 Depth=1
	s_or_b64 exec, exec, s[86:87]
	s_and_saveexec_b64 s[86:87], s[84:85]
	s_cbranch_execz .LBB166_1269
.LBB166_1268:                           ;   in Loop: Header=BB166_17 Depth=1
	v_lshlrev_b32_e32 v16, 24, v15
	v_and_b32_e32 v15, 0xffff, v15
	v_and_b32_e32 v66, 7, v15
	v_ffbh_u32_e32 v68, v66
	v_min_u32_e32 v68, 32, v68
	v_subrev_u32_e32 v69, 28, v68
	v_bfe_u32 v67, v15, 3, 4
	v_lshlrev_b32_e32 v15, v69, v15
	v_sub_u32_e32 v68, 29, v68
	v_and_b32_e32 v15, 7, v15
	v_cmp_eq_u32_e32 vcc, 0, v67
	v_cndmask_b32_e32 v67, v67, v68, vcc
	v_cndmask_b32_e32 v15, v66, v15, vcc
	v_lshlrev_b32_e32 v15, 20, v15
	v_and_b32_e32 v16, 0x80000000, v16
	v_lshl_add_u32 v66, v67, 23, v31
	v_or3_b32 v66, v16, v66, v15
.LBB166_1269:                           ;   in Loop: Header=BB166_17 Depth=1
	s_or_b64 exec, exec, s[86:87]
.LBB166_1270:                           ;   in Loop: Header=BB166_17 Depth=1
	s_or_b64 exec, exec, s[82:83]
	s_or_b64 s[70:71], s[70:71], exec
.LBB166_1271:                           ;   in Loop: Header=BB166_17 Depth=1
	s_or_b64 exec, exec, s[80:81]
	s_and_b64 s[70:71], s[70:71], exec
                                        ; implicit-def: $vgpr15_vgpr16
.LBB166_1272:                           ;   in Loop: Header=BB166_17 Depth=1
	s_andn2_saveexec_b64 s[64:65], s[64:65]
	s_cbranch_execz .LBB166_1298
; %bb.1273:                             ;   in Loop: Header=BB166_17 Depth=1
	v_cmp_gt_i16_sdwa vcc, v9, v32 src0_sel:BYTE_0 src1_sel:DWORD
	s_mov_b64 s[82:83], s[70:71]
                                        ; implicit-def: $vgpr66
	s_and_saveexec_b64 s[48:49], vcc
	s_xor_b64 s[80:81], exec, s[48:49]
	s_cbranch_execz .LBB166_1287
; %bb.1274:                             ;   in Loop: Header=BB166_17 Depth=1
	v_cmp_gt_i16_sdwa vcc, v9, v33 src0_sel:BYTE_0 src1_sel:DWORD
                                        ; implicit-def: $vgpr66
	s_and_saveexec_b64 s[48:49], vcc
	s_xor_b64 s[82:83], exec, s[48:49]
	s_cbranch_execz .LBB166_1284
; %bb.1275:                             ;   in Loop: Header=BB166_17 Depth=1
	v_cmp_gt_i16_sdwa vcc, v9, v34 src0_sel:BYTE_0 src1_sel:DWORD
                                        ; implicit-def: $vgpr66
	s_and_saveexec_b64 s[48:49], vcc
	s_xor_b64 s[84:85], exec, s[48:49]
	s_cbranch_execz .LBB166_1281
; %bb.1276:                             ;   in Loop: Header=BB166_17 Depth=1
	flat_load_ubyte v15, v[15:16]
	s_movk_i32 vcc_lo, 0x7f
	s_mov_b64 s[86:87], 0
	s_waitcnt vmcnt(0) lgkmcnt(0)
	v_cmp_lt_i16_e32 vcc, vcc_lo, v15
	s_and_saveexec_b64 s[48:49], vcc
	s_xor_b64 s[96:97], exec, s[48:49]
	s_cbranch_execnz .LBB166_3470
; %bb.1277:                             ;   in Loop: Header=BB166_17 Depth=1
	s_or_saveexec_b64 s[96:97], s[96:97]
	v_mov_b32_e32 v66, 0x7f800001
	s_xor_b64 exec, exec, s[96:97]
	s_cbranch_execnz .LBB166_3473
.LBB166_1278:                           ;   in Loop: Header=BB166_17 Depth=1
	s_or_b64 exec, exec, s[96:97]
	s_and_saveexec_b64 s[96:97], s[86:87]
	s_cbranch_execz .LBB166_1280
.LBB166_1279:                           ;   in Loop: Header=BB166_17 Depth=1
	v_lshlrev_b32_e32 v16, 24, v15
	v_and_b32_e32 v15, 0xffff, v15
	v_and_b32_e32 v66, 3, v15
	v_ffbh_u32_e32 v68, v66
	v_min_u32_e32 v68, 32, v68
	v_subrev_u32_e32 v69, 29, v68
	v_bfe_u32 v67, v15, 2, 5
	v_lshlrev_b32_e32 v15, v69, v15
	v_sub_u32_e32 v68, 30, v68
	v_and_b32_e32 v15, 3, v15
	v_cmp_eq_u32_e32 vcc, 0, v67
	v_cndmask_b32_e32 v67, v67, v68, vcc
	v_cndmask_b32_e32 v15, v66, v15, vcc
	v_lshlrev_b32_e32 v15, 21, v15
	v_and_b32_e32 v16, 0x80000000, v16
	v_lshl_add_u32 v66, v67, 23, v35
	v_or3_b32 v66, v16, v66, v15
.LBB166_1280:                           ;   in Loop: Header=BB166_17 Depth=1
	s_or_b64 exec, exec, s[96:97]
                                        ; implicit-def: $vgpr15_vgpr16
.LBB166_1281:                           ;   in Loop: Header=BB166_17 Depth=1
	s_andn2_saveexec_b64 s[84:85], s[84:85]
	s_cbranch_execz .LBB166_1283
; %bb.1282:                             ;   in Loop: Header=BB166_17 Depth=1
	flat_load_ubyte v15, v[15:16]
	s_mov_b32 vcc_lo, 0x7f800000
	s_waitcnt vmcnt(0) lgkmcnt(0)
	v_lshlrev_b32_e32 v15, 24, v15
	v_and_b32_e32 v16, 0x7f000000, v15
	v_ffbh_u32_e32 v66, v16
	v_min_u32_e32 v66, 32, v66
	v_sub_u32_e64 v66, v66, 4 clamp
	v_lshlrev_b32_e32 v68, v66, v16
	v_lshlrev_b32_e32 v66, 23, v66
	v_lshrrev_b32_e32 v68, 4, v68
	v_add_u32_e32 v67, 0x1000000, v16
	v_sub_u32_e32 v66, v68, v66
	v_ashrrev_i32_e32 v67, 8, v67
	v_add_u32_e32 v66, 0x3c000000, v66
	v_and_or_b32 v66, v67, vcc_lo, v66
	v_cmp_ne_u32_e32 vcc, 0, v16
	v_cndmask_b32_e32 v16, 0, v66, vcc
	s_brev_b32 vcc_lo, 1
	v_and_or_b32 v66, v15, vcc_lo, v16
.LBB166_1283:                           ;   in Loop: Header=BB166_17 Depth=1
	s_or_b64 exec, exec, s[84:85]
                                        ; implicit-def: $vgpr15_vgpr16
.LBB166_1284:                           ;   in Loop: Header=BB166_17 Depth=1
	s_andn2_saveexec_b64 s[82:83], s[82:83]
	s_cbranch_execz .LBB166_1286
; %bb.1285:                             ;   in Loop: Header=BB166_17 Depth=1
	flat_load_ubyte v15, v[15:16]
	s_movk_i32 vcc_lo, 0x7f00
	s_waitcnt vmcnt(0) lgkmcnt(0)
	v_lshlrev_b16_e32 v16, 8, v15
	v_lshlrev_b32_e32 v15, 25, v15
	v_lshrrev_b32_e32 v66, 4, v15
	v_and_or_b32 v67, v16, vcc_lo, 0.5
	v_or_b32_e32 v66, 0x70000000, v66
	s_brev_b32 vcc_lo, 16
	v_add_f32_e32 v67, -0.5, v67
	v_mul_f32_e32 v66, 0x7800000, v66
	v_cmp_gt_u32_e32 vcc, vcc_lo, v15
	v_cndmask_b32_e32 v15, v66, v67, vcc
	v_bfe_i32 v16, v16, 0, 16
	s_brev_b32 vcc_lo, 1
	v_and_or_b32 v66, v16, vcc_lo, v15
.LBB166_1286:                           ;   in Loop: Header=BB166_17 Depth=1
	s_or_b64 exec, exec, s[82:83]
	s_or_b64 s[82:83], s[70:71], exec
                                        ; implicit-def: $vgpr15_vgpr16
.LBB166_1287:                           ;   in Loop: Header=BB166_17 Depth=1
	s_andn2_saveexec_b64 s[80:81], s[80:81]
	s_cbranch_execz .LBB166_1297
; %bb.1288:                             ;   in Loop: Header=BB166_17 Depth=1
	v_cmp_gt_i16_sdwa vcc, v9, v36 src0_sel:BYTE_0 src1_sel:DWORD
	s_mov_b64 s[84:85], s[82:83]
                                        ; implicit-def: $vgpr66
	s_and_saveexec_b64 s[48:49], vcc
	s_xor_b64 vcc, exec, s[48:49]
	s_cbranch_execz .LBB166_1292
; %bb.1289:                             ;   in Loop: Header=BB166_17 Depth=1
	v_cmp_eq_u16_sdwa s[50:51], v9, v37 src0_sel:BYTE_0 src1_sel:DWORD
	s_mov_b64 s[84:85], s[82:83]
                                        ; implicit-def: $vgpr66
	s_and_saveexec_b64 s[48:49], s[50:51]
	s_cbranch_execz .LBB166_1291
; %bb.1290:                             ;   in Loop: Header=BB166_17 Depth=1
	flat_load_ushort v15, v[15:16]
	s_or_b64 s[84:85], s[82:83], exec
	s_waitcnt vmcnt(0) lgkmcnt(0)
	v_lshlrev_b32_e32 v66, 16, v15
.LBB166_1291:                           ;   in Loop: Header=BB166_17 Depth=1
	s_or_b64 exec, exec, s[48:49]
	s_andn2_b64 s[48:49], s[82:83], exec
	s_and_b64 s[50:51], s[84:85], exec
	s_or_b64 s[84:85], s[48:49], s[50:51]
                                        ; implicit-def: $vgpr15_vgpr16
.LBB166_1292:                           ;   in Loop: Header=BB166_17 Depth=1
	s_andn2_saveexec_b64 s[86:87], vcc
	s_cbranch_execz .LBB166_1296
; %bb.1293:                             ;   in Loop: Header=BB166_17 Depth=1
	v_cmp_eq_u16_sdwa s[48:49], v9, v38 src0_sel:BYTE_0 src1_sel:DWORD
	s_mov_b64 vcc, s[84:85]
                                        ; implicit-def: $vgpr66
	s_and_saveexec_b64 s[96:97], s[48:49]
	s_cbranch_execz .LBB166_1295
; %bb.1294:                             ;   in Loop: Header=BB166_17 Depth=1
	flat_load_ubyte v15, v[15:16]
	s_waitcnt vmcnt(0) lgkmcnt(0)
	v_cmp_ne_u16_e32 vcc, 0, v15
	v_cndmask_b32_e64 v66, 0, 1.0, vcc
	s_or_b64 vcc, s[84:85], exec
.LBB166_1295:                           ;   in Loop: Header=BB166_17 Depth=1
	s_or_b64 exec, exec, s[96:97]
	s_andn2_b64 s[48:49], s[84:85], exec
	s_and_b64 vcc, vcc, exec
	s_or_b64 s[84:85], s[48:49], vcc
.LBB166_1296:                           ;   in Loop: Header=BB166_17 Depth=1
	s_or_b64 exec, exec, s[86:87]
	s_andn2_b64 vcc, s[82:83], exec
	s_and_b64 s[48:49], s[84:85], exec
	s_or_b64 s[82:83], vcc, s[48:49]
.LBB166_1297:                           ;   in Loop: Header=BB166_17 Depth=1
	s_or_b64 exec, exec, s[80:81]
	s_andn2_b64 vcc, s[70:71], exec
	s_and_b64 s[48:49], s[82:83], exec
	s_or_b64 s[70:71], vcc, s[48:49]
.LBB166_1298:                           ;   in Loop: Header=BB166_17 Depth=1
	s_or_b64 exec, exec, s[64:65]
	s_and_b64 vcc, s[70:71], exec
                                        ; implicit-def: $vgpr15_vgpr16
.LBB166_1299:                           ;   in Loop: Header=BB166_17 Depth=1
	s_andn2_saveexec_b64 s[54:55], s[54:55]
	s_cbranch_execz .LBB166_1341
; %bb.1300:                             ;   in Loop: Header=BB166_17 Depth=1
	v_cmp_gt_i16_sdwa s[48:49], v9, v39 src0_sel:BYTE_0 src1_sel:DWORD
                                        ; implicit-def: $vgpr66
	s_and_saveexec_b64 s[50:51], s[48:49]
	s_xor_b64 s[64:65], exec, s[50:51]
	s_cbranch_execz .LBB166_1322
; %bb.1301:                             ;   in Loop: Header=BB166_17 Depth=1
	v_cmp_gt_i16_sdwa s[48:49], v9, v48 src0_sel:BYTE_0 src1_sel:DWORD
                                        ; implicit-def: $vgpr66
	s_and_saveexec_b64 s[50:51], s[48:49]
	s_xor_b64 s[70:71], exec, s[50:51]
	;; [unrolled: 6-line block ×4, first 2 shown]
	s_cbranch_execz .LBB166_1305
; %bb.1304:                             ;   in Loop: Header=BB166_17 Depth=1
	flat_load_dwordx2 v[15:16], v[15:16]
	s_waitcnt vmcnt(0) lgkmcnt(0)
	v_cvt_f32_f64_e32 v66, v[15:16]
                                        ; implicit-def: $vgpr15_vgpr16
.LBB166_1305:                           ;   in Loop: Header=BB166_17 Depth=1
	s_andn2_saveexec_b64 s[48:49], s[48:49]
	s_cbranch_execz .LBB166_1307
; %bb.1306:                             ;   in Loop: Header=BB166_17 Depth=1
	flat_load_dword v66, v[15:16]
.LBB166_1307:                           ;   in Loop: Header=BB166_17 Depth=1
	s_or_b64 exec, exec, s[48:49]
                                        ; implicit-def: $vgpr15_vgpr16
.LBB166_1308:                           ;   in Loop: Header=BB166_17 Depth=1
	s_andn2_saveexec_b64 s[80:81], s[80:81]
	s_cbranch_execz .LBB166_1310
; %bb.1309:                             ;   in Loop: Header=BB166_17 Depth=1
	flat_load_dword v15, v[15:16]
	s_waitcnt vmcnt(0) lgkmcnt(0)
	v_cvt_f32_f16_e32 v66, v15
.LBB166_1310:                           ;   in Loop: Header=BB166_17 Depth=1
	s_or_b64 exec, exec, s[80:81]
                                        ; implicit-def: $vgpr15_vgpr16
.LBB166_1311:                           ;   in Loop: Header=BB166_17 Depth=1
	s_andn2_saveexec_b64 s[70:71], s[70:71]
	s_cbranch_execz .LBB166_1321
; %bb.1312:                             ;   in Loop: Header=BB166_17 Depth=1
	v_cmp_gt_i16_sdwa s[48:49], v9, v51 src0_sel:BYTE_0 src1_sel:DWORD
                                        ; implicit-def: $vgpr66
	s_and_saveexec_b64 s[50:51], s[48:49]
	s_xor_b64 s[80:81], exec, s[50:51]
	s_cbranch_execz .LBB166_1318
; %bb.1313:                             ;   in Loop: Header=BB166_17 Depth=1
	v_cmp_gt_i16_sdwa s[48:49], v9, v52 src0_sel:BYTE_0 src1_sel:DWORD
                                        ; implicit-def: $vgpr66
	s_and_saveexec_b64 s[50:51], s[48:49]
	s_xor_b64 s[48:49], exec, s[50:51]
	s_cbranch_execz .LBB166_1315
; %bb.1314:                             ;   in Loop: Header=BB166_17 Depth=1
	flat_load_dwordx2 v[15:16], v[15:16]
	s_waitcnt vmcnt(0) lgkmcnt(0)
	v_cvt_f32_f64_e32 v66, v[15:16]
                                        ; implicit-def: $vgpr15_vgpr16
.LBB166_1315:                           ;   in Loop: Header=BB166_17 Depth=1
	s_andn2_saveexec_b64 s[48:49], s[48:49]
	s_cbranch_execz .LBB166_1317
; %bb.1316:                             ;   in Loop: Header=BB166_17 Depth=1
	s_waitcnt vmcnt(0) lgkmcnt(0)
	flat_load_dword v66, v[15:16]
.LBB166_1317:                           ;   in Loop: Header=BB166_17 Depth=1
	s_or_b64 exec, exec, s[48:49]
                                        ; implicit-def: $vgpr15_vgpr16
.LBB166_1318:                           ;   in Loop: Header=BB166_17 Depth=1
	s_andn2_saveexec_b64 s[80:81], s[80:81]
	s_cbranch_execz .LBB166_1320
; %bb.1319:                             ;   in Loop: Header=BB166_17 Depth=1
	flat_load_ushort v15, v[15:16]
	s_waitcnt vmcnt(0) lgkmcnt(0)
	v_cvt_f32_f16_e32 v66, v15
.LBB166_1320:                           ;   in Loop: Header=BB166_17 Depth=1
	s_or_b64 exec, exec, s[80:81]
.LBB166_1321:                           ;   in Loop: Header=BB166_17 Depth=1
	s_or_b64 exec, exec, s[70:71]
                                        ; implicit-def: $vgpr15_vgpr16
.LBB166_1322:                           ;   in Loop: Header=BB166_17 Depth=1
	s_andn2_saveexec_b64 s[64:65], s[64:65]
	s_cbranch_execz .LBB166_1340
; %bb.1323:                             ;   in Loop: Header=BB166_17 Depth=1
	v_cmp_gt_i16_sdwa s[48:49], v9, v53 src0_sel:BYTE_0 src1_sel:DWORD
                                        ; implicit-def: $vgpr66
	s_and_saveexec_b64 s[50:51], s[48:49]
	s_xor_b64 s[70:71], exec, s[50:51]
	s_cbranch_execz .LBB166_1333
; %bb.1324:                             ;   in Loop: Header=BB166_17 Depth=1
	v_cmp_gt_i16_sdwa s[48:49], v9, v54 src0_sel:BYTE_0 src1_sel:DWORD
                                        ; implicit-def: $vgpr66
	s_and_saveexec_b64 s[50:51], s[48:49]
	s_xor_b64 s[80:81], exec, s[50:51]
	;; [unrolled: 6-line block ×3, first 2 shown]
	s_cbranch_execz .LBB166_1327
; %bb.1326:                             ;   in Loop: Header=BB166_17 Depth=1
	flat_load_dwordx2 v[15:16], v[15:16]
	s_waitcnt vmcnt(0) lgkmcnt(0)
	v_xor_b32_e32 v67, v15, v16
	v_ffbh_i32_e32 v66, v16
	v_ashrrev_i32_e32 v67, 31, v67
	v_add_u32_e32 v66, -1, v66
	v_add_u32_e32 v67, 32, v67
	v_min_u32_e32 v66, v66, v67
	v_lshlrev_b64 v[15:16], v66, v[15:16]
	v_min_u32_e32 v15, 1, v15
	v_or_b32_e32 v15, v16, v15
	v_cvt_f32_i32_e32 v15, v15
	v_sub_u32_e32 v16, 32, v66
	v_ldexp_f32 v66, v15, v16
                                        ; implicit-def: $vgpr15_vgpr16
.LBB166_1327:                           ;   in Loop: Header=BB166_17 Depth=1
	s_andn2_saveexec_b64 s[82:83], s[82:83]
	s_cbranch_execz .LBB166_1329
; %bb.1328:                             ;   in Loop: Header=BB166_17 Depth=1
	flat_load_dword v15, v[15:16]
	s_waitcnt vmcnt(0) lgkmcnt(0)
	v_cvt_f32_i32_e32 v66, v15
.LBB166_1329:                           ;   in Loop: Header=BB166_17 Depth=1
	s_or_b64 exec, exec, s[82:83]
                                        ; implicit-def: $vgpr15_vgpr16
.LBB166_1330:                           ;   in Loop: Header=BB166_17 Depth=1
	s_andn2_saveexec_b64 s[80:81], s[80:81]
	s_cbranch_execz .LBB166_1332
; %bb.1331:                             ;   in Loop: Header=BB166_17 Depth=1
	flat_load_sshort v15, v[15:16]
	s_waitcnt vmcnt(0) lgkmcnt(0)
	v_cvt_f32_i32_e32 v66, v15
.LBB166_1332:                           ;   in Loop: Header=BB166_17 Depth=1
	s_or_b64 exec, exec, s[80:81]
                                        ; implicit-def: $vgpr15_vgpr16
.LBB166_1333:                           ;   in Loop: Header=BB166_17 Depth=1
	s_andn2_saveexec_b64 s[70:71], s[70:71]
	s_cbranch_execz .LBB166_1339
; %bb.1334:                             ;   in Loop: Header=BB166_17 Depth=1
	v_cmp_gt_i16_sdwa s[48:49], v9, v18 src0_sel:BYTE_0 src1_sel:DWORD
                                        ; implicit-def: $vgpr66
	s_and_saveexec_b64 s[50:51], s[48:49]
	s_xor_b64 s[48:49], exec, s[50:51]
	s_cbranch_execz .LBB166_1336
; %bb.1335:                             ;   in Loop: Header=BB166_17 Depth=1
	flat_load_sbyte v15, v[15:16]
	s_waitcnt vmcnt(0) lgkmcnt(0)
	v_cvt_f32_i32_e32 v66, v15
                                        ; implicit-def: $vgpr15_vgpr16
.LBB166_1336:                           ;   in Loop: Header=BB166_17 Depth=1
	s_andn2_saveexec_b64 s[80:81], s[48:49]
	s_cbranch_execz .LBB166_1338
; %bb.1337:                             ;   in Loop: Header=BB166_17 Depth=1
	flat_load_ubyte v15, v[15:16]
	s_waitcnt vmcnt(0) lgkmcnt(0)
	v_cvt_f32_ubyte0_e32 v66, v15
.LBB166_1338:                           ;   in Loop: Header=BB166_17 Depth=1
	s_or_b64 exec, exec, s[80:81]
.LBB166_1339:                           ;   in Loop: Header=BB166_17 Depth=1
	s_or_b64 exec, exec, s[70:71]
.LBB166_1340:                           ;   in Loop: Header=BB166_17 Depth=1
	s_or_b64 exec, exec, s[64:65]
	s_or_b64 vcc, vcc, exec
.LBB166_1341:                           ;   in Loop: Header=BB166_17 Depth=1
	s_or_b64 exec, exec, s[54:55]
	s_mov_b64 s[48:49], 0
	s_mov_b64 s[50:51], -1
	s_mov_b64 s[54:55], 0
	v_writelane_b32 v41, s48, 10
	v_writelane_b32 v41, s49, 11
	s_and_saveexec_b64 s[70:71], vcc
	s_cbranch_execz .LBB166_1347
; %bb.1342:                             ;   in Loop: Header=BB166_17 Depth=1
	v_readlane_b32 s48, v41, 0
	s_lshr_b32 vcc_lo, s32, 6
	s_add_i32 vcc_lo, vcc_lo, s48
	v_mov_b32_e32 v15, vcc_lo
	s_waitcnt vmcnt(0) lgkmcnt(0)
	buffer_store_dword v66, v15, s[0:3], 0 offen offset:92
	v_mul_lo_u32 v15, v65, v12
	v_writelane_b32 v41, vcc_lo, 10
	v_cmp_gt_i16_sdwa s[48:49], v10, v19 src0_sel:BYTE_0 src1_sel:DWORD
                                        ; implicit-def: $vgpr65
	v_add_co_u32_e32 v15, vcc, v6, v15
	v_addc_co_u32_e32 v16, vcc, 0, v7, vcc
	s_mov_b64 vcc, 0
	s_and_saveexec_b64 s[54:55], s[48:49]
	s_xor_b64 s[54:55], exec, s[54:55]
	s_cbranch_execnz .LBB166_3014
; %bb.1343:                             ;   in Loop: Header=BB166_17 Depth=1
	s_andn2_saveexec_b64 s[54:55], s[54:55]
	s_cbranch_execnz .LBB166_3073
.LBB166_1344:                           ;   in Loop: Header=BB166_17 Depth=1
	s_or_b64 exec, exec, s[54:55]
	s_mov_b64 s[54:55], 0
	s_and_saveexec_b64 s[64:65], vcc
	s_cbranch_execz .LBB166_1346
.LBB166_1345:                           ;   in Loop: Header=BB166_17 Depth=1
	v_readlane_b32 vcc_lo, v41, 10
	s_mov_b64 s[54:55], exec
	v_mov_b32_e32 v15, vcc_lo
	v_add_u32_e32 v64, 0x200, v64
	s_waitcnt vmcnt(0) lgkmcnt(0)
	buffer_store_dword v65, v15, s[0:3], 0 offen offset:88
.LBB166_1346:                           ;   in Loop: Header=BB166_17 Depth=1
	s_or_b64 exec, exec, s[64:65]
	s_mov_b64 vcc, exec
	v_writelane_b32 v41, vcc_lo, 10
	s_xor_b64 s[50:51], exec, -1
	s_and_b64 s[54:55], s[54:55], exec
	v_writelane_b32 v41, vcc_hi, 11
.LBB166_1347:                           ;   in Loop: Header=BB166_17 Depth=1
	s_or_b64 exec, exec, s[70:71]
	s_orn2_b64 s[54:55], s[54:55], exec
.LBB166_1348:                           ;   in Loop: Header=BB166_17 Depth=1
	s_or_b64 exec, exec, s[66:67]
	s_mov_b64 vcc, exec
	v_writelane_b32 v41, vcc_lo, 8
	v_writelane_b32 v41, vcc_hi, 9
	s_and_b64 vcc, vcc, s[54:55]
	s_mov_b64 exec, vcc
	s_cbranch_execz .LBB166_5
; %bb.1349:                             ;   in Loop: Header=BB166_17 Depth=1
	v_writelane_b32 v41, s50, 12
	v_cmp_lt_i32_e32 vcc, v64, v8
	s_mov_b64 s[82:83], -1
	s_mov_b64 s[54:55], -1
	v_writelane_b32 v41, s51, 13
                                        ; implicit-def: $sgpr50_sgpr51
                                        ; implicit-def: $sgpr48_sgpr49
                                        ; kill: killed $sgpr48_sgpr49
	s_and_saveexec_b64 s[80:81], vcc
	s_cbranch_execz .LBB166_1459
; %bb.1350:                             ;   in Loop: Header=BB166_17 Depth=1
	v_readlane_b32 vcc_lo, v41, 2
	s_waitcnt vmcnt(0) lgkmcnt(0)
	v_add_u32_e32 v65, vcc_lo, v64
	v_mul_lo_u32 v15, v65, v11
	v_cmp_gt_i16_sdwa s[48:49], v9, v19 src0_sel:BYTE_0 src1_sel:DWORD
                                        ; implicit-def: $vgpr66
	v_add_co_u32_e32 v15, vcc, v4, v15
	v_addc_co_u32_e32 v16, vcc, 0, v5, vcc
	s_mov_b64 vcc, 0
	s_and_saveexec_b64 s[50:51], s[48:49]
	s_xor_b64 s[68:69], exec, s[50:51]
	s_cbranch_execz .LBB166_1410
; %bb.1351:                             ;   in Loop: Header=BB166_17 Depth=1
	v_cmp_gt_i16_sdwa vcc, v9, v20 src0_sel:BYTE_0 src1_sel:DWORD
	s_mov_b64 s[84:85], 0
                                        ; implicit-def: $vgpr66
	s_and_saveexec_b64 s[48:49], vcc
	s_xor_b64 s[70:71], exec, s[48:49]
	s_cbranch_execz .LBB166_1383
; %bb.1352:                             ;   in Loop: Header=BB166_17 Depth=1
	v_cmp_gt_i16_sdwa vcc, v9, v21 src0_sel:BYTE_0 src1_sel:DWORD
                                        ; implicit-def: $vgpr66
	s_and_saveexec_b64 s[48:49], vcc
	s_xor_b64 s[86:87], exec, s[48:49]
	s_cbranch_execz .LBB166_1368
; %bb.1353:                             ;   in Loop: Header=BB166_17 Depth=1
	v_cmp_gt_i16_sdwa s[48:49], v9, v22 src0_sel:BYTE_0 src1_sel:DWORD
	s_mov_b64 vcc, 0
                                        ; implicit-def: $vgpr66
	s_and_saveexec_b64 s[50:51], s[48:49]
	s_xor_b64 s[84:85], exec, s[50:51]
	s_cbranch_execz .LBB166_1363
; %bb.1354:                             ;   in Loop: Header=BB166_17 Depth=1
	v_cmp_gt_i16_sdwa vcc, v9, v23 src0_sel:BYTE_0 src1_sel:DWORD
	s_mov_b64 s[54:55], 0
                                        ; implicit-def: $vgpr66
	s_and_saveexec_b64 s[48:49], vcc
	s_xor_b64 vcc, exec, s[48:49]
	s_cbranch_execz .LBB166_1358
; %bb.1355:                             ;   in Loop: Header=BB166_17 Depth=1
	v_cmp_eq_u16_sdwa s[50:51], v9, v24 src0_sel:BYTE_0 src1_sel:DWORD
                                        ; implicit-def: $vgpr66
	s_and_saveexec_b64 s[48:49], s[50:51]
	s_cbranch_execz .LBB166_1357
; %bb.1356:                             ;   in Loop: Header=BB166_17 Depth=1
	flat_load_dword v15, v[15:16]
	s_mov_b64 s[54:55], exec
	s_waitcnt vmcnt(0) lgkmcnt(0)
	v_lshlrev_b32_e32 v66, 16, v15
.LBB166_1357:                           ;   in Loop: Header=BB166_17 Depth=1
	s_or_b64 exec, exec, s[48:49]
	s_and_b64 s[54:55], s[54:55], exec
                                        ; implicit-def: $vgpr15_vgpr16
.LBB166_1358:                           ;   in Loop: Header=BB166_17 Depth=1
	s_andn2_saveexec_b64 s[64:65], vcc
	s_cbranch_execz .LBB166_1362
; %bb.1359:                             ;   in Loop: Header=BB166_17 Depth=1
	v_cmp_eq_u16_sdwa s[48:49], v9, v25 src0_sel:BYTE_0 src1_sel:DWORD
	s_mov_b64 vcc, s[54:55]
                                        ; implicit-def: $vgpr66
	s_and_saveexec_b64 s[66:67], s[48:49]
	s_cbranch_execz .LBB166_1361
; %bb.1360:                             ;   in Loop: Header=BB166_17 Depth=1
	flat_load_ubyte v15, v[15:16]
	s_movk_i32 vcc_lo, 0xff
	s_waitcnt vmcnt(0) lgkmcnt(0)
	v_lshlrev_b32_e32 v16, 23, v15
	v_cmp_ne_u32_e32 vcc, vcc_lo, v15
	v_cndmask_b32_e32 v16, v26, v16, vcc
	v_cmp_ne_u32_e32 vcc, 0, v15
	v_cndmask_b32_e32 v66, v27, v16, vcc
	s_or_b64 vcc, s[54:55], exec
.LBB166_1361:                           ;   in Loop: Header=BB166_17 Depth=1
	s_or_b64 exec, exec, s[66:67]
	s_andn2_b64 s[48:49], s[54:55], exec
	s_and_b64 vcc, vcc, exec
	s_or_b64 s[54:55], s[48:49], vcc
.LBB166_1362:                           ;   in Loop: Header=BB166_17 Depth=1
	s_or_b64 exec, exec, s[64:65]
	s_and_b64 vcc, s[54:55], exec
                                        ; implicit-def: $vgpr15_vgpr16
.LBB166_1363:                           ;   in Loop: Header=BB166_17 Depth=1
	s_andn2_saveexec_b64 s[54:55], s[84:85]
	s_cbranch_execz .LBB166_1367
; %bb.1364:                             ;   in Loop: Header=BB166_17 Depth=1
	v_cmp_eq_u16_sdwa s[48:49], v9, v28 src0_sel:BYTE_0 src1_sel:DWORD
	s_mov_b64 s[66:67], vcc
                                        ; implicit-def: $vgpr66
	s_and_saveexec_b64 s[64:65], s[48:49]
	s_cbranch_execz .LBB166_1366
; %bb.1365:                             ;   in Loop: Header=BB166_17 Depth=1
	flat_load_dwordx2 v[15:16], v[15:16]
	s_or_b64 s[66:67], vcc, exec
	s_waitcnt vmcnt(0) lgkmcnt(0)
	v_ffbh_u32_e32 v66, v16
	v_min_u32_e32 v66, 32, v66
	v_lshlrev_b64 v[15:16], v66, v[15:16]
	v_min_u32_e32 v15, 1, v15
	v_or_b32_e32 v15, v16, v15
	v_cvt_f32_u32_e32 v15, v15
	v_sub_u32_e32 v16, 32, v66
	v_ldexp_f32 v66, v15, v16
.LBB166_1366:                           ;   in Loop: Header=BB166_17 Depth=1
	s_or_b64 exec, exec, s[64:65]
	s_andn2_b64 vcc, vcc, exec
	s_and_b64 s[48:49], s[66:67], exec
	s_or_b64 vcc, vcc, s[48:49]
.LBB166_1367:                           ;   in Loop: Header=BB166_17 Depth=1
	s_or_b64 exec, exec, s[54:55]
	s_and_b64 s[84:85], vcc, exec
                                        ; implicit-def: $vgpr15_vgpr16
.LBB166_1368:                           ;   in Loop: Header=BB166_17 Depth=1
	s_andn2_saveexec_b64 s[86:87], s[86:87]
	s_cbranch_execz .LBB166_1382
; %bb.1369:                             ;   in Loop: Header=BB166_17 Depth=1
	v_cmp_gt_i16_sdwa vcc, v9, v29 src0_sel:BYTE_0 src1_sel:DWORD
                                        ; implicit-def: $vgpr66
	s_and_saveexec_b64 s[48:49], vcc
	s_xor_b64 vcc, exec, s[48:49]
	s_cbranch_execz .LBB166_1375
; %bb.1370:                             ;   in Loop: Header=BB166_17 Depth=1
	s_mov_b64 s[54:55], s[52:53]
	v_cmp_gt_i16_sdwa s[48:49], v9, v30 src0_sel:BYTE_0 src1_sel:DWORD
                                        ; implicit-def: $vgpr66
	s_and_saveexec_b64 s[50:51], s[48:49]
	s_xor_b64 s[48:49], exec, s[50:51]
	s_cbranch_execz .LBB166_1372
; %bb.1371:                             ;   in Loop: Header=BB166_17 Depth=1
	flat_load_dword v15, v[15:16]
	s_waitcnt vmcnt(0) lgkmcnt(0)
	v_cvt_f32_u32_e32 v66, v15
                                        ; implicit-def: $vgpr15_vgpr16
.LBB166_1372:                           ;   in Loop: Header=BB166_17 Depth=1
	s_andn2_saveexec_b64 s[48:49], s[48:49]
	s_cbranch_execz .LBB166_1374
; %bb.1373:                             ;   in Loop: Header=BB166_17 Depth=1
	flat_load_ushort v15, v[15:16]
	s_waitcnt vmcnt(0) lgkmcnt(0)
	v_cvt_f32_u32_e32 v66, v15
.LBB166_1374:                           ;   in Loop: Header=BB166_17 Depth=1
	s_or_b64 exec, exec, s[48:49]
	s_mov_b64 s[52:53], s[54:55]
                                        ; implicit-def: $vgpr15_vgpr16
.LBB166_1375:                           ;   in Loop: Header=BB166_17 Depth=1
	s_andn2_saveexec_b64 s[96:97], vcc
	s_cbranch_execz .LBB166_1381
; %bb.1376:                             ;   in Loop: Header=BB166_17 Depth=1
	flat_load_ubyte v15, v[15:16]
	s_movk_i32 vcc_lo, 0x7f
	s_mov_b64 s[54:55], 0
	s_waitcnt vmcnt(0) lgkmcnt(0)
	v_cmp_lt_i16_e32 vcc, vcc_lo, v15
	s_and_saveexec_b64 s[48:49], vcc
	s_xor_b64 s[64:65], exec, s[48:49]
	s_cbranch_execnz .LBB166_3474
; %bb.1377:                             ;   in Loop: Header=BB166_17 Depth=1
	s_or_saveexec_b64 s[64:65], s[64:65]
	v_mov_b32_e32 v66, 0x7f800001
	s_xor_b64 exec, exec, s[64:65]
	s_cbranch_execnz .LBB166_3477
.LBB166_1378:                           ;   in Loop: Header=BB166_17 Depth=1
	s_or_b64 exec, exec, s[64:65]
	s_and_saveexec_b64 s[64:65], s[54:55]
	s_cbranch_execz .LBB166_1380
.LBB166_1379:                           ;   in Loop: Header=BB166_17 Depth=1
	v_lshlrev_b32_e32 v16, 24, v15
	v_and_b32_e32 v15, 0xffff, v15
	v_and_b32_e32 v66, 7, v15
	v_ffbh_u32_e32 v68, v66
	v_min_u32_e32 v68, 32, v68
	v_subrev_u32_e32 v69, 28, v68
	v_bfe_u32 v67, v15, 3, 4
	v_lshlrev_b32_e32 v15, v69, v15
	v_sub_u32_e32 v68, 29, v68
	v_and_b32_e32 v15, 7, v15
	v_cmp_eq_u32_e32 vcc, 0, v67
	v_cndmask_b32_e32 v67, v67, v68, vcc
	v_cndmask_b32_e32 v15, v66, v15, vcc
	v_lshlrev_b32_e32 v15, 20, v15
	v_and_b32_e32 v16, 0x80000000, v16
	v_lshl_add_u32 v66, v67, 23, v31
	v_or3_b32 v66, v16, v66, v15
.LBB166_1380:                           ;   in Loop: Header=BB166_17 Depth=1
	s_or_b64 exec, exec, s[64:65]
.LBB166_1381:                           ;   in Loop: Header=BB166_17 Depth=1
	s_or_b64 exec, exec, s[96:97]
	s_or_b64 s[84:85], s[84:85], exec
.LBB166_1382:                           ;   in Loop: Header=BB166_17 Depth=1
	s_or_b64 exec, exec, s[86:87]
	s_and_b64 s[84:85], s[84:85], exec
                                        ; implicit-def: $vgpr15_vgpr16
.LBB166_1383:                           ;   in Loop: Header=BB166_17 Depth=1
	s_andn2_saveexec_b64 s[70:71], s[70:71]
	s_cbranch_execz .LBB166_1409
; %bb.1384:                             ;   in Loop: Header=BB166_17 Depth=1
	v_cmp_gt_i16_sdwa vcc, v9, v32 src0_sel:BYTE_0 src1_sel:DWORD
	s_mov_b64 s[96:97], s[84:85]
                                        ; implicit-def: $vgpr66
	s_and_saveexec_b64 s[48:49], vcc
	s_xor_b64 s[86:87], exec, s[48:49]
	s_cbranch_execz .LBB166_1398
; %bb.1385:                             ;   in Loop: Header=BB166_17 Depth=1
	v_cmp_gt_i16_sdwa vcc, v9, v33 src0_sel:BYTE_0 src1_sel:DWORD
                                        ; implicit-def: $vgpr66
	s_and_saveexec_b64 s[48:49], vcc
	s_xor_b64 s[96:97], exec, s[48:49]
	s_cbranch_execz .LBB166_1395
; %bb.1386:                             ;   in Loop: Header=BB166_17 Depth=1
	v_cmp_gt_i16_sdwa vcc, v9, v34 src0_sel:BYTE_0 src1_sel:DWORD
                                        ; implicit-def: $vgpr66
	s_and_saveexec_b64 s[48:49], vcc
	s_xor_b64 s[54:55], exec, s[48:49]
	s_cbranch_execz .LBB166_1392
; %bb.1387:                             ;   in Loop: Header=BB166_17 Depth=1
	flat_load_ubyte v15, v[15:16]
	s_movk_i32 vcc_lo, 0x7f
	s_mov_b64 s[64:65], 0
	s_waitcnt vmcnt(0) lgkmcnt(0)
	v_cmp_lt_i16_e32 vcc, vcc_lo, v15
	s_and_saveexec_b64 s[48:49], vcc
	s_xor_b64 s[66:67], exec, s[48:49]
	s_cbranch_execnz .LBB166_3586
; %bb.1388:                             ;   in Loop: Header=BB166_17 Depth=1
	s_or_saveexec_b64 s[66:67], s[66:67]
	v_mov_b32_e32 v66, 0x7f800001
	s_xor_b64 exec, exec, s[66:67]
	s_cbranch_execnz .LBB166_3589
.LBB166_1389:                           ;   in Loop: Header=BB166_17 Depth=1
	s_or_b64 exec, exec, s[66:67]
	s_and_saveexec_b64 s[66:67], s[64:65]
	s_cbranch_execz .LBB166_1391
.LBB166_1390:                           ;   in Loop: Header=BB166_17 Depth=1
	v_lshlrev_b32_e32 v16, 24, v15
	v_and_b32_e32 v15, 0xffff, v15
	v_and_b32_e32 v66, 3, v15
	v_ffbh_u32_e32 v68, v66
	v_min_u32_e32 v68, 32, v68
	v_subrev_u32_e32 v69, 29, v68
	v_bfe_u32 v67, v15, 2, 5
	v_lshlrev_b32_e32 v15, v69, v15
	v_sub_u32_e32 v68, 30, v68
	v_and_b32_e32 v15, 3, v15
	v_cmp_eq_u32_e32 vcc, 0, v67
	v_cndmask_b32_e32 v67, v67, v68, vcc
	v_cndmask_b32_e32 v15, v66, v15, vcc
	v_lshlrev_b32_e32 v15, 21, v15
	v_and_b32_e32 v16, 0x80000000, v16
	v_lshl_add_u32 v66, v67, 23, v35
	v_or3_b32 v66, v16, v66, v15
.LBB166_1391:                           ;   in Loop: Header=BB166_17 Depth=1
	s_or_b64 exec, exec, s[66:67]
                                        ; implicit-def: $vgpr15_vgpr16
.LBB166_1392:                           ;   in Loop: Header=BB166_17 Depth=1
	s_andn2_saveexec_b64 s[54:55], s[54:55]
	s_cbranch_execz .LBB166_1394
; %bb.1393:                             ;   in Loop: Header=BB166_17 Depth=1
	flat_load_ubyte v15, v[15:16]
	s_mov_b32 vcc_lo, 0x7f800000
	s_waitcnt vmcnt(0) lgkmcnt(0)
	v_lshlrev_b32_e32 v15, 24, v15
	v_and_b32_e32 v16, 0x7f000000, v15
	v_ffbh_u32_e32 v66, v16
	v_min_u32_e32 v66, 32, v66
	v_sub_u32_e64 v66, v66, 4 clamp
	v_lshlrev_b32_e32 v68, v66, v16
	v_lshlrev_b32_e32 v66, 23, v66
	v_lshrrev_b32_e32 v68, 4, v68
	v_add_u32_e32 v67, 0x1000000, v16
	v_sub_u32_e32 v66, v68, v66
	v_ashrrev_i32_e32 v67, 8, v67
	v_add_u32_e32 v66, 0x3c000000, v66
	v_and_or_b32 v66, v67, vcc_lo, v66
	v_cmp_ne_u32_e32 vcc, 0, v16
	v_cndmask_b32_e32 v16, 0, v66, vcc
	s_brev_b32 vcc_lo, 1
	v_and_or_b32 v66, v15, vcc_lo, v16
.LBB166_1394:                           ;   in Loop: Header=BB166_17 Depth=1
	s_or_b64 exec, exec, s[54:55]
                                        ; implicit-def: $vgpr15_vgpr16
.LBB166_1395:                           ;   in Loop: Header=BB166_17 Depth=1
	s_andn2_saveexec_b64 s[54:55], s[96:97]
	s_cbranch_execz .LBB166_1397
; %bb.1396:                             ;   in Loop: Header=BB166_17 Depth=1
	flat_load_ubyte v15, v[15:16]
	s_movk_i32 vcc_lo, 0x7f00
	s_waitcnt vmcnt(0) lgkmcnt(0)
	v_lshlrev_b16_e32 v16, 8, v15
	v_lshlrev_b32_e32 v15, 25, v15
	v_lshrrev_b32_e32 v66, 4, v15
	v_and_or_b32 v67, v16, vcc_lo, 0.5
	v_or_b32_e32 v66, 0x70000000, v66
	s_brev_b32 vcc_lo, 16
	v_add_f32_e32 v67, -0.5, v67
	v_mul_f32_e32 v66, 0x7800000, v66
	v_cmp_gt_u32_e32 vcc, vcc_lo, v15
	v_cndmask_b32_e32 v15, v66, v67, vcc
	v_bfe_i32 v16, v16, 0, 16
	s_brev_b32 vcc_lo, 1
	v_and_or_b32 v66, v16, vcc_lo, v15
.LBB166_1397:                           ;   in Loop: Header=BB166_17 Depth=1
	s_or_b64 exec, exec, s[54:55]
	s_or_b64 s[96:97], s[84:85], exec
                                        ; implicit-def: $vgpr15_vgpr16
.LBB166_1398:                           ;   in Loop: Header=BB166_17 Depth=1
	s_andn2_saveexec_b64 s[54:55], s[86:87]
	s_cbranch_execz .LBB166_1408
; %bb.1399:                             ;   in Loop: Header=BB166_17 Depth=1
	v_cmp_gt_i16_sdwa vcc, v9, v36 src0_sel:BYTE_0 src1_sel:DWORD
	s_mov_b64 s[86:87], s[96:97]
                                        ; implicit-def: $vgpr66
	s_and_saveexec_b64 s[48:49], vcc
	s_xor_b64 vcc, exec, s[48:49]
	s_cbranch_execz .LBB166_1403
; %bb.1400:                             ;   in Loop: Header=BB166_17 Depth=1
	v_cmp_eq_u16_sdwa s[50:51], v9, v37 src0_sel:BYTE_0 src1_sel:DWORD
	s_mov_b64 s[64:65], s[96:97]
                                        ; implicit-def: $vgpr66
	s_and_saveexec_b64 s[48:49], s[50:51]
	s_cbranch_execz .LBB166_1402
; %bb.1401:                             ;   in Loop: Header=BB166_17 Depth=1
	flat_load_ushort v15, v[15:16]
	s_or_b64 s[64:65], s[96:97], exec
	s_waitcnt vmcnt(0) lgkmcnt(0)
	v_lshlrev_b32_e32 v66, 16, v15
.LBB166_1402:                           ;   in Loop: Header=BB166_17 Depth=1
	s_or_b64 exec, exec, s[48:49]
	s_andn2_b64 s[48:49], s[96:97], exec
	s_and_b64 s[50:51], s[64:65], exec
	s_or_b64 s[86:87], s[48:49], s[50:51]
                                        ; implicit-def: $vgpr15_vgpr16
.LBB166_1403:                           ;   in Loop: Header=BB166_17 Depth=1
	s_andn2_saveexec_b64 s[64:65], vcc
	s_cbranch_execz .LBB166_1407
; %bb.1404:                             ;   in Loop: Header=BB166_17 Depth=1
	v_cmp_eq_u16_sdwa s[50:51], v9, v38 src0_sel:BYTE_0 src1_sel:DWORD
	s_mov_b64 vcc, s[86:87]
                                        ; implicit-def: $vgpr66
	s_and_saveexec_b64 s[48:49], s[50:51]
	s_cbranch_execz .LBB166_1406
; %bb.1405:                             ;   in Loop: Header=BB166_17 Depth=1
	flat_load_ubyte v15, v[15:16]
	s_waitcnt vmcnt(0) lgkmcnt(0)
	v_cmp_ne_u16_e32 vcc, 0, v15
	v_cndmask_b32_e64 v66, 0, 1.0, vcc
	s_or_b64 vcc, s[86:87], exec
.LBB166_1406:                           ;   in Loop: Header=BB166_17 Depth=1
	s_or_b64 exec, exec, s[48:49]
	s_andn2_b64 s[48:49], s[86:87], exec
	s_and_b64 vcc, vcc, exec
	s_or_b64 s[86:87], s[48:49], vcc
.LBB166_1407:                           ;   in Loop: Header=BB166_17 Depth=1
	s_or_b64 exec, exec, s[64:65]
	s_andn2_b64 vcc, s[96:97], exec
	s_and_b64 s[48:49], s[86:87], exec
	s_or_b64 s[96:97], vcc, s[48:49]
.LBB166_1408:                           ;   in Loop: Header=BB166_17 Depth=1
	s_or_b64 exec, exec, s[54:55]
	s_andn2_b64 vcc, s[84:85], exec
	s_and_b64 s[48:49], s[96:97], exec
	s_or_b64 s[84:85], vcc, s[48:49]
.LBB166_1409:                           ;   in Loop: Header=BB166_17 Depth=1
	s_or_b64 exec, exec, s[70:71]
	s_and_b64 vcc, s[84:85], exec
                                        ; implicit-def: $vgpr15_vgpr16
.LBB166_1410:                           ;   in Loop: Header=BB166_17 Depth=1
	s_andn2_saveexec_b64 s[68:69], s[68:69]
	s_cbranch_execz .LBB166_1452
; %bb.1411:                             ;   in Loop: Header=BB166_17 Depth=1
	v_cmp_gt_i16_sdwa s[48:49], v9, v39 src0_sel:BYTE_0 src1_sel:DWORD
                                        ; implicit-def: $vgpr66
	s_and_saveexec_b64 s[50:51], s[48:49]
	s_xor_b64 s[70:71], exec, s[50:51]
	s_cbranch_execz .LBB166_1433
; %bb.1412:                             ;   in Loop: Header=BB166_17 Depth=1
	v_cmp_gt_i16_sdwa s[48:49], v9, v48 src0_sel:BYTE_0 src1_sel:DWORD
                                        ; implicit-def: $vgpr66
	s_and_saveexec_b64 s[50:51], s[48:49]
	s_xor_b64 s[54:55], exec, s[50:51]
	s_cbranch_execz .LBB166_1422
; %bb.1413:                             ;   in Loop: Header=BB166_17 Depth=1
	v_cmp_gt_i16_sdwa s[48:49], v9, v49 src0_sel:BYTE_0 src1_sel:DWORD
                                        ; implicit-def: $vgpr66
	s_and_saveexec_b64 s[50:51], s[48:49]
	s_xor_b64 s[64:65], exec, s[50:51]
	s_cbranch_execz .LBB166_1419
; %bb.1414:                             ;   in Loop: Header=BB166_17 Depth=1
	s_mov_b64 s[66:67], s[52:53]
	v_cmp_gt_i16_sdwa s[48:49], v9, v50 src0_sel:BYTE_0 src1_sel:DWORD
                                        ; implicit-def: $vgpr66
	s_and_saveexec_b64 s[50:51], s[48:49]
	s_xor_b64 s[48:49], exec, s[50:51]
	s_cbranch_execz .LBB166_1416
; %bb.1415:                             ;   in Loop: Header=BB166_17 Depth=1
	flat_load_dwordx2 v[15:16], v[15:16]
	s_waitcnt vmcnt(0) lgkmcnt(0)
	v_cvt_f32_f64_e32 v66, v[15:16]
                                        ; implicit-def: $vgpr15_vgpr16
.LBB166_1416:                           ;   in Loop: Header=BB166_17 Depth=1
	s_andn2_saveexec_b64 s[48:49], s[48:49]
	s_cbranch_execz .LBB166_1418
; %bb.1417:                             ;   in Loop: Header=BB166_17 Depth=1
	flat_load_dword v66, v[15:16]
.LBB166_1418:                           ;   in Loop: Header=BB166_17 Depth=1
	s_or_b64 exec, exec, s[48:49]
	s_mov_b64 s[52:53], s[66:67]
                                        ; implicit-def: $vgpr15_vgpr16
.LBB166_1419:                           ;   in Loop: Header=BB166_17 Depth=1
	s_andn2_saveexec_b64 s[48:49], s[64:65]
	s_cbranch_execz .LBB166_1421
; %bb.1420:                             ;   in Loop: Header=BB166_17 Depth=1
	flat_load_dword v15, v[15:16]
	s_waitcnt vmcnt(0) lgkmcnt(0)
	v_cvt_f32_f16_e32 v66, v15
.LBB166_1421:                           ;   in Loop: Header=BB166_17 Depth=1
	s_or_b64 exec, exec, s[48:49]
                                        ; implicit-def: $vgpr15_vgpr16
.LBB166_1422:                           ;   in Loop: Header=BB166_17 Depth=1
	s_andn2_saveexec_b64 s[54:55], s[54:55]
	s_cbranch_execz .LBB166_1432
; %bb.1423:                             ;   in Loop: Header=BB166_17 Depth=1
	v_cmp_gt_i16_sdwa s[48:49], v9, v51 src0_sel:BYTE_0 src1_sel:DWORD
                                        ; implicit-def: $vgpr66
	s_and_saveexec_b64 s[50:51], s[48:49]
	s_xor_b64 s[64:65], exec, s[50:51]
	s_cbranch_execz .LBB166_1429
; %bb.1424:                             ;   in Loop: Header=BB166_17 Depth=1
	s_mov_b64 s[66:67], s[52:53]
	v_cmp_gt_i16_sdwa s[48:49], v9, v52 src0_sel:BYTE_0 src1_sel:DWORD
                                        ; implicit-def: $vgpr66
	s_and_saveexec_b64 s[50:51], s[48:49]
	s_xor_b64 s[48:49], exec, s[50:51]
	s_cbranch_execz .LBB166_1426
; %bb.1425:                             ;   in Loop: Header=BB166_17 Depth=1
	flat_load_dwordx2 v[15:16], v[15:16]
	s_waitcnt vmcnt(0) lgkmcnt(0)
	v_cvt_f32_f64_e32 v66, v[15:16]
                                        ; implicit-def: $vgpr15_vgpr16
.LBB166_1426:                           ;   in Loop: Header=BB166_17 Depth=1
	s_andn2_saveexec_b64 s[48:49], s[48:49]
	s_cbranch_execz .LBB166_1428
; %bb.1427:                             ;   in Loop: Header=BB166_17 Depth=1
	s_waitcnt vmcnt(0) lgkmcnt(0)
	flat_load_dword v66, v[15:16]
.LBB166_1428:                           ;   in Loop: Header=BB166_17 Depth=1
	s_or_b64 exec, exec, s[48:49]
	s_mov_b64 s[52:53], s[66:67]
                                        ; implicit-def: $vgpr15_vgpr16
.LBB166_1429:                           ;   in Loop: Header=BB166_17 Depth=1
	s_andn2_saveexec_b64 s[48:49], s[64:65]
	s_cbranch_execz .LBB166_1431
; %bb.1430:                             ;   in Loop: Header=BB166_17 Depth=1
	flat_load_ushort v15, v[15:16]
	s_waitcnt vmcnt(0) lgkmcnt(0)
	v_cvt_f32_f16_e32 v66, v15
.LBB166_1431:                           ;   in Loop: Header=BB166_17 Depth=1
	s_or_b64 exec, exec, s[48:49]
.LBB166_1432:                           ;   in Loop: Header=BB166_17 Depth=1
	s_or_b64 exec, exec, s[54:55]
                                        ; implicit-def: $vgpr15_vgpr16
.LBB166_1433:                           ;   in Loop: Header=BB166_17 Depth=1
	s_andn2_saveexec_b64 s[70:71], s[70:71]
	s_cbranch_execz .LBB166_1451
; %bb.1434:                             ;   in Loop: Header=BB166_17 Depth=1
	v_cmp_gt_i16_sdwa s[48:49], v9, v53 src0_sel:BYTE_0 src1_sel:DWORD
                                        ; implicit-def: $vgpr66
	s_and_saveexec_b64 s[50:51], s[48:49]
	s_xor_b64 s[54:55], exec, s[50:51]
	s_cbranch_execz .LBB166_1444
; %bb.1435:                             ;   in Loop: Header=BB166_17 Depth=1
	v_cmp_gt_i16_sdwa s[48:49], v9, v54 src0_sel:BYTE_0 src1_sel:DWORD
                                        ; implicit-def: $vgpr66
	s_and_saveexec_b64 s[50:51], s[48:49]
	s_xor_b64 s[64:65], exec, s[50:51]
	;; [unrolled: 6-line block ×3, first 2 shown]
	s_cbranch_execz .LBB166_1438
; %bb.1437:                             ;   in Loop: Header=BB166_17 Depth=1
	flat_load_dwordx2 v[15:16], v[15:16]
	s_waitcnt vmcnt(0) lgkmcnt(0)
	v_xor_b32_e32 v67, v15, v16
	v_ffbh_i32_e32 v66, v16
	v_ashrrev_i32_e32 v67, 31, v67
	v_add_u32_e32 v66, -1, v66
	v_add_u32_e32 v67, 32, v67
	v_min_u32_e32 v66, v66, v67
	v_lshlrev_b64 v[15:16], v66, v[15:16]
	v_min_u32_e32 v15, 1, v15
	v_or_b32_e32 v15, v16, v15
	v_cvt_f32_i32_e32 v15, v15
	v_sub_u32_e32 v16, 32, v66
	v_ldexp_f32 v66, v15, v16
                                        ; implicit-def: $vgpr15_vgpr16
.LBB166_1438:                           ;   in Loop: Header=BB166_17 Depth=1
	s_andn2_saveexec_b64 s[48:49], s[66:67]
	s_cbranch_execz .LBB166_1440
; %bb.1439:                             ;   in Loop: Header=BB166_17 Depth=1
	flat_load_dword v15, v[15:16]
	s_waitcnt vmcnt(0) lgkmcnt(0)
	v_cvt_f32_i32_e32 v66, v15
.LBB166_1440:                           ;   in Loop: Header=BB166_17 Depth=1
	s_or_b64 exec, exec, s[48:49]
                                        ; implicit-def: $vgpr15_vgpr16
.LBB166_1441:                           ;   in Loop: Header=BB166_17 Depth=1
	s_andn2_saveexec_b64 s[48:49], s[64:65]
	s_cbranch_execz .LBB166_1443
; %bb.1442:                             ;   in Loop: Header=BB166_17 Depth=1
	flat_load_sshort v15, v[15:16]
	s_waitcnt vmcnt(0) lgkmcnt(0)
	v_cvt_f32_i32_e32 v66, v15
.LBB166_1443:                           ;   in Loop: Header=BB166_17 Depth=1
	s_or_b64 exec, exec, s[48:49]
                                        ; implicit-def: $vgpr15_vgpr16
.LBB166_1444:                           ;   in Loop: Header=BB166_17 Depth=1
	s_andn2_saveexec_b64 s[54:55], s[54:55]
	s_cbranch_execz .LBB166_1450
; %bb.1445:                             ;   in Loop: Header=BB166_17 Depth=1
	s_mov_b64 s[64:65], s[52:53]
	v_cmp_gt_i16_sdwa s[48:49], v9, v18 src0_sel:BYTE_0 src1_sel:DWORD
                                        ; implicit-def: $vgpr66
	s_and_saveexec_b64 s[50:51], s[48:49]
	s_xor_b64 s[48:49], exec, s[50:51]
	s_cbranch_execz .LBB166_1447
; %bb.1446:                             ;   in Loop: Header=BB166_17 Depth=1
	flat_load_sbyte v15, v[15:16]
	s_waitcnt vmcnt(0) lgkmcnt(0)
	v_cvt_f32_i32_e32 v66, v15
                                        ; implicit-def: $vgpr15_vgpr16
.LBB166_1447:                           ;   in Loop: Header=BB166_17 Depth=1
	s_andn2_saveexec_b64 s[48:49], s[48:49]
	s_cbranch_execz .LBB166_1449
; %bb.1448:                             ;   in Loop: Header=BB166_17 Depth=1
	flat_load_ubyte v15, v[15:16]
	s_waitcnt vmcnt(0) lgkmcnt(0)
	v_cvt_f32_ubyte0_e32 v66, v15
.LBB166_1449:                           ;   in Loop: Header=BB166_17 Depth=1
	s_or_b64 exec, exec, s[48:49]
	s_mov_b64 s[52:53], s[64:65]
.LBB166_1450:                           ;   in Loop: Header=BB166_17 Depth=1
	s_or_b64 exec, exec, s[54:55]
.LBB166_1451:                           ;   in Loop: Header=BB166_17 Depth=1
	s_or_b64 exec, exec, s[70:71]
	s_or_b64 vcc, vcc, exec
.LBB166_1452:                           ;   in Loop: Header=BB166_17 Depth=1
	s_or_b64 exec, exec, s[68:69]
	s_mov_b64 s[48:49], 0
	s_mov_b64 s[50:51], -1
	s_mov_b64 s[54:55], 0
	v_writelane_b32 v41, s48, 16
	v_writelane_b32 v41, s49, 17
	s_and_saveexec_b64 s[84:85], vcc
	s_cbranch_execz .LBB166_1458
; %bb.1453:                             ;   in Loop: Header=BB166_17 Depth=1
	v_readlane_b32 s48, v41, 0
	s_lshr_b32 vcc_lo, s32, 6
	s_add_i32 vcc_lo, vcc_lo, s48
	v_mov_b32_e32 v15, vcc_lo
	s_waitcnt vmcnt(0) lgkmcnt(0)
	buffer_store_dword v66, v15, s[0:3], 0 offen offset:100
	v_mul_lo_u32 v15, v65, v12
	v_writelane_b32 v41, vcc_lo, 16
	v_cmp_gt_i16_sdwa s[48:49], v10, v19 src0_sel:BYTE_0 src1_sel:DWORD
                                        ; implicit-def: $vgpr65
	v_add_co_u32_e32 v15, vcc, v6, v15
	v_addc_co_u32_e32 v16, vcc, 0, v7, vcc
	s_mov_b64 vcc, 0
	s_and_saveexec_b64 s[50:51], s[48:49]
	s_xor_b64 s[68:69], exec, s[50:51]
	s_cbranch_execnz .LBB166_3130
; %bb.1454:                             ;   in Loop: Header=BB166_17 Depth=1
	s_andn2_saveexec_b64 s[68:69], s[68:69]
	s_cbranch_execnz .LBB166_3189
.LBB166_1455:                           ;   in Loop: Header=BB166_17 Depth=1
	s_or_b64 exec, exec, s[68:69]
	s_mov_b64 s[54:55], 0
	s_and_saveexec_b64 s[64:65], vcc
	s_cbranch_execz .LBB166_1457
.LBB166_1456:                           ;   in Loop: Header=BB166_17 Depth=1
	v_readlane_b32 vcc_lo, v41, 16
	s_mov_b64 s[54:55], exec
	v_mov_b32_e32 v15, vcc_lo
	v_add_u32_e32 v64, 0x200, v64
	s_waitcnt vmcnt(0) lgkmcnt(0)
	buffer_store_dword v65, v15, s[0:3], 0 offen offset:96
.LBB166_1457:                           ;   in Loop: Header=BB166_17 Depth=1
	s_or_b64 exec, exec, s[64:65]
	s_mov_b64 vcc, exec
	v_writelane_b32 v41, vcc_lo, 16
	s_xor_b64 s[50:51], exec, -1
	s_and_b64 s[54:55], s[54:55], exec
	v_writelane_b32 v41, vcc_hi, 17
.LBB166_1458:                           ;   in Loop: Header=BB166_17 Depth=1
	s_or_b64 exec, exec, s[84:85]
	s_orn2_b64 s[54:55], s[54:55], exec
.LBB166_1459:                           ;   in Loop: Header=BB166_17 Depth=1
	s_or_b64 exec, exec, s[80:81]
	s_mov_b64 vcc, exec
	v_writelane_b32 v41, vcc_lo, 14
	v_writelane_b32 v41, vcc_hi, 15
	s_and_b64 vcc, vcc, s[54:55]
	s_mov_b64 exec, vcc
	s_cbranch_execz .LBB166_4
; %bb.1460:                             ;   in Loop: Header=BB166_17 Depth=1
	v_writelane_b32 v41, s50, 18
	v_cmp_lt_i32_e32 vcc, v64, v8
	s_mov_b64 s[96:97], -1
	s_mov_b64 s[54:55], -1
                                        ; implicit-def: $sgpr48_sgpr49
	v_writelane_b32 v41, s51, 19
                                        ; kill: killed $sgpr48_sgpr49
                                        ; implicit-def: $sgpr48_sgpr49
                                        ; kill: killed $sgpr48_sgpr49
	s_and_saveexec_b64 s[86:87], vcc
	s_cbranch_execz .LBB166_1570
; %bb.1461:                             ;   in Loop: Header=BB166_17 Depth=1
	v_readlane_b32 vcc_lo, v41, 2
	s_waitcnt vmcnt(0) lgkmcnt(0)
	v_add_u32_e32 v65, vcc_lo, v64
	v_mul_lo_u32 v15, v65, v11
	v_cmp_gt_i16_sdwa s[48:49], v9, v19 src0_sel:BYTE_0 src1_sel:DWORD
                                        ; implicit-def: $vgpr66
	v_add_co_u32_e32 v15, vcc, v4, v15
	v_addc_co_u32_e32 v16, vcc, 0, v5, vcc
	s_mov_b64 vcc, 0
	s_and_saveexec_b64 s[50:51], s[48:49]
	s_xor_b64 s[82:83], exec, s[50:51]
	s_cbranch_execz .LBB166_1521
; %bb.1462:                             ;   in Loop: Header=BB166_17 Depth=1
	v_cmp_gt_i16_sdwa vcc, v9, v20 src0_sel:BYTE_0 src1_sel:DWORD
	s_mov_b64 s[80:81], 0
                                        ; implicit-def: $vgpr66
	s_and_saveexec_b64 s[48:49], vcc
	s_xor_b64 s[84:85], exec, s[48:49]
	s_cbranch_execz .LBB166_1494
; %bb.1463:                             ;   in Loop: Header=BB166_17 Depth=1
	v_cmp_gt_i16_sdwa vcc, v9, v21 src0_sel:BYTE_0 src1_sel:DWORD
	s_mov_b64 s[68:69], 0
                                        ; implicit-def: $vgpr66
	s_and_saveexec_b64 s[48:49], vcc
	s_xor_b64 s[70:71], exec, s[48:49]
	s_cbranch_execz .LBB166_1479
; %bb.1464:                             ;   in Loop: Header=BB166_17 Depth=1
	v_cmp_gt_i16_sdwa s[48:49], v9, v22 src0_sel:BYTE_0 src1_sel:DWORD
	s_mov_b64 vcc, 0
                                        ; implicit-def: $vgpr66
	s_and_saveexec_b64 s[50:51], s[48:49]
	s_xor_b64 s[68:69], exec, s[50:51]
	s_cbranch_execz .LBB166_1474
; %bb.1465:                             ;   in Loop: Header=BB166_17 Depth=1
	v_cmp_gt_i16_sdwa vcc, v9, v23 src0_sel:BYTE_0 src1_sel:DWORD
	s_mov_b64 s[54:55], 0
                                        ; implicit-def: $vgpr66
	s_and_saveexec_b64 s[48:49], vcc
	s_xor_b64 vcc, exec, s[48:49]
	s_cbranch_execz .LBB166_1469
; %bb.1466:                             ;   in Loop: Header=BB166_17 Depth=1
	v_cmp_eq_u16_sdwa s[50:51], v9, v24 src0_sel:BYTE_0 src1_sel:DWORD
                                        ; implicit-def: $vgpr66
	s_and_saveexec_b64 s[48:49], s[50:51]
	s_cbranch_execz .LBB166_1468
; %bb.1467:                             ;   in Loop: Header=BB166_17 Depth=1
	flat_load_dword v15, v[15:16]
	s_mov_b64 s[54:55], exec
	s_waitcnt vmcnt(0) lgkmcnt(0)
	v_lshlrev_b32_e32 v66, 16, v15
.LBB166_1468:                           ;   in Loop: Header=BB166_17 Depth=1
	s_or_b64 exec, exec, s[48:49]
	s_and_b64 s[54:55], s[54:55], exec
                                        ; implicit-def: $vgpr15_vgpr16
.LBB166_1469:                           ;   in Loop: Header=BB166_17 Depth=1
	s_andn2_saveexec_b64 s[64:65], vcc
	s_cbranch_execz .LBB166_1473
; %bb.1470:                             ;   in Loop: Header=BB166_17 Depth=1
	v_cmp_eq_u16_sdwa s[48:49], v9, v25 src0_sel:BYTE_0 src1_sel:DWORD
	s_mov_b64 vcc, s[54:55]
                                        ; implicit-def: $vgpr66
	s_and_saveexec_b64 s[66:67], s[48:49]
	s_cbranch_execz .LBB166_1472
; %bb.1471:                             ;   in Loop: Header=BB166_17 Depth=1
	flat_load_ubyte v15, v[15:16]
	s_movk_i32 vcc_lo, 0xff
	s_waitcnt vmcnt(0) lgkmcnt(0)
	v_lshlrev_b32_e32 v16, 23, v15
	v_cmp_ne_u32_e32 vcc, vcc_lo, v15
	v_cndmask_b32_e32 v16, v26, v16, vcc
	v_cmp_ne_u32_e32 vcc, 0, v15
	v_cndmask_b32_e32 v66, v27, v16, vcc
	s_or_b64 vcc, s[54:55], exec
.LBB166_1472:                           ;   in Loop: Header=BB166_17 Depth=1
	s_or_b64 exec, exec, s[66:67]
	s_andn2_b64 s[48:49], s[54:55], exec
	s_and_b64 vcc, vcc, exec
	s_or_b64 s[54:55], s[48:49], vcc
.LBB166_1473:                           ;   in Loop: Header=BB166_17 Depth=1
	s_or_b64 exec, exec, s[64:65]
	s_and_b64 vcc, s[54:55], exec
                                        ; implicit-def: $vgpr15_vgpr16
.LBB166_1474:                           ;   in Loop: Header=BB166_17 Depth=1
	s_andn2_saveexec_b64 s[54:55], s[68:69]
	s_cbranch_execz .LBB166_1478
; %bb.1475:                             ;   in Loop: Header=BB166_17 Depth=1
	v_cmp_eq_u16_sdwa s[48:49], v9, v28 src0_sel:BYTE_0 src1_sel:DWORD
	s_mov_b64 s[66:67], vcc
                                        ; implicit-def: $vgpr66
	s_and_saveexec_b64 s[64:65], s[48:49]
	s_cbranch_execz .LBB166_1477
; %bb.1476:                             ;   in Loop: Header=BB166_17 Depth=1
	flat_load_dwordx2 v[15:16], v[15:16]
	s_or_b64 s[66:67], vcc, exec
	s_waitcnt vmcnt(0) lgkmcnt(0)
	v_ffbh_u32_e32 v66, v16
	v_min_u32_e32 v66, 32, v66
	v_lshlrev_b64 v[15:16], v66, v[15:16]
	v_min_u32_e32 v15, 1, v15
	v_or_b32_e32 v15, v16, v15
	v_cvt_f32_u32_e32 v15, v15
	v_sub_u32_e32 v16, 32, v66
	v_ldexp_f32 v66, v15, v16
.LBB166_1477:                           ;   in Loop: Header=BB166_17 Depth=1
	s_or_b64 exec, exec, s[64:65]
	s_andn2_b64 vcc, vcc, exec
	s_and_b64 s[48:49], s[66:67], exec
	s_or_b64 vcc, vcc, s[48:49]
.LBB166_1478:                           ;   in Loop: Header=BB166_17 Depth=1
	s_or_b64 exec, exec, s[54:55]
	s_and_b64 s[68:69], vcc, exec
                                        ; implicit-def: $vgpr15_vgpr16
.LBB166_1479:                           ;   in Loop: Header=BB166_17 Depth=1
	s_andn2_saveexec_b64 s[70:71], s[70:71]
	s_cbranch_execz .LBB166_1493
; %bb.1480:                             ;   in Loop: Header=BB166_17 Depth=1
	v_cmp_gt_i16_sdwa vcc, v9, v29 src0_sel:BYTE_0 src1_sel:DWORD
                                        ; implicit-def: $vgpr66
	s_and_saveexec_b64 s[48:49], vcc
	s_xor_b64 vcc, exec, s[48:49]
	s_cbranch_execz .LBB166_1486
; %bb.1481:                             ;   in Loop: Header=BB166_17 Depth=1
	s_mov_b64 s[54:55], s[52:53]
	v_cmp_gt_i16_sdwa s[48:49], v9, v30 src0_sel:BYTE_0 src1_sel:DWORD
                                        ; implicit-def: $vgpr66
	s_and_saveexec_b64 s[50:51], s[48:49]
	s_xor_b64 s[48:49], exec, s[50:51]
	s_cbranch_execz .LBB166_1483
; %bb.1482:                             ;   in Loop: Header=BB166_17 Depth=1
	flat_load_dword v15, v[15:16]
	s_waitcnt vmcnt(0) lgkmcnt(0)
	v_cvt_f32_u32_e32 v66, v15
                                        ; implicit-def: $vgpr15_vgpr16
.LBB166_1483:                           ;   in Loop: Header=BB166_17 Depth=1
	s_andn2_saveexec_b64 s[48:49], s[48:49]
	s_cbranch_execz .LBB166_1485
; %bb.1484:                             ;   in Loop: Header=BB166_17 Depth=1
	flat_load_ushort v15, v[15:16]
	s_waitcnt vmcnt(0) lgkmcnt(0)
	v_cvt_f32_u32_e32 v66, v15
.LBB166_1485:                           ;   in Loop: Header=BB166_17 Depth=1
	s_or_b64 exec, exec, s[48:49]
	s_mov_b64 s[52:53], s[54:55]
                                        ; implicit-def: $vgpr15_vgpr16
.LBB166_1486:                           ;   in Loop: Header=BB166_17 Depth=1
	s_andn2_saveexec_b64 s[54:55], vcc
	s_cbranch_execz .LBB166_1492
; %bb.1487:                             ;   in Loop: Header=BB166_17 Depth=1
	flat_load_ubyte v15, v[15:16]
	s_movk_i32 vcc_lo, 0x7f
	s_mov_b64 s[64:65], 0
	s_waitcnt vmcnt(0) lgkmcnt(0)
	v_cmp_lt_i16_e32 vcc, vcc_lo, v15
	s_and_saveexec_b64 s[48:49], vcc
	s_xor_b64 s[66:67], exec, s[48:49]
	s_cbranch_execnz .LBB166_3590
; %bb.1488:                             ;   in Loop: Header=BB166_17 Depth=1
	s_or_saveexec_b64 s[66:67], s[66:67]
	v_mov_b32_e32 v66, 0x7f800001
	s_xor_b64 exec, exec, s[66:67]
	s_cbranch_execnz .LBB166_3593
.LBB166_1489:                           ;   in Loop: Header=BB166_17 Depth=1
	s_or_b64 exec, exec, s[66:67]
	s_and_saveexec_b64 s[66:67], s[64:65]
	s_cbranch_execz .LBB166_1491
.LBB166_1490:                           ;   in Loop: Header=BB166_17 Depth=1
	v_lshlrev_b32_e32 v16, 24, v15
	v_and_b32_e32 v15, 0xffff, v15
	v_and_b32_e32 v66, 7, v15
	v_ffbh_u32_e32 v68, v66
	v_min_u32_e32 v68, 32, v68
	v_subrev_u32_e32 v69, 28, v68
	v_bfe_u32 v67, v15, 3, 4
	v_lshlrev_b32_e32 v15, v69, v15
	v_sub_u32_e32 v68, 29, v68
	v_and_b32_e32 v15, 7, v15
	v_cmp_eq_u32_e32 vcc, 0, v67
	v_cndmask_b32_e32 v67, v67, v68, vcc
	v_cndmask_b32_e32 v15, v66, v15, vcc
	v_lshlrev_b32_e32 v15, 20, v15
	v_and_b32_e32 v16, 0x80000000, v16
	v_lshl_add_u32 v66, v67, 23, v31
	v_or3_b32 v66, v16, v66, v15
.LBB166_1491:                           ;   in Loop: Header=BB166_17 Depth=1
	s_or_b64 exec, exec, s[66:67]
.LBB166_1492:                           ;   in Loop: Header=BB166_17 Depth=1
	s_or_b64 exec, exec, s[54:55]
	s_or_b64 s[68:69], s[68:69], exec
.LBB166_1493:                           ;   in Loop: Header=BB166_17 Depth=1
	s_or_b64 exec, exec, s[70:71]
	s_and_b64 s[80:81], s[68:69], exec
                                        ; implicit-def: $vgpr15_vgpr16
.LBB166_1494:                           ;   in Loop: Header=BB166_17 Depth=1
	s_andn2_saveexec_b64 s[84:85], s[84:85]
	s_cbranch_execz .LBB166_1520
; %bb.1495:                             ;   in Loop: Header=BB166_17 Depth=1
	v_cmp_gt_i16_sdwa vcc, v9, v32 src0_sel:BYTE_0 src1_sel:DWORD
	s_mov_b64 s[68:69], s[80:81]
                                        ; implicit-def: $vgpr66
	s_and_saveexec_b64 s[48:49], vcc
	s_xor_b64 s[70:71], exec, s[48:49]
	s_cbranch_execz .LBB166_1509
; %bb.1496:                             ;   in Loop: Header=BB166_17 Depth=1
	v_cmp_gt_i16_sdwa vcc, v9, v33 src0_sel:BYTE_0 src1_sel:DWORD
                                        ; implicit-def: $vgpr66
	s_and_saveexec_b64 s[48:49], vcc
	s_xor_b64 s[50:51], exec, s[48:49]
	s_cbranch_execz .LBB166_1506
; %bb.1497:                             ;   in Loop: Header=BB166_17 Depth=1
	v_cmp_gt_i16_sdwa vcc, v9, v34 src0_sel:BYTE_0 src1_sel:DWORD
                                        ; implicit-def: $vgpr66
	s_and_saveexec_b64 s[48:49], vcc
	s_xor_b64 s[54:55], exec, s[48:49]
	s_cbranch_execz .LBB166_1503
; %bb.1498:                             ;   in Loop: Header=BB166_17 Depth=1
	flat_load_ubyte v15, v[15:16]
	s_movk_i32 vcc_lo, 0x7f
	s_mov_b64 s[64:65], 0
	s_waitcnt vmcnt(0) lgkmcnt(0)
	v_cmp_lt_i16_e32 vcc, vcc_lo, v15
	s_and_saveexec_b64 s[48:49], vcc
	s_xor_b64 s[66:67], exec, s[48:49]
	s_cbranch_execnz .LBB166_3602
; %bb.1499:                             ;   in Loop: Header=BB166_17 Depth=1
	s_or_saveexec_b64 s[66:67], s[66:67]
	v_mov_b32_e32 v66, 0x7f800001
	s_xor_b64 exec, exec, s[66:67]
	s_cbranch_execnz .LBB166_3605
.LBB166_1500:                           ;   in Loop: Header=BB166_17 Depth=1
	s_or_b64 exec, exec, s[66:67]
	s_and_saveexec_b64 s[66:67], s[64:65]
	s_cbranch_execz .LBB166_1502
.LBB166_1501:                           ;   in Loop: Header=BB166_17 Depth=1
	v_lshlrev_b32_e32 v16, 24, v15
	v_and_b32_e32 v15, 0xffff, v15
	v_and_b32_e32 v66, 3, v15
	v_ffbh_u32_e32 v68, v66
	v_min_u32_e32 v68, 32, v68
	v_subrev_u32_e32 v69, 29, v68
	v_bfe_u32 v67, v15, 2, 5
	v_lshlrev_b32_e32 v15, v69, v15
	v_sub_u32_e32 v68, 30, v68
	v_and_b32_e32 v15, 3, v15
	v_cmp_eq_u32_e32 vcc, 0, v67
	v_cndmask_b32_e32 v67, v67, v68, vcc
	v_cndmask_b32_e32 v15, v66, v15, vcc
	v_lshlrev_b32_e32 v15, 21, v15
	v_and_b32_e32 v16, 0x80000000, v16
	v_lshl_add_u32 v66, v67, 23, v35
	v_or3_b32 v66, v16, v66, v15
.LBB166_1502:                           ;   in Loop: Header=BB166_17 Depth=1
	s_or_b64 exec, exec, s[66:67]
                                        ; implicit-def: $vgpr15_vgpr16
.LBB166_1503:                           ;   in Loop: Header=BB166_17 Depth=1
	s_andn2_saveexec_b64 s[54:55], s[54:55]
	s_cbranch_execz .LBB166_1505
; %bb.1504:                             ;   in Loop: Header=BB166_17 Depth=1
	flat_load_ubyte v15, v[15:16]
	s_mov_b32 vcc_lo, 0x7f800000
	s_waitcnt vmcnt(0) lgkmcnt(0)
	v_lshlrev_b32_e32 v15, 24, v15
	v_and_b32_e32 v16, 0x7f000000, v15
	v_ffbh_u32_e32 v66, v16
	v_min_u32_e32 v66, 32, v66
	v_sub_u32_e64 v66, v66, 4 clamp
	v_lshlrev_b32_e32 v68, v66, v16
	v_lshlrev_b32_e32 v66, 23, v66
	v_lshrrev_b32_e32 v68, 4, v68
	v_add_u32_e32 v67, 0x1000000, v16
	v_sub_u32_e32 v66, v68, v66
	v_ashrrev_i32_e32 v67, 8, v67
	v_add_u32_e32 v66, 0x3c000000, v66
	v_and_or_b32 v66, v67, vcc_lo, v66
	v_cmp_ne_u32_e32 vcc, 0, v16
	v_cndmask_b32_e32 v16, 0, v66, vcc
	s_brev_b32 vcc_lo, 1
	v_and_or_b32 v66, v15, vcc_lo, v16
.LBB166_1505:                           ;   in Loop: Header=BB166_17 Depth=1
	s_or_b64 exec, exec, s[54:55]
                                        ; implicit-def: $vgpr15_vgpr16
.LBB166_1506:                           ;   in Loop: Header=BB166_17 Depth=1
	s_andn2_saveexec_b64 s[54:55], s[50:51]
	s_cbranch_execz .LBB166_1508
; %bb.1507:                             ;   in Loop: Header=BB166_17 Depth=1
	flat_load_ubyte v15, v[15:16]
	s_movk_i32 vcc_lo, 0x7f00
	s_waitcnt vmcnt(0) lgkmcnt(0)
	v_lshlrev_b16_e32 v16, 8, v15
	v_lshlrev_b32_e32 v15, 25, v15
	v_lshrrev_b32_e32 v66, 4, v15
	v_and_or_b32 v67, v16, vcc_lo, 0.5
	v_or_b32_e32 v66, 0x70000000, v66
	s_brev_b32 vcc_lo, 16
	v_add_f32_e32 v67, -0.5, v67
	v_mul_f32_e32 v66, 0x7800000, v66
	v_cmp_gt_u32_e32 vcc, vcc_lo, v15
	v_cndmask_b32_e32 v15, v66, v67, vcc
	v_bfe_i32 v16, v16, 0, 16
	s_brev_b32 vcc_lo, 1
	v_and_or_b32 v66, v16, vcc_lo, v15
.LBB166_1508:                           ;   in Loop: Header=BB166_17 Depth=1
	s_or_b64 exec, exec, s[54:55]
	s_or_b64 s[68:69], s[80:81], exec
                                        ; implicit-def: $vgpr15_vgpr16
.LBB166_1509:                           ;   in Loop: Header=BB166_17 Depth=1
	s_andn2_saveexec_b64 s[54:55], s[70:71]
	s_cbranch_execz .LBB166_1519
; %bb.1510:                             ;   in Loop: Header=BB166_17 Depth=1
	v_cmp_gt_i16_sdwa vcc, v9, v36 src0_sel:BYTE_0 src1_sel:DWORD
	s_mov_b64 s[64:65], s[68:69]
                                        ; implicit-def: $vgpr66
	s_and_saveexec_b64 s[48:49], vcc
	s_xor_b64 vcc, exec, s[48:49]
	s_cbranch_execz .LBB166_1514
; %bb.1511:                             ;   in Loop: Header=BB166_17 Depth=1
	v_cmp_eq_u16_sdwa s[50:51], v9, v37 src0_sel:BYTE_0 src1_sel:DWORD
	s_mov_b64 s[64:65], s[68:69]
                                        ; implicit-def: $vgpr66
	s_and_saveexec_b64 s[48:49], s[50:51]
	s_cbranch_execz .LBB166_1513
; %bb.1512:                             ;   in Loop: Header=BB166_17 Depth=1
	flat_load_ushort v15, v[15:16]
	s_or_b64 s[64:65], s[68:69], exec
	s_waitcnt vmcnt(0) lgkmcnt(0)
	v_lshlrev_b32_e32 v66, 16, v15
.LBB166_1513:                           ;   in Loop: Header=BB166_17 Depth=1
	s_or_b64 exec, exec, s[48:49]
	s_andn2_b64 s[48:49], s[68:69], exec
	s_and_b64 s[50:51], s[64:65], exec
	s_or_b64 s[64:65], s[48:49], s[50:51]
                                        ; implicit-def: $vgpr15_vgpr16
.LBB166_1514:                           ;   in Loop: Header=BB166_17 Depth=1
	s_andn2_saveexec_b64 s[66:67], vcc
	s_cbranch_execz .LBB166_1518
; %bb.1515:                             ;   in Loop: Header=BB166_17 Depth=1
	v_cmp_eq_u16_sdwa s[50:51], v9, v38 src0_sel:BYTE_0 src1_sel:DWORD
	s_mov_b64 vcc, s[64:65]
                                        ; implicit-def: $vgpr66
	s_and_saveexec_b64 s[48:49], s[50:51]
	s_cbranch_execz .LBB166_1517
; %bb.1516:                             ;   in Loop: Header=BB166_17 Depth=1
	flat_load_ubyte v15, v[15:16]
	s_waitcnt vmcnt(0) lgkmcnt(0)
	v_cmp_ne_u16_e32 vcc, 0, v15
	v_cndmask_b32_e64 v66, 0, 1.0, vcc
	s_or_b64 vcc, s[64:65], exec
.LBB166_1517:                           ;   in Loop: Header=BB166_17 Depth=1
	s_or_b64 exec, exec, s[48:49]
	s_andn2_b64 s[48:49], s[64:65], exec
	s_and_b64 vcc, vcc, exec
	s_or_b64 s[64:65], s[48:49], vcc
.LBB166_1518:                           ;   in Loop: Header=BB166_17 Depth=1
	s_or_b64 exec, exec, s[66:67]
	s_andn2_b64 vcc, s[68:69], exec
	s_and_b64 s[48:49], s[64:65], exec
	s_or_b64 s[68:69], vcc, s[48:49]
.LBB166_1519:                           ;   in Loop: Header=BB166_17 Depth=1
	s_or_b64 exec, exec, s[54:55]
	s_andn2_b64 vcc, s[80:81], exec
	s_and_b64 s[48:49], s[68:69], exec
	s_or_b64 s[80:81], vcc, s[48:49]
.LBB166_1520:                           ;   in Loop: Header=BB166_17 Depth=1
	s_or_b64 exec, exec, s[84:85]
	s_and_b64 vcc, s[80:81], exec
                                        ; implicit-def: $vgpr15_vgpr16
.LBB166_1521:                           ;   in Loop: Header=BB166_17 Depth=1
	s_andn2_saveexec_b64 s[68:69], s[82:83]
	s_cbranch_execz .LBB166_1563
; %bb.1522:                             ;   in Loop: Header=BB166_17 Depth=1
	v_cmp_gt_i16_sdwa s[48:49], v9, v39 src0_sel:BYTE_0 src1_sel:DWORD
                                        ; implicit-def: $vgpr66
	s_and_saveexec_b64 s[50:51], s[48:49]
	s_xor_b64 s[70:71], exec, s[50:51]
	s_cbranch_execz .LBB166_1544
; %bb.1523:                             ;   in Loop: Header=BB166_17 Depth=1
	v_cmp_gt_i16_sdwa s[48:49], v9, v48 src0_sel:BYTE_0 src1_sel:DWORD
                                        ; implicit-def: $vgpr66
	s_and_saveexec_b64 s[50:51], s[48:49]
	s_xor_b64 s[54:55], exec, s[50:51]
	;; [unrolled: 6-line block ×3, first 2 shown]
	s_cbranch_execz .LBB166_1530
; %bb.1525:                             ;   in Loop: Header=BB166_17 Depth=1
	s_mov_b64 s[66:67], s[52:53]
	v_cmp_gt_i16_sdwa s[48:49], v9, v50 src0_sel:BYTE_0 src1_sel:DWORD
                                        ; implicit-def: $vgpr66
	s_and_saveexec_b64 s[50:51], s[48:49]
	s_xor_b64 s[48:49], exec, s[50:51]
	s_cbranch_execz .LBB166_1527
; %bb.1526:                             ;   in Loop: Header=BB166_17 Depth=1
	flat_load_dwordx2 v[15:16], v[15:16]
	s_waitcnt vmcnt(0) lgkmcnt(0)
	v_cvt_f32_f64_e32 v66, v[15:16]
                                        ; implicit-def: $vgpr15_vgpr16
.LBB166_1527:                           ;   in Loop: Header=BB166_17 Depth=1
	s_andn2_saveexec_b64 s[48:49], s[48:49]
	s_cbranch_execz .LBB166_1529
; %bb.1528:                             ;   in Loop: Header=BB166_17 Depth=1
	flat_load_dword v66, v[15:16]
.LBB166_1529:                           ;   in Loop: Header=BB166_17 Depth=1
	s_or_b64 exec, exec, s[48:49]
	s_mov_b64 s[52:53], s[66:67]
                                        ; implicit-def: $vgpr15_vgpr16
.LBB166_1530:                           ;   in Loop: Header=BB166_17 Depth=1
	s_andn2_saveexec_b64 s[48:49], s[64:65]
	s_cbranch_execz .LBB166_1532
; %bb.1531:                             ;   in Loop: Header=BB166_17 Depth=1
	flat_load_dword v15, v[15:16]
	s_waitcnt vmcnt(0) lgkmcnt(0)
	v_cvt_f32_f16_e32 v66, v15
.LBB166_1532:                           ;   in Loop: Header=BB166_17 Depth=1
	s_or_b64 exec, exec, s[48:49]
                                        ; implicit-def: $vgpr15_vgpr16
.LBB166_1533:                           ;   in Loop: Header=BB166_17 Depth=1
	s_andn2_saveexec_b64 s[54:55], s[54:55]
	s_cbranch_execz .LBB166_1543
; %bb.1534:                             ;   in Loop: Header=BB166_17 Depth=1
	v_cmp_gt_i16_sdwa s[48:49], v9, v51 src0_sel:BYTE_0 src1_sel:DWORD
                                        ; implicit-def: $vgpr66
	s_and_saveexec_b64 s[50:51], s[48:49]
	s_xor_b64 s[64:65], exec, s[50:51]
	s_cbranch_execz .LBB166_1540
; %bb.1535:                             ;   in Loop: Header=BB166_17 Depth=1
	s_mov_b64 s[66:67], s[52:53]
	v_cmp_gt_i16_sdwa s[48:49], v9, v52 src0_sel:BYTE_0 src1_sel:DWORD
                                        ; implicit-def: $vgpr66
	s_and_saveexec_b64 s[50:51], s[48:49]
	s_xor_b64 s[48:49], exec, s[50:51]
	s_cbranch_execz .LBB166_1537
; %bb.1536:                             ;   in Loop: Header=BB166_17 Depth=1
	flat_load_dwordx2 v[15:16], v[15:16]
	s_waitcnt vmcnt(0) lgkmcnt(0)
	v_cvt_f32_f64_e32 v66, v[15:16]
                                        ; implicit-def: $vgpr15_vgpr16
.LBB166_1537:                           ;   in Loop: Header=BB166_17 Depth=1
	s_andn2_saveexec_b64 s[48:49], s[48:49]
	s_cbranch_execz .LBB166_1539
; %bb.1538:                             ;   in Loop: Header=BB166_17 Depth=1
	s_waitcnt vmcnt(0) lgkmcnt(0)
	flat_load_dword v66, v[15:16]
.LBB166_1539:                           ;   in Loop: Header=BB166_17 Depth=1
	s_or_b64 exec, exec, s[48:49]
	s_mov_b64 s[52:53], s[66:67]
                                        ; implicit-def: $vgpr15_vgpr16
.LBB166_1540:                           ;   in Loop: Header=BB166_17 Depth=1
	s_andn2_saveexec_b64 s[48:49], s[64:65]
	s_cbranch_execz .LBB166_1542
; %bb.1541:                             ;   in Loop: Header=BB166_17 Depth=1
	flat_load_ushort v15, v[15:16]
	s_waitcnt vmcnt(0) lgkmcnt(0)
	v_cvt_f32_f16_e32 v66, v15
.LBB166_1542:                           ;   in Loop: Header=BB166_17 Depth=1
	s_or_b64 exec, exec, s[48:49]
.LBB166_1543:                           ;   in Loop: Header=BB166_17 Depth=1
	s_or_b64 exec, exec, s[54:55]
                                        ; implicit-def: $vgpr15_vgpr16
.LBB166_1544:                           ;   in Loop: Header=BB166_17 Depth=1
	s_andn2_saveexec_b64 s[70:71], s[70:71]
	s_cbranch_execz .LBB166_1562
; %bb.1545:                             ;   in Loop: Header=BB166_17 Depth=1
	v_cmp_gt_i16_sdwa s[48:49], v9, v53 src0_sel:BYTE_0 src1_sel:DWORD
                                        ; implicit-def: $vgpr66
	s_and_saveexec_b64 s[50:51], s[48:49]
	s_xor_b64 s[54:55], exec, s[50:51]
	s_cbranch_execz .LBB166_1555
; %bb.1546:                             ;   in Loop: Header=BB166_17 Depth=1
	v_cmp_gt_i16_sdwa s[48:49], v9, v54 src0_sel:BYTE_0 src1_sel:DWORD
                                        ; implicit-def: $vgpr66
	s_and_saveexec_b64 s[50:51], s[48:49]
	s_xor_b64 s[64:65], exec, s[50:51]
	;; [unrolled: 6-line block ×3, first 2 shown]
	s_cbranch_execz .LBB166_1549
; %bb.1548:                             ;   in Loop: Header=BB166_17 Depth=1
	flat_load_dwordx2 v[15:16], v[15:16]
	s_waitcnt vmcnt(0) lgkmcnt(0)
	v_xor_b32_e32 v67, v15, v16
	v_ffbh_i32_e32 v66, v16
	v_ashrrev_i32_e32 v67, 31, v67
	v_add_u32_e32 v66, -1, v66
	v_add_u32_e32 v67, 32, v67
	v_min_u32_e32 v66, v66, v67
	v_lshlrev_b64 v[15:16], v66, v[15:16]
	v_min_u32_e32 v15, 1, v15
	v_or_b32_e32 v15, v16, v15
	v_cvt_f32_i32_e32 v15, v15
	v_sub_u32_e32 v16, 32, v66
	v_ldexp_f32 v66, v15, v16
                                        ; implicit-def: $vgpr15_vgpr16
.LBB166_1549:                           ;   in Loop: Header=BB166_17 Depth=1
	s_andn2_saveexec_b64 s[48:49], s[66:67]
	s_cbranch_execz .LBB166_1551
; %bb.1550:                             ;   in Loop: Header=BB166_17 Depth=1
	flat_load_dword v15, v[15:16]
	s_waitcnt vmcnt(0) lgkmcnt(0)
	v_cvt_f32_i32_e32 v66, v15
.LBB166_1551:                           ;   in Loop: Header=BB166_17 Depth=1
	s_or_b64 exec, exec, s[48:49]
                                        ; implicit-def: $vgpr15_vgpr16
.LBB166_1552:                           ;   in Loop: Header=BB166_17 Depth=1
	s_andn2_saveexec_b64 s[48:49], s[64:65]
	s_cbranch_execz .LBB166_1554
; %bb.1553:                             ;   in Loop: Header=BB166_17 Depth=1
	flat_load_sshort v15, v[15:16]
	s_waitcnt vmcnt(0) lgkmcnt(0)
	v_cvt_f32_i32_e32 v66, v15
.LBB166_1554:                           ;   in Loop: Header=BB166_17 Depth=1
	s_or_b64 exec, exec, s[48:49]
                                        ; implicit-def: $vgpr15_vgpr16
.LBB166_1555:                           ;   in Loop: Header=BB166_17 Depth=1
	s_andn2_saveexec_b64 s[54:55], s[54:55]
	s_cbranch_execz .LBB166_1561
; %bb.1556:                             ;   in Loop: Header=BB166_17 Depth=1
	s_mov_b64 s[64:65], s[52:53]
	v_cmp_gt_i16_sdwa s[48:49], v9, v18 src0_sel:BYTE_0 src1_sel:DWORD
                                        ; implicit-def: $vgpr66
	s_and_saveexec_b64 s[50:51], s[48:49]
	s_xor_b64 s[48:49], exec, s[50:51]
	s_cbranch_execz .LBB166_1558
; %bb.1557:                             ;   in Loop: Header=BB166_17 Depth=1
	flat_load_sbyte v15, v[15:16]
	s_waitcnt vmcnt(0) lgkmcnt(0)
	v_cvt_f32_i32_e32 v66, v15
                                        ; implicit-def: $vgpr15_vgpr16
.LBB166_1558:                           ;   in Loop: Header=BB166_17 Depth=1
	s_andn2_saveexec_b64 s[48:49], s[48:49]
	s_cbranch_execz .LBB166_1560
; %bb.1559:                             ;   in Loop: Header=BB166_17 Depth=1
	flat_load_ubyte v15, v[15:16]
	s_waitcnt vmcnt(0) lgkmcnt(0)
	v_cvt_f32_ubyte0_e32 v66, v15
.LBB166_1560:                           ;   in Loop: Header=BB166_17 Depth=1
	s_or_b64 exec, exec, s[48:49]
	s_mov_b64 s[52:53], s[64:65]
.LBB166_1561:                           ;   in Loop: Header=BB166_17 Depth=1
	s_or_b64 exec, exec, s[54:55]
.LBB166_1562:                           ;   in Loop: Header=BB166_17 Depth=1
	s_or_b64 exec, exec, s[70:71]
	s_or_b64 vcc, vcc, exec
.LBB166_1563:                           ;   in Loop: Header=BB166_17 Depth=1
	s_or_b64 exec, exec, s[68:69]
	s_mov_b64 s[48:49], -1
	v_writelane_b32 v41, s48, 20
	v_writelane_b32 v41, s49, 21
	s_mov_b64 s[48:49], 0
	s_mov_b64 s[54:55], 0
	v_writelane_b32 v41, s48, 22
	v_writelane_b32 v41, s49, 23
	s_and_saveexec_b64 s[82:83], vcc
	s_cbranch_execz .LBB166_1569
; %bb.1564:                             ;   in Loop: Header=BB166_17 Depth=1
	v_readlane_b32 s48, v41, 0
	s_lshr_b32 vcc_lo, s32, 6
	s_add_i32 vcc_lo, vcc_lo, s48
	v_mov_b32_e32 v15, vcc_lo
	s_waitcnt vmcnt(0) lgkmcnt(0)
	buffer_store_dword v66, v15, s[0:3], 0 offen offset:108
	v_mul_lo_u32 v15, v65, v12
	v_writelane_b32 v41, vcc_lo, 20
	v_cmp_gt_i16_sdwa s[48:49], v10, v19 src0_sel:BYTE_0 src1_sel:DWORD
                                        ; implicit-def: $vgpr65
	v_add_co_u32_e32 v15, vcc, v6, v15
	v_addc_co_u32_e32 v16, vcc, 0, v7, vcc
	s_mov_b64 vcc, 0
	s_and_saveexec_b64 s[50:51], s[48:49]
	s_xor_b64 s[50:51], exec, s[50:51]
	s_cbranch_execnz .LBB166_3246
; %bb.1565:                             ;   in Loop: Header=BB166_17 Depth=1
	s_andn2_saveexec_b64 s[68:69], s[50:51]
	s_cbranch_execnz .LBB166_3305
.LBB166_1566:                           ;   in Loop: Header=BB166_17 Depth=1
	s_or_b64 exec, exec, s[68:69]
	s_mov_b64 s[54:55], 0
	s_and_saveexec_b64 s[64:65], vcc
	s_cbranch_execz .LBB166_1568
.LBB166_1567:                           ;   in Loop: Header=BB166_17 Depth=1
	v_readlane_b32 vcc_lo, v41, 20
	s_mov_b64 s[54:55], exec
	v_mov_b32_e32 v15, vcc_lo
	v_add_u32_e32 v64, 0x200, v64
	s_waitcnt vmcnt(0) lgkmcnt(0)
	buffer_store_dword v65, v15, s[0:3], 0 offen offset:104
.LBB166_1568:                           ;   in Loop: Header=BB166_17 Depth=1
	s_or_b64 exec, exec, s[64:65]
	s_mov_b64 vcc, exec
	v_writelane_b32 v41, vcc_lo, 22
	v_writelane_b32 v41, vcc_hi, 23
	s_xor_b64 vcc, exec, -1
	v_writelane_b32 v41, vcc_lo, 20
	s_and_b64 s[54:55], s[54:55], exec
	v_writelane_b32 v41, vcc_hi, 21
.LBB166_1569:                           ;   in Loop: Header=BB166_17 Depth=1
	s_or_b64 exec, exec, s[82:83]
	s_orn2_b64 s[54:55], s[54:55], exec
.LBB166_1570:                           ;   in Loop: Header=BB166_17 Depth=1
	s_or_b64 exec, exec, s[86:87]
	s_and_saveexec_b64 s[86:87], s[54:55]
	s_cbranch_execz .LBB166_3
; %bb.1571:                             ;   in Loop: Header=BB166_17 Depth=1
	s_mov_b64 s[48:49], -1
	v_cmp_lt_i32_e32 vcc, v64, v8
	v_writelane_b32 v41, s48, 24
	s_mov_b64 s[54:55], -1
	v_writelane_b32 v41, s49, 25
                                        ; implicit-def: $sgpr50_sgpr51
                                        ; implicit-def: $sgpr48_sgpr49
                                        ; kill: killed $sgpr48_sgpr49
	s_and_saveexec_b64 s[96:97], vcc
	s_cbranch_execz .LBB166_1681
; %bb.1572:                             ;   in Loop: Header=BB166_17 Depth=1
	v_readlane_b32 vcc_lo, v41, 2
	s_waitcnt vmcnt(0) lgkmcnt(0)
	v_add_u32_e32 v65, vcc_lo, v64
	v_mul_lo_u32 v15, v65, v11
	v_cmp_gt_i16_sdwa s[48:49], v9, v19 src0_sel:BYTE_0 src1_sel:DWORD
                                        ; implicit-def: $vgpr66
	v_add_co_u32_e32 v15, vcc, v4, v15
	v_addc_co_u32_e32 v16, vcc, 0, v5, vcc
	s_mov_b64 vcc, 0
	s_and_saveexec_b64 s[50:51], s[48:49]
	s_xor_b64 s[82:83], exec, s[50:51]
	s_cbranch_execz .LBB166_1632
; %bb.1573:                             ;   in Loop: Header=BB166_17 Depth=1
	v_cmp_gt_i16_sdwa vcc, v9, v20 src0_sel:BYTE_0 src1_sel:DWORD
	s_mov_b64 s[68:69], 0
                                        ; implicit-def: $vgpr66
	s_and_saveexec_b64 s[48:49], vcc
	s_xor_b64 s[84:85], exec, s[48:49]
	s_cbranch_execz .LBB166_1605
; %bb.1574:                             ;   in Loop: Header=BB166_17 Depth=1
	v_cmp_gt_i16_sdwa vcc, v9, v21 src0_sel:BYTE_0 src1_sel:DWORD
                                        ; implicit-def: $vgpr66
	s_and_saveexec_b64 s[48:49], vcc
	s_xor_b64 s[70:71], exec, s[48:49]
	s_cbranch_execz .LBB166_1590
; %bb.1575:                             ;   in Loop: Header=BB166_17 Depth=1
	v_cmp_gt_i16_sdwa s[48:49], v9, v22 src0_sel:BYTE_0 src1_sel:DWORD
	s_mov_b64 vcc, 0
                                        ; implicit-def: $vgpr66
	s_and_saveexec_b64 s[50:51], s[48:49]
	s_xor_b64 s[68:69], exec, s[50:51]
	s_cbranch_execz .LBB166_1585
; %bb.1576:                             ;   in Loop: Header=BB166_17 Depth=1
	v_cmp_gt_i16_sdwa vcc, v9, v23 src0_sel:BYTE_0 src1_sel:DWORD
	s_mov_b64 s[54:55], 0
                                        ; implicit-def: $vgpr66
	s_and_saveexec_b64 s[48:49], vcc
	s_xor_b64 vcc, exec, s[48:49]
	s_cbranch_execz .LBB166_1580
; %bb.1577:                             ;   in Loop: Header=BB166_17 Depth=1
	v_cmp_eq_u16_sdwa s[50:51], v9, v24 src0_sel:BYTE_0 src1_sel:DWORD
                                        ; implicit-def: $vgpr66
	s_and_saveexec_b64 s[48:49], s[50:51]
	s_cbranch_execz .LBB166_1579
; %bb.1578:                             ;   in Loop: Header=BB166_17 Depth=1
	flat_load_dword v15, v[15:16]
	s_mov_b64 s[54:55], exec
	s_waitcnt vmcnt(0) lgkmcnt(0)
	v_lshlrev_b32_e32 v66, 16, v15
.LBB166_1579:                           ;   in Loop: Header=BB166_17 Depth=1
	s_or_b64 exec, exec, s[48:49]
	s_and_b64 s[54:55], s[54:55], exec
                                        ; implicit-def: $vgpr15_vgpr16
.LBB166_1580:                           ;   in Loop: Header=BB166_17 Depth=1
	s_andn2_saveexec_b64 s[64:65], vcc
	s_cbranch_execz .LBB166_1584
; %bb.1581:                             ;   in Loop: Header=BB166_17 Depth=1
	v_cmp_eq_u16_sdwa s[48:49], v9, v25 src0_sel:BYTE_0 src1_sel:DWORD
	s_mov_b64 vcc, s[54:55]
                                        ; implicit-def: $vgpr66
	s_and_saveexec_b64 s[66:67], s[48:49]
	s_cbranch_execz .LBB166_1583
; %bb.1582:                             ;   in Loop: Header=BB166_17 Depth=1
	flat_load_ubyte v15, v[15:16]
	s_movk_i32 vcc_lo, 0xff
	s_waitcnt vmcnt(0) lgkmcnt(0)
	v_lshlrev_b32_e32 v16, 23, v15
	v_cmp_ne_u32_e32 vcc, vcc_lo, v15
	v_cndmask_b32_e32 v16, v26, v16, vcc
	v_cmp_ne_u32_e32 vcc, 0, v15
	v_cndmask_b32_e32 v66, v27, v16, vcc
	s_or_b64 vcc, s[54:55], exec
.LBB166_1583:                           ;   in Loop: Header=BB166_17 Depth=1
	s_or_b64 exec, exec, s[66:67]
	s_andn2_b64 s[48:49], s[54:55], exec
	s_and_b64 vcc, vcc, exec
	s_or_b64 s[54:55], s[48:49], vcc
.LBB166_1584:                           ;   in Loop: Header=BB166_17 Depth=1
	s_or_b64 exec, exec, s[64:65]
	s_and_b64 vcc, s[54:55], exec
                                        ; implicit-def: $vgpr15_vgpr16
.LBB166_1585:                           ;   in Loop: Header=BB166_17 Depth=1
	s_andn2_saveexec_b64 s[54:55], s[68:69]
	s_cbranch_execz .LBB166_1589
; %bb.1586:                             ;   in Loop: Header=BB166_17 Depth=1
	v_cmp_eq_u16_sdwa s[48:49], v9, v28 src0_sel:BYTE_0 src1_sel:DWORD
	s_mov_b64 s[66:67], vcc
                                        ; implicit-def: $vgpr66
	s_and_saveexec_b64 s[64:65], s[48:49]
	s_cbranch_execz .LBB166_1588
; %bb.1587:                             ;   in Loop: Header=BB166_17 Depth=1
	flat_load_dwordx2 v[15:16], v[15:16]
	s_or_b64 s[66:67], vcc, exec
	s_waitcnt vmcnt(0) lgkmcnt(0)
	v_ffbh_u32_e32 v66, v16
	v_min_u32_e32 v66, 32, v66
	v_lshlrev_b64 v[15:16], v66, v[15:16]
	v_min_u32_e32 v15, 1, v15
	v_or_b32_e32 v15, v16, v15
	v_cvt_f32_u32_e32 v15, v15
	v_sub_u32_e32 v16, 32, v66
	v_ldexp_f32 v66, v15, v16
.LBB166_1588:                           ;   in Loop: Header=BB166_17 Depth=1
	s_or_b64 exec, exec, s[64:65]
	s_andn2_b64 vcc, vcc, exec
	s_and_b64 s[48:49], s[66:67], exec
	s_or_b64 vcc, vcc, s[48:49]
.LBB166_1589:                           ;   in Loop: Header=BB166_17 Depth=1
	s_or_b64 exec, exec, s[54:55]
	s_and_b64 s[68:69], vcc, exec
                                        ; implicit-def: $vgpr15_vgpr16
.LBB166_1590:                           ;   in Loop: Header=BB166_17 Depth=1
	s_andn2_saveexec_b64 s[70:71], s[70:71]
	s_cbranch_execz .LBB166_1604
; %bb.1591:                             ;   in Loop: Header=BB166_17 Depth=1
	v_cmp_gt_i16_sdwa vcc, v9, v29 src0_sel:BYTE_0 src1_sel:DWORD
                                        ; implicit-def: $vgpr66
	s_and_saveexec_b64 s[48:49], vcc
	s_xor_b64 vcc, exec, s[48:49]
	s_cbranch_execz .LBB166_1597
; %bb.1592:                             ;   in Loop: Header=BB166_17 Depth=1
	s_mov_b64 s[54:55], s[52:53]
	v_cmp_gt_i16_sdwa s[48:49], v9, v30 src0_sel:BYTE_0 src1_sel:DWORD
                                        ; implicit-def: $vgpr66
	s_and_saveexec_b64 s[50:51], s[48:49]
	s_xor_b64 s[48:49], exec, s[50:51]
	s_cbranch_execz .LBB166_1594
; %bb.1593:                             ;   in Loop: Header=BB166_17 Depth=1
	flat_load_dword v15, v[15:16]
	s_waitcnt vmcnt(0) lgkmcnt(0)
	v_cvt_f32_u32_e32 v66, v15
                                        ; implicit-def: $vgpr15_vgpr16
.LBB166_1594:                           ;   in Loop: Header=BB166_17 Depth=1
	s_andn2_saveexec_b64 s[48:49], s[48:49]
	s_cbranch_execz .LBB166_1596
; %bb.1595:                             ;   in Loop: Header=BB166_17 Depth=1
	flat_load_ushort v15, v[15:16]
	s_waitcnt vmcnt(0) lgkmcnt(0)
	v_cvt_f32_u32_e32 v66, v15
.LBB166_1596:                           ;   in Loop: Header=BB166_17 Depth=1
	s_or_b64 exec, exec, s[48:49]
	s_mov_b64 s[52:53], s[54:55]
                                        ; implicit-def: $vgpr15_vgpr16
.LBB166_1597:                           ;   in Loop: Header=BB166_17 Depth=1
	s_andn2_saveexec_b64 s[54:55], vcc
	s_cbranch_execz .LBB166_1603
; %bb.1598:                             ;   in Loop: Header=BB166_17 Depth=1
	flat_load_ubyte v15, v[15:16]
	s_movk_i32 vcc_lo, 0x7f
	s_mov_b64 s[64:65], 0
	s_waitcnt vmcnt(0) lgkmcnt(0)
	v_cmp_lt_i16_e32 vcc, vcc_lo, v15
	s_and_saveexec_b64 s[48:49], vcc
	s_xor_b64 s[66:67], exec, s[48:49]
	s_cbranch_execnz .LBB166_3606
; %bb.1599:                             ;   in Loop: Header=BB166_17 Depth=1
	s_or_saveexec_b64 s[66:67], s[66:67]
	v_mov_b32_e32 v66, 0x7f800001
	s_xor_b64 exec, exec, s[66:67]
	s_cbranch_execnz .LBB166_3609
.LBB166_1600:                           ;   in Loop: Header=BB166_17 Depth=1
	s_or_b64 exec, exec, s[66:67]
	s_and_saveexec_b64 s[66:67], s[64:65]
	s_cbranch_execz .LBB166_1602
.LBB166_1601:                           ;   in Loop: Header=BB166_17 Depth=1
	v_lshlrev_b32_e32 v16, 24, v15
	v_and_b32_e32 v15, 0xffff, v15
	v_and_b32_e32 v66, 7, v15
	v_ffbh_u32_e32 v68, v66
	v_min_u32_e32 v68, 32, v68
	v_subrev_u32_e32 v69, 28, v68
	v_bfe_u32 v67, v15, 3, 4
	v_lshlrev_b32_e32 v15, v69, v15
	v_sub_u32_e32 v68, 29, v68
	v_and_b32_e32 v15, 7, v15
	v_cmp_eq_u32_e32 vcc, 0, v67
	v_cndmask_b32_e32 v67, v67, v68, vcc
	v_cndmask_b32_e32 v15, v66, v15, vcc
	v_lshlrev_b32_e32 v15, 20, v15
	v_and_b32_e32 v16, 0x80000000, v16
	v_lshl_add_u32 v66, v67, 23, v31
	v_or3_b32 v66, v16, v66, v15
.LBB166_1602:                           ;   in Loop: Header=BB166_17 Depth=1
	s_or_b64 exec, exec, s[66:67]
.LBB166_1603:                           ;   in Loop: Header=BB166_17 Depth=1
	s_or_b64 exec, exec, s[54:55]
	s_or_b64 s[68:69], s[68:69], exec
.LBB166_1604:                           ;   in Loop: Header=BB166_17 Depth=1
	s_or_b64 exec, exec, s[70:71]
	s_and_b64 s[68:69], s[68:69], exec
                                        ; implicit-def: $vgpr15_vgpr16
.LBB166_1605:                           ;   in Loop: Header=BB166_17 Depth=1
	s_andn2_saveexec_b64 s[84:85], s[84:85]
	s_cbranch_execz .LBB166_1631
; %bb.1606:                             ;   in Loop: Header=BB166_17 Depth=1
	v_cmp_gt_i16_sdwa vcc, v9, v32 src0_sel:BYTE_0 src1_sel:DWORD
	s_mov_b64 s[80:81], s[68:69]
                                        ; implicit-def: $vgpr66
	s_and_saveexec_b64 s[48:49], vcc
	s_xor_b64 s[70:71], exec, s[48:49]
	s_cbranch_execz .LBB166_1620
; %bb.1607:                             ;   in Loop: Header=BB166_17 Depth=1
	v_cmp_gt_i16_sdwa vcc, v9, v33 src0_sel:BYTE_0 src1_sel:DWORD
                                        ; implicit-def: $vgpr66
	s_and_saveexec_b64 s[48:49], vcc
	s_xor_b64 s[50:51], exec, s[48:49]
	s_cbranch_execz .LBB166_1617
; %bb.1608:                             ;   in Loop: Header=BB166_17 Depth=1
	v_cmp_gt_i16_sdwa vcc, v9, v34 src0_sel:BYTE_0 src1_sel:DWORD
                                        ; implicit-def: $vgpr66
	s_and_saveexec_b64 s[48:49], vcc
	s_xor_b64 s[54:55], exec, s[48:49]
	s_cbranch_execz .LBB166_1614
; %bb.1609:                             ;   in Loop: Header=BB166_17 Depth=1
	flat_load_ubyte v15, v[15:16]
	s_movk_i32 vcc_lo, 0x7f
	s_mov_b64 s[64:65], 0
	s_waitcnt vmcnt(0) lgkmcnt(0)
	v_cmp_lt_i16_e32 vcc, vcc_lo, v15
	s_and_saveexec_b64 s[48:49], vcc
	s_xor_b64 s[66:67], exec, s[48:49]
	s_cbranch_execnz .LBB166_3618
; %bb.1610:                             ;   in Loop: Header=BB166_17 Depth=1
	s_or_saveexec_b64 s[66:67], s[66:67]
	v_mov_b32_e32 v66, 0x7f800001
	s_xor_b64 exec, exec, s[66:67]
	s_cbranch_execnz .LBB166_3621
.LBB166_1611:                           ;   in Loop: Header=BB166_17 Depth=1
	s_or_b64 exec, exec, s[66:67]
	s_and_saveexec_b64 s[66:67], s[64:65]
	s_cbranch_execz .LBB166_1613
.LBB166_1612:                           ;   in Loop: Header=BB166_17 Depth=1
	v_lshlrev_b32_e32 v16, 24, v15
	v_and_b32_e32 v15, 0xffff, v15
	v_and_b32_e32 v66, 3, v15
	v_ffbh_u32_e32 v68, v66
	v_min_u32_e32 v68, 32, v68
	v_subrev_u32_e32 v69, 29, v68
	v_bfe_u32 v67, v15, 2, 5
	v_lshlrev_b32_e32 v15, v69, v15
	v_sub_u32_e32 v68, 30, v68
	v_and_b32_e32 v15, 3, v15
	v_cmp_eq_u32_e32 vcc, 0, v67
	v_cndmask_b32_e32 v67, v67, v68, vcc
	v_cndmask_b32_e32 v15, v66, v15, vcc
	v_lshlrev_b32_e32 v15, 21, v15
	v_and_b32_e32 v16, 0x80000000, v16
	v_lshl_add_u32 v66, v67, 23, v35
	v_or3_b32 v66, v16, v66, v15
.LBB166_1613:                           ;   in Loop: Header=BB166_17 Depth=1
	s_or_b64 exec, exec, s[66:67]
                                        ; implicit-def: $vgpr15_vgpr16
.LBB166_1614:                           ;   in Loop: Header=BB166_17 Depth=1
	s_andn2_saveexec_b64 s[54:55], s[54:55]
	s_cbranch_execz .LBB166_1616
; %bb.1615:                             ;   in Loop: Header=BB166_17 Depth=1
	flat_load_ubyte v15, v[15:16]
	s_mov_b32 vcc_lo, 0x7f800000
	s_waitcnt vmcnt(0) lgkmcnt(0)
	v_lshlrev_b32_e32 v15, 24, v15
	v_and_b32_e32 v16, 0x7f000000, v15
	v_ffbh_u32_e32 v66, v16
	v_min_u32_e32 v66, 32, v66
	v_sub_u32_e64 v66, v66, 4 clamp
	v_lshlrev_b32_e32 v68, v66, v16
	v_lshlrev_b32_e32 v66, 23, v66
	v_lshrrev_b32_e32 v68, 4, v68
	v_add_u32_e32 v67, 0x1000000, v16
	v_sub_u32_e32 v66, v68, v66
	v_ashrrev_i32_e32 v67, 8, v67
	v_add_u32_e32 v66, 0x3c000000, v66
	v_and_or_b32 v66, v67, vcc_lo, v66
	v_cmp_ne_u32_e32 vcc, 0, v16
	v_cndmask_b32_e32 v16, 0, v66, vcc
	s_brev_b32 vcc_lo, 1
	v_and_or_b32 v66, v15, vcc_lo, v16
.LBB166_1616:                           ;   in Loop: Header=BB166_17 Depth=1
	s_or_b64 exec, exec, s[54:55]
                                        ; implicit-def: $vgpr15_vgpr16
.LBB166_1617:                           ;   in Loop: Header=BB166_17 Depth=1
	s_andn2_saveexec_b64 s[54:55], s[50:51]
	s_cbranch_execz .LBB166_1619
; %bb.1618:                             ;   in Loop: Header=BB166_17 Depth=1
	flat_load_ubyte v15, v[15:16]
	s_movk_i32 vcc_lo, 0x7f00
	s_waitcnt vmcnt(0) lgkmcnt(0)
	v_lshlrev_b16_e32 v16, 8, v15
	v_lshlrev_b32_e32 v15, 25, v15
	v_lshrrev_b32_e32 v66, 4, v15
	v_and_or_b32 v67, v16, vcc_lo, 0.5
	v_or_b32_e32 v66, 0x70000000, v66
	s_brev_b32 vcc_lo, 16
	v_add_f32_e32 v67, -0.5, v67
	v_mul_f32_e32 v66, 0x7800000, v66
	v_cmp_gt_u32_e32 vcc, vcc_lo, v15
	v_cndmask_b32_e32 v15, v66, v67, vcc
	v_bfe_i32 v16, v16, 0, 16
	s_brev_b32 vcc_lo, 1
	v_and_or_b32 v66, v16, vcc_lo, v15
.LBB166_1619:                           ;   in Loop: Header=BB166_17 Depth=1
	s_or_b64 exec, exec, s[54:55]
	s_or_b64 s[80:81], s[68:69], exec
                                        ; implicit-def: $vgpr15_vgpr16
.LBB166_1620:                           ;   in Loop: Header=BB166_17 Depth=1
	s_andn2_saveexec_b64 s[54:55], s[70:71]
	s_cbranch_execz .LBB166_1630
; %bb.1621:                             ;   in Loop: Header=BB166_17 Depth=1
	v_cmp_gt_i16_sdwa vcc, v9, v36 src0_sel:BYTE_0 src1_sel:DWORD
	s_mov_b64 s[64:65], s[80:81]
                                        ; implicit-def: $vgpr66
	s_and_saveexec_b64 s[48:49], vcc
	s_xor_b64 vcc, exec, s[48:49]
	s_cbranch_execz .LBB166_1625
; %bb.1622:                             ;   in Loop: Header=BB166_17 Depth=1
	v_cmp_eq_u16_sdwa s[50:51], v9, v37 src0_sel:BYTE_0 src1_sel:DWORD
	s_mov_b64 s[64:65], s[80:81]
                                        ; implicit-def: $vgpr66
	s_and_saveexec_b64 s[48:49], s[50:51]
	s_cbranch_execz .LBB166_1624
; %bb.1623:                             ;   in Loop: Header=BB166_17 Depth=1
	flat_load_ushort v15, v[15:16]
	s_or_b64 s[64:65], s[80:81], exec
	s_waitcnt vmcnt(0) lgkmcnt(0)
	v_lshlrev_b32_e32 v66, 16, v15
.LBB166_1624:                           ;   in Loop: Header=BB166_17 Depth=1
	s_or_b64 exec, exec, s[48:49]
	s_andn2_b64 s[48:49], s[80:81], exec
	s_and_b64 s[50:51], s[64:65], exec
	s_or_b64 s[64:65], s[48:49], s[50:51]
                                        ; implicit-def: $vgpr15_vgpr16
.LBB166_1625:                           ;   in Loop: Header=BB166_17 Depth=1
	s_andn2_saveexec_b64 s[66:67], vcc
	s_cbranch_execz .LBB166_1629
; %bb.1626:                             ;   in Loop: Header=BB166_17 Depth=1
	v_cmp_eq_u16_sdwa s[50:51], v9, v38 src0_sel:BYTE_0 src1_sel:DWORD
	s_mov_b64 vcc, s[64:65]
                                        ; implicit-def: $vgpr66
	s_and_saveexec_b64 s[48:49], s[50:51]
	s_cbranch_execz .LBB166_1628
; %bb.1627:                             ;   in Loop: Header=BB166_17 Depth=1
	flat_load_ubyte v15, v[15:16]
	s_waitcnt vmcnt(0) lgkmcnt(0)
	v_cmp_ne_u16_e32 vcc, 0, v15
	v_cndmask_b32_e64 v66, 0, 1.0, vcc
	s_or_b64 vcc, s[64:65], exec
.LBB166_1628:                           ;   in Loop: Header=BB166_17 Depth=1
	s_or_b64 exec, exec, s[48:49]
	s_andn2_b64 s[48:49], s[64:65], exec
	s_and_b64 vcc, vcc, exec
	s_or_b64 s[64:65], s[48:49], vcc
.LBB166_1629:                           ;   in Loop: Header=BB166_17 Depth=1
	s_or_b64 exec, exec, s[66:67]
	s_andn2_b64 vcc, s[80:81], exec
	s_and_b64 s[48:49], s[64:65], exec
	s_or_b64 s[80:81], vcc, s[48:49]
.LBB166_1630:                           ;   in Loop: Header=BB166_17 Depth=1
	s_or_b64 exec, exec, s[54:55]
	s_andn2_b64 vcc, s[68:69], exec
	s_and_b64 s[48:49], s[80:81], exec
	s_or_b64 s[68:69], vcc, s[48:49]
.LBB166_1631:                           ;   in Loop: Header=BB166_17 Depth=1
	s_or_b64 exec, exec, s[84:85]
	s_and_b64 vcc, s[68:69], exec
                                        ; implicit-def: $vgpr15_vgpr16
.LBB166_1632:                           ;   in Loop: Header=BB166_17 Depth=1
	s_andn2_saveexec_b64 s[68:69], s[82:83]
	s_cbranch_execz .LBB166_1674
; %bb.1633:                             ;   in Loop: Header=BB166_17 Depth=1
	v_cmp_gt_i16_sdwa s[48:49], v9, v39 src0_sel:BYTE_0 src1_sel:DWORD
                                        ; implicit-def: $vgpr66
	s_and_saveexec_b64 s[50:51], s[48:49]
	s_xor_b64 s[70:71], exec, s[50:51]
	s_cbranch_execz .LBB166_1655
; %bb.1634:                             ;   in Loop: Header=BB166_17 Depth=1
	v_cmp_gt_i16_sdwa s[48:49], v9, v48 src0_sel:BYTE_0 src1_sel:DWORD
                                        ; implicit-def: $vgpr66
	s_and_saveexec_b64 s[50:51], s[48:49]
	s_xor_b64 s[54:55], exec, s[50:51]
	;; [unrolled: 6-line block ×3, first 2 shown]
	s_cbranch_execz .LBB166_1641
; %bb.1636:                             ;   in Loop: Header=BB166_17 Depth=1
	s_mov_b64 s[66:67], s[52:53]
	v_cmp_gt_i16_sdwa s[48:49], v9, v50 src0_sel:BYTE_0 src1_sel:DWORD
                                        ; implicit-def: $vgpr66
	s_and_saveexec_b64 s[50:51], s[48:49]
	s_xor_b64 s[48:49], exec, s[50:51]
	s_cbranch_execz .LBB166_1638
; %bb.1637:                             ;   in Loop: Header=BB166_17 Depth=1
	flat_load_dwordx2 v[15:16], v[15:16]
	s_waitcnt vmcnt(0) lgkmcnt(0)
	v_cvt_f32_f64_e32 v66, v[15:16]
                                        ; implicit-def: $vgpr15_vgpr16
.LBB166_1638:                           ;   in Loop: Header=BB166_17 Depth=1
	s_andn2_saveexec_b64 s[48:49], s[48:49]
	s_cbranch_execz .LBB166_1640
; %bb.1639:                             ;   in Loop: Header=BB166_17 Depth=1
	flat_load_dword v66, v[15:16]
.LBB166_1640:                           ;   in Loop: Header=BB166_17 Depth=1
	s_or_b64 exec, exec, s[48:49]
	s_mov_b64 s[52:53], s[66:67]
                                        ; implicit-def: $vgpr15_vgpr16
.LBB166_1641:                           ;   in Loop: Header=BB166_17 Depth=1
	s_andn2_saveexec_b64 s[48:49], s[64:65]
	s_cbranch_execz .LBB166_1643
; %bb.1642:                             ;   in Loop: Header=BB166_17 Depth=1
	flat_load_dword v15, v[15:16]
	s_waitcnt vmcnt(0) lgkmcnt(0)
	v_cvt_f32_f16_e32 v66, v15
.LBB166_1643:                           ;   in Loop: Header=BB166_17 Depth=1
	s_or_b64 exec, exec, s[48:49]
                                        ; implicit-def: $vgpr15_vgpr16
.LBB166_1644:                           ;   in Loop: Header=BB166_17 Depth=1
	s_andn2_saveexec_b64 s[54:55], s[54:55]
	s_cbranch_execz .LBB166_1654
; %bb.1645:                             ;   in Loop: Header=BB166_17 Depth=1
	v_cmp_gt_i16_sdwa s[48:49], v9, v51 src0_sel:BYTE_0 src1_sel:DWORD
                                        ; implicit-def: $vgpr66
	s_and_saveexec_b64 s[50:51], s[48:49]
	s_xor_b64 s[64:65], exec, s[50:51]
	s_cbranch_execz .LBB166_1651
; %bb.1646:                             ;   in Loop: Header=BB166_17 Depth=1
	s_mov_b64 s[66:67], s[52:53]
	v_cmp_gt_i16_sdwa s[48:49], v9, v52 src0_sel:BYTE_0 src1_sel:DWORD
                                        ; implicit-def: $vgpr66
	s_and_saveexec_b64 s[50:51], s[48:49]
	s_xor_b64 s[48:49], exec, s[50:51]
	s_cbranch_execz .LBB166_1648
; %bb.1647:                             ;   in Loop: Header=BB166_17 Depth=1
	flat_load_dwordx2 v[15:16], v[15:16]
	s_waitcnt vmcnt(0) lgkmcnt(0)
	v_cvt_f32_f64_e32 v66, v[15:16]
                                        ; implicit-def: $vgpr15_vgpr16
.LBB166_1648:                           ;   in Loop: Header=BB166_17 Depth=1
	s_andn2_saveexec_b64 s[48:49], s[48:49]
	s_cbranch_execz .LBB166_1650
; %bb.1649:                             ;   in Loop: Header=BB166_17 Depth=1
	s_waitcnt vmcnt(0) lgkmcnt(0)
	flat_load_dword v66, v[15:16]
.LBB166_1650:                           ;   in Loop: Header=BB166_17 Depth=1
	s_or_b64 exec, exec, s[48:49]
	s_mov_b64 s[52:53], s[66:67]
                                        ; implicit-def: $vgpr15_vgpr16
.LBB166_1651:                           ;   in Loop: Header=BB166_17 Depth=1
	s_andn2_saveexec_b64 s[48:49], s[64:65]
	s_cbranch_execz .LBB166_1653
; %bb.1652:                             ;   in Loop: Header=BB166_17 Depth=1
	flat_load_ushort v15, v[15:16]
	s_waitcnt vmcnt(0) lgkmcnt(0)
	v_cvt_f32_f16_e32 v66, v15
.LBB166_1653:                           ;   in Loop: Header=BB166_17 Depth=1
	s_or_b64 exec, exec, s[48:49]
.LBB166_1654:                           ;   in Loop: Header=BB166_17 Depth=1
	s_or_b64 exec, exec, s[54:55]
                                        ; implicit-def: $vgpr15_vgpr16
.LBB166_1655:                           ;   in Loop: Header=BB166_17 Depth=1
	s_andn2_saveexec_b64 s[70:71], s[70:71]
	s_cbranch_execz .LBB166_1673
; %bb.1656:                             ;   in Loop: Header=BB166_17 Depth=1
	v_cmp_gt_i16_sdwa s[48:49], v9, v53 src0_sel:BYTE_0 src1_sel:DWORD
                                        ; implicit-def: $vgpr66
	s_and_saveexec_b64 s[50:51], s[48:49]
	s_xor_b64 s[54:55], exec, s[50:51]
	s_cbranch_execz .LBB166_1666
; %bb.1657:                             ;   in Loop: Header=BB166_17 Depth=1
	v_cmp_gt_i16_sdwa s[48:49], v9, v54 src0_sel:BYTE_0 src1_sel:DWORD
                                        ; implicit-def: $vgpr66
	s_and_saveexec_b64 s[50:51], s[48:49]
	s_xor_b64 s[64:65], exec, s[50:51]
	;; [unrolled: 6-line block ×3, first 2 shown]
	s_cbranch_execz .LBB166_1660
; %bb.1659:                             ;   in Loop: Header=BB166_17 Depth=1
	flat_load_dwordx2 v[15:16], v[15:16]
	s_waitcnt vmcnt(0) lgkmcnt(0)
	v_xor_b32_e32 v67, v15, v16
	v_ffbh_i32_e32 v66, v16
	v_ashrrev_i32_e32 v67, 31, v67
	v_add_u32_e32 v66, -1, v66
	v_add_u32_e32 v67, 32, v67
	v_min_u32_e32 v66, v66, v67
	v_lshlrev_b64 v[15:16], v66, v[15:16]
	v_min_u32_e32 v15, 1, v15
	v_or_b32_e32 v15, v16, v15
	v_cvt_f32_i32_e32 v15, v15
	v_sub_u32_e32 v16, 32, v66
	v_ldexp_f32 v66, v15, v16
                                        ; implicit-def: $vgpr15_vgpr16
.LBB166_1660:                           ;   in Loop: Header=BB166_17 Depth=1
	s_andn2_saveexec_b64 s[48:49], s[66:67]
	s_cbranch_execz .LBB166_1662
; %bb.1661:                             ;   in Loop: Header=BB166_17 Depth=1
	flat_load_dword v15, v[15:16]
	s_waitcnt vmcnt(0) lgkmcnt(0)
	v_cvt_f32_i32_e32 v66, v15
.LBB166_1662:                           ;   in Loop: Header=BB166_17 Depth=1
	s_or_b64 exec, exec, s[48:49]
                                        ; implicit-def: $vgpr15_vgpr16
.LBB166_1663:                           ;   in Loop: Header=BB166_17 Depth=1
	s_andn2_saveexec_b64 s[48:49], s[64:65]
	s_cbranch_execz .LBB166_1665
; %bb.1664:                             ;   in Loop: Header=BB166_17 Depth=1
	flat_load_sshort v15, v[15:16]
	s_waitcnt vmcnt(0) lgkmcnt(0)
	v_cvt_f32_i32_e32 v66, v15
.LBB166_1665:                           ;   in Loop: Header=BB166_17 Depth=1
	s_or_b64 exec, exec, s[48:49]
                                        ; implicit-def: $vgpr15_vgpr16
.LBB166_1666:                           ;   in Loop: Header=BB166_17 Depth=1
	s_andn2_saveexec_b64 s[54:55], s[54:55]
	s_cbranch_execz .LBB166_1672
; %bb.1667:                             ;   in Loop: Header=BB166_17 Depth=1
	s_mov_b64 s[64:65], s[52:53]
	v_cmp_gt_i16_sdwa s[48:49], v9, v18 src0_sel:BYTE_0 src1_sel:DWORD
                                        ; implicit-def: $vgpr66
	s_and_saveexec_b64 s[50:51], s[48:49]
	s_xor_b64 s[48:49], exec, s[50:51]
	s_cbranch_execz .LBB166_1669
; %bb.1668:                             ;   in Loop: Header=BB166_17 Depth=1
	flat_load_sbyte v15, v[15:16]
	s_waitcnt vmcnt(0) lgkmcnt(0)
	v_cvt_f32_i32_e32 v66, v15
                                        ; implicit-def: $vgpr15_vgpr16
.LBB166_1669:                           ;   in Loop: Header=BB166_17 Depth=1
	s_andn2_saveexec_b64 s[48:49], s[48:49]
	s_cbranch_execz .LBB166_1671
; %bb.1670:                             ;   in Loop: Header=BB166_17 Depth=1
	flat_load_ubyte v15, v[15:16]
	s_waitcnt vmcnt(0) lgkmcnt(0)
	v_cvt_f32_ubyte0_e32 v66, v15
.LBB166_1671:                           ;   in Loop: Header=BB166_17 Depth=1
	s_or_b64 exec, exec, s[48:49]
	s_mov_b64 s[52:53], s[64:65]
.LBB166_1672:                           ;   in Loop: Header=BB166_17 Depth=1
	s_or_b64 exec, exec, s[54:55]
.LBB166_1673:                           ;   in Loop: Header=BB166_17 Depth=1
	s_or_b64 exec, exec, s[70:71]
	s_or_b64 vcc, vcc, exec
.LBB166_1674:                           ;   in Loop: Header=BB166_17 Depth=1
	s_or_b64 exec, exec, s[68:69]
	s_mov_b64 s[48:49], 0
	s_mov_b64 s[50:51], -1
	s_mov_b64 s[54:55], 0
	v_writelane_b32 v41, s48, 26
	v_writelane_b32 v41, s49, 27
	s_and_saveexec_b64 s[82:83], vcc
	s_cbranch_execz .LBB166_1680
; %bb.1675:                             ;   in Loop: Header=BB166_17 Depth=1
	v_readlane_b32 s48, v41, 0
	s_lshr_b32 vcc_lo, s32, 6
	s_add_i32 vcc_lo, vcc_lo, s48
	v_mov_b32_e32 v15, vcc_lo
	s_waitcnt vmcnt(0) lgkmcnt(0)
	buffer_store_dword v66, v15, s[0:3], 0 offen offset:116
	v_mul_lo_u32 v15, v65, v12
	v_writelane_b32 v41, vcc_lo, 26
	v_cmp_gt_i16_sdwa s[48:49], v10, v19 src0_sel:BYTE_0 src1_sel:DWORD
                                        ; implicit-def: $vgpr65
	v_add_co_u32_e32 v15, vcc, v6, v15
	v_addc_co_u32_e32 v16, vcc, 0, v7, vcc
	s_mov_b64 vcc, 0
	s_and_saveexec_b64 s[50:51], s[48:49]
	s_xor_b64 s[50:51], exec, s[50:51]
	s_cbranch_execnz .LBB166_3362
; %bb.1676:                             ;   in Loop: Header=BB166_17 Depth=1
	s_andn2_saveexec_b64 s[68:69], s[50:51]
	s_cbranch_execnz .LBB166_3421
.LBB166_1677:                           ;   in Loop: Header=BB166_17 Depth=1
	s_or_b64 exec, exec, s[68:69]
	s_mov_b64 s[54:55], 0
	s_and_saveexec_b64 s[64:65], vcc
	s_cbranch_execz .LBB166_1679
.LBB166_1678:                           ;   in Loop: Header=BB166_17 Depth=1
	v_readlane_b32 vcc_lo, v41, 26
	s_mov_b64 s[54:55], exec
	v_mov_b32_e32 v15, vcc_lo
	v_add_u32_e32 v64, 0x200, v64
	s_waitcnt vmcnt(0) lgkmcnt(0)
	buffer_store_dword v65, v15, s[0:3], 0 offen offset:112
.LBB166_1679:                           ;   in Loop: Header=BB166_17 Depth=1
	s_or_b64 exec, exec, s[64:65]
	s_mov_b64 vcc, exec
	v_writelane_b32 v41, vcc_lo, 26
	s_xor_b64 s[50:51], exec, -1
	s_and_b64 s[54:55], s[54:55], exec
	v_writelane_b32 v41, vcc_hi, 27
.LBB166_1680:                           ;   in Loop: Header=BB166_17 Depth=1
	s_or_b64 exec, exec, s[82:83]
	s_orn2_b64 s[54:55], s[54:55], exec
.LBB166_1681:                           ;   in Loop: Header=BB166_17 Depth=1
	s_or_b64 exec, exec, s[96:97]
	s_and_saveexec_b64 s[96:97], s[54:55]
	s_cbranch_execz .LBB166_2
; %bb.1682:                             ;   in Loop: Header=BB166_17 Depth=1
	v_writelane_b32 v41, s50, 28
	v_writelane_b32 v41, s51, 29
	s_mov_b64 s[48:49], -1
	v_writelane_b32 v41, s48, 24
	s_mov_b64 s[64:65], -1
	v_cmp_lt_i32_e32 vcc, v64, v8
	v_writelane_b32 v41, s49, 25
                                        ; implicit-def: $sgpr54_sgpr55
                                        ; implicit-def: $sgpr68_sgpr69
	s_mov_b64 s[48:49], exec
	v_writelane_b32 v41, s48, 30
	s_and_b64 vcc, s[48:49], vcc
	v_writelane_b32 v41, s49, 31
	s_mov_b64 exec, vcc
	s_cbranch_execz .LBB166_1792
; %bb.1683:                             ;   in Loop: Header=BB166_17 Depth=1
	v_readlane_b32 vcc_lo, v41, 2
	s_waitcnt vmcnt(0) lgkmcnt(0)
	v_add_u32_e32 v65, vcc_lo, v64
	v_mul_lo_u32 v15, v65, v11
	v_cmp_gt_i16_sdwa s[48:49], v9, v19 src0_sel:BYTE_0 src1_sel:DWORD
                                        ; implicit-def: $vgpr66
	v_add_co_u32_e32 v15, vcc, v4, v15
	v_addc_co_u32_e32 v16, vcc, 0, v5, vcc
	s_mov_b64 vcc, 0
	s_and_saveexec_b64 s[50:51], s[48:49]
	s_xor_b64 s[82:83], exec, s[50:51]
	s_cbranch_execz .LBB166_1743
; %bb.1684:                             ;   in Loop: Header=BB166_17 Depth=1
	v_cmp_gt_i16_sdwa vcc, v9, v20 src0_sel:BYTE_0 src1_sel:DWORD
	s_mov_b64 s[68:69], 0
                                        ; implicit-def: $vgpr66
	s_and_saveexec_b64 s[48:49], vcc
	s_xor_b64 s[84:85], exec, s[48:49]
	s_cbranch_execz .LBB166_1716
; %bb.1685:                             ;   in Loop: Header=BB166_17 Depth=1
	v_cmp_gt_i16_sdwa vcc, v9, v21 src0_sel:BYTE_0 src1_sel:DWORD
                                        ; implicit-def: $vgpr66
	s_and_saveexec_b64 s[48:49], vcc
	s_xor_b64 s[70:71], exec, s[48:49]
	s_cbranch_execz .LBB166_1701
; %bb.1686:                             ;   in Loop: Header=BB166_17 Depth=1
	v_cmp_gt_i16_sdwa s[48:49], v9, v22 src0_sel:BYTE_0 src1_sel:DWORD
	s_mov_b64 vcc, 0
                                        ; implicit-def: $vgpr66
	s_and_saveexec_b64 s[50:51], s[48:49]
	s_xor_b64 s[68:69], exec, s[50:51]
	s_cbranch_execz .LBB166_1696
; %bb.1687:                             ;   in Loop: Header=BB166_17 Depth=1
	v_cmp_gt_i16_sdwa vcc, v9, v23 src0_sel:BYTE_0 src1_sel:DWORD
	s_mov_b64 s[54:55], 0
                                        ; implicit-def: $vgpr66
	s_and_saveexec_b64 s[48:49], vcc
	s_xor_b64 vcc, exec, s[48:49]
	s_cbranch_execz .LBB166_1691
; %bb.1688:                             ;   in Loop: Header=BB166_17 Depth=1
	v_cmp_eq_u16_sdwa s[50:51], v9, v24 src0_sel:BYTE_0 src1_sel:DWORD
                                        ; implicit-def: $vgpr66
	s_and_saveexec_b64 s[48:49], s[50:51]
	s_cbranch_execz .LBB166_1690
; %bb.1689:                             ;   in Loop: Header=BB166_17 Depth=1
	flat_load_dword v15, v[15:16]
	s_mov_b64 s[54:55], exec
	s_waitcnt vmcnt(0) lgkmcnt(0)
	v_lshlrev_b32_e32 v66, 16, v15
.LBB166_1690:                           ;   in Loop: Header=BB166_17 Depth=1
	s_or_b64 exec, exec, s[48:49]
	s_and_b64 s[54:55], s[54:55], exec
                                        ; implicit-def: $vgpr15_vgpr16
.LBB166_1691:                           ;   in Loop: Header=BB166_17 Depth=1
	s_andn2_saveexec_b64 s[64:65], vcc
	s_cbranch_execz .LBB166_1695
; %bb.1692:                             ;   in Loop: Header=BB166_17 Depth=1
	v_cmp_eq_u16_sdwa s[48:49], v9, v25 src0_sel:BYTE_0 src1_sel:DWORD
	s_mov_b64 vcc, s[54:55]
                                        ; implicit-def: $vgpr66
	s_and_saveexec_b64 s[66:67], s[48:49]
	s_cbranch_execz .LBB166_1694
; %bb.1693:                             ;   in Loop: Header=BB166_17 Depth=1
	flat_load_ubyte v15, v[15:16]
	s_movk_i32 vcc_lo, 0xff
	s_waitcnt vmcnt(0) lgkmcnt(0)
	v_lshlrev_b32_e32 v16, 23, v15
	v_cmp_ne_u32_e32 vcc, vcc_lo, v15
	v_cndmask_b32_e32 v16, v26, v16, vcc
	v_cmp_ne_u32_e32 vcc, 0, v15
	v_cndmask_b32_e32 v66, v27, v16, vcc
	s_or_b64 vcc, s[54:55], exec
.LBB166_1694:                           ;   in Loop: Header=BB166_17 Depth=1
	s_or_b64 exec, exec, s[66:67]
	s_andn2_b64 s[48:49], s[54:55], exec
	s_and_b64 vcc, vcc, exec
	s_or_b64 s[54:55], s[48:49], vcc
.LBB166_1695:                           ;   in Loop: Header=BB166_17 Depth=1
	s_or_b64 exec, exec, s[64:65]
	s_and_b64 vcc, s[54:55], exec
                                        ; implicit-def: $vgpr15_vgpr16
.LBB166_1696:                           ;   in Loop: Header=BB166_17 Depth=1
	s_andn2_saveexec_b64 s[54:55], s[68:69]
	s_cbranch_execz .LBB166_1700
; %bb.1697:                             ;   in Loop: Header=BB166_17 Depth=1
	v_cmp_eq_u16_sdwa s[48:49], v9, v28 src0_sel:BYTE_0 src1_sel:DWORD
	s_mov_b64 s[66:67], vcc
                                        ; implicit-def: $vgpr66
	s_and_saveexec_b64 s[64:65], s[48:49]
	s_cbranch_execz .LBB166_1699
; %bb.1698:                             ;   in Loop: Header=BB166_17 Depth=1
	flat_load_dwordx2 v[15:16], v[15:16]
	s_or_b64 s[66:67], vcc, exec
	s_waitcnt vmcnt(0) lgkmcnt(0)
	v_ffbh_u32_e32 v66, v16
	v_min_u32_e32 v66, 32, v66
	v_lshlrev_b64 v[15:16], v66, v[15:16]
	v_min_u32_e32 v15, 1, v15
	v_or_b32_e32 v15, v16, v15
	v_cvt_f32_u32_e32 v15, v15
	v_sub_u32_e32 v16, 32, v66
	v_ldexp_f32 v66, v15, v16
.LBB166_1699:                           ;   in Loop: Header=BB166_17 Depth=1
	s_or_b64 exec, exec, s[64:65]
	s_andn2_b64 vcc, vcc, exec
	s_and_b64 s[48:49], s[66:67], exec
	s_or_b64 vcc, vcc, s[48:49]
.LBB166_1700:                           ;   in Loop: Header=BB166_17 Depth=1
	s_or_b64 exec, exec, s[54:55]
	s_and_b64 s[68:69], vcc, exec
                                        ; implicit-def: $vgpr15_vgpr16
.LBB166_1701:                           ;   in Loop: Header=BB166_17 Depth=1
	s_andn2_saveexec_b64 s[70:71], s[70:71]
	s_cbranch_execz .LBB166_1715
; %bb.1702:                             ;   in Loop: Header=BB166_17 Depth=1
	s_mov_b64 s[80:81], s[52:53]
	v_cmp_gt_i16_sdwa vcc, v9, v29 src0_sel:BYTE_0 src1_sel:DWORD
                                        ; implicit-def: $vgpr66
	s_and_saveexec_b64 s[48:49], vcc
	s_xor_b64 vcc, exec, s[48:49]
	s_cbranch_execz .LBB166_1708
; %bb.1703:                             ;   in Loop: Header=BB166_17 Depth=1
	v_cmp_gt_i16_sdwa s[48:49], v9, v30 src0_sel:BYTE_0 src1_sel:DWORD
                                        ; implicit-def: $vgpr66
	s_and_saveexec_b64 s[50:51], s[48:49]
	s_xor_b64 s[48:49], exec, s[50:51]
	s_cbranch_execz .LBB166_1705
; %bb.1704:                             ;   in Loop: Header=BB166_17 Depth=1
	flat_load_dword v15, v[15:16]
	s_waitcnt vmcnt(0) lgkmcnt(0)
	v_cvt_f32_u32_e32 v66, v15
                                        ; implicit-def: $vgpr15_vgpr16
.LBB166_1705:                           ;   in Loop: Header=BB166_17 Depth=1
	s_andn2_saveexec_b64 s[48:49], s[48:49]
	s_cbranch_execz .LBB166_1707
; %bb.1706:                             ;   in Loop: Header=BB166_17 Depth=1
	flat_load_ushort v15, v[15:16]
	s_waitcnt vmcnt(0) lgkmcnt(0)
	v_cvt_f32_u32_e32 v66, v15
.LBB166_1707:                           ;   in Loop: Header=BB166_17 Depth=1
	s_or_b64 exec, exec, s[48:49]
                                        ; implicit-def: $vgpr15_vgpr16
.LBB166_1708:                           ;   in Loop: Header=BB166_17 Depth=1
	s_andn2_saveexec_b64 s[54:55], vcc
	s_cbranch_execz .LBB166_1714
; %bb.1709:                             ;   in Loop: Header=BB166_17 Depth=1
	flat_load_ubyte v15, v[15:16]
	s_movk_i32 vcc_lo, 0x7f
	s_mov_b64 s[64:65], 0
	s_waitcnt vmcnt(0) lgkmcnt(0)
	v_cmp_lt_i16_e32 vcc, vcc_lo, v15
	s_and_saveexec_b64 s[48:49], vcc
	s_xor_b64 s[66:67], exec, s[48:49]
	s_cbranch_execnz .LBB166_3622
; %bb.1710:                             ;   in Loop: Header=BB166_17 Depth=1
	s_or_saveexec_b64 s[66:67], s[66:67]
	v_mov_b32_e32 v66, 0x7f800001
	s_xor_b64 exec, exec, s[66:67]
	s_cbranch_execnz .LBB166_3625
.LBB166_1711:                           ;   in Loop: Header=BB166_17 Depth=1
	s_or_b64 exec, exec, s[66:67]
	s_and_saveexec_b64 s[66:67], s[64:65]
	s_cbranch_execz .LBB166_1713
.LBB166_1712:                           ;   in Loop: Header=BB166_17 Depth=1
	v_lshlrev_b32_e32 v16, 24, v15
	v_and_b32_e32 v15, 0xffff, v15
	v_and_b32_e32 v66, 7, v15
	v_ffbh_u32_e32 v68, v66
	v_min_u32_e32 v68, 32, v68
	v_subrev_u32_e32 v69, 28, v68
	v_bfe_u32 v67, v15, 3, 4
	v_lshlrev_b32_e32 v15, v69, v15
	v_sub_u32_e32 v68, 29, v68
	v_and_b32_e32 v15, 7, v15
	v_cmp_eq_u32_e32 vcc, 0, v67
	v_cndmask_b32_e32 v67, v67, v68, vcc
	v_cndmask_b32_e32 v15, v66, v15, vcc
	v_lshlrev_b32_e32 v15, 20, v15
	v_and_b32_e32 v16, 0x80000000, v16
	v_lshl_add_u32 v66, v67, 23, v31
	v_or3_b32 v66, v16, v66, v15
.LBB166_1713:                           ;   in Loop: Header=BB166_17 Depth=1
	s_or_b64 exec, exec, s[66:67]
.LBB166_1714:                           ;   in Loop: Header=BB166_17 Depth=1
	s_or_b64 exec, exec, s[54:55]
	s_or_b64 s[68:69], s[68:69], exec
	s_mov_b64 s[52:53], s[80:81]
.LBB166_1715:                           ;   in Loop: Header=BB166_17 Depth=1
	s_or_b64 exec, exec, s[70:71]
	s_and_b64 s[68:69], s[68:69], exec
                                        ; implicit-def: $vgpr15_vgpr16
.LBB166_1716:                           ;   in Loop: Header=BB166_17 Depth=1
	s_andn2_saveexec_b64 s[84:85], s[84:85]
	s_cbranch_execz .LBB166_1742
; %bb.1717:                             ;   in Loop: Header=BB166_17 Depth=1
	v_cmp_gt_i16_sdwa vcc, v9, v32 src0_sel:BYTE_0 src1_sel:DWORD
	s_mov_b64 s[80:81], s[68:69]
                                        ; implicit-def: $vgpr66
	s_and_saveexec_b64 s[48:49], vcc
	s_xor_b64 s[70:71], exec, s[48:49]
	s_cbranch_execz .LBB166_1731
; %bb.1718:                             ;   in Loop: Header=BB166_17 Depth=1
	v_cmp_gt_i16_sdwa vcc, v9, v33 src0_sel:BYTE_0 src1_sel:DWORD
                                        ; implicit-def: $vgpr66
	s_and_saveexec_b64 s[48:49], vcc
	s_xor_b64 s[50:51], exec, s[48:49]
	s_cbranch_execz .LBB166_1728
; %bb.1719:                             ;   in Loop: Header=BB166_17 Depth=1
	v_cmp_gt_i16_sdwa vcc, v9, v34 src0_sel:BYTE_0 src1_sel:DWORD
                                        ; implicit-def: $vgpr66
	s_and_saveexec_b64 s[48:49], vcc
	s_xor_b64 s[54:55], exec, s[48:49]
	s_cbranch_execz .LBB166_1725
; %bb.1720:                             ;   in Loop: Header=BB166_17 Depth=1
	flat_load_ubyte v15, v[15:16]
	s_movk_i32 vcc_lo, 0x7f
	s_mov_b64 s[64:65], 0
	s_waitcnt vmcnt(0) lgkmcnt(0)
	v_cmp_lt_i16_e32 vcc, vcc_lo, v15
	s_and_saveexec_b64 s[48:49], vcc
	s_xor_b64 s[66:67], exec, s[48:49]
	s_cbranch_execnz .LBB166_3634
; %bb.1721:                             ;   in Loop: Header=BB166_17 Depth=1
	s_or_saveexec_b64 s[66:67], s[66:67]
	v_mov_b32_e32 v66, 0x7f800001
	s_xor_b64 exec, exec, s[66:67]
	s_cbranch_execnz .LBB166_3637
.LBB166_1722:                           ;   in Loop: Header=BB166_17 Depth=1
	s_or_b64 exec, exec, s[66:67]
	s_and_saveexec_b64 s[66:67], s[64:65]
	s_cbranch_execz .LBB166_1724
.LBB166_1723:                           ;   in Loop: Header=BB166_17 Depth=1
	v_lshlrev_b32_e32 v16, 24, v15
	v_and_b32_e32 v15, 0xffff, v15
	v_and_b32_e32 v66, 3, v15
	v_ffbh_u32_e32 v68, v66
	v_min_u32_e32 v68, 32, v68
	v_subrev_u32_e32 v69, 29, v68
	v_bfe_u32 v67, v15, 2, 5
	v_lshlrev_b32_e32 v15, v69, v15
	v_sub_u32_e32 v68, 30, v68
	v_and_b32_e32 v15, 3, v15
	v_cmp_eq_u32_e32 vcc, 0, v67
	v_cndmask_b32_e32 v67, v67, v68, vcc
	v_cndmask_b32_e32 v15, v66, v15, vcc
	v_lshlrev_b32_e32 v15, 21, v15
	v_and_b32_e32 v16, 0x80000000, v16
	v_lshl_add_u32 v66, v67, 23, v35
	v_or3_b32 v66, v16, v66, v15
.LBB166_1724:                           ;   in Loop: Header=BB166_17 Depth=1
	s_or_b64 exec, exec, s[66:67]
                                        ; implicit-def: $vgpr15_vgpr16
.LBB166_1725:                           ;   in Loop: Header=BB166_17 Depth=1
	s_andn2_saveexec_b64 s[54:55], s[54:55]
	s_cbranch_execz .LBB166_1727
; %bb.1726:                             ;   in Loop: Header=BB166_17 Depth=1
	flat_load_ubyte v15, v[15:16]
	s_mov_b32 vcc_lo, 0x7f800000
	s_waitcnt vmcnt(0) lgkmcnt(0)
	v_lshlrev_b32_e32 v15, 24, v15
	v_and_b32_e32 v16, 0x7f000000, v15
	v_ffbh_u32_e32 v66, v16
	v_min_u32_e32 v66, 32, v66
	v_sub_u32_e64 v66, v66, 4 clamp
	v_lshlrev_b32_e32 v68, v66, v16
	v_lshlrev_b32_e32 v66, 23, v66
	v_lshrrev_b32_e32 v68, 4, v68
	v_add_u32_e32 v67, 0x1000000, v16
	v_sub_u32_e32 v66, v68, v66
	v_ashrrev_i32_e32 v67, 8, v67
	v_add_u32_e32 v66, 0x3c000000, v66
	v_and_or_b32 v66, v67, vcc_lo, v66
	v_cmp_ne_u32_e32 vcc, 0, v16
	v_cndmask_b32_e32 v16, 0, v66, vcc
	s_brev_b32 vcc_lo, 1
	v_and_or_b32 v66, v15, vcc_lo, v16
.LBB166_1727:                           ;   in Loop: Header=BB166_17 Depth=1
	s_or_b64 exec, exec, s[54:55]
                                        ; implicit-def: $vgpr15_vgpr16
.LBB166_1728:                           ;   in Loop: Header=BB166_17 Depth=1
	s_andn2_saveexec_b64 s[54:55], s[50:51]
	s_cbranch_execz .LBB166_1730
; %bb.1729:                             ;   in Loop: Header=BB166_17 Depth=1
	flat_load_ubyte v15, v[15:16]
	s_movk_i32 vcc_lo, 0x7f00
	s_waitcnt vmcnt(0) lgkmcnt(0)
	v_lshlrev_b16_e32 v16, 8, v15
	v_lshlrev_b32_e32 v15, 25, v15
	v_lshrrev_b32_e32 v66, 4, v15
	v_and_or_b32 v67, v16, vcc_lo, 0.5
	v_or_b32_e32 v66, 0x70000000, v66
	s_brev_b32 vcc_lo, 16
	v_add_f32_e32 v67, -0.5, v67
	v_mul_f32_e32 v66, 0x7800000, v66
	v_cmp_gt_u32_e32 vcc, vcc_lo, v15
	v_cndmask_b32_e32 v15, v66, v67, vcc
	v_bfe_i32 v16, v16, 0, 16
	s_brev_b32 vcc_lo, 1
	v_and_or_b32 v66, v16, vcc_lo, v15
.LBB166_1730:                           ;   in Loop: Header=BB166_17 Depth=1
	s_or_b64 exec, exec, s[54:55]
	s_or_b64 s[80:81], s[68:69], exec
                                        ; implicit-def: $vgpr15_vgpr16
.LBB166_1731:                           ;   in Loop: Header=BB166_17 Depth=1
	s_andn2_saveexec_b64 s[54:55], s[70:71]
	s_cbranch_execz .LBB166_1741
; %bb.1732:                             ;   in Loop: Header=BB166_17 Depth=1
	v_cmp_gt_i16_sdwa vcc, v9, v36 src0_sel:BYTE_0 src1_sel:DWORD
	s_mov_b64 s[64:65], s[80:81]
                                        ; implicit-def: $vgpr66
	s_and_saveexec_b64 s[48:49], vcc
	s_xor_b64 vcc, exec, s[48:49]
	s_cbranch_execz .LBB166_1736
; %bb.1733:                             ;   in Loop: Header=BB166_17 Depth=1
	v_cmp_eq_u16_sdwa s[50:51], v9, v37 src0_sel:BYTE_0 src1_sel:DWORD
	s_mov_b64 s[64:65], s[80:81]
                                        ; implicit-def: $vgpr66
	s_and_saveexec_b64 s[48:49], s[50:51]
	s_cbranch_execz .LBB166_1735
; %bb.1734:                             ;   in Loop: Header=BB166_17 Depth=1
	flat_load_ushort v15, v[15:16]
	s_or_b64 s[64:65], s[80:81], exec
	s_waitcnt vmcnt(0) lgkmcnt(0)
	v_lshlrev_b32_e32 v66, 16, v15
.LBB166_1735:                           ;   in Loop: Header=BB166_17 Depth=1
	s_or_b64 exec, exec, s[48:49]
	s_andn2_b64 s[48:49], s[80:81], exec
	s_and_b64 s[50:51], s[64:65], exec
	s_or_b64 s[64:65], s[48:49], s[50:51]
                                        ; implicit-def: $vgpr15_vgpr16
.LBB166_1736:                           ;   in Loop: Header=BB166_17 Depth=1
	s_andn2_saveexec_b64 s[66:67], vcc
	s_cbranch_execz .LBB166_1740
; %bb.1737:                             ;   in Loop: Header=BB166_17 Depth=1
	v_cmp_eq_u16_sdwa s[50:51], v9, v38 src0_sel:BYTE_0 src1_sel:DWORD
	s_mov_b64 vcc, s[64:65]
                                        ; implicit-def: $vgpr66
	s_and_saveexec_b64 s[48:49], s[50:51]
	s_cbranch_execz .LBB166_1739
; %bb.1738:                             ;   in Loop: Header=BB166_17 Depth=1
	flat_load_ubyte v15, v[15:16]
	s_waitcnt vmcnt(0) lgkmcnt(0)
	v_cmp_ne_u16_e32 vcc, 0, v15
	v_cndmask_b32_e64 v66, 0, 1.0, vcc
	s_or_b64 vcc, s[64:65], exec
.LBB166_1739:                           ;   in Loop: Header=BB166_17 Depth=1
	s_or_b64 exec, exec, s[48:49]
	s_andn2_b64 s[48:49], s[64:65], exec
	s_and_b64 vcc, vcc, exec
	s_or_b64 s[64:65], s[48:49], vcc
.LBB166_1740:                           ;   in Loop: Header=BB166_17 Depth=1
	s_or_b64 exec, exec, s[66:67]
	s_andn2_b64 vcc, s[80:81], exec
	s_and_b64 s[48:49], s[64:65], exec
	s_or_b64 s[80:81], vcc, s[48:49]
.LBB166_1741:                           ;   in Loop: Header=BB166_17 Depth=1
	s_or_b64 exec, exec, s[54:55]
	s_andn2_b64 vcc, s[68:69], exec
	s_and_b64 s[48:49], s[80:81], exec
	s_or_b64 s[68:69], vcc, s[48:49]
.LBB166_1742:                           ;   in Loop: Header=BB166_17 Depth=1
	s_or_b64 exec, exec, s[84:85]
	s_and_b64 vcc, s[68:69], exec
                                        ; implicit-def: $vgpr15_vgpr16
.LBB166_1743:                           ;   in Loop: Header=BB166_17 Depth=1
	s_andn2_saveexec_b64 s[68:69], s[82:83]
	s_cbranch_execz .LBB166_1785
; %bb.1744:                             ;   in Loop: Header=BB166_17 Depth=1
	v_cmp_gt_i16_sdwa s[48:49], v9, v39 src0_sel:BYTE_0 src1_sel:DWORD
                                        ; implicit-def: $vgpr66
	s_and_saveexec_b64 s[50:51], s[48:49]
	s_xor_b64 s[70:71], exec, s[50:51]
	s_cbranch_execz .LBB166_1766
; %bb.1745:                             ;   in Loop: Header=BB166_17 Depth=1
	v_cmp_gt_i16_sdwa s[48:49], v9, v48 src0_sel:BYTE_0 src1_sel:DWORD
                                        ; implicit-def: $vgpr66
	s_and_saveexec_b64 s[50:51], s[48:49]
	s_xor_b64 s[54:55], exec, s[50:51]
	s_cbranch_execz .LBB166_1755
; %bb.1746:                             ;   in Loop: Header=BB166_17 Depth=1
	s_mov_b64 s[66:67], s[52:53]
	v_cmp_gt_i16_sdwa s[48:49], v9, v49 src0_sel:BYTE_0 src1_sel:DWORD
                                        ; implicit-def: $vgpr66
	s_and_saveexec_b64 s[50:51], s[48:49]
	s_xor_b64 s[64:65], exec, s[50:51]
	s_cbranch_execz .LBB166_1752
; %bb.1747:                             ;   in Loop: Header=BB166_17 Depth=1
	v_cmp_gt_i16_sdwa s[48:49], v9, v50 src0_sel:BYTE_0 src1_sel:DWORD
                                        ; implicit-def: $vgpr66
	s_and_saveexec_b64 s[50:51], s[48:49]
	s_xor_b64 s[48:49], exec, s[50:51]
	s_cbranch_execz .LBB166_1749
; %bb.1748:                             ;   in Loop: Header=BB166_17 Depth=1
	flat_load_dwordx2 v[15:16], v[15:16]
	s_waitcnt vmcnt(0) lgkmcnt(0)
	v_cvt_f32_f64_e32 v66, v[15:16]
                                        ; implicit-def: $vgpr15_vgpr16
.LBB166_1749:                           ;   in Loop: Header=BB166_17 Depth=1
	s_andn2_saveexec_b64 s[48:49], s[48:49]
	s_cbranch_execz .LBB166_1751
; %bb.1750:                             ;   in Loop: Header=BB166_17 Depth=1
	flat_load_dword v66, v[15:16]
.LBB166_1751:                           ;   in Loop: Header=BB166_17 Depth=1
	s_or_b64 exec, exec, s[48:49]
                                        ; implicit-def: $vgpr15_vgpr16
.LBB166_1752:                           ;   in Loop: Header=BB166_17 Depth=1
	s_andn2_saveexec_b64 s[48:49], s[64:65]
	s_cbranch_execz .LBB166_1754
; %bb.1753:                             ;   in Loop: Header=BB166_17 Depth=1
	flat_load_dword v15, v[15:16]
	s_waitcnt vmcnt(0) lgkmcnt(0)
	v_cvt_f32_f16_e32 v66, v15
.LBB166_1754:                           ;   in Loop: Header=BB166_17 Depth=1
	s_or_b64 exec, exec, s[48:49]
	s_mov_b64 s[52:53], s[66:67]
                                        ; implicit-def: $vgpr15_vgpr16
.LBB166_1755:                           ;   in Loop: Header=BB166_17 Depth=1
	s_andn2_saveexec_b64 s[54:55], s[54:55]
	s_cbranch_execz .LBB166_1765
; %bb.1756:                             ;   in Loop: Header=BB166_17 Depth=1
	s_mov_b64 s[66:67], s[52:53]
	v_cmp_gt_i16_sdwa s[48:49], v9, v51 src0_sel:BYTE_0 src1_sel:DWORD
                                        ; implicit-def: $vgpr66
	s_and_saveexec_b64 s[50:51], s[48:49]
	s_xor_b64 s[64:65], exec, s[50:51]
	s_cbranch_execz .LBB166_1762
; %bb.1757:                             ;   in Loop: Header=BB166_17 Depth=1
	v_cmp_gt_i16_sdwa s[48:49], v9, v52 src0_sel:BYTE_0 src1_sel:DWORD
                                        ; implicit-def: $vgpr66
	s_and_saveexec_b64 s[50:51], s[48:49]
	s_xor_b64 s[48:49], exec, s[50:51]
	s_cbranch_execz .LBB166_1759
; %bb.1758:                             ;   in Loop: Header=BB166_17 Depth=1
	flat_load_dwordx2 v[15:16], v[15:16]
	s_waitcnt vmcnt(0) lgkmcnt(0)
	v_cvt_f32_f64_e32 v66, v[15:16]
                                        ; implicit-def: $vgpr15_vgpr16
.LBB166_1759:                           ;   in Loop: Header=BB166_17 Depth=1
	s_andn2_saveexec_b64 s[48:49], s[48:49]
	s_cbranch_execz .LBB166_1761
; %bb.1760:                             ;   in Loop: Header=BB166_17 Depth=1
	s_waitcnt vmcnt(0) lgkmcnt(0)
	flat_load_dword v66, v[15:16]
.LBB166_1761:                           ;   in Loop: Header=BB166_17 Depth=1
	s_or_b64 exec, exec, s[48:49]
                                        ; implicit-def: $vgpr15_vgpr16
.LBB166_1762:                           ;   in Loop: Header=BB166_17 Depth=1
	s_andn2_saveexec_b64 s[48:49], s[64:65]
	s_cbranch_execz .LBB166_1764
; %bb.1763:                             ;   in Loop: Header=BB166_17 Depth=1
	flat_load_ushort v15, v[15:16]
	s_waitcnt vmcnt(0) lgkmcnt(0)
	v_cvt_f32_f16_e32 v66, v15
.LBB166_1764:                           ;   in Loop: Header=BB166_17 Depth=1
	s_or_b64 exec, exec, s[48:49]
	s_mov_b64 s[52:53], s[66:67]
.LBB166_1765:                           ;   in Loop: Header=BB166_17 Depth=1
	s_or_b64 exec, exec, s[54:55]
                                        ; implicit-def: $vgpr15_vgpr16
.LBB166_1766:                           ;   in Loop: Header=BB166_17 Depth=1
	s_andn2_saveexec_b64 s[70:71], s[70:71]
	s_cbranch_execz .LBB166_1784
; %bb.1767:                             ;   in Loop: Header=BB166_17 Depth=1
	v_cmp_gt_i16_sdwa s[48:49], v9, v53 src0_sel:BYTE_0 src1_sel:DWORD
                                        ; implicit-def: $vgpr66
	s_and_saveexec_b64 s[50:51], s[48:49]
	s_xor_b64 s[54:55], exec, s[50:51]
	s_cbranch_execz .LBB166_1777
; %bb.1768:                             ;   in Loop: Header=BB166_17 Depth=1
	v_cmp_gt_i16_sdwa s[48:49], v9, v54 src0_sel:BYTE_0 src1_sel:DWORD
                                        ; implicit-def: $vgpr66
	s_and_saveexec_b64 s[50:51], s[48:49]
	s_xor_b64 s[64:65], exec, s[50:51]
	;; [unrolled: 6-line block ×3, first 2 shown]
	s_cbranch_execz .LBB166_1771
; %bb.1770:                             ;   in Loop: Header=BB166_17 Depth=1
	flat_load_dwordx2 v[15:16], v[15:16]
	s_waitcnt vmcnt(0) lgkmcnt(0)
	v_xor_b32_e32 v67, v15, v16
	v_ffbh_i32_e32 v66, v16
	v_ashrrev_i32_e32 v67, 31, v67
	v_add_u32_e32 v66, -1, v66
	v_add_u32_e32 v67, 32, v67
	v_min_u32_e32 v66, v66, v67
	v_lshlrev_b64 v[15:16], v66, v[15:16]
	v_min_u32_e32 v15, 1, v15
	v_or_b32_e32 v15, v16, v15
	v_cvt_f32_i32_e32 v15, v15
	v_sub_u32_e32 v16, 32, v66
	v_ldexp_f32 v66, v15, v16
                                        ; implicit-def: $vgpr15_vgpr16
.LBB166_1771:                           ;   in Loop: Header=BB166_17 Depth=1
	s_andn2_saveexec_b64 s[48:49], s[66:67]
	s_cbranch_execz .LBB166_1773
; %bb.1772:                             ;   in Loop: Header=BB166_17 Depth=1
	flat_load_dword v15, v[15:16]
	s_waitcnt vmcnt(0) lgkmcnt(0)
	v_cvt_f32_i32_e32 v66, v15
.LBB166_1773:                           ;   in Loop: Header=BB166_17 Depth=1
	s_or_b64 exec, exec, s[48:49]
                                        ; implicit-def: $vgpr15_vgpr16
.LBB166_1774:                           ;   in Loop: Header=BB166_17 Depth=1
	s_andn2_saveexec_b64 s[48:49], s[64:65]
	s_cbranch_execz .LBB166_1776
; %bb.1775:                             ;   in Loop: Header=BB166_17 Depth=1
	flat_load_sshort v15, v[15:16]
	s_waitcnt vmcnt(0) lgkmcnt(0)
	v_cvt_f32_i32_e32 v66, v15
.LBB166_1776:                           ;   in Loop: Header=BB166_17 Depth=1
	s_or_b64 exec, exec, s[48:49]
                                        ; implicit-def: $vgpr15_vgpr16
.LBB166_1777:                           ;   in Loop: Header=BB166_17 Depth=1
	s_andn2_saveexec_b64 s[54:55], s[54:55]
	s_cbranch_execz .LBB166_1783
; %bb.1778:                             ;   in Loop: Header=BB166_17 Depth=1
	s_mov_b64 s[64:65], s[52:53]
	v_cmp_gt_i16_sdwa s[48:49], v9, v18 src0_sel:BYTE_0 src1_sel:DWORD
                                        ; implicit-def: $vgpr66
	s_and_saveexec_b64 s[50:51], s[48:49]
	s_xor_b64 s[48:49], exec, s[50:51]
	s_cbranch_execz .LBB166_1780
; %bb.1779:                             ;   in Loop: Header=BB166_17 Depth=1
	flat_load_sbyte v15, v[15:16]
	s_waitcnt vmcnt(0) lgkmcnt(0)
	v_cvt_f32_i32_e32 v66, v15
                                        ; implicit-def: $vgpr15_vgpr16
.LBB166_1780:                           ;   in Loop: Header=BB166_17 Depth=1
	s_andn2_saveexec_b64 s[48:49], s[48:49]
	s_cbranch_execz .LBB166_1782
; %bb.1781:                             ;   in Loop: Header=BB166_17 Depth=1
	flat_load_ubyte v15, v[15:16]
	s_waitcnt vmcnt(0) lgkmcnt(0)
	v_cvt_f32_ubyte0_e32 v66, v15
.LBB166_1782:                           ;   in Loop: Header=BB166_17 Depth=1
	s_or_b64 exec, exec, s[48:49]
	s_mov_b64 s[52:53], s[64:65]
.LBB166_1783:                           ;   in Loop: Header=BB166_17 Depth=1
	s_or_b64 exec, exec, s[54:55]
.LBB166_1784:                           ;   in Loop: Header=BB166_17 Depth=1
	s_or_b64 exec, exec, s[70:71]
	s_or_b64 vcc, vcc, exec
.LBB166_1785:                           ;   in Loop: Header=BB166_17 Depth=1
	s_or_b64 exec, exec, s[68:69]
	s_mov_b64 s[54:55], -1
	s_mov_b64 s[64:65], 0
	s_mov_b64 s[68:69], 0
	s_and_saveexec_b64 s[82:83], vcc
	s_cbranch_execz .LBB166_1791
; %bb.1786:                             ;   in Loop: Header=BB166_17 Depth=1
	v_readlane_b32 s48, v41, 0
	s_lshr_b32 vcc_lo, s32, 6
	s_add_i32 vcc_lo, vcc_lo, s48
	v_mov_b32_e32 v15, vcc_lo
	s_waitcnt vmcnt(0) lgkmcnt(0)
	buffer_store_dword v66, v15, s[0:3], 0 offen offset:124
	v_mul_lo_u32 v15, v65, v12
	v_writelane_b32 v41, vcc_lo, 32
	v_cmp_gt_i16_sdwa s[48:49], v10, v19 src0_sel:BYTE_0 src1_sel:DWORD
                                        ; implicit-def: $vgpr65
	v_add_co_u32_e32 v15, vcc, v6, v15
	v_addc_co_u32_e32 v16, vcc, 0, v7, vcc
	s_mov_b64 vcc, 0
	s_and_saveexec_b64 s[50:51], s[48:49]
	s_xor_b64 s[50:51], exec, s[50:51]
	s_cbranch_execnz .LBB166_3478
; %bb.1787:                             ;   in Loop: Header=BB166_17 Depth=1
	s_andn2_saveexec_b64 s[68:69], s[50:51]
	s_cbranch_execnz .LBB166_3537
.LBB166_1788:                           ;   in Loop: Header=BB166_17 Depth=1
	s_or_b64 exec, exec, s[68:69]
	s_mov_b64 s[64:65], 0
	s_and_saveexec_b64 s[54:55], vcc
	s_cbranch_execz .LBB166_1790
.LBB166_1789:                           ;   in Loop: Header=BB166_17 Depth=1
	v_readlane_b32 vcc_lo, v41, 32
	s_mov_b64 s[64:65], exec
	v_mov_b32_e32 v15, vcc_lo
	v_add_u32_e32 v64, 0x200, v64
	s_waitcnt vmcnt(0) lgkmcnt(0)
	buffer_store_dword v65, v15, s[0:3], 0 offen offset:120
.LBB166_1790:                           ;   in Loop: Header=BB166_17 Depth=1
	s_or_b64 exec, exec, s[54:55]
	s_mov_b64 s[68:69], exec
	s_xor_b64 s[54:55], exec, -1
	s_and_b64 s[64:65], s[64:65], exec
.LBB166_1791:                           ;   in Loop: Header=BB166_17 Depth=1
	s_or_b64 exec, exec, s[82:83]
	s_orn2_b64 s[64:65], s[64:65], exec
.LBB166_1792:                           ;   in Loop: Header=BB166_17 Depth=1
	v_readlane_b32 vcc_lo, v41, 30
	v_readlane_b32 vcc_hi, v41, 31
	s_or_b64 exec, exec, vcc
	s_and_saveexec_b64 vcc, s[64:65]
	s_cbranch_execz .LBB166_1
; %bb.1793:                             ;   in Loop: Header=BB166_17 Depth=1
	v_readlane_b32 s48, v41, 0
	s_addk_i32 s48, 0x80
	s_cmpk_eq_i32 s48, 0x100
	v_writelane_b32 v41, s48, 0
	s_cselect_b64 s[48:49], -1, 0
	s_orn2_b64 s[48:49], s[48:49], exec
	s_andn2_b64 s[68:69], s[68:69], exec
	s_andn2_b64 s[54:55], s[54:55], exec
	v_writelane_b32 v41, s48, 24
	v_writelane_b32 v41, s49, 25
	s_branch .LBB166_1
.LBB166_1794:                           ;   in Loop: Header=BB166_17 Depth=1
	v_cmp_gt_i16_sdwa s[22:23], v10, v20 src0_sel:BYTE_0 src1_sel:DWORD
	s_mov_b64 s[24:25], 0
                                        ; implicit-def: $vgpr65
	s_and_saveexec_b64 s[26:27], s[22:23]
	s_xor_b64 s[22:23], exec, s[26:27]
	s_cbranch_execz .LBB166_1826
; %bb.1795:                             ;   in Loop: Header=BB166_17 Depth=1
	v_cmp_gt_i16_sdwa s[26:27], v10, v21 src0_sel:BYTE_0 src1_sel:DWORD
                                        ; implicit-def: $vgpr65
	s_and_saveexec_b64 s[28:29], s[26:27]
	s_xor_b64 s[26:27], exec, s[28:29]
	s_cbranch_execz .LBB166_1811
; %bb.1796:                             ;   in Loop: Header=BB166_17 Depth=1
	v_cmp_gt_i16_sdwa s[24:25], v10, v22 src0_sel:BYTE_0 src1_sel:DWORD
	s_mov_b64 s[28:29], 0
                                        ; implicit-def: $vgpr65
	s_and_saveexec_b64 s[40:41], s[24:25]
	s_xor_b64 s[24:25], exec, s[40:41]
	s_cbranch_execz .LBB166_1806
; %bb.1797:                             ;   in Loop: Header=BB166_17 Depth=1
	v_cmp_gt_i16_sdwa s[40:41], v10, v23 src0_sel:BYTE_0 src1_sel:DWORD
                                        ; implicit-def: $vgpr65
	s_and_saveexec_b64 s[42:43], s[40:41]
	s_xor_b64 s[40:41], exec, s[42:43]
	s_cbranch_execz .LBB166_1801
; %bb.1798:                             ;   in Loop: Header=BB166_17 Depth=1
	v_cmp_eq_u16_sdwa s[44:45], v10, v24 src0_sel:BYTE_0 src1_sel:DWORD
                                        ; implicit-def: $vgpr65
	s_and_saveexec_b64 s[42:43], s[44:45]
	s_cbranch_execz .LBB166_1800
; %bb.1799:                             ;   in Loop: Header=BB166_17 Depth=1
	flat_load_dword v15, v[15:16]
	s_mov_b64 s[28:29], exec
	s_waitcnt vmcnt(0) lgkmcnt(0)
	v_lshlrev_b32_e32 v65, 16, v15
.LBB166_1800:                           ;   in Loop: Header=BB166_17 Depth=1
	s_or_b64 exec, exec, s[42:43]
	s_and_b64 s[28:29], s[28:29], exec
                                        ; implicit-def: $vgpr15_vgpr16
.LBB166_1801:                           ;   in Loop: Header=BB166_17 Depth=1
	s_andn2_saveexec_b64 s[40:41], s[40:41]
	s_cbranch_execz .LBB166_1805
; %bb.1802:                             ;   in Loop: Header=BB166_17 Depth=1
	v_cmp_eq_u16_sdwa s[46:47], v10, v25 src0_sel:BYTE_0 src1_sel:DWORD
	s_mov_b64 s[44:45], s[28:29]
                                        ; implicit-def: $vgpr65
	s_and_saveexec_b64 s[42:43], s[46:47]
	s_cbranch_execz .LBB166_1804
; %bb.1803:                             ;   in Loop: Header=BB166_17 Depth=1
	flat_load_ubyte v15, v[15:16]
	s_movk_i32 s44, 0xff
	s_waitcnt vmcnt(0) lgkmcnt(0)
	v_lshlrev_b32_e32 v16, 23, v15
	v_cmp_ne_u32_e32 vcc, s44, v15
	v_cndmask_b32_e32 v16, v26, v16, vcc
	v_cmp_ne_u32_e32 vcc, 0, v15
	v_cndmask_b32_e32 v65, v27, v16, vcc
	s_or_b64 s[44:45], s[28:29], exec
.LBB166_1804:                           ;   in Loop: Header=BB166_17 Depth=1
	s_or_b64 exec, exec, s[42:43]
	s_andn2_b64 s[28:29], s[28:29], exec
	s_and_b64 s[42:43], s[44:45], exec
	s_or_b64 s[28:29], s[28:29], s[42:43]
.LBB166_1805:                           ;   in Loop: Header=BB166_17 Depth=1
	s_or_b64 exec, exec, s[40:41]
	s_and_b64 s[28:29], s[28:29], exec
                                        ; implicit-def: $vgpr15_vgpr16
.LBB166_1806:                           ;   in Loop: Header=BB166_17 Depth=1
	s_andn2_saveexec_b64 s[24:25], s[24:25]
	s_cbranch_execz .LBB166_1810
; %bb.1807:                             ;   in Loop: Header=BB166_17 Depth=1
	v_cmp_eq_u16_sdwa s[44:45], v10, v28 src0_sel:BYTE_0 src1_sel:DWORD
	s_mov_b64 s[42:43], s[28:29]
                                        ; implicit-def: $vgpr65
	s_and_saveexec_b64 s[40:41], s[44:45]
	s_cbranch_execz .LBB166_1809
; %bb.1808:                             ;   in Loop: Header=BB166_17 Depth=1
	flat_load_dwordx2 v[15:16], v[15:16]
	s_or_b64 s[42:43], s[28:29], exec
	s_waitcnt vmcnt(0) lgkmcnt(0)
	v_ffbh_u32_e32 v65, v16
	v_min_u32_e32 v65, 32, v65
	v_lshlrev_b64 v[15:16], v65, v[15:16]
	v_min_u32_e32 v15, 1, v15
	v_or_b32_e32 v15, v16, v15
	v_cvt_f32_u32_e32 v15, v15
	v_sub_u32_e32 v16, 32, v65
	v_ldexp_f32 v65, v15, v16
.LBB166_1809:                           ;   in Loop: Header=BB166_17 Depth=1
	s_or_b64 exec, exec, s[40:41]
	s_andn2_b64 s[28:29], s[28:29], exec
	s_and_b64 s[40:41], s[42:43], exec
	s_or_b64 s[28:29], s[28:29], s[40:41]
.LBB166_1810:                           ;   in Loop: Header=BB166_17 Depth=1
	s_or_b64 exec, exec, s[24:25]
	s_and_b64 s[24:25], s[28:29], exec
                                        ; implicit-def: $vgpr15_vgpr16
.LBB166_1811:                           ;   in Loop: Header=BB166_17 Depth=1
	s_andn2_saveexec_b64 s[26:27], s[26:27]
	s_cbranch_execz .LBB166_1825
; %bb.1812:                             ;   in Loop: Header=BB166_17 Depth=1
	v_cmp_gt_i16_sdwa s[28:29], v10, v29 src0_sel:BYTE_0 src1_sel:DWORD
                                        ; implicit-def: $vgpr65
	s_and_saveexec_b64 s[40:41], s[28:29]
	s_xor_b64 s[28:29], exec, s[40:41]
	s_cbranch_execz .LBB166_1818
; %bb.1813:                             ;   in Loop: Header=BB166_17 Depth=1
	v_cmp_gt_i16_sdwa s[40:41], v10, v30 src0_sel:BYTE_0 src1_sel:DWORD
                                        ; implicit-def: $vgpr65
	s_and_saveexec_b64 s[42:43], s[40:41]
	s_xor_b64 s[40:41], exec, s[42:43]
	s_cbranch_execz .LBB166_1815
; %bb.1814:                             ;   in Loop: Header=BB166_17 Depth=1
	flat_load_dword v15, v[15:16]
	s_waitcnt vmcnt(0) lgkmcnt(0)
	v_cvt_f32_u32_e32 v65, v15
                                        ; implicit-def: $vgpr15_vgpr16
.LBB166_1815:                           ;   in Loop: Header=BB166_17 Depth=1
	s_andn2_saveexec_b64 s[40:41], s[40:41]
	s_cbranch_execz .LBB166_1817
; %bb.1816:                             ;   in Loop: Header=BB166_17 Depth=1
	flat_load_ushort v15, v[15:16]
	s_waitcnt vmcnt(0) lgkmcnt(0)
	v_cvt_f32_u32_e32 v65, v15
.LBB166_1817:                           ;   in Loop: Header=BB166_17 Depth=1
	s_or_b64 exec, exec, s[40:41]
                                        ; implicit-def: $vgpr15_vgpr16
.LBB166_1818:                           ;   in Loop: Header=BB166_17 Depth=1
	s_andn2_saveexec_b64 s[28:29], s[28:29]
	s_cbranch_execz .LBB166_1824
; %bb.1819:                             ;   in Loop: Header=BB166_17 Depth=1
	flat_load_ubyte v15, v[15:16]
	s_movk_i32 s40, 0x7f
	s_waitcnt vmcnt(0) lgkmcnt(0)
	v_cmp_lt_i16_e32 vcc, s40, v15
	s_mov_b64 s[40:41], 0
	s_and_saveexec_b64 s[42:43], vcc
	s_xor_b64 s[42:43], exec, s[42:43]
	s_cbranch_execnz .LBB166_2306
; %bb.1820:                             ;   in Loop: Header=BB166_17 Depth=1
	s_or_saveexec_b64 s[42:43], s[42:43]
	v_mov_b32_e32 v65, 0x7f800001
	s_xor_b64 exec, exec, s[42:43]
	s_cbranch_execnz .LBB166_2309
.LBB166_1821:                           ;   in Loop: Header=BB166_17 Depth=1
	s_or_b64 exec, exec, s[42:43]
	s_and_saveexec_b64 s[42:43], s[40:41]
	s_cbranch_execz .LBB166_1823
.LBB166_1822:                           ;   in Loop: Header=BB166_17 Depth=1
	v_lshlrev_b32_e32 v16, 24, v15
	v_and_b32_e32 v15, 0xffff, v15
	v_and_b32_e32 v65, 7, v15
	v_ffbh_u32_e32 v67, v65
	v_min_u32_e32 v67, 32, v67
	v_subrev_u32_e32 v68, 28, v67
	v_bfe_u32 v66, v15, 3, 4
	v_lshlrev_b32_e32 v15, v68, v15
	v_sub_u32_e32 v67, 29, v67
	v_and_b32_e32 v15, 7, v15
	v_cmp_eq_u32_e32 vcc, 0, v66
	v_cndmask_b32_e32 v66, v66, v67, vcc
	v_cndmask_b32_e32 v15, v65, v15, vcc
	v_lshlrev_b32_e32 v15, 20, v15
	v_and_b32_e32 v16, 0x80000000, v16
	v_lshl_add_u32 v65, v66, 23, v31
	v_or3_b32 v65, v16, v65, v15
.LBB166_1823:                           ;   in Loop: Header=BB166_17 Depth=1
	s_or_b64 exec, exec, s[42:43]
.LBB166_1824:                           ;   in Loop: Header=BB166_17 Depth=1
	s_or_b64 exec, exec, s[28:29]
	s_or_b64 s[24:25], s[24:25], exec
.LBB166_1825:                           ;   in Loop: Header=BB166_17 Depth=1
	s_or_b64 exec, exec, s[26:27]
	s_and_b64 s[24:25], s[24:25], exec
                                        ; implicit-def: $vgpr15_vgpr16
.LBB166_1826:                           ;   in Loop: Header=BB166_17 Depth=1
	s_andn2_saveexec_b64 s[22:23], s[22:23]
	s_cbranch_execz .LBB166_1852
; %bb.1827:                             ;   in Loop: Header=BB166_17 Depth=1
	v_cmp_gt_i16_sdwa s[26:27], v10, v32 src0_sel:BYTE_0 src1_sel:DWORD
	s_mov_b64 s[28:29], s[24:25]
                                        ; implicit-def: $vgpr65
	s_and_saveexec_b64 s[40:41], s[26:27]
	s_xor_b64 s[26:27], exec, s[40:41]
	s_cbranch_execz .LBB166_1841
; %bb.1828:                             ;   in Loop: Header=BB166_17 Depth=1
	v_cmp_gt_i16_sdwa s[28:29], v10, v33 src0_sel:BYTE_0 src1_sel:DWORD
                                        ; implicit-def: $vgpr65
	s_and_saveexec_b64 s[40:41], s[28:29]
	s_xor_b64 s[28:29], exec, s[40:41]
	s_cbranch_execz .LBB166_1838
; %bb.1829:                             ;   in Loop: Header=BB166_17 Depth=1
	v_cmp_gt_i16_sdwa s[40:41], v10, v34 src0_sel:BYTE_0 src1_sel:DWORD
                                        ; implicit-def: $vgpr65
	s_and_saveexec_b64 s[42:43], s[40:41]
	s_xor_b64 s[40:41], exec, s[42:43]
	s_cbranch_execz .LBB166_1835
; %bb.1830:                             ;   in Loop: Header=BB166_17 Depth=1
	flat_load_ubyte v15, v[15:16]
	s_movk_i32 s42, 0x7f
	s_waitcnt vmcnt(0) lgkmcnt(0)
	v_cmp_lt_i16_e32 vcc, s42, v15
	s_mov_b64 s[42:43], 0
	s_and_saveexec_b64 s[44:45], vcc
	s_xor_b64 s[44:45], exec, s[44:45]
	s_cbranch_execnz .LBB166_2418
; %bb.1831:                             ;   in Loop: Header=BB166_17 Depth=1
	s_or_saveexec_b64 s[44:45], s[44:45]
	v_mov_b32_e32 v65, 0x7f800001
	s_xor_b64 exec, exec, s[44:45]
	s_cbranch_execnz .LBB166_2421
.LBB166_1832:                           ;   in Loop: Header=BB166_17 Depth=1
	s_or_b64 exec, exec, s[44:45]
	s_and_saveexec_b64 s[44:45], s[42:43]
	s_cbranch_execz .LBB166_1834
.LBB166_1833:                           ;   in Loop: Header=BB166_17 Depth=1
	v_lshlrev_b32_e32 v16, 24, v15
	v_and_b32_e32 v15, 0xffff, v15
	v_and_b32_e32 v65, 3, v15
	v_ffbh_u32_e32 v67, v65
	v_min_u32_e32 v67, 32, v67
	v_subrev_u32_e32 v68, 29, v67
	v_bfe_u32 v66, v15, 2, 5
	v_lshlrev_b32_e32 v15, v68, v15
	v_sub_u32_e32 v67, 30, v67
	v_and_b32_e32 v15, 3, v15
	v_cmp_eq_u32_e32 vcc, 0, v66
	v_cndmask_b32_e32 v66, v66, v67, vcc
	v_cndmask_b32_e32 v15, v65, v15, vcc
	v_lshlrev_b32_e32 v15, 21, v15
	v_and_b32_e32 v16, 0x80000000, v16
	v_lshl_add_u32 v65, v66, 23, v35
	v_or3_b32 v65, v16, v65, v15
.LBB166_1834:                           ;   in Loop: Header=BB166_17 Depth=1
	s_or_b64 exec, exec, s[44:45]
                                        ; implicit-def: $vgpr15_vgpr16
.LBB166_1835:                           ;   in Loop: Header=BB166_17 Depth=1
	s_andn2_saveexec_b64 s[40:41], s[40:41]
	s_cbranch_execz .LBB166_1837
; %bb.1836:                             ;   in Loop: Header=BB166_17 Depth=1
	flat_load_ubyte v15, v[15:16]
	s_mov_b32 s42, 0x7f800000
	s_waitcnt vmcnt(0) lgkmcnt(0)
	v_lshlrev_b32_e32 v15, 24, v15
	v_and_b32_e32 v16, 0x7f000000, v15
	v_ffbh_u32_e32 v65, v16
	v_min_u32_e32 v65, 32, v65
	v_sub_u32_e64 v65, v65, 4 clamp
	v_lshlrev_b32_e32 v67, v65, v16
	v_lshlrev_b32_e32 v65, 23, v65
	v_lshrrev_b32_e32 v67, 4, v67
	v_add_u32_e32 v66, 0x1000000, v16
	v_sub_u32_e32 v65, v67, v65
	v_ashrrev_i32_e32 v66, 8, v66
	v_add_u32_e32 v65, 0x3c000000, v65
	v_and_or_b32 v65, v66, s42, v65
	v_cmp_ne_u32_e32 vcc, 0, v16
	v_cndmask_b32_e32 v16, 0, v65, vcc
	s_brev_b32 s42, 1
	v_and_or_b32 v65, v15, s42, v16
.LBB166_1837:                           ;   in Loop: Header=BB166_17 Depth=1
	s_or_b64 exec, exec, s[40:41]
                                        ; implicit-def: $vgpr15_vgpr16
.LBB166_1838:                           ;   in Loop: Header=BB166_17 Depth=1
	s_andn2_saveexec_b64 s[28:29], s[28:29]
	s_cbranch_execz .LBB166_1840
; %bb.1839:                             ;   in Loop: Header=BB166_17 Depth=1
	flat_load_ubyte v15, v[15:16]
	s_movk_i32 s40, 0x7f00
	s_waitcnt vmcnt(0) lgkmcnt(0)
	v_lshlrev_b16_e32 v16, 8, v15
	v_lshlrev_b32_e32 v15, 25, v15
	v_lshrrev_b32_e32 v65, 4, v15
	v_and_or_b32 v66, v16, s40, 0.5
	v_or_b32_e32 v65, 0x70000000, v65
	s_brev_b32 s40, 16
	v_add_f32_e32 v66, -0.5, v66
	v_mul_f32_e32 v65, 0x7800000, v65
	v_cmp_gt_u32_e32 vcc, s40, v15
	v_cndmask_b32_e32 v15, v65, v66, vcc
	v_bfe_i32 v16, v16, 0, 16
	s_brev_b32 s40, 1
	v_and_or_b32 v65, v16, s40, v15
.LBB166_1840:                           ;   in Loop: Header=BB166_17 Depth=1
	s_or_b64 exec, exec, s[28:29]
	s_or_b64 s[28:29], s[24:25], exec
                                        ; implicit-def: $vgpr15_vgpr16
.LBB166_1841:                           ;   in Loop: Header=BB166_17 Depth=1
	s_andn2_saveexec_b64 s[26:27], s[26:27]
	s_cbranch_execz .LBB166_1851
; %bb.1842:                             ;   in Loop: Header=BB166_17 Depth=1
	v_cmp_gt_i16_sdwa s[42:43], v10, v36 src0_sel:BYTE_0 src1_sel:DWORD
	s_mov_b64 s[40:41], s[28:29]
                                        ; implicit-def: $vgpr65
	s_and_saveexec_b64 s[44:45], s[42:43]
	s_xor_b64 s[42:43], exec, s[44:45]
	s_cbranch_execz .LBB166_1846
; %bb.1843:                             ;   in Loop: Header=BB166_17 Depth=1
	v_cmp_eq_u16_sdwa s[46:47], v10, v37 src0_sel:BYTE_0 src1_sel:DWORD
	s_mov_b64 s[40:41], s[28:29]
                                        ; implicit-def: $vgpr65
	s_and_saveexec_b64 s[44:45], s[46:47]
	s_cbranch_execz .LBB166_1845
; %bb.1844:                             ;   in Loop: Header=BB166_17 Depth=1
	flat_load_ushort v15, v[15:16]
	s_or_b64 s[40:41], s[28:29], exec
	s_waitcnt vmcnt(0) lgkmcnt(0)
	v_lshlrev_b32_e32 v65, 16, v15
.LBB166_1845:                           ;   in Loop: Header=BB166_17 Depth=1
	s_or_b64 exec, exec, s[44:45]
	s_andn2_b64 s[44:45], s[28:29], exec
	s_and_b64 s[40:41], s[40:41], exec
	s_or_b64 s[40:41], s[44:45], s[40:41]
                                        ; implicit-def: $vgpr15_vgpr16
.LBB166_1846:                           ;   in Loop: Header=BB166_17 Depth=1
	s_andn2_saveexec_b64 s[42:43], s[42:43]
	s_cbranch_execz .LBB166_1850
; %bb.1847:                             ;   in Loop: Header=BB166_17 Depth=1
	v_cmp_eq_u16_sdwa s[58:59], v10, v38 src0_sel:BYTE_0 src1_sel:DWORD
	s_mov_b64 s[44:45], s[40:41]
                                        ; implicit-def: $vgpr65
	s_and_saveexec_b64 s[46:47], s[58:59]
	s_cbranch_execz .LBB166_1849
; %bb.1848:                             ;   in Loop: Header=BB166_17 Depth=1
	flat_load_ubyte v15, v[15:16]
	s_or_b64 s[44:45], s[40:41], exec
	s_waitcnt vmcnt(0) lgkmcnt(0)
	v_cmp_ne_u16_e32 vcc, 0, v15
	v_cndmask_b32_e64 v65, 0, 1.0, vcc
.LBB166_1849:                           ;   in Loop: Header=BB166_17 Depth=1
	s_or_b64 exec, exec, s[46:47]
	s_andn2_b64 s[40:41], s[40:41], exec
	s_and_b64 s[44:45], s[44:45], exec
	s_or_b64 s[40:41], s[40:41], s[44:45]
.LBB166_1850:                           ;   in Loop: Header=BB166_17 Depth=1
	s_or_b64 exec, exec, s[42:43]
	s_andn2_b64 s[28:29], s[28:29], exec
	s_and_b64 s[40:41], s[40:41], exec
	s_or_b64 s[28:29], s[28:29], s[40:41]
.LBB166_1851:                           ;   in Loop: Header=BB166_17 Depth=1
	s_or_b64 exec, exec, s[26:27]
	s_andn2_b64 s[24:25], s[24:25], exec
	s_and_b64 s[26:27], s[28:29], exec
	s_or_b64 s[24:25], s[24:25], s[26:27]
.LBB166_1852:                           ;   in Loop: Header=BB166_17 Depth=1
	s_or_b64 exec, exec, s[22:23]
	s_and_b64 s[22:23], s[24:25], exec
                                        ; implicit-def: $vgpr15_vgpr16
	s_andn2_saveexec_b64 s[20:21], s[20:21]
	s_cbranch_execz .LBB166_123
.LBB166_1853:                           ;   in Loop: Header=BB166_17 Depth=1
	v_cmp_gt_i16_sdwa s[24:25], v10, v39 src0_sel:BYTE_0 src1_sel:DWORD
                                        ; implicit-def: $vgpr65
	s_and_saveexec_b64 s[26:27], s[24:25]
	s_xor_b64 s[24:25], exec, s[26:27]
	s_cbranch_execz .LBB166_1875
; %bb.1854:                             ;   in Loop: Header=BB166_17 Depth=1
	v_cmp_gt_i16_sdwa s[26:27], v10, v48 src0_sel:BYTE_0 src1_sel:DWORD
                                        ; implicit-def: $vgpr65
	s_and_saveexec_b64 s[28:29], s[26:27]
	s_xor_b64 s[26:27], exec, s[28:29]
	s_cbranch_execz .LBB166_1864
; %bb.1855:                             ;   in Loop: Header=BB166_17 Depth=1
	;; [unrolled: 6-line block ×4, first 2 shown]
	flat_load_dwordx2 v[15:16], v[15:16]
	s_waitcnt vmcnt(0) lgkmcnt(0)
	v_cvt_f32_f64_e32 v65, v[15:16]
                                        ; implicit-def: $vgpr15_vgpr16
.LBB166_1858:                           ;   in Loop: Header=BB166_17 Depth=1
	s_andn2_saveexec_b64 s[40:41], s[40:41]
	s_cbranch_execz .LBB166_1860
; %bb.1859:                             ;   in Loop: Header=BB166_17 Depth=1
	flat_load_dword v65, v[15:16]
.LBB166_1860:                           ;   in Loop: Header=BB166_17 Depth=1
	s_or_b64 exec, exec, s[40:41]
                                        ; implicit-def: $vgpr15_vgpr16
.LBB166_1861:                           ;   in Loop: Header=BB166_17 Depth=1
	s_andn2_saveexec_b64 s[28:29], s[28:29]
	s_cbranch_execz .LBB166_1863
; %bb.1862:                             ;   in Loop: Header=BB166_17 Depth=1
	flat_load_dword v15, v[15:16]
	s_waitcnt vmcnt(0) lgkmcnt(0)
	v_cvt_f32_f16_e32 v65, v15
.LBB166_1863:                           ;   in Loop: Header=BB166_17 Depth=1
	s_or_b64 exec, exec, s[28:29]
                                        ; implicit-def: $vgpr15_vgpr16
.LBB166_1864:                           ;   in Loop: Header=BB166_17 Depth=1
	s_andn2_saveexec_b64 s[26:27], s[26:27]
	s_cbranch_execz .LBB166_1874
; %bb.1865:                             ;   in Loop: Header=BB166_17 Depth=1
	v_cmp_gt_i16_sdwa s[28:29], v10, v51 src0_sel:BYTE_0 src1_sel:DWORD
                                        ; implicit-def: $vgpr65
	s_and_saveexec_b64 s[40:41], s[28:29]
	s_xor_b64 s[28:29], exec, s[40:41]
	s_cbranch_execz .LBB166_1871
; %bb.1866:                             ;   in Loop: Header=BB166_17 Depth=1
	v_cmp_gt_i16_sdwa s[40:41], v10, v52 src0_sel:BYTE_0 src1_sel:DWORD
                                        ; implicit-def: $vgpr65
	s_and_saveexec_b64 s[42:43], s[40:41]
	s_xor_b64 s[40:41], exec, s[42:43]
	s_cbranch_execz .LBB166_1868
; %bb.1867:                             ;   in Loop: Header=BB166_17 Depth=1
	flat_load_dwordx2 v[15:16], v[15:16]
	s_waitcnt vmcnt(0) lgkmcnt(0)
	v_cvt_f32_f64_e32 v65, v[15:16]
                                        ; implicit-def: $vgpr15_vgpr16
.LBB166_1868:                           ;   in Loop: Header=BB166_17 Depth=1
	s_andn2_saveexec_b64 s[40:41], s[40:41]
	s_cbranch_execz .LBB166_1870
; %bb.1869:                             ;   in Loop: Header=BB166_17 Depth=1
	s_waitcnt vmcnt(0) lgkmcnt(0)
	flat_load_dword v65, v[15:16]
.LBB166_1870:                           ;   in Loop: Header=BB166_17 Depth=1
	s_or_b64 exec, exec, s[40:41]
                                        ; implicit-def: $vgpr15_vgpr16
.LBB166_1871:                           ;   in Loop: Header=BB166_17 Depth=1
	s_andn2_saveexec_b64 s[28:29], s[28:29]
	s_cbranch_execz .LBB166_1873
; %bb.1872:                             ;   in Loop: Header=BB166_17 Depth=1
	flat_load_ushort v15, v[15:16]
	s_waitcnt vmcnt(0) lgkmcnt(0)
	v_cvt_f32_f16_e32 v65, v15
.LBB166_1873:                           ;   in Loop: Header=BB166_17 Depth=1
	s_or_b64 exec, exec, s[28:29]
.LBB166_1874:                           ;   in Loop: Header=BB166_17 Depth=1
	s_or_b64 exec, exec, s[26:27]
                                        ; implicit-def: $vgpr15_vgpr16
.LBB166_1875:                           ;   in Loop: Header=BB166_17 Depth=1
	s_andn2_saveexec_b64 s[24:25], s[24:25]
	s_cbranch_execz .LBB166_1893
; %bb.1876:                             ;   in Loop: Header=BB166_17 Depth=1
	v_cmp_gt_i16_sdwa s[26:27], v10, v53 src0_sel:BYTE_0 src1_sel:DWORD
                                        ; implicit-def: $vgpr65
	s_and_saveexec_b64 s[28:29], s[26:27]
	s_xor_b64 s[26:27], exec, s[28:29]
	s_cbranch_execz .LBB166_1886
; %bb.1877:                             ;   in Loop: Header=BB166_17 Depth=1
	v_cmp_gt_i16_sdwa s[28:29], v10, v54 src0_sel:BYTE_0 src1_sel:DWORD
                                        ; implicit-def: $vgpr65
	s_and_saveexec_b64 s[40:41], s[28:29]
	s_xor_b64 s[28:29], exec, s[40:41]
	s_cbranch_execz .LBB166_1883
; %bb.1878:                             ;   in Loop: Header=BB166_17 Depth=1
	v_cmp_gt_i16_sdwa s[40:41], v10, v55 src0_sel:BYTE_0 src1_sel:DWORD
                                        ; implicit-def: $vgpr65
	s_and_saveexec_b64 s[42:43], s[40:41]
	s_xor_b64 s[40:41], exec, s[42:43]
	s_cbranch_execz .LBB166_1880
; %bb.1879:                             ;   in Loop: Header=BB166_17 Depth=1
	flat_load_dwordx2 v[15:16], v[15:16]
	s_waitcnt vmcnt(0) lgkmcnt(0)
	v_xor_b32_e32 v66, v15, v16
	v_ffbh_i32_e32 v65, v16
	v_ashrrev_i32_e32 v66, 31, v66
	v_add_u32_e32 v65, -1, v65
	v_add_u32_e32 v66, 32, v66
	v_min_u32_e32 v65, v65, v66
	v_lshlrev_b64 v[15:16], v65, v[15:16]
	v_min_u32_e32 v15, 1, v15
	v_or_b32_e32 v15, v16, v15
	v_cvt_f32_i32_e32 v15, v15
	v_sub_u32_e32 v16, 32, v65
	v_ldexp_f32 v65, v15, v16
                                        ; implicit-def: $vgpr15_vgpr16
.LBB166_1880:                           ;   in Loop: Header=BB166_17 Depth=1
	s_andn2_saveexec_b64 s[40:41], s[40:41]
	s_cbranch_execz .LBB166_1882
; %bb.1881:                             ;   in Loop: Header=BB166_17 Depth=1
	flat_load_dword v15, v[15:16]
	s_waitcnt vmcnt(0) lgkmcnt(0)
	v_cvt_f32_i32_e32 v65, v15
.LBB166_1882:                           ;   in Loop: Header=BB166_17 Depth=1
	s_or_b64 exec, exec, s[40:41]
                                        ; implicit-def: $vgpr15_vgpr16
.LBB166_1883:                           ;   in Loop: Header=BB166_17 Depth=1
	s_andn2_saveexec_b64 s[28:29], s[28:29]
	s_cbranch_execz .LBB166_1885
; %bb.1884:                             ;   in Loop: Header=BB166_17 Depth=1
	flat_load_sshort v15, v[15:16]
	s_waitcnt vmcnt(0) lgkmcnt(0)
	v_cvt_f32_i32_e32 v65, v15
.LBB166_1885:                           ;   in Loop: Header=BB166_17 Depth=1
	s_or_b64 exec, exec, s[28:29]
                                        ; implicit-def: $vgpr15_vgpr16
.LBB166_1886:                           ;   in Loop: Header=BB166_17 Depth=1
	s_andn2_saveexec_b64 s[26:27], s[26:27]
	s_cbranch_execz .LBB166_1892
; %bb.1887:                             ;   in Loop: Header=BB166_17 Depth=1
	v_cmp_gt_i16_sdwa s[28:29], v10, v18 src0_sel:BYTE_0 src1_sel:DWORD
                                        ; implicit-def: $vgpr65
	s_and_saveexec_b64 s[40:41], s[28:29]
	s_xor_b64 s[28:29], exec, s[40:41]
	s_cbranch_execz .LBB166_1889
; %bb.1888:                             ;   in Loop: Header=BB166_17 Depth=1
	flat_load_sbyte v15, v[15:16]
	s_waitcnt vmcnt(0) lgkmcnt(0)
	v_cvt_f32_i32_e32 v65, v15
                                        ; implicit-def: $vgpr15_vgpr16
.LBB166_1889:                           ;   in Loop: Header=BB166_17 Depth=1
	s_andn2_saveexec_b64 s[28:29], s[28:29]
	s_cbranch_execz .LBB166_1891
; %bb.1890:                             ;   in Loop: Header=BB166_17 Depth=1
	flat_load_ubyte v15, v[15:16]
	s_waitcnt vmcnt(0) lgkmcnt(0)
	v_cvt_f32_ubyte0_e32 v65, v15
.LBB166_1891:                           ;   in Loop: Header=BB166_17 Depth=1
	s_or_b64 exec, exec, s[28:29]
.LBB166_1892:                           ;   in Loop: Header=BB166_17 Depth=1
	s_or_b64 exec, exec, s[26:27]
.LBB166_1893:                           ;   in Loop: Header=BB166_17 Depth=1
	s_or_b64 exec, exec, s[24:25]
	s_or_b64 s[22:23], s[22:23], exec
	s_or_b64 exec, exec, s[20:21]
	s_mov_b64 s[20:21], 0
	s_and_saveexec_b64 s[24:25], s[22:23]
	s_cbranch_execnz .LBB166_124
	s_branch .LBB166_125
.LBB166_1894:                           ;   in Loop: Header=BB166_17 Depth=1
	v_cmp_gt_i16_sdwa s[18:19], v10, v20 src0_sel:BYTE_0 src1_sel:DWORD
	s_mov_b64 s[26:27], 0
                                        ; implicit-def: $vgpr65
	s_and_saveexec_b64 s[28:29], s[18:19]
	s_xor_b64 s[18:19], exec, s[28:29]
	s_cbranch_execz .LBB166_1926
; %bb.1895:                             ;   in Loop: Header=BB166_17 Depth=1
	v_cmp_gt_i16_sdwa s[28:29], v10, v21 src0_sel:BYTE_0 src1_sel:DWORD
                                        ; implicit-def: $vgpr65
	s_and_saveexec_b64 s[40:41], s[28:29]
	s_xor_b64 s[28:29], exec, s[40:41]
	s_cbranch_execz .LBB166_1911
; %bb.1896:                             ;   in Loop: Header=BB166_17 Depth=1
	v_cmp_gt_i16_sdwa s[26:27], v10, v22 src0_sel:BYTE_0 src1_sel:DWORD
	s_mov_b64 s[40:41], 0
                                        ; implicit-def: $vgpr65
	s_and_saveexec_b64 s[42:43], s[26:27]
	s_xor_b64 s[26:27], exec, s[42:43]
	s_cbranch_execz .LBB166_1906
; %bb.1897:                             ;   in Loop: Header=BB166_17 Depth=1
	v_cmp_gt_i16_sdwa s[42:43], v10, v23 src0_sel:BYTE_0 src1_sel:DWORD
                                        ; implicit-def: $vgpr65
	s_and_saveexec_b64 s[44:45], s[42:43]
	s_xor_b64 s[42:43], exec, s[44:45]
	s_cbranch_execz .LBB166_1901
; %bb.1898:                             ;   in Loop: Header=BB166_17 Depth=1
	v_cmp_eq_u16_sdwa s[46:47], v10, v24 src0_sel:BYTE_0 src1_sel:DWORD
                                        ; implicit-def: $vgpr65
	s_and_saveexec_b64 s[44:45], s[46:47]
	s_cbranch_execz .LBB166_1900
; %bb.1899:                             ;   in Loop: Header=BB166_17 Depth=1
	flat_load_dword v15, v[15:16]
	s_mov_b64 s[40:41], exec
	s_waitcnt vmcnt(0) lgkmcnt(0)
	v_lshlrev_b32_e32 v65, 16, v15
.LBB166_1900:                           ;   in Loop: Header=BB166_17 Depth=1
	s_or_b64 exec, exec, s[44:45]
	s_and_b64 s[40:41], s[40:41], exec
                                        ; implicit-def: $vgpr15_vgpr16
.LBB166_1901:                           ;   in Loop: Header=BB166_17 Depth=1
	s_andn2_saveexec_b64 s[42:43], s[42:43]
	s_cbranch_execz .LBB166_1905
; %bb.1902:                             ;   in Loop: Header=BB166_17 Depth=1
	v_cmp_eq_u16_sdwa s[56:57], v10, v25 src0_sel:BYTE_0 src1_sel:DWORD
	s_mov_b64 s[46:47], s[40:41]
                                        ; implicit-def: $vgpr65
	s_and_saveexec_b64 s[44:45], s[56:57]
	s_cbranch_execz .LBB166_1904
; %bb.1903:                             ;   in Loop: Header=BB166_17 Depth=1
	flat_load_ubyte v15, v[15:16]
	s_movk_i32 s46, 0xff
	s_waitcnt vmcnt(0) lgkmcnt(0)
	v_lshlrev_b32_e32 v16, 23, v15
	v_cmp_ne_u32_e32 vcc, s46, v15
	v_cndmask_b32_e32 v16, v26, v16, vcc
	v_cmp_ne_u32_e32 vcc, 0, v15
	v_cndmask_b32_e32 v65, v27, v16, vcc
	s_or_b64 s[46:47], s[40:41], exec
.LBB166_1904:                           ;   in Loop: Header=BB166_17 Depth=1
	s_or_b64 exec, exec, s[44:45]
	s_andn2_b64 s[40:41], s[40:41], exec
	s_and_b64 s[44:45], s[46:47], exec
	s_or_b64 s[40:41], s[40:41], s[44:45]
.LBB166_1905:                           ;   in Loop: Header=BB166_17 Depth=1
	s_or_b64 exec, exec, s[42:43]
	s_and_b64 s[40:41], s[40:41], exec
                                        ; implicit-def: $vgpr15_vgpr16
.LBB166_1906:                           ;   in Loop: Header=BB166_17 Depth=1
	s_andn2_saveexec_b64 s[26:27], s[26:27]
	s_cbranch_execz .LBB166_1910
; %bb.1907:                             ;   in Loop: Header=BB166_17 Depth=1
	v_cmp_eq_u16_sdwa s[46:47], v10, v28 src0_sel:BYTE_0 src1_sel:DWORD
	s_mov_b64 s[44:45], s[40:41]
                                        ; implicit-def: $vgpr65
	s_and_saveexec_b64 s[42:43], s[46:47]
	s_cbranch_execz .LBB166_1909
; %bb.1908:                             ;   in Loop: Header=BB166_17 Depth=1
	flat_load_dwordx2 v[15:16], v[15:16]
	s_or_b64 s[44:45], s[40:41], exec
	s_waitcnt vmcnt(0) lgkmcnt(0)
	v_ffbh_u32_e32 v65, v16
	v_min_u32_e32 v65, 32, v65
	v_lshlrev_b64 v[15:16], v65, v[15:16]
	v_min_u32_e32 v15, 1, v15
	v_or_b32_e32 v15, v16, v15
	v_cvt_f32_u32_e32 v15, v15
	v_sub_u32_e32 v16, 32, v65
	v_ldexp_f32 v65, v15, v16
.LBB166_1909:                           ;   in Loop: Header=BB166_17 Depth=1
	s_or_b64 exec, exec, s[42:43]
	s_andn2_b64 s[40:41], s[40:41], exec
	s_and_b64 s[42:43], s[44:45], exec
	s_or_b64 s[40:41], s[40:41], s[42:43]
.LBB166_1910:                           ;   in Loop: Header=BB166_17 Depth=1
	s_or_b64 exec, exec, s[26:27]
	s_and_b64 s[26:27], s[40:41], exec
                                        ; implicit-def: $vgpr15_vgpr16
.LBB166_1911:                           ;   in Loop: Header=BB166_17 Depth=1
	s_andn2_saveexec_b64 s[28:29], s[28:29]
	s_cbranch_execz .LBB166_1925
; %bb.1912:                             ;   in Loop: Header=BB166_17 Depth=1
	v_cmp_gt_i16_sdwa s[40:41], v10, v29 src0_sel:BYTE_0 src1_sel:DWORD
                                        ; implicit-def: $vgpr65
	s_and_saveexec_b64 s[42:43], s[40:41]
	s_xor_b64 s[40:41], exec, s[42:43]
	s_cbranch_execz .LBB166_1918
; %bb.1913:                             ;   in Loop: Header=BB166_17 Depth=1
	v_cmp_gt_i16_sdwa s[42:43], v10, v30 src0_sel:BYTE_0 src1_sel:DWORD
                                        ; implicit-def: $vgpr65
	s_and_saveexec_b64 s[44:45], s[42:43]
	s_xor_b64 s[42:43], exec, s[44:45]
	s_cbranch_execz .LBB166_1915
; %bb.1914:                             ;   in Loop: Header=BB166_17 Depth=1
	flat_load_dword v15, v[15:16]
	s_waitcnt vmcnt(0) lgkmcnt(0)
	v_cvt_f32_u32_e32 v65, v15
                                        ; implicit-def: $vgpr15_vgpr16
.LBB166_1915:                           ;   in Loop: Header=BB166_17 Depth=1
	s_andn2_saveexec_b64 s[42:43], s[42:43]
	s_cbranch_execz .LBB166_1917
; %bb.1916:                             ;   in Loop: Header=BB166_17 Depth=1
	flat_load_ushort v15, v[15:16]
	s_waitcnt vmcnt(0) lgkmcnt(0)
	v_cvt_f32_u32_e32 v65, v15
.LBB166_1917:                           ;   in Loop: Header=BB166_17 Depth=1
	s_or_b64 exec, exec, s[42:43]
                                        ; implicit-def: $vgpr15_vgpr16
.LBB166_1918:                           ;   in Loop: Header=BB166_17 Depth=1
	s_andn2_saveexec_b64 s[40:41], s[40:41]
	s_cbranch_execz .LBB166_1924
; %bb.1919:                             ;   in Loop: Header=BB166_17 Depth=1
	flat_load_ubyte v15, v[15:16]
	s_movk_i32 s42, 0x7f
	s_waitcnt vmcnt(0) lgkmcnt(0)
	v_cmp_lt_i16_e32 vcc, s42, v15
	s_mov_b64 s[42:43], 0
	s_and_saveexec_b64 s[44:45], vcc
	s_xor_b64 s[44:45], exec, s[44:45]
	s_cbranch_execnz .LBB166_2422
; %bb.1920:                             ;   in Loop: Header=BB166_17 Depth=1
	s_or_saveexec_b64 s[44:45], s[44:45]
	v_mov_b32_e32 v65, 0x7f800001
	s_xor_b64 exec, exec, s[44:45]
	s_cbranch_execnz .LBB166_2425
.LBB166_1921:                           ;   in Loop: Header=BB166_17 Depth=1
	s_or_b64 exec, exec, s[44:45]
	s_and_saveexec_b64 s[44:45], s[42:43]
	s_cbranch_execz .LBB166_1923
.LBB166_1922:                           ;   in Loop: Header=BB166_17 Depth=1
	v_lshlrev_b32_e32 v16, 24, v15
	v_and_b32_e32 v15, 0xffff, v15
	v_and_b32_e32 v65, 7, v15
	v_ffbh_u32_e32 v67, v65
	v_min_u32_e32 v67, 32, v67
	v_subrev_u32_e32 v68, 28, v67
	v_bfe_u32 v66, v15, 3, 4
	v_lshlrev_b32_e32 v15, v68, v15
	v_sub_u32_e32 v67, 29, v67
	v_and_b32_e32 v15, 7, v15
	v_cmp_eq_u32_e32 vcc, 0, v66
	v_cndmask_b32_e32 v66, v66, v67, vcc
	v_cndmask_b32_e32 v15, v65, v15, vcc
	v_lshlrev_b32_e32 v15, 20, v15
	v_and_b32_e32 v16, 0x80000000, v16
	v_lshl_add_u32 v65, v66, 23, v31
	v_or3_b32 v65, v16, v65, v15
.LBB166_1923:                           ;   in Loop: Header=BB166_17 Depth=1
	s_or_b64 exec, exec, s[44:45]
.LBB166_1924:                           ;   in Loop: Header=BB166_17 Depth=1
	s_or_b64 exec, exec, s[40:41]
	s_or_b64 s[26:27], s[26:27], exec
.LBB166_1925:                           ;   in Loop: Header=BB166_17 Depth=1
	s_or_b64 exec, exec, s[28:29]
	s_and_b64 s[26:27], s[26:27], exec
                                        ; implicit-def: $vgpr15_vgpr16
.LBB166_1926:                           ;   in Loop: Header=BB166_17 Depth=1
	s_andn2_saveexec_b64 s[18:19], s[18:19]
	s_cbranch_execz .LBB166_1952
; %bb.1927:                             ;   in Loop: Header=BB166_17 Depth=1
	v_cmp_gt_i16_sdwa s[28:29], v10, v32 src0_sel:BYTE_0 src1_sel:DWORD
	s_mov_b64 s[40:41], s[26:27]
                                        ; implicit-def: $vgpr65
	s_and_saveexec_b64 s[42:43], s[28:29]
	s_xor_b64 s[28:29], exec, s[42:43]
	s_cbranch_execz .LBB166_1941
; %bb.1928:                             ;   in Loop: Header=BB166_17 Depth=1
	v_cmp_gt_i16_sdwa s[40:41], v10, v33 src0_sel:BYTE_0 src1_sel:DWORD
                                        ; implicit-def: $vgpr65
	s_and_saveexec_b64 s[42:43], s[40:41]
	s_xor_b64 s[40:41], exec, s[42:43]
	s_cbranch_execz .LBB166_1938
; %bb.1929:                             ;   in Loop: Header=BB166_17 Depth=1
	v_cmp_gt_i16_sdwa s[42:43], v10, v34 src0_sel:BYTE_0 src1_sel:DWORD
                                        ; implicit-def: $vgpr65
	s_and_saveexec_b64 s[44:45], s[42:43]
	s_xor_b64 s[42:43], exec, s[44:45]
	s_cbranch_execz .LBB166_1935
; %bb.1930:                             ;   in Loop: Header=BB166_17 Depth=1
	flat_load_ubyte v15, v[15:16]
	s_movk_i32 s44, 0x7f
	s_waitcnt vmcnt(0) lgkmcnt(0)
	v_cmp_lt_i16_e32 vcc, s44, v15
	s_mov_b64 s[44:45], 0
	s_and_saveexec_b64 s[46:47], vcc
	s_xor_b64 s[46:47], exec, s[46:47]
	s_cbranch_execnz .LBB166_2534
; %bb.1931:                             ;   in Loop: Header=BB166_17 Depth=1
	s_or_saveexec_b64 s[46:47], s[46:47]
	v_mov_b32_e32 v65, 0x7f800001
	s_xor_b64 exec, exec, s[46:47]
	s_cbranch_execnz .LBB166_2537
.LBB166_1932:                           ;   in Loop: Header=BB166_17 Depth=1
	s_or_b64 exec, exec, s[46:47]
	s_and_saveexec_b64 s[46:47], s[44:45]
	s_cbranch_execz .LBB166_1934
.LBB166_1933:                           ;   in Loop: Header=BB166_17 Depth=1
	v_lshlrev_b32_e32 v16, 24, v15
	v_and_b32_e32 v15, 0xffff, v15
	v_and_b32_e32 v65, 3, v15
	v_ffbh_u32_e32 v67, v65
	v_min_u32_e32 v67, 32, v67
	v_subrev_u32_e32 v68, 29, v67
	v_bfe_u32 v66, v15, 2, 5
	v_lshlrev_b32_e32 v15, v68, v15
	v_sub_u32_e32 v67, 30, v67
	v_and_b32_e32 v15, 3, v15
	v_cmp_eq_u32_e32 vcc, 0, v66
	v_cndmask_b32_e32 v66, v66, v67, vcc
	v_cndmask_b32_e32 v15, v65, v15, vcc
	v_lshlrev_b32_e32 v15, 21, v15
	v_and_b32_e32 v16, 0x80000000, v16
	v_lshl_add_u32 v65, v66, 23, v35
	v_or3_b32 v65, v16, v65, v15
.LBB166_1934:                           ;   in Loop: Header=BB166_17 Depth=1
	s_or_b64 exec, exec, s[46:47]
                                        ; implicit-def: $vgpr15_vgpr16
.LBB166_1935:                           ;   in Loop: Header=BB166_17 Depth=1
	s_andn2_saveexec_b64 s[42:43], s[42:43]
	s_cbranch_execz .LBB166_1937
; %bb.1936:                             ;   in Loop: Header=BB166_17 Depth=1
	flat_load_ubyte v15, v[15:16]
	s_mov_b32 s44, 0x7f800000
	s_waitcnt vmcnt(0) lgkmcnt(0)
	v_lshlrev_b32_e32 v15, 24, v15
	v_and_b32_e32 v16, 0x7f000000, v15
	v_ffbh_u32_e32 v65, v16
	v_min_u32_e32 v65, 32, v65
	v_sub_u32_e64 v65, v65, 4 clamp
	v_lshlrev_b32_e32 v67, v65, v16
	v_lshlrev_b32_e32 v65, 23, v65
	v_lshrrev_b32_e32 v67, 4, v67
	v_add_u32_e32 v66, 0x1000000, v16
	v_sub_u32_e32 v65, v67, v65
	v_ashrrev_i32_e32 v66, 8, v66
	v_add_u32_e32 v65, 0x3c000000, v65
	v_and_or_b32 v65, v66, s44, v65
	v_cmp_ne_u32_e32 vcc, 0, v16
	v_cndmask_b32_e32 v16, 0, v65, vcc
	s_brev_b32 s44, 1
	v_and_or_b32 v65, v15, s44, v16
.LBB166_1937:                           ;   in Loop: Header=BB166_17 Depth=1
	s_or_b64 exec, exec, s[42:43]
                                        ; implicit-def: $vgpr15_vgpr16
.LBB166_1938:                           ;   in Loop: Header=BB166_17 Depth=1
	s_andn2_saveexec_b64 s[40:41], s[40:41]
	s_cbranch_execz .LBB166_1940
; %bb.1939:                             ;   in Loop: Header=BB166_17 Depth=1
	flat_load_ubyte v15, v[15:16]
	s_movk_i32 s42, 0x7f00
	s_waitcnt vmcnt(0) lgkmcnt(0)
	v_lshlrev_b16_e32 v16, 8, v15
	v_lshlrev_b32_e32 v15, 25, v15
	v_lshrrev_b32_e32 v65, 4, v15
	v_and_or_b32 v66, v16, s42, 0.5
	v_or_b32_e32 v65, 0x70000000, v65
	s_brev_b32 s42, 16
	v_add_f32_e32 v66, -0.5, v66
	v_mul_f32_e32 v65, 0x7800000, v65
	v_cmp_gt_u32_e32 vcc, s42, v15
	v_cndmask_b32_e32 v15, v65, v66, vcc
	v_bfe_i32 v16, v16, 0, 16
	s_brev_b32 s42, 1
	v_and_or_b32 v65, v16, s42, v15
.LBB166_1940:                           ;   in Loop: Header=BB166_17 Depth=1
	s_or_b64 exec, exec, s[40:41]
	s_or_b64 s[40:41], s[26:27], exec
                                        ; implicit-def: $vgpr15_vgpr16
.LBB166_1941:                           ;   in Loop: Header=BB166_17 Depth=1
	s_andn2_saveexec_b64 s[28:29], s[28:29]
	s_cbranch_execz .LBB166_1951
; %bb.1942:                             ;   in Loop: Header=BB166_17 Depth=1
	v_cmp_gt_i16_sdwa s[44:45], v10, v36 src0_sel:BYTE_0 src1_sel:DWORD
	s_mov_b64 s[42:43], s[40:41]
                                        ; implicit-def: $vgpr65
	s_and_saveexec_b64 s[46:47], s[44:45]
	s_xor_b64 s[44:45], exec, s[46:47]
	s_cbranch_execz .LBB166_1946
; %bb.1943:                             ;   in Loop: Header=BB166_17 Depth=1
	v_cmp_eq_u16_sdwa s[56:57], v10, v37 src0_sel:BYTE_0 src1_sel:DWORD
	s_mov_b64 s[42:43], s[40:41]
                                        ; implicit-def: $vgpr65
	s_and_saveexec_b64 s[46:47], s[56:57]
	s_cbranch_execz .LBB166_1945
; %bb.1944:                             ;   in Loop: Header=BB166_17 Depth=1
	flat_load_ushort v15, v[15:16]
	s_or_b64 s[42:43], s[40:41], exec
	s_waitcnt vmcnt(0) lgkmcnt(0)
	v_lshlrev_b32_e32 v65, 16, v15
.LBB166_1945:                           ;   in Loop: Header=BB166_17 Depth=1
	s_or_b64 exec, exec, s[46:47]
	s_andn2_b64 s[46:47], s[40:41], exec
	s_and_b64 s[42:43], s[42:43], exec
	s_or_b64 s[42:43], s[46:47], s[42:43]
                                        ; implicit-def: $vgpr15_vgpr16
.LBB166_1946:                           ;   in Loop: Header=BB166_17 Depth=1
	s_andn2_saveexec_b64 s[44:45], s[44:45]
	s_cbranch_execz .LBB166_1950
; %bb.1947:                             ;   in Loop: Header=BB166_17 Depth=1
	v_cmp_eq_u16_sdwa s[60:61], v10, v38 src0_sel:BYTE_0 src1_sel:DWORD
	s_mov_b64 s[46:47], s[42:43]
                                        ; implicit-def: $vgpr65
	s_and_saveexec_b64 s[56:57], s[60:61]
	s_cbranch_execz .LBB166_1949
; %bb.1948:                             ;   in Loop: Header=BB166_17 Depth=1
	flat_load_ubyte v15, v[15:16]
	s_or_b64 s[46:47], s[42:43], exec
	s_waitcnt vmcnt(0) lgkmcnt(0)
	v_cmp_ne_u16_e32 vcc, 0, v15
	v_cndmask_b32_e64 v65, 0, 1.0, vcc
.LBB166_1949:                           ;   in Loop: Header=BB166_17 Depth=1
	s_or_b64 exec, exec, s[56:57]
	s_andn2_b64 s[42:43], s[42:43], exec
	s_and_b64 s[46:47], s[46:47], exec
	s_or_b64 s[42:43], s[42:43], s[46:47]
.LBB166_1950:                           ;   in Loop: Header=BB166_17 Depth=1
	s_or_b64 exec, exec, s[44:45]
	s_andn2_b64 s[40:41], s[40:41], exec
	s_and_b64 s[42:43], s[42:43], exec
	s_or_b64 s[40:41], s[40:41], s[42:43]
.LBB166_1951:                           ;   in Loop: Header=BB166_17 Depth=1
	s_or_b64 exec, exec, s[28:29]
	s_andn2_b64 s[26:27], s[26:27], exec
	s_and_b64 s[28:29], s[40:41], exec
	s_or_b64 s[26:27], s[26:27], s[28:29]
.LBB166_1952:                           ;   in Loop: Header=BB166_17 Depth=1
	s_or_b64 exec, exec, s[18:19]
	s_and_b64 s[18:19], s[26:27], exec
                                        ; implicit-def: $vgpr15_vgpr16
	s_andn2_saveexec_b64 s[16:17], s[16:17]
	s_cbranch_execz .LBB166_234
.LBB166_1953:                           ;   in Loop: Header=BB166_17 Depth=1
	v_cmp_gt_i16_sdwa s[26:27], v10, v39 src0_sel:BYTE_0 src1_sel:DWORD
                                        ; implicit-def: $vgpr65
	s_and_saveexec_b64 s[28:29], s[26:27]
	s_xor_b64 s[26:27], exec, s[28:29]
	s_cbranch_execz .LBB166_1975
; %bb.1954:                             ;   in Loop: Header=BB166_17 Depth=1
	v_cmp_gt_i16_sdwa s[28:29], v10, v48 src0_sel:BYTE_0 src1_sel:DWORD
                                        ; implicit-def: $vgpr65
	s_and_saveexec_b64 s[40:41], s[28:29]
	s_xor_b64 s[28:29], exec, s[40:41]
	s_cbranch_execz .LBB166_1964
; %bb.1955:                             ;   in Loop: Header=BB166_17 Depth=1
	;; [unrolled: 6-line block ×4, first 2 shown]
	flat_load_dwordx2 v[15:16], v[15:16]
	s_waitcnt vmcnt(0) lgkmcnt(0)
	v_cvt_f32_f64_e32 v65, v[15:16]
                                        ; implicit-def: $vgpr15_vgpr16
.LBB166_1958:                           ;   in Loop: Header=BB166_17 Depth=1
	s_andn2_saveexec_b64 s[42:43], s[42:43]
	s_cbranch_execz .LBB166_1960
; %bb.1959:                             ;   in Loop: Header=BB166_17 Depth=1
	flat_load_dword v65, v[15:16]
.LBB166_1960:                           ;   in Loop: Header=BB166_17 Depth=1
	s_or_b64 exec, exec, s[42:43]
                                        ; implicit-def: $vgpr15_vgpr16
.LBB166_1961:                           ;   in Loop: Header=BB166_17 Depth=1
	s_andn2_saveexec_b64 s[40:41], s[40:41]
	s_cbranch_execz .LBB166_1963
; %bb.1962:                             ;   in Loop: Header=BB166_17 Depth=1
	flat_load_dword v15, v[15:16]
	s_waitcnt vmcnt(0) lgkmcnt(0)
	v_cvt_f32_f16_e32 v65, v15
.LBB166_1963:                           ;   in Loop: Header=BB166_17 Depth=1
	s_or_b64 exec, exec, s[40:41]
                                        ; implicit-def: $vgpr15_vgpr16
.LBB166_1964:                           ;   in Loop: Header=BB166_17 Depth=1
	s_andn2_saveexec_b64 s[28:29], s[28:29]
	s_cbranch_execz .LBB166_1974
; %bb.1965:                             ;   in Loop: Header=BB166_17 Depth=1
	v_cmp_gt_i16_sdwa s[40:41], v10, v51 src0_sel:BYTE_0 src1_sel:DWORD
                                        ; implicit-def: $vgpr65
	s_and_saveexec_b64 s[42:43], s[40:41]
	s_xor_b64 s[40:41], exec, s[42:43]
	s_cbranch_execz .LBB166_1971
; %bb.1966:                             ;   in Loop: Header=BB166_17 Depth=1
	v_cmp_gt_i16_sdwa s[42:43], v10, v52 src0_sel:BYTE_0 src1_sel:DWORD
                                        ; implicit-def: $vgpr65
	s_and_saveexec_b64 s[44:45], s[42:43]
	s_xor_b64 s[42:43], exec, s[44:45]
	s_cbranch_execz .LBB166_1968
; %bb.1967:                             ;   in Loop: Header=BB166_17 Depth=1
	flat_load_dwordx2 v[15:16], v[15:16]
	s_waitcnt vmcnt(0) lgkmcnt(0)
	v_cvt_f32_f64_e32 v65, v[15:16]
                                        ; implicit-def: $vgpr15_vgpr16
.LBB166_1968:                           ;   in Loop: Header=BB166_17 Depth=1
	s_andn2_saveexec_b64 s[42:43], s[42:43]
	s_cbranch_execz .LBB166_1970
; %bb.1969:                             ;   in Loop: Header=BB166_17 Depth=1
	s_waitcnt vmcnt(0) lgkmcnt(0)
	flat_load_dword v65, v[15:16]
.LBB166_1970:                           ;   in Loop: Header=BB166_17 Depth=1
	s_or_b64 exec, exec, s[42:43]
                                        ; implicit-def: $vgpr15_vgpr16
.LBB166_1971:                           ;   in Loop: Header=BB166_17 Depth=1
	s_andn2_saveexec_b64 s[40:41], s[40:41]
	s_cbranch_execz .LBB166_1973
; %bb.1972:                             ;   in Loop: Header=BB166_17 Depth=1
	flat_load_ushort v15, v[15:16]
	s_waitcnt vmcnt(0) lgkmcnt(0)
	v_cvt_f32_f16_e32 v65, v15
.LBB166_1973:                           ;   in Loop: Header=BB166_17 Depth=1
	s_or_b64 exec, exec, s[40:41]
.LBB166_1974:                           ;   in Loop: Header=BB166_17 Depth=1
	s_or_b64 exec, exec, s[28:29]
                                        ; implicit-def: $vgpr15_vgpr16
.LBB166_1975:                           ;   in Loop: Header=BB166_17 Depth=1
	s_andn2_saveexec_b64 s[26:27], s[26:27]
	s_cbranch_execz .LBB166_1993
; %bb.1976:                             ;   in Loop: Header=BB166_17 Depth=1
	v_cmp_gt_i16_sdwa s[28:29], v10, v53 src0_sel:BYTE_0 src1_sel:DWORD
                                        ; implicit-def: $vgpr65
	s_and_saveexec_b64 s[40:41], s[28:29]
	s_xor_b64 s[28:29], exec, s[40:41]
	s_cbranch_execz .LBB166_1986
; %bb.1977:                             ;   in Loop: Header=BB166_17 Depth=1
	v_cmp_gt_i16_sdwa s[40:41], v10, v54 src0_sel:BYTE_0 src1_sel:DWORD
                                        ; implicit-def: $vgpr65
	s_and_saveexec_b64 s[42:43], s[40:41]
	s_xor_b64 s[40:41], exec, s[42:43]
	;; [unrolled: 6-line block ×3, first 2 shown]
	s_cbranch_execz .LBB166_1980
; %bb.1979:                             ;   in Loop: Header=BB166_17 Depth=1
	flat_load_dwordx2 v[15:16], v[15:16]
	s_waitcnt vmcnt(0) lgkmcnt(0)
	v_xor_b32_e32 v66, v15, v16
	v_ffbh_i32_e32 v65, v16
	v_ashrrev_i32_e32 v66, 31, v66
	v_add_u32_e32 v65, -1, v65
	v_add_u32_e32 v66, 32, v66
	v_min_u32_e32 v65, v65, v66
	v_lshlrev_b64 v[15:16], v65, v[15:16]
	v_min_u32_e32 v15, 1, v15
	v_or_b32_e32 v15, v16, v15
	v_cvt_f32_i32_e32 v15, v15
	v_sub_u32_e32 v16, 32, v65
	v_ldexp_f32 v65, v15, v16
                                        ; implicit-def: $vgpr15_vgpr16
.LBB166_1980:                           ;   in Loop: Header=BB166_17 Depth=1
	s_andn2_saveexec_b64 s[42:43], s[42:43]
	s_cbranch_execz .LBB166_1982
; %bb.1981:                             ;   in Loop: Header=BB166_17 Depth=1
	flat_load_dword v15, v[15:16]
	s_waitcnt vmcnt(0) lgkmcnt(0)
	v_cvt_f32_i32_e32 v65, v15
.LBB166_1982:                           ;   in Loop: Header=BB166_17 Depth=1
	s_or_b64 exec, exec, s[42:43]
                                        ; implicit-def: $vgpr15_vgpr16
.LBB166_1983:                           ;   in Loop: Header=BB166_17 Depth=1
	s_andn2_saveexec_b64 s[40:41], s[40:41]
	s_cbranch_execz .LBB166_1985
; %bb.1984:                             ;   in Loop: Header=BB166_17 Depth=1
	flat_load_sshort v15, v[15:16]
	s_waitcnt vmcnt(0) lgkmcnt(0)
	v_cvt_f32_i32_e32 v65, v15
.LBB166_1985:                           ;   in Loop: Header=BB166_17 Depth=1
	s_or_b64 exec, exec, s[40:41]
                                        ; implicit-def: $vgpr15_vgpr16
.LBB166_1986:                           ;   in Loop: Header=BB166_17 Depth=1
	s_andn2_saveexec_b64 s[28:29], s[28:29]
	s_cbranch_execz .LBB166_1992
; %bb.1987:                             ;   in Loop: Header=BB166_17 Depth=1
	v_cmp_gt_i16_sdwa s[40:41], v10, v18 src0_sel:BYTE_0 src1_sel:DWORD
                                        ; implicit-def: $vgpr65
	s_and_saveexec_b64 s[42:43], s[40:41]
	s_xor_b64 s[40:41], exec, s[42:43]
	s_cbranch_execz .LBB166_1989
; %bb.1988:                             ;   in Loop: Header=BB166_17 Depth=1
	flat_load_sbyte v15, v[15:16]
	s_waitcnt vmcnt(0) lgkmcnt(0)
	v_cvt_f32_i32_e32 v65, v15
                                        ; implicit-def: $vgpr15_vgpr16
.LBB166_1989:                           ;   in Loop: Header=BB166_17 Depth=1
	s_andn2_saveexec_b64 s[40:41], s[40:41]
	s_cbranch_execz .LBB166_1991
; %bb.1990:                             ;   in Loop: Header=BB166_17 Depth=1
	flat_load_ubyte v15, v[15:16]
	s_waitcnt vmcnt(0) lgkmcnt(0)
	v_cvt_f32_ubyte0_e32 v65, v15
.LBB166_1991:                           ;   in Loop: Header=BB166_17 Depth=1
	s_or_b64 exec, exec, s[40:41]
.LBB166_1992:                           ;   in Loop: Header=BB166_17 Depth=1
	s_or_b64 exec, exec, s[28:29]
.LBB166_1993:                           ;   in Loop: Header=BB166_17 Depth=1
	s_or_b64 exec, exec, s[26:27]
	s_or_b64 s[18:19], s[18:19], exec
	s_or_b64 exec, exec, s[16:17]
	s_mov_b64 s[26:27], 0
	s_and_saveexec_b64 s[16:17], s[18:19]
	s_cbranch_execnz .LBB166_235
	s_branch .LBB166_236
.LBB166_1994:                           ;   in Loop: Header=BB166_17 Depth=1
	v_cmp_gt_i16_sdwa s[24:25], v10, v20 src0_sel:BYTE_0 src1_sel:DWORD
	s_mov_b64 s[42:43], 0
                                        ; implicit-def: $vgpr65
	s_and_saveexec_b64 s[44:45], s[24:25]
	s_xor_b64 s[24:25], exec, s[44:45]
	s_cbranch_execz .LBB166_2026
; %bb.1995:                             ;   in Loop: Header=BB166_17 Depth=1
	v_cmp_gt_i16_sdwa s[44:45], v10, v21 src0_sel:BYTE_0 src1_sel:DWORD
                                        ; implicit-def: $vgpr65
	s_and_saveexec_b64 s[46:47], s[44:45]
	s_xor_b64 s[44:45], exec, s[46:47]
	s_cbranch_execz .LBB166_2011
; %bb.1996:                             ;   in Loop: Header=BB166_17 Depth=1
	v_cmp_gt_i16_sdwa s[42:43], v10, v22 src0_sel:BYTE_0 src1_sel:DWORD
	s_mov_b64 s[46:47], 0
                                        ; implicit-def: $vgpr65
	s_and_saveexec_b64 s[56:57], s[42:43]
	s_xor_b64 s[42:43], exec, s[56:57]
	s_cbranch_execz .LBB166_2006
; %bb.1997:                             ;   in Loop: Header=BB166_17 Depth=1
	v_cmp_gt_i16_sdwa s[56:57], v10, v23 src0_sel:BYTE_0 src1_sel:DWORD
                                        ; implicit-def: $vgpr65
	s_and_saveexec_b64 s[58:59], s[56:57]
	s_xor_b64 s[56:57], exec, s[58:59]
	s_cbranch_execz .LBB166_2001
; %bb.1998:                             ;   in Loop: Header=BB166_17 Depth=1
	v_cmp_eq_u16_sdwa s[60:61], v10, v24 src0_sel:BYTE_0 src1_sel:DWORD
                                        ; implicit-def: $vgpr65
	s_and_saveexec_b64 s[58:59], s[60:61]
	s_cbranch_execz .LBB166_2000
; %bb.1999:                             ;   in Loop: Header=BB166_17 Depth=1
	flat_load_dword v15, v[15:16]
	s_mov_b64 s[46:47], exec
	s_waitcnt vmcnt(0) lgkmcnt(0)
	v_lshlrev_b32_e32 v65, 16, v15
.LBB166_2000:                           ;   in Loop: Header=BB166_17 Depth=1
	s_or_b64 exec, exec, s[58:59]
	s_and_b64 s[46:47], s[46:47], exec
                                        ; implicit-def: $vgpr15_vgpr16
.LBB166_2001:                           ;   in Loop: Header=BB166_17 Depth=1
	s_andn2_saveexec_b64 s[56:57], s[56:57]
	s_cbranch_execz .LBB166_2005
; %bb.2002:                             ;   in Loop: Header=BB166_17 Depth=1
	v_cmp_eq_u16_sdwa s[62:63], v10, v25 src0_sel:BYTE_0 src1_sel:DWORD
	s_mov_b64 s[60:61], s[46:47]
                                        ; implicit-def: $vgpr65
	s_and_saveexec_b64 s[58:59], s[62:63]
	s_cbranch_execz .LBB166_2004
; %bb.2003:                             ;   in Loop: Header=BB166_17 Depth=1
	flat_load_ubyte v15, v[15:16]
	s_movk_i32 s60, 0xff
	s_waitcnt vmcnt(0) lgkmcnt(0)
	v_lshlrev_b32_e32 v16, 23, v15
	v_cmp_ne_u32_e32 vcc, s60, v15
	v_cndmask_b32_e32 v16, v26, v16, vcc
	v_cmp_ne_u32_e32 vcc, 0, v15
	v_cndmask_b32_e32 v65, v27, v16, vcc
	s_or_b64 s[60:61], s[46:47], exec
.LBB166_2004:                           ;   in Loop: Header=BB166_17 Depth=1
	s_or_b64 exec, exec, s[58:59]
	s_andn2_b64 s[46:47], s[46:47], exec
	s_and_b64 s[58:59], s[60:61], exec
	s_or_b64 s[46:47], s[46:47], s[58:59]
.LBB166_2005:                           ;   in Loop: Header=BB166_17 Depth=1
	s_or_b64 exec, exec, s[56:57]
	s_and_b64 s[46:47], s[46:47], exec
                                        ; implicit-def: $vgpr15_vgpr16
.LBB166_2006:                           ;   in Loop: Header=BB166_17 Depth=1
	s_andn2_saveexec_b64 s[42:43], s[42:43]
	s_cbranch_execz .LBB166_2010
; %bb.2007:                             ;   in Loop: Header=BB166_17 Depth=1
	v_cmp_eq_u16_sdwa s[60:61], v10, v28 src0_sel:BYTE_0 src1_sel:DWORD
	s_mov_b64 s[58:59], s[46:47]
                                        ; implicit-def: $vgpr65
	s_and_saveexec_b64 s[56:57], s[60:61]
	s_cbranch_execz .LBB166_2009
; %bb.2008:                             ;   in Loop: Header=BB166_17 Depth=1
	flat_load_dwordx2 v[15:16], v[15:16]
	s_or_b64 s[58:59], s[46:47], exec
	s_waitcnt vmcnt(0) lgkmcnt(0)
	v_ffbh_u32_e32 v65, v16
	v_min_u32_e32 v65, 32, v65
	v_lshlrev_b64 v[15:16], v65, v[15:16]
	v_min_u32_e32 v15, 1, v15
	v_or_b32_e32 v15, v16, v15
	v_cvt_f32_u32_e32 v15, v15
	v_sub_u32_e32 v16, 32, v65
	v_ldexp_f32 v65, v15, v16
.LBB166_2009:                           ;   in Loop: Header=BB166_17 Depth=1
	s_or_b64 exec, exec, s[56:57]
	s_andn2_b64 s[46:47], s[46:47], exec
	s_and_b64 s[56:57], s[58:59], exec
	s_or_b64 s[46:47], s[46:47], s[56:57]
.LBB166_2010:                           ;   in Loop: Header=BB166_17 Depth=1
	s_or_b64 exec, exec, s[42:43]
	s_and_b64 s[42:43], s[46:47], exec
                                        ; implicit-def: $vgpr15_vgpr16
.LBB166_2011:                           ;   in Loop: Header=BB166_17 Depth=1
	s_andn2_saveexec_b64 s[44:45], s[44:45]
	s_cbranch_execz .LBB166_2025
; %bb.2012:                             ;   in Loop: Header=BB166_17 Depth=1
	v_cmp_gt_i16_sdwa s[46:47], v10, v29 src0_sel:BYTE_0 src1_sel:DWORD
                                        ; implicit-def: $vgpr65
	s_and_saveexec_b64 s[56:57], s[46:47]
	s_xor_b64 s[46:47], exec, s[56:57]
	s_cbranch_execz .LBB166_2018
; %bb.2013:                             ;   in Loop: Header=BB166_17 Depth=1
	v_cmp_gt_i16_sdwa s[56:57], v10, v30 src0_sel:BYTE_0 src1_sel:DWORD
                                        ; implicit-def: $vgpr65
	s_and_saveexec_b64 s[58:59], s[56:57]
	s_xor_b64 s[56:57], exec, s[58:59]
	s_cbranch_execz .LBB166_2015
; %bb.2014:                             ;   in Loop: Header=BB166_17 Depth=1
	flat_load_dword v15, v[15:16]
	s_waitcnt vmcnt(0) lgkmcnt(0)
	v_cvt_f32_u32_e32 v65, v15
                                        ; implicit-def: $vgpr15_vgpr16
.LBB166_2015:                           ;   in Loop: Header=BB166_17 Depth=1
	s_andn2_saveexec_b64 s[56:57], s[56:57]
	s_cbranch_execz .LBB166_2017
; %bb.2016:                             ;   in Loop: Header=BB166_17 Depth=1
	flat_load_ushort v15, v[15:16]
	s_waitcnt vmcnt(0) lgkmcnt(0)
	v_cvt_f32_u32_e32 v65, v15
.LBB166_2017:                           ;   in Loop: Header=BB166_17 Depth=1
	s_or_b64 exec, exec, s[56:57]
                                        ; implicit-def: $vgpr15_vgpr16
.LBB166_2018:                           ;   in Loop: Header=BB166_17 Depth=1
	s_andn2_saveexec_b64 s[46:47], s[46:47]
	s_cbranch_execz .LBB166_2024
; %bb.2019:                             ;   in Loop: Header=BB166_17 Depth=1
	flat_load_ubyte v15, v[15:16]
	s_movk_i32 s56, 0x7f
	s_waitcnt vmcnt(0) lgkmcnt(0)
	v_cmp_lt_i16_e32 vcc, s56, v15
	s_mov_b64 s[56:57], 0
	s_and_saveexec_b64 s[58:59], vcc
	s_xor_b64 s[58:59], exec, s[58:59]
	s_cbranch_execnz .LBB166_2538
; %bb.2020:                             ;   in Loop: Header=BB166_17 Depth=1
	s_or_saveexec_b64 s[58:59], s[58:59]
	v_mov_b32_e32 v65, 0x7f800001
	s_xor_b64 exec, exec, s[58:59]
	s_cbranch_execnz .LBB166_2541
.LBB166_2021:                           ;   in Loop: Header=BB166_17 Depth=1
	s_or_b64 exec, exec, s[58:59]
	s_and_saveexec_b64 s[58:59], s[56:57]
	s_cbranch_execz .LBB166_2023
.LBB166_2022:                           ;   in Loop: Header=BB166_17 Depth=1
	v_lshlrev_b32_e32 v16, 24, v15
	v_and_b32_e32 v15, 0xffff, v15
	v_and_b32_e32 v65, 7, v15
	v_ffbh_u32_e32 v67, v65
	v_min_u32_e32 v67, 32, v67
	v_subrev_u32_e32 v68, 28, v67
	v_bfe_u32 v66, v15, 3, 4
	v_lshlrev_b32_e32 v15, v68, v15
	v_sub_u32_e32 v67, 29, v67
	v_and_b32_e32 v15, 7, v15
	v_cmp_eq_u32_e32 vcc, 0, v66
	v_cndmask_b32_e32 v66, v66, v67, vcc
	v_cndmask_b32_e32 v15, v65, v15, vcc
	v_lshlrev_b32_e32 v15, 20, v15
	v_and_b32_e32 v16, 0x80000000, v16
	v_lshl_add_u32 v65, v66, 23, v31
	v_or3_b32 v65, v16, v65, v15
.LBB166_2023:                           ;   in Loop: Header=BB166_17 Depth=1
	s_or_b64 exec, exec, s[58:59]
.LBB166_2024:                           ;   in Loop: Header=BB166_17 Depth=1
	s_or_b64 exec, exec, s[46:47]
	s_or_b64 s[42:43], s[42:43], exec
.LBB166_2025:                           ;   in Loop: Header=BB166_17 Depth=1
	s_or_b64 exec, exec, s[44:45]
	s_and_b64 s[42:43], s[42:43], exec
                                        ; implicit-def: $vgpr15_vgpr16
.LBB166_2026:                           ;   in Loop: Header=BB166_17 Depth=1
	s_andn2_saveexec_b64 s[24:25], s[24:25]
	s_cbranch_execz .LBB166_2052
; %bb.2027:                             ;   in Loop: Header=BB166_17 Depth=1
	v_cmp_gt_i16_sdwa s[44:45], v10, v32 src0_sel:BYTE_0 src1_sel:DWORD
	s_mov_b64 s[46:47], s[42:43]
                                        ; implicit-def: $vgpr65
	s_and_saveexec_b64 s[56:57], s[44:45]
	s_xor_b64 s[44:45], exec, s[56:57]
	s_cbranch_execz .LBB166_2041
; %bb.2028:                             ;   in Loop: Header=BB166_17 Depth=1
	v_cmp_gt_i16_sdwa s[46:47], v10, v33 src0_sel:BYTE_0 src1_sel:DWORD
                                        ; implicit-def: $vgpr65
	s_and_saveexec_b64 s[56:57], s[46:47]
	s_xor_b64 s[46:47], exec, s[56:57]
	s_cbranch_execz .LBB166_2038
; %bb.2029:                             ;   in Loop: Header=BB166_17 Depth=1
	v_cmp_gt_i16_sdwa s[56:57], v10, v34 src0_sel:BYTE_0 src1_sel:DWORD
                                        ; implicit-def: $vgpr65
	s_and_saveexec_b64 s[58:59], s[56:57]
	s_xor_b64 s[56:57], exec, s[58:59]
	s_cbranch_execz .LBB166_2035
; %bb.2030:                             ;   in Loop: Header=BB166_17 Depth=1
	flat_load_ubyte v15, v[15:16]
	s_movk_i32 s58, 0x7f
	s_waitcnt vmcnt(0) lgkmcnt(0)
	v_cmp_lt_i16_e32 vcc, s58, v15
	s_mov_b64 s[58:59], 0
	s_and_saveexec_b64 s[60:61], vcc
	s_xor_b64 s[60:61], exec, s[60:61]
	s_cbranch_execnz .LBB166_2650
; %bb.2031:                             ;   in Loop: Header=BB166_17 Depth=1
	s_or_saveexec_b64 s[60:61], s[60:61]
	v_mov_b32_e32 v65, 0x7f800001
	s_xor_b64 exec, exec, s[60:61]
	s_cbranch_execnz .LBB166_2653
.LBB166_2032:                           ;   in Loop: Header=BB166_17 Depth=1
	s_or_b64 exec, exec, s[60:61]
	s_and_saveexec_b64 s[60:61], s[58:59]
	s_cbranch_execz .LBB166_2034
.LBB166_2033:                           ;   in Loop: Header=BB166_17 Depth=1
	v_lshlrev_b32_e32 v16, 24, v15
	v_and_b32_e32 v15, 0xffff, v15
	v_and_b32_e32 v65, 3, v15
	v_ffbh_u32_e32 v67, v65
	v_min_u32_e32 v67, 32, v67
	v_subrev_u32_e32 v68, 29, v67
	v_bfe_u32 v66, v15, 2, 5
	v_lshlrev_b32_e32 v15, v68, v15
	v_sub_u32_e32 v67, 30, v67
	v_and_b32_e32 v15, 3, v15
	v_cmp_eq_u32_e32 vcc, 0, v66
	v_cndmask_b32_e32 v66, v66, v67, vcc
	v_cndmask_b32_e32 v15, v65, v15, vcc
	v_lshlrev_b32_e32 v15, 21, v15
	v_and_b32_e32 v16, 0x80000000, v16
	v_lshl_add_u32 v65, v66, 23, v35
	v_or3_b32 v65, v16, v65, v15
.LBB166_2034:                           ;   in Loop: Header=BB166_17 Depth=1
	s_or_b64 exec, exec, s[60:61]
                                        ; implicit-def: $vgpr15_vgpr16
.LBB166_2035:                           ;   in Loop: Header=BB166_17 Depth=1
	s_andn2_saveexec_b64 s[56:57], s[56:57]
	s_cbranch_execz .LBB166_2037
; %bb.2036:                             ;   in Loop: Header=BB166_17 Depth=1
	flat_load_ubyte v15, v[15:16]
	s_mov_b32 s58, 0x7f800000
	s_waitcnt vmcnt(0) lgkmcnt(0)
	v_lshlrev_b32_e32 v15, 24, v15
	v_and_b32_e32 v16, 0x7f000000, v15
	v_ffbh_u32_e32 v65, v16
	v_min_u32_e32 v65, 32, v65
	v_sub_u32_e64 v65, v65, 4 clamp
	v_lshlrev_b32_e32 v67, v65, v16
	v_lshlrev_b32_e32 v65, 23, v65
	v_lshrrev_b32_e32 v67, 4, v67
	v_add_u32_e32 v66, 0x1000000, v16
	v_sub_u32_e32 v65, v67, v65
	v_ashrrev_i32_e32 v66, 8, v66
	v_add_u32_e32 v65, 0x3c000000, v65
	v_and_or_b32 v65, v66, s58, v65
	v_cmp_ne_u32_e32 vcc, 0, v16
	v_cndmask_b32_e32 v16, 0, v65, vcc
	s_brev_b32 s58, 1
	v_and_or_b32 v65, v15, s58, v16
.LBB166_2037:                           ;   in Loop: Header=BB166_17 Depth=1
	s_or_b64 exec, exec, s[56:57]
                                        ; implicit-def: $vgpr15_vgpr16
.LBB166_2038:                           ;   in Loop: Header=BB166_17 Depth=1
	s_andn2_saveexec_b64 s[46:47], s[46:47]
	s_cbranch_execz .LBB166_2040
; %bb.2039:                             ;   in Loop: Header=BB166_17 Depth=1
	flat_load_ubyte v15, v[15:16]
	s_movk_i32 s56, 0x7f00
	s_waitcnt vmcnt(0) lgkmcnt(0)
	v_lshlrev_b16_e32 v16, 8, v15
	v_lshlrev_b32_e32 v15, 25, v15
	v_lshrrev_b32_e32 v65, 4, v15
	v_and_or_b32 v66, v16, s56, 0.5
	v_or_b32_e32 v65, 0x70000000, v65
	s_brev_b32 s56, 16
	v_add_f32_e32 v66, -0.5, v66
	v_mul_f32_e32 v65, 0x7800000, v65
	v_cmp_gt_u32_e32 vcc, s56, v15
	v_cndmask_b32_e32 v15, v65, v66, vcc
	v_bfe_i32 v16, v16, 0, 16
	s_brev_b32 s56, 1
	v_and_or_b32 v65, v16, s56, v15
.LBB166_2040:                           ;   in Loop: Header=BB166_17 Depth=1
	s_or_b64 exec, exec, s[46:47]
	s_or_b64 s[46:47], s[42:43], exec
                                        ; implicit-def: $vgpr15_vgpr16
.LBB166_2041:                           ;   in Loop: Header=BB166_17 Depth=1
	s_andn2_saveexec_b64 s[44:45], s[44:45]
	s_cbranch_execz .LBB166_2051
; %bb.2042:                             ;   in Loop: Header=BB166_17 Depth=1
	v_cmp_gt_i16_sdwa s[58:59], v10, v36 src0_sel:BYTE_0 src1_sel:DWORD
	s_mov_b64 s[56:57], s[46:47]
                                        ; implicit-def: $vgpr65
	s_and_saveexec_b64 s[60:61], s[58:59]
	s_xor_b64 s[58:59], exec, s[60:61]
	s_cbranch_execz .LBB166_2046
; %bb.2043:                             ;   in Loop: Header=BB166_17 Depth=1
	v_cmp_eq_u16_sdwa s[62:63], v10, v37 src0_sel:BYTE_0 src1_sel:DWORD
	s_mov_b64 s[56:57], s[46:47]
                                        ; implicit-def: $vgpr65
	s_and_saveexec_b64 s[60:61], s[62:63]
	s_cbranch_execz .LBB166_2045
; %bb.2044:                             ;   in Loop: Header=BB166_17 Depth=1
	flat_load_ushort v15, v[15:16]
	s_or_b64 s[56:57], s[46:47], exec
	s_waitcnt vmcnt(0) lgkmcnt(0)
	v_lshlrev_b32_e32 v65, 16, v15
.LBB166_2045:                           ;   in Loop: Header=BB166_17 Depth=1
	s_or_b64 exec, exec, s[60:61]
	s_andn2_b64 s[60:61], s[46:47], exec
	s_and_b64 s[56:57], s[56:57], exec
	s_or_b64 s[56:57], s[60:61], s[56:57]
                                        ; implicit-def: $vgpr15_vgpr16
.LBB166_2046:                           ;   in Loop: Header=BB166_17 Depth=1
	s_andn2_saveexec_b64 s[58:59], s[58:59]
	s_cbranch_execz .LBB166_2050
; %bb.2047:                             ;   in Loop: Header=BB166_17 Depth=1
	v_cmp_eq_u16_sdwa s[74:75], v10, v38 src0_sel:BYTE_0 src1_sel:DWORD
	s_mov_b64 s[60:61], s[56:57]
                                        ; implicit-def: $vgpr65
	s_and_saveexec_b64 s[62:63], s[74:75]
	s_cbranch_execz .LBB166_2049
; %bb.2048:                             ;   in Loop: Header=BB166_17 Depth=1
	flat_load_ubyte v15, v[15:16]
	s_or_b64 s[60:61], s[56:57], exec
	s_waitcnt vmcnt(0) lgkmcnt(0)
	v_cmp_ne_u16_e32 vcc, 0, v15
	v_cndmask_b32_e64 v65, 0, 1.0, vcc
.LBB166_2049:                           ;   in Loop: Header=BB166_17 Depth=1
	s_or_b64 exec, exec, s[62:63]
	s_andn2_b64 s[56:57], s[56:57], exec
	s_and_b64 s[60:61], s[60:61], exec
	s_or_b64 s[56:57], s[56:57], s[60:61]
.LBB166_2050:                           ;   in Loop: Header=BB166_17 Depth=1
	s_or_b64 exec, exec, s[58:59]
	s_andn2_b64 s[46:47], s[46:47], exec
	s_and_b64 s[56:57], s[56:57], exec
	s_or_b64 s[46:47], s[46:47], s[56:57]
.LBB166_2051:                           ;   in Loop: Header=BB166_17 Depth=1
	s_or_b64 exec, exec, s[44:45]
	s_andn2_b64 s[42:43], s[42:43], exec
	s_and_b64 s[44:45], s[46:47], exec
	s_or_b64 s[42:43], s[42:43], s[44:45]
.LBB166_2052:                           ;   in Loop: Header=BB166_17 Depth=1
	s_or_b64 exec, exec, s[24:25]
	s_and_b64 s[24:25], s[42:43], exec
                                        ; implicit-def: $vgpr15_vgpr16
	s_andn2_saveexec_b64 s[22:23], s[22:23]
	s_cbranch_execz .LBB166_345
.LBB166_2053:                           ;   in Loop: Header=BB166_17 Depth=1
	v_cmp_gt_i16_sdwa s[42:43], v10, v39 src0_sel:BYTE_0 src1_sel:DWORD
                                        ; implicit-def: $vgpr65
	s_and_saveexec_b64 s[44:45], s[42:43]
	s_xor_b64 s[42:43], exec, s[44:45]
	s_cbranch_execz .LBB166_2075
; %bb.2054:                             ;   in Loop: Header=BB166_17 Depth=1
	v_cmp_gt_i16_sdwa s[44:45], v10, v48 src0_sel:BYTE_0 src1_sel:DWORD
                                        ; implicit-def: $vgpr65
	s_and_saveexec_b64 s[46:47], s[44:45]
	s_xor_b64 s[44:45], exec, s[46:47]
	s_cbranch_execz .LBB166_2064
; %bb.2055:                             ;   in Loop: Header=BB166_17 Depth=1
	;; [unrolled: 6-line block ×4, first 2 shown]
	flat_load_dwordx2 v[15:16], v[15:16]
	s_waitcnt vmcnt(0) lgkmcnt(0)
	v_cvt_f32_f64_e32 v65, v[15:16]
                                        ; implicit-def: $vgpr15_vgpr16
.LBB166_2058:                           ;   in Loop: Header=BB166_17 Depth=1
	s_andn2_saveexec_b64 s[56:57], s[56:57]
	s_cbranch_execz .LBB166_2060
; %bb.2059:                             ;   in Loop: Header=BB166_17 Depth=1
	flat_load_dword v65, v[15:16]
.LBB166_2060:                           ;   in Loop: Header=BB166_17 Depth=1
	s_or_b64 exec, exec, s[56:57]
                                        ; implicit-def: $vgpr15_vgpr16
.LBB166_2061:                           ;   in Loop: Header=BB166_17 Depth=1
	s_andn2_saveexec_b64 s[46:47], s[46:47]
	s_cbranch_execz .LBB166_2063
; %bb.2062:                             ;   in Loop: Header=BB166_17 Depth=1
	flat_load_dword v15, v[15:16]
	s_waitcnt vmcnt(0) lgkmcnt(0)
	v_cvt_f32_f16_e32 v65, v15
.LBB166_2063:                           ;   in Loop: Header=BB166_17 Depth=1
	s_or_b64 exec, exec, s[46:47]
                                        ; implicit-def: $vgpr15_vgpr16
.LBB166_2064:                           ;   in Loop: Header=BB166_17 Depth=1
	s_andn2_saveexec_b64 s[44:45], s[44:45]
	s_cbranch_execz .LBB166_2074
; %bb.2065:                             ;   in Loop: Header=BB166_17 Depth=1
	v_cmp_gt_i16_sdwa s[46:47], v10, v51 src0_sel:BYTE_0 src1_sel:DWORD
                                        ; implicit-def: $vgpr65
	s_and_saveexec_b64 s[56:57], s[46:47]
	s_xor_b64 s[46:47], exec, s[56:57]
	s_cbranch_execz .LBB166_2071
; %bb.2066:                             ;   in Loop: Header=BB166_17 Depth=1
	v_cmp_gt_i16_sdwa s[56:57], v10, v52 src0_sel:BYTE_0 src1_sel:DWORD
                                        ; implicit-def: $vgpr65
	s_and_saveexec_b64 s[58:59], s[56:57]
	s_xor_b64 s[56:57], exec, s[58:59]
	s_cbranch_execz .LBB166_2068
; %bb.2067:                             ;   in Loop: Header=BB166_17 Depth=1
	flat_load_dwordx2 v[15:16], v[15:16]
	s_waitcnt vmcnt(0) lgkmcnt(0)
	v_cvt_f32_f64_e32 v65, v[15:16]
                                        ; implicit-def: $vgpr15_vgpr16
.LBB166_2068:                           ;   in Loop: Header=BB166_17 Depth=1
	s_andn2_saveexec_b64 s[56:57], s[56:57]
	s_cbranch_execz .LBB166_2070
; %bb.2069:                             ;   in Loop: Header=BB166_17 Depth=1
	s_waitcnt vmcnt(0) lgkmcnt(0)
	flat_load_dword v65, v[15:16]
.LBB166_2070:                           ;   in Loop: Header=BB166_17 Depth=1
	s_or_b64 exec, exec, s[56:57]
                                        ; implicit-def: $vgpr15_vgpr16
.LBB166_2071:                           ;   in Loop: Header=BB166_17 Depth=1
	s_andn2_saveexec_b64 s[46:47], s[46:47]
	s_cbranch_execz .LBB166_2073
; %bb.2072:                             ;   in Loop: Header=BB166_17 Depth=1
	flat_load_ushort v15, v[15:16]
	s_waitcnt vmcnt(0) lgkmcnt(0)
	v_cvt_f32_f16_e32 v65, v15
.LBB166_2073:                           ;   in Loop: Header=BB166_17 Depth=1
	s_or_b64 exec, exec, s[46:47]
.LBB166_2074:                           ;   in Loop: Header=BB166_17 Depth=1
	s_or_b64 exec, exec, s[44:45]
                                        ; implicit-def: $vgpr15_vgpr16
.LBB166_2075:                           ;   in Loop: Header=BB166_17 Depth=1
	s_andn2_saveexec_b64 s[42:43], s[42:43]
	s_cbranch_execz .LBB166_2093
; %bb.2076:                             ;   in Loop: Header=BB166_17 Depth=1
	v_cmp_gt_i16_sdwa s[44:45], v10, v53 src0_sel:BYTE_0 src1_sel:DWORD
                                        ; implicit-def: $vgpr65
	s_and_saveexec_b64 s[46:47], s[44:45]
	s_xor_b64 s[44:45], exec, s[46:47]
	s_cbranch_execz .LBB166_2086
; %bb.2077:                             ;   in Loop: Header=BB166_17 Depth=1
	v_cmp_gt_i16_sdwa s[46:47], v10, v54 src0_sel:BYTE_0 src1_sel:DWORD
                                        ; implicit-def: $vgpr65
	s_and_saveexec_b64 s[56:57], s[46:47]
	s_xor_b64 s[46:47], exec, s[56:57]
	;; [unrolled: 6-line block ×3, first 2 shown]
	s_cbranch_execz .LBB166_2080
; %bb.2079:                             ;   in Loop: Header=BB166_17 Depth=1
	flat_load_dwordx2 v[15:16], v[15:16]
	s_waitcnt vmcnt(0) lgkmcnt(0)
	v_xor_b32_e32 v66, v15, v16
	v_ffbh_i32_e32 v65, v16
	v_ashrrev_i32_e32 v66, 31, v66
	v_add_u32_e32 v65, -1, v65
	v_add_u32_e32 v66, 32, v66
	v_min_u32_e32 v65, v65, v66
	v_lshlrev_b64 v[15:16], v65, v[15:16]
	v_min_u32_e32 v15, 1, v15
	v_or_b32_e32 v15, v16, v15
	v_cvt_f32_i32_e32 v15, v15
	v_sub_u32_e32 v16, 32, v65
	v_ldexp_f32 v65, v15, v16
                                        ; implicit-def: $vgpr15_vgpr16
.LBB166_2080:                           ;   in Loop: Header=BB166_17 Depth=1
	s_andn2_saveexec_b64 s[56:57], s[56:57]
	s_cbranch_execz .LBB166_2082
; %bb.2081:                             ;   in Loop: Header=BB166_17 Depth=1
	flat_load_dword v15, v[15:16]
	s_waitcnt vmcnt(0) lgkmcnt(0)
	v_cvt_f32_i32_e32 v65, v15
.LBB166_2082:                           ;   in Loop: Header=BB166_17 Depth=1
	s_or_b64 exec, exec, s[56:57]
                                        ; implicit-def: $vgpr15_vgpr16
.LBB166_2083:                           ;   in Loop: Header=BB166_17 Depth=1
	s_andn2_saveexec_b64 s[46:47], s[46:47]
	s_cbranch_execz .LBB166_2085
; %bb.2084:                             ;   in Loop: Header=BB166_17 Depth=1
	flat_load_sshort v15, v[15:16]
	s_waitcnt vmcnt(0) lgkmcnt(0)
	v_cvt_f32_i32_e32 v65, v15
.LBB166_2085:                           ;   in Loop: Header=BB166_17 Depth=1
	s_or_b64 exec, exec, s[46:47]
                                        ; implicit-def: $vgpr15_vgpr16
.LBB166_2086:                           ;   in Loop: Header=BB166_17 Depth=1
	s_andn2_saveexec_b64 s[44:45], s[44:45]
	s_cbranch_execz .LBB166_2092
; %bb.2087:                             ;   in Loop: Header=BB166_17 Depth=1
	v_cmp_gt_i16_sdwa s[46:47], v10, v18 src0_sel:BYTE_0 src1_sel:DWORD
                                        ; implicit-def: $vgpr65
	s_and_saveexec_b64 s[56:57], s[46:47]
	s_xor_b64 s[46:47], exec, s[56:57]
	s_cbranch_execz .LBB166_2089
; %bb.2088:                             ;   in Loop: Header=BB166_17 Depth=1
	flat_load_sbyte v15, v[15:16]
	s_waitcnt vmcnt(0) lgkmcnt(0)
	v_cvt_f32_i32_e32 v65, v15
                                        ; implicit-def: $vgpr15_vgpr16
.LBB166_2089:                           ;   in Loop: Header=BB166_17 Depth=1
	s_andn2_saveexec_b64 s[46:47], s[46:47]
	s_cbranch_execz .LBB166_2091
; %bb.2090:                             ;   in Loop: Header=BB166_17 Depth=1
	flat_load_ubyte v15, v[15:16]
	s_waitcnt vmcnt(0) lgkmcnt(0)
	v_cvt_f32_ubyte0_e32 v65, v15
.LBB166_2091:                           ;   in Loop: Header=BB166_17 Depth=1
	s_or_b64 exec, exec, s[46:47]
.LBB166_2092:                           ;   in Loop: Header=BB166_17 Depth=1
	s_or_b64 exec, exec, s[44:45]
.LBB166_2093:                           ;   in Loop: Header=BB166_17 Depth=1
	s_or_b64 exec, exec, s[42:43]
	s_or_b64 s[24:25], s[24:25], exec
	s_or_b64 exec, exec, s[22:23]
	s_mov_b64 s[42:43], 0
	s_and_saveexec_b64 s[22:23], s[24:25]
	s_cbranch_execnz .LBB166_346
	s_branch .LBB166_347
.LBB166_2094:                           ;   in Loop: Header=BB166_17 Depth=1
	s_movk_i32 s28, 0x80
	v_cmp_eq_u16_e32 vcc, s28, v15
	s_mov_b64 s[28:29], -1
	s_and_saveexec_b64 s[42:43], vcc
; %bb.2095:                             ;   in Loop: Header=BB166_17 Depth=1
	s_xor_b64 s[28:29], exec, -1
; %bb.2096:                             ;   in Loop: Header=BB166_17 Depth=1
	s_or_b64 exec, exec, s[42:43]
	s_and_b64 s[28:29], s[28:29], exec
	s_or_saveexec_b64 s[40:41], s[40:41]
	v_mov_b32_e32 v66, 0x7f800001
	s_xor_b64 exec, exec, s[40:41]
	s_cbranch_execz .LBB166_46
.LBB166_2097:                           ;   in Loop: Header=BB166_17 Depth=1
	v_cmp_ne_u16_e32 vcc, 0, v15
	s_andn2_b64 s[28:29], s[28:29], exec
	s_and_b64 s[42:43], vcc, exec
	v_mov_b32_e32 v66, 0
	s_or_b64 s[28:29], s[28:29], s[42:43]
	s_or_b64 exec, exec, s[40:41]
	s_and_saveexec_b64 s[40:41], s[28:29]
	s_cbranch_execnz .LBB166_47
	s_branch .LBB166_48
.LBB166_2098:                           ;   in Loop: Header=BB166_17 Depth=1
	v_cmp_gt_i16_sdwa s[40:41], v10, v20 src0_sel:BYTE_0 src1_sel:DWORD
	s_mov_b64 s[56:57], 0
                                        ; implicit-def: $vgpr65
	s_and_saveexec_b64 s[58:59], s[40:41]
	s_xor_b64 s[40:41], exec, s[58:59]
	s_cbranch_execz .LBB166_2130
; %bb.2099:                             ;   in Loop: Header=BB166_17 Depth=1
	v_cmp_gt_i16_sdwa s[58:59], v10, v21 src0_sel:BYTE_0 src1_sel:DWORD
                                        ; implicit-def: $vgpr65
	s_and_saveexec_b64 s[60:61], s[58:59]
	s_xor_b64 s[58:59], exec, s[60:61]
	s_cbranch_execz .LBB166_2115
; %bb.2100:                             ;   in Loop: Header=BB166_17 Depth=1
	v_cmp_gt_i16_sdwa s[56:57], v10, v22 src0_sel:BYTE_0 src1_sel:DWORD
	s_mov_b64 s[60:61], 0
                                        ; implicit-def: $vgpr65
	s_and_saveexec_b64 s[62:63], s[56:57]
	s_xor_b64 s[56:57], exec, s[62:63]
	s_cbranch_execz .LBB166_2110
; %bb.2101:                             ;   in Loop: Header=BB166_17 Depth=1
	v_cmp_gt_i16_sdwa s[62:63], v10, v23 src0_sel:BYTE_0 src1_sel:DWORD
                                        ; implicit-def: $vgpr65
	s_and_saveexec_b64 s[72:73], s[62:63]
	s_xor_b64 s[62:63], exec, s[72:73]
	s_cbranch_execz .LBB166_2105
; %bb.2102:                             ;   in Loop: Header=BB166_17 Depth=1
	v_cmp_eq_u16_sdwa s[74:75], v10, v24 src0_sel:BYTE_0 src1_sel:DWORD
                                        ; implicit-def: $vgpr65
	s_and_saveexec_b64 s[72:73], s[74:75]
	s_cbranch_execz .LBB166_2104
; %bb.2103:                             ;   in Loop: Header=BB166_17 Depth=1
	flat_load_dword v15, v[15:16]
	s_mov_b64 s[60:61], exec
	s_waitcnt vmcnt(0) lgkmcnt(0)
	v_lshlrev_b32_e32 v65, 16, v15
.LBB166_2104:                           ;   in Loop: Header=BB166_17 Depth=1
	s_or_b64 exec, exec, s[72:73]
	s_and_b64 s[60:61], s[60:61], exec
                                        ; implicit-def: $vgpr15_vgpr16
.LBB166_2105:                           ;   in Loop: Header=BB166_17 Depth=1
	s_andn2_saveexec_b64 s[62:63], s[62:63]
	s_cbranch_execz .LBB166_2109
; %bb.2106:                             ;   in Loop: Header=BB166_17 Depth=1
	v_cmp_eq_u16_sdwa s[76:77], v10, v25 src0_sel:BYTE_0 src1_sel:DWORD
	s_mov_b64 s[74:75], s[60:61]
                                        ; implicit-def: $vgpr65
	s_and_saveexec_b64 s[72:73], s[76:77]
	s_cbranch_execz .LBB166_2108
; %bb.2107:                             ;   in Loop: Header=BB166_17 Depth=1
	flat_load_ubyte v15, v[15:16]
	s_movk_i32 s74, 0xff
	s_waitcnt vmcnt(0) lgkmcnt(0)
	v_lshlrev_b32_e32 v16, 23, v15
	v_cmp_ne_u32_e32 vcc, s74, v15
	v_cndmask_b32_e32 v16, v26, v16, vcc
	v_cmp_ne_u32_e32 vcc, 0, v15
	v_cndmask_b32_e32 v65, v27, v16, vcc
	s_or_b64 s[74:75], s[60:61], exec
.LBB166_2108:                           ;   in Loop: Header=BB166_17 Depth=1
	s_or_b64 exec, exec, s[72:73]
	s_andn2_b64 s[60:61], s[60:61], exec
	s_and_b64 s[72:73], s[74:75], exec
	s_or_b64 s[60:61], s[60:61], s[72:73]
.LBB166_2109:                           ;   in Loop: Header=BB166_17 Depth=1
	s_or_b64 exec, exec, s[62:63]
	s_and_b64 s[60:61], s[60:61], exec
                                        ; implicit-def: $vgpr15_vgpr16
.LBB166_2110:                           ;   in Loop: Header=BB166_17 Depth=1
	s_andn2_saveexec_b64 s[56:57], s[56:57]
	s_cbranch_execz .LBB166_2114
; %bb.2111:                             ;   in Loop: Header=BB166_17 Depth=1
	v_cmp_eq_u16_sdwa s[74:75], v10, v28 src0_sel:BYTE_0 src1_sel:DWORD
	s_mov_b64 s[72:73], s[60:61]
                                        ; implicit-def: $vgpr65
	s_and_saveexec_b64 s[62:63], s[74:75]
	s_cbranch_execz .LBB166_2113
; %bb.2112:                             ;   in Loop: Header=BB166_17 Depth=1
	flat_load_dwordx2 v[15:16], v[15:16]
	s_or_b64 s[72:73], s[60:61], exec
	s_waitcnt vmcnt(0) lgkmcnt(0)
	v_ffbh_u32_e32 v65, v16
	v_min_u32_e32 v65, 32, v65
	v_lshlrev_b64 v[15:16], v65, v[15:16]
	v_min_u32_e32 v15, 1, v15
	v_or_b32_e32 v15, v16, v15
	v_cvt_f32_u32_e32 v15, v15
	v_sub_u32_e32 v16, 32, v65
	v_ldexp_f32 v65, v15, v16
.LBB166_2113:                           ;   in Loop: Header=BB166_17 Depth=1
	s_or_b64 exec, exec, s[62:63]
	s_andn2_b64 s[60:61], s[60:61], exec
	s_and_b64 s[62:63], s[72:73], exec
	s_or_b64 s[60:61], s[60:61], s[62:63]
.LBB166_2114:                           ;   in Loop: Header=BB166_17 Depth=1
	s_or_b64 exec, exec, s[56:57]
	s_and_b64 s[56:57], s[60:61], exec
                                        ; implicit-def: $vgpr15_vgpr16
.LBB166_2115:                           ;   in Loop: Header=BB166_17 Depth=1
	s_andn2_saveexec_b64 s[58:59], s[58:59]
	s_cbranch_execz .LBB166_2129
; %bb.2116:                             ;   in Loop: Header=BB166_17 Depth=1
	v_cmp_gt_i16_sdwa s[60:61], v10, v29 src0_sel:BYTE_0 src1_sel:DWORD
                                        ; implicit-def: $vgpr65
	s_and_saveexec_b64 s[62:63], s[60:61]
	s_xor_b64 s[60:61], exec, s[62:63]
	s_cbranch_execz .LBB166_2122
; %bb.2117:                             ;   in Loop: Header=BB166_17 Depth=1
	v_cmp_gt_i16_sdwa s[62:63], v10, v30 src0_sel:BYTE_0 src1_sel:DWORD
                                        ; implicit-def: $vgpr65
	s_and_saveexec_b64 s[72:73], s[62:63]
	s_xor_b64 s[62:63], exec, s[72:73]
	s_cbranch_execz .LBB166_2119
; %bb.2118:                             ;   in Loop: Header=BB166_17 Depth=1
	flat_load_dword v15, v[15:16]
	s_waitcnt vmcnt(0) lgkmcnt(0)
	v_cvt_f32_u32_e32 v65, v15
                                        ; implicit-def: $vgpr15_vgpr16
.LBB166_2119:                           ;   in Loop: Header=BB166_17 Depth=1
	s_andn2_saveexec_b64 s[62:63], s[62:63]
	s_cbranch_execz .LBB166_2121
; %bb.2120:                             ;   in Loop: Header=BB166_17 Depth=1
	flat_load_ushort v15, v[15:16]
	s_waitcnt vmcnt(0) lgkmcnt(0)
	v_cvt_f32_u32_e32 v65, v15
.LBB166_2121:                           ;   in Loop: Header=BB166_17 Depth=1
	s_or_b64 exec, exec, s[62:63]
                                        ; implicit-def: $vgpr15_vgpr16
.LBB166_2122:                           ;   in Loop: Header=BB166_17 Depth=1
	s_andn2_saveexec_b64 s[60:61], s[60:61]
	s_cbranch_execz .LBB166_2128
; %bb.2123:                             ;   in Loop: Header=BB166_17 Depth=1
	flat_load_ubyte v15, v[15:16]
	s_movk_i32 s62, 0x7f
	s_waitcnt vmcnt(0) lgkmcnt(0)
	v_cmp_lt_i16_e32 vcc, s62, v15
	s_mov_b64 s[62:63], 0
	s_and_saveexec_b64 s[72:73], vcc
	s_xor_b64 s[72:73], exec, s[72:73]
	s_cbranch_execnz .LBB166_2654
; %bb.2124:                             ;   in Loop: Header=BB166_17 Depth=1
	s_or_saveexec_b64 s[72:73], s[72:73]
	v_mov_b32_e32 v65, 0x7f800001
	s_xor_b64 exec, exec, s[72:73]
	s_cbranch_execnz .LBB166_2657
.LBB166_2125:                           ;   in Loop: Header=BB166_17 Depth=1
	s_or_b64 exec, exec, s[72:73]
	s_and_saveexec_b64 s[72:73], s[62:63]
	s_cbranch_execz .LBB166_2127
.LBB166_2126:                           ;   in Loop: Header=BB166_17 Depth=1
	v_lshlrev_b32_e32 v16, 24, v15
	v_and_b32_e32 v15, 0xffff, v15
	v_and_b32_e32 v65, 7, v15
	v_ffbh_u32_e32 v67, v65
	v_min_u32_e32 v67, 32, v67
	v_subrev_u32_e32 v68, 28, v67
	v_bfe_u32 v66, v15, 3, 4
	v_lshlrev_b32_e32 v15, v68, v15
	v_sub_u32_e32 v67, 29, v67
	v_and_b32_e32 v15, 7, v15
	v_cmp_eq_u32_e32 vcc, 0, v66
	v_cndmask_b32_e32 v66, v66, v67, vcc
	v_cndmask_b32_e32 v15, v65, v15, vcc
	v_lshlrev_b32_e32 v15, 20, v15
	v_and_b32_e32 v16, 0x80000000, v16
	v_lshl_add_u32 v65, v66, 23, v31
	v_or3_b32 v65, v16, v65, v15
.LBB166_2127:                           ;   in Loop: Header=BB166_17 Depth=1
	s_or_b64 exec, exec, s[72:73]
.LBB166_2128:                           ;   in Loop: Header=BB166_17 Depth=1
	s_or_b64 exec, exec, s[60:61]
	s_or_b64 s[56:57], s[56:57], exec
.LBB166_2129:                           ;   in Loop: Header=BB166_17 Depth=1
	s_or_b64 exec, exec, s[58:59]
	s_and_b64 s[56:57], s[56:57], exec
                                        ; implicit-def: $vgpr15_vgpr16
.LBB166_2130:                           ;   in Loop: Header=BB166_17 Depth=1
	s_andn2_saveexec_b64 s[40:41], s[40:41]
	s_cbranch_execz .LBB166_2156
; %bb.2131:                             ;   in Loop: Header=BB166_17 Depth=1
	v_cmp_gt_i16_sdwa s[58:59], v10, v32 src0_sel:BYTE_0 src1_sel:DWORD
	s_mov_b64 s[60:61], s[56:57]
                                        ; implicit-def: $vgpr65
	s_and_saveexec_b64 s[62:63], s[58:59]
	s_xor_b64 s[58:59], exec, s[62:63]
	s_cbranch_execz .LBB166_2145
; %bb.2132:                             ;   in Loop: Header=BB166_17 Depth=1
	v_cmp_gt_i16_sdwa s[60:61], v10, v33 src0_sel:BYTE_0 src1_sel:DWORD
                                        ; implicit-def: $vgpr65
	s_and_saveexec_b64 s[62:63], s[60:61]
	s_xor_b64 s[60:61], exec, s[62:63]
	s_cbranch_execz .LBB166_2142
; %bb.2133:                             ;   in Loop: Header=BB166_17 Depth=1
	v_cmp_gt_i16_sdwa s[62:63], v10, v34 src0_sel:BYTE_0 src1_sel:DWORD
                                        ; implicit-def: $vgpr65
	s_and_saveexec_b64 s[72:73], s[62:63]
	s_xor_b64 s[62:63], exec, s[72:73]
	s_cbranch_execz .LBB166_2139
; %bb.2134:                             ;   in Loop: Header=BB166_17 Depth=1
	flat_load_ubyte v15, v[15:16]
	s_movk_i32 s72, 0x7f
	s_waitcnt vmcnt(0) lgkmcnt(0)
	v_cmp_lt_i16_e32 vcc, s72, v15
	s_mov_b64 s[72:73], 0
	s_and_saveexec_b64 s[74:75], vcc
	s_xor_b64 s[74:75], exec, s[74:75]
	s_cbranch_execnz .LBB166_2766
; %bb.2135:                             ;   in Loop: Header=BB166_17 Depth=1
	s_or_saveexec_b64 s[74:75], s[74:75]
	v_mov_b32_e32 v65, 0x7f800001
	s_xor_b64 exec, exec, s[74:75]
	s_cbranch_execnz .LBB166_2769
.LBB166_2136:                           ;   in Loop: Header=BB166_17 Depth=1
	s_or_b64 exec, exec, s[74:75]
	s_and_saveexec_b64 s[74:75], s[72:73]
	s_cbranch_execz .LBB166_2138
.LBB166_2137:                           ;   in Loop: Header=BB166_17 Depth=1
	v_lshlrev_b32_e32 v16, 24, v15
	v_and_b32_e32 v15, 0xffff, v15
	v_and_b32_e32 v65, 3, v15
	v_ffbh_u32_e32 v67, v65
	v_min_u32_e32 v67, 32, v67
	v_subrev_u32_e32 v68, 29, v67
	v_bfe_u32 v66, v15, 2, 5
	v_lshlrev_b32_e32 v15, v68, v15
	v_sub_u32_e32 v67, 30, v67
	v_and_b32_e32 v15, 3, v15
	v_cmp_eq_u32_e32 vcc, 0, v66
	v_cndmask_b32_e32 v66, v66, v67, vcc
	v_cndmask_b32_e32 v15, v65, v15, vcc
	v_lshlrev_b32_e32 v15, 21, v15
	v_and_b32_e32 v16, 0x80000000, v16
	v_lshl_add_u32 v65, v66, 23, v35
	v_or3_b32 v65, v16, v65, v15
.LBB166_2138:                           ;   in Loop: Header=BB166_17 Depth=1
	s_or_b64 exec, exec, s[74:75]
                                        ; implicit-def: $vgpr15_vgpr16
.LBB166_2139:                           ;   in Loop: Header=BB166_17 Depth=1
	s_andn2_saveexec_b64 s[62:63], s[62:63]
	s_cbranch_execz .LBB166_2141
; %bb.2140:                             ;   in Loop: Header=BB166_17 Depth=1
	flat_load_ubyte v15, v[15:16]
	s_mov_b32 s72, 0x7f800000
	s_waitcnt vmcnt(0) lgkmcnt(0)
	v_lshlrev_b32_e32 v15, 24, v15
	v_and_b32_e32 v16, 0x7f000000, v15
	v_ffbh_u32_e32 v65, v16
	v_min_u32_e32 v65, 32, v65
	v_sub_u32_e64 v65, v65, 4 clamp
	v_lshlrev_b32_e32 v67, v65, v16
	v_lshlrev_b32_e32 v65, 23, v65
	v_lshrrev_b32_e32 v67, 4, v67
	v_add_u32_e32 v66, 0x1000000, v16
	v_sub_u32_e32 v65, v67, v65
	v_ashrrev_i32_e32 v66, 8, v66
	v_add_u32_e32 v65, 0x3c000000, v65
	v_and_or_b32 v65, v66, s72, v65
	v_cmp_ne_u32_e32 vcc, 0, v16
	v_cndmask_b32_e32 v16, 0, v65, vcc
	s_brev_b32 s72, 1
	v_and_or_b32 v65, v15, s72, v16
.LBB166_2141:                           ;   in Loop: Header=BB166_17 Depth=1
	s_or_b64 exec, exec, s[62:63]
                                        ; implicit-def: $vgpr15_vgpr16
.LBB166_2142:                           ;   in Loop: Header=BB166_17 Depth=1
	s_andn2_saveexec_b64 s[60:61], s[60:61]
	s_cbranch_execz .LBB166_2144
; %bb.2143:                             ;   in Loop: Header=BB166_17 Depth=1
	flat_load_ubyte v15, v[15:16]
	s_movk_i32 s62, 0x7f00
	s_waitcnt vmcnt(0) lgkmcnt(0)
	v_lshlrev_b16_e32 v16, 8, v15
	v_lshlrev_b32_e32 v15, 25, v15
	v_lshrrev_b32_e32 v65, 4, v15
	v_and_or_b32 v66, v16, s62, 0.5
	v_or_b32_e32 v65, 0x70000000, v65
	s_brev_b32 s62, 16
	v_add_f32_e32 v66, -0.5, v66
	v_mul_f32_e32 v65, 0x7800000, v65
	v_cmp_gt_u32_e32 vcc, s62, v15
	v_cndmask_b32_e32 v15, v65, v66, vcc
	v_bfe_i32 v16, v16, 0, 16
	s_brev_b32 s62, 1
	v_and_or_b32 v65, v16, s62, v15
.LBB166_2144:                           ;   in Loop: Header=BB166_17 Depth=1
	s_or_b64 exec, exec, s[60:61]
	s_or_b64 s[60:61], s[56:57], exec
                                        ; implicit-def: $vgpr15_vgpr16
.LBB166_2145:                           ;   in Loop: Header=BB166_17 Depth=1
	s_andn2_saveexec_b64 s[58:59], s[58:59]
	s_cbranch_execz .LBB166_2155
; %bb.2146:                             ;   in Loop: Header=BB166_17 Depth=1
	v_cmp_gt_i16_sdwa s[72:73], v10, v36 src0_sel:BYTE_0 src1_sel:DWORD
	s_mov_b64 s[62:63], s[60:61]
                                        ; implicit-def: $vgpr65
	s_and_saveexec_b64 s[74:75], s[72:73]
	s_xor_b64 s[72:73], exec, s[74:75]
	s_cbranch_execz .LBB166_2150
; %bb.2147:                             ;   in Loop: Header=BB166_17 Depth=1
	v_cmp_eq_u16_sdwa s[76:77], v10, v37 src0_sel:BYTE_0 src1_sel:DWORD
	s_mov_b64 s[62:63], s[60:61]
                                        ; implicit-def: $vgpr65
	s_and_saveexec_b64 s[74:75], s[76:77]
	s_cbranch_execz .LBB166_2149
; %bb.2148:                             ;   in Loop: Header=BB166_17 Depth=1
	flat_load_ushort v15, v[15:16]
	s_or_b64 s[62:63], s[60:61], exec
	s_waitcnt vmcnt(0) lgkmcnt(0)
	v_lshlrev_b32_e32 v65, 16, v15
.LBB166_2149:                           ;   in Loop: Header=BB166_17 Depth=1
	s_or_b64 exec, exec, s[74:75]
	s_andn2_b64 s[74:75], s[60:61], exec
	s_and_b64 s[62:63], s[62:63], exec
	s_or_b64 s[62:63], s[74:75], s[62:63]
                                        ; implicit-def: $vgpr15_vgpr16
.LBB166_2150:                           ;   in Loop: Header=BB166_17 Depth=1
	s_andn2_saveexec_b64 s[72:73], s[72:73]
	s_cbranch_execz .LBB166_2154
; %bb.2151:                             ;   in Loop: Header=BB166_17 Depth=1
	v_cmp_eq_u16_sdwa s[88:89], v10, v38 src0_sel:BYTE_0 src1_sel:DWORD
	s_mov_b64 s[74:75], s[62:63]
                                        ; implicit-def: $vgpr65
	s_and_saveexec_b64 s[76:77], s[88:89]
	s_cbranch_execz .LBB166_2153
; %bb.2152:                             ;   in Loop: Header=BB166_17 Depth=1
	flat_load_ubyte v15, v[15:16]
	s_or_b64 s[74:75], s[62:63], exec
	s_waitcnt vmcnt(0) lgkmcnt(0)
	v_cmp_ne_u16_e32 vcc, 0, v15
	v_cndmask_b32_e64 v65, 0, 1.0, vcc
.LBB166_2153:                           ;   in Loop: Header=BB166_17 Depth=1
	s_or_b64 exec, exec, s[76:77]
	s_andn2_b64 s[62:63], s[62:63], exec
	s_and_b64 s[74:75], s[74:75], exec
	s_or_b64 s[62:63], s[62:63], s[74:75]
.LBB166_2154:                           ;   in Loop: Header=BB166_17 Depth=1
	s_or_b64 exec, exec, s[72:73]
	s_andn2_b64 s[60:61], s[60:61], exec
	s_and_b64 s[62:63], s[62:63], exec
	s_or_b64 s[60:61], s[60:61], s[62:63]
.LBB166_2155:                           ;   in Loop: Header=BB166_17 Depth=1
	s_or_b64 exec, exec, s[58:59]
	s_andn2_b64 s[56:57], s[56:57], exec
	s_and_b64 s[58:59], s[60:61], exec
	s_or_b64 s[56:57], s[56:57], s[58:59]
.LBB166_2156:                           ;   in Loop: Header=BB166_17 Depth=1
	s_or_b64 exec, exec, s[40:41]
	s_and_b64 s[40:41], s[56:57], exec
                                        ; implicit-def: $vgpr15_vgpr16
	s_andn2_saveexec_b64 s[28:29], s[28:29]
	s_cbranch_execz .LBB166_456
.LBB166_2157:                           ;   in Loop: Header=BB166_17 Depth=1
	v_cmp_gt_i16_sdwa s[56:57], v10, v39 src0_sel:BYTE_0 src1_sel:DWORD
                                        ; implicit-def: $vgpr65
	s_and_saveexec_b64 s[58:59], s[56:57]
	s_xor_b64 s[56:57], exec, s[58:59]
	s_cbranch_execz .LBB166_2179
; %bb.2158:                             ;   in Loop: Header=BB166_17 Depth=1
	v_cmp_gt_i16_sdwa s[58:59], v10, v48 src0_sel:BYTE_0 src1_sel:DWORD
                                        ; implicit-def: $vgpr65
	s_and_saveexec_b64 s[60:61], s[58:59]
	s_xor_b64 s[58:59], exec, s[60:61]
	s_cbranch_execz .LBB166_2168
; %bb.2159:                             ;   in Loop: Header=BB166_17 Depth=1
	;; [unrolled: 6-line block ×4, first 2 shown]
	flat_load_dwordx2 v[15:16], v[15:16]
	s_waitcnt vmcnt(0) lgkmcnt(0)
	v_cvt_f32_f64_e32 v65, v[15:16]
                                        ; implicit-def: $vgpr15_vgpr16
.LBB166_2162:                           ;   in Loop: Header=BB166_17 Depth=1
	s_andn2_saveexec_b64 s[62:63], s[62:63]
	s_cbranch_execz .LBB166_2164
; %bb.2163:                             ;   in Loop: Header=BB166_17 Depth=1
	flat_load_dword v65, v[15:16]
.LBB166_2164:                           ;   in Loop: Header=BB166_17 Depth=1
	s_or_b64 exec, exec, s[62:63]
                                        ; implicit-def: $vgpr15_vgpr16
.LBB166_2165:                           ;   in Loop: Header=BB166_17 Depth=1
	s_andn2_saveexec_b64 s[60:61], s[60:61]
	s_cbranch_execz .LBB166_2167
; %bb.2166:                             ;   in Loop: Header=BB166_17 Depth=1
	flat_load_dword v15, v[15:16]
	s_waitcnt vmcnt(0) lgkmcnt(0)
	v_cvt_f32_f16_e32 v65, v15
.LBB166_2167:                           ;   in Loop: Header=BB166_17 Depth=1
	s_or_b64 exec, exec, s[60:61]
                                        ; implicit-def: $vgpr15_vgpr16
.LBB166_2168:                           ;   in Loop: Header=BB166_17 Depth=1
	s_andn2_saveexec_b64 s[58:59], s[58:59]
	s_cbranch_execz .LBB166_2178
; %bb.2169:                             ;   in Loop: Header=BB166_17 Depth=1
	v_cmp_gt_i16_sdwa s[60:61], v10, v51 src0_sel:BYTE_0 src1_sel:DWORD
                                        ; implicit-def: $vgpr65
	s_and_saveexec_b64 s[62:63], s[60:61]
	s_xor_b64 s[60:61], exec, s[62:63]
	s_cbranch_execz .LBB166_2175
; %bb.2170:                             ;   in Loop: Header=BB166_17 Depth=1
	v_cmp_gt_i16_sdwa s[62:63], v10, v52 src0_sel:BYTE_0 src1_sel:DWORD
                                        ; implicit-def: $vgpr65
	s_and_saveexec_b64 s[72:73], s[62:63]
	s_xor_b64 s[62:63], exec, s[72:73]
	s_cbranch_execz .LBB166_2172
; %bb.2171:                             ;   in Loop: Header=BB166_17 Depth=1
	flat_load_dwordx2 v[15:16], v[15:16]
	s_waitcnt vmcnt(0) lgkmcnt(0)
	v_cvt_f32_f64_e32 v65, v[15:16]
                                        ; implicit-def: $vgpr15_vgpr16
.LBB166_2172:                           ;   in Loop: Header=BB166_17 Depth=1
	s_andn2_saveexec_b64 s[62:63], s[62:63]
	s_cbranch_execz .LBB166_2174
; %bb.2173:                             ;   in Loop: Header=BB166_17 Depth=1
	s_waitcnt vmcnt(0) lgkmcnt(0)
	flat_load_dword v65, v[15:16]
.LBB166_2174:                           ;   in Loop: Header=BB166_17 Depth=1
	s_or_b64 exec, exec, s[62:63]
                                        ; implicit-def: $vgpr15_vgpr16
.LBB166_2175:                           ;   in Loop: Header=BB166_17 Depth=1
	s_andn2_saveexec_b64 s[60:61], s[60:61]
	s_cbranch_execz .LBB166_2177
; %bb.2176:                             ;   in Loop: Header=BB166_17 Depth=1
	flat_load_ushort v15, v[15:16]
	s_waitcnt vmcnt(0) lgkmcnt(0)
	v_cvt_f32_f16_e32 v65, v15
.LBB166_2177:                           ;   in Loop: Header=BB166_17 Depth=1
	s_or_b64 exec, exec, s[60:61]
.LBB166_2178:                           ;   in Loop: Header=BB166_17 Depth=1
	s_or_b64 exec, exec, s[58:59]
                                        ; implicit-def: $vgpr15_vgpr16
.LBB166_2179:                           ;   in Loop: Header=BB166_17 Depth=1
	s_andn2_saveexec_b64 s[56:57], s[56:57]
	s_cbranch_execz .LBB166_2197
; %bb.2180:                             ;   in Loop: Header=BB166_17 Depth=1
	v_cmp_gt_i16_sdwa s[58:59], v10, v53 src0_sel:BYTE_0 src1_sel:DWORD
                                        ; implicit-def: $vgpr65
	s_and_saveexec_b64 s[60:61], s[58:59]
	s_xor_b64 s[58:59], exec, s[60:61]
	s_cbranch_execz .LBB166_2190
; %bb.2181:                             ;   in Loop: Header=BB166_17 Depth=1
	v_cmp_gt_i16_sdwa s[60:61], v10, v54 src0_sel:BYTE_0 src1_sel:DWORD
                                        ; implicit-def: $vgpr65
	s_and_saveexec_b64 s[62:63], s[60:61]
	s_xor_b64 s[60:61], exec, s[62:63]
	;; [unrolled: 6-line block ×3, first 2 shown]
	s_cbranch_execz .LBB166_2184
; %bb.2183:                             ;   in Loop: Header=BB166_17 Depth=1
	flat_load_dwordx2 v[15:16], v[15:16]
	s_waitcnt vmcnt(0) lgkmcnt(0)
	v_xor_b32_e32 v66, v15, v16
	v_ffbh_i32_e32 v65, v16
	v_ashrrev_i32_e32 v66, 31, v66
	v_add_u32_e32 v65, -1, v65
	v_add_u32_e32 v66, 32, v66
	v_min_u32_e32 v65, v65, v66
	v_lshlrev_b64 v[15:16], v65, v[15:16]
	v_min_u32_e32 v15, 1, v15
	v_or_b32_e32 v15, v16, v15
	v_cvt_f32_i32_e32 v15, v15
	v_sub_u32_e32 v16, 32, v65
	v_ldexp_f32 v65, v15, v16
                                        ; implicit-def: $vgpr15_vgpr16
.LBB166_2184:                           ;   in Loop: Header=BB166_17 Depth=1
	s_andn2_saveexec_b64 s[62:63], s[62:63]
	s_cbranch_execz .LBB166_2186
; %bb.2185:                             ;   in Loop: Header=BB166_17 Depth=1
	flat_load_dword v15, v[15:16]
	s_waitcnt vmcnt(0) lgkmcnt(0)
	v_cvt_f32_i32_e32 v65, v15
.LBB166_2186:                           ;   in Loop: Header=BB166_17 Depth=1
	s_or_b64 exec, exec, s[62:63]
                                        ; implicit-def: $vgpr15_vgpr16
.LBB166_2187:                           ;   in Loop: Header=BB166_17 Depth=1
	s_andn2_saveexec_b64 s[60:61], s[60:61]
	s_cbranch_execz .LBB166_2189
; %bb.2188:                             ;   in Loop: Header=BB166_17 Depth=1
	flat_load_sshort v15, v[15:16]
	s_waitcnt vmcnt(0) lgkmcnt(0)
	v_cvt_f32_i32_e32 v65, v15
.LBB166_2189:                           ;   in Loop: Header=BB166_17 Depth=1
	s_or_b64 exec, exec, s[60:61]
                                        ; implicit-def: $vgpr15_vgpr16
.LBB166_2190:                           ;   in Loop: Header=BB166_17 Depth=1
	s_andn2_saveexec_b64 s[58:59], s[58:59]
	s_cbranch_execz .LBB166_2196
; %bb.2191:                             ;   in Loop: Header=BB166_17 Depth=1
	v_cmp_gt_i16_sdwa s[60:61], v10, v18 src0_sel:BYTE_0 src1_sel:DWORD
                                        ; implicit-def: $vgpr65
	s_and_saveexec_b64 s[62:63], s[60:61]
	s_xor_b64 s[60:61], exec, s[62:63]
	s_cbranch_execz .LBB166_2193
; %bb.2192:                             ;   in Loop: Header=BB166_17 Depth=1
	flat_load_sbyte v15, v[15:16]
	s_waitcnt vmcnt(0) lgkmcnt(0)
	v_cvt_f32_i32_e32 v65, v15
                                        ; implicit-def: $vgpr15_vgpr16
.LBB166_2193:                           ;   in Loop: Header=BB166_17 Depth=1
	s_andn2_saveexec_b64 s[60:61], s[60:61]
	s_cbranch_execz .LBB166_2195
; %bb.2194:                             ;   in Loop: Header=BB166_17 Depth=1
	flat_load_ubyte v15, v[15:16]
	s_waitcnt vmcnt(0) lgkmcnt(0)
	v_cvt_f32_ubyte0_e32 v65, v15
.LBB166_2195:                           ;   in Loop: Header=BB166_17 Depth=1
	s_or_b64 exec, exec, s[60:61]
.LBB166_2196:                           ;   in Loop: Header=BB166_17 Depth=1
	s_or_b64 exec, exec, s[58:59]
.LBB166_2197:                           ;   in Loop: Header=BB166_17 Depth=1
	s_or_b64 exec, exec, s[56:57]
	s_or_b64 s[40:41], s[40:41], exec
	s_or_b64 exec, exec, s[28:29]
	s_mov_b64 s[56:57], 0
	s_and_saveexec_b64 s[28:29], s[40:41]
	s_cbranch_execnz .LBB166_457
	s_branch .LBB166_458
.LBB166_2198:                           ;   in Loop: Header=BB166_17 Depth=1
	s_movk_i32 s40, 0x80
	v_cmp_eq_u16_e32 vcc, s40, v15
	s_mov_b64 s[40:41], -1
	s_and_saveexec_b64 s[44:45], vcc
; %bb.2199:                             ;   in Loop: Header=BB166_17 Depth=1
	s_xor_b64 s[40:41], exec, -1
; %bb.2200:                             ;   in Loop: Header=BB166_17 Depth=1
	s_or_b64 exec, exec, s[44:45]
	s_and_b64 s[40:41], s[40:41], exec
	s_or_saveexec_b64 s[42:43], s[42:43]
	v_mov_b32_e32 v66, 0x7f800001
	s_xor_b64 exec, exec, s[42:43]
	s_cbranch_execz .LBB166_57
.LBB166_2201:                           ;   in Loop: Header=BB166_17 Depth=1
	v_cmp_ne_u16_e32 vcc, 0, v15
	s_andn2_b64 s[40:41], s[40:41], exec
	s_and_b64 s[44:45], vcc, exec
	v_mov_b32_e32 v66, 0
	s_or_b64 s[40:41], s[40:41], s[44:45]
	s_or_b64 exec, exec, s[42:43]
	s_and_saveexec_b64 s[42:43], s[40:41]
	s_cbranch_execnz .LBB166_58
	s_branch .LBB166_59
.LBB166_2202:                           ;   in Loop: Header=BB166_17 Depth=1
	s_movk_i32 s40, 0x80
	v_cmp_eq_u16_e32 vcc, s40, v15
	s_mov_b64 s[40:41], -1
	s_and_saveexec_b64 s[44:45], vcc
; %bb.2203:                             ;   in Loop: Header=BB166_17 Depth=1
	s_xor_b64 s[40:41], exec, -1
; %bb.2204:                             ;   in Loop: Header=BB166_17 Depth=1
	s_or_b64 exec, exec, s[44:45]
	s_and_b64 s[40:41], s[40:41], exec
	s_or_saveexec_b64 s[42:43], s[42:43]
	v_mov_b32_e32 v66, 0x7f800001
	s_xor_b64 exec, exec, s[42:43]
	s_cbranch_execz .LBB166_157
.LBB166_2205:                           ;   in Loop: Header=BB166_17 Depth=1
	v_cmp_ne_u16_e32 vcc, 0, v15
	s_andn2_b64 s[40:41], s[40:41], exec
	s_and_b64 s[44:45], vcc, exec
	v_mov_b32_e32 v66, 0
	s_or_b64 s[40:41], s[40:41], s[44:45]
	s_or_b64 exec, exec, s[42:43]
	s_and_saveexec_b64 s[42:43], s[40:41]
	s_cbranch_execnz .LBB166_158
	s_branch .LBB166_159
.LBB166_2206:                           ;   in Loop: Header=BB166_17 Depth=1
	v_cmp_gt_i16_sdwa s[46:47], v10, v20 src0_sel:BYTE_0 src1_sel:DWORD
	s_mov_b64 s[62:63], 0
                                        ; implicit-def: $vgpr65
	s_and_saveexec_b64 s[72:73], s[46:47]
	s_xor_b64 s[46:47], exec, s[72:73]
	s_cbranch_execz .LBB166_2238
; %bb.2207:                             ;   in Loop: Header=BB166_17 Depth=1
	v_cmp_gt_i16_sdwa s[72:73], v10, v21 src0_sel:BYTE_0 src1_sel:DWORD
                                        ; implicit-def: $vgpr65
	s_and_saveexec_b64 s[74:75], s[72:73]
	s_xor_b64 s[72:73], exec, s[74:75]
	s_cbranch_execz .LBB166_2223
; %bb.2208:                             ;   in Loop: Header=BB166_17 Depth=1
	v_cmp_gt_i16_sdwa s[62:63], v10, v22 src0_sel:BYTE_0 src1_sel:DWORD
	s_mov_b64 s[74:75], 0
                                        ; implicit-def: $vgpr65
	s_and_saveexec_b64 s[76:77], s[62:63]
	s_xor_b64 s[62:63], exec, s[76:77]
	s_cbranch_execz .LBB166_2218
; %bb.2209:                             ;   in Loop: Header=BB166_17 Depth=1
	v_cmp_gt_i16_sdwa s[76:77], v10, v23 src0_sel:BYTE_0 src1_sel:DWORD
                                        ; implicit-def: $vgpr65
	s_and_saveexec_b64 s[78:79], s[76:77]
	s_xor_b64 s[76:77], exec, s[78:79]
	s_cbranch_execz .LBB166_2213
; %bb.2210:                             ;   in Loop: Header=BB166_17 Depth=1
	v_cmp_eq_u16_sdwa s[88:89], v10, v24 src0_sel:BYTE_0 src1_sel:DWORD
                                        ; implicit-def: $vgpr65
	s_and_saveexec_b64 s[78:79], s[88:89]
	s_cbranch_execz .LBB166_2212
; %bb.2211:                             ;   in Loop: Header=BB166_17 Depth=1
	flat_load_dword v15, v[15:16]
	s_mov_b64 s[74:75], exec
	s_waitcnt vmcnt(0) lgkmcnt(0)
	v_lshlrev_b32_e32 v65, 16, v15
.LBB166_2212:                           ;   in Loop: Header=BB166_17 Depth=1
	s_or_b64 exec, exec, s[78:79]
	s_and_b64 s[74:75], s[74:75], exec
                                        ; implicit-def: $vgpr15_vgpr16
.LBB166_2213:                           ;   in Loop: Header=BB166_17 Depth=1
	s_andn2_saveexec_b64 s[76:77], s[76:77]
	s_cbranch_execz .LBB166_2217
; %bb.2214:                             ;   in Loop: Header=BB166_17 Depth=1
	v_cmp_eq_u16_sdwa s[90:91], v10, v25 src0_sel:BYTE_0 src1_sel:DWORD
	s_mov_b64 s[88:89], s[74:75]
                                        ; implicit-def: $vgpr65
	s_and_saveexec_b64 s[78:79], s[90:91]
	s_cbranch_execz .LBB166_2216
; %bb.2215:                             ;   in Loop: Header=BB166_17 Depth=1
	flat_load_ubyte v15, v[15:16]
	s_movk_i32 s88, 0xff
	s_waitcnt vmcnt(0) lgkmcnt(0)
	v_lshlrev_b32_e32 v16, 23, v15
	v_cmp_ne_u32_e32 vcc, s88, v15
	v_cndmask_b32_e32 v16, v26, v16, vcc
	v_cmp_ne_u32_e32 vcc, 0, v15
	v_cndmask_b32_e32 v65, v27, v16, vcc
	s_or_b64 s[88:89], s[74:75], exec
.LBB166_2216:                           ;   in Loop: Header=BB166_17 Depth=1
	s_or_b64 exec, exec, s[78:79]
	s_andn2_b64 s[74:75], s[74:75], exec
	s_and_b64 s[78:79], s[88:89], exec
	s_or_b64 s[74:75], s[74:75], s[78:79]
.LBB166_2217:                           ;   in Loop: Header=BB166_17 Depth=1
	s_or_b64 exec, exec, s[76:77]
	s_and_b64 s[74:75], s[74:75], exec
                                        ; implicit-def: $vgpr15_vgpr16
.LBB166_2218:                           ;   in Loop: Header=BB166_17 Depth=1
	s_andn2_saveexec_b64 s[62:63], s[62:63]
	s_cbranch_execz .LBB166_2222
; %bb.2219:                             ;   in Loop: Header=BB166_17 Depth=1
	v_cmp_eq_u16_sdwa s[88:89], v10, v28 src0_sel:BYTE_0 src1_sel:DWORD
	s_mov_b64 s[78:79], s[74:75]
                                        ; implicit-def: $vgpr65
	s_and_saveexec_b64 s[76:77], s[88:89]
	s_cbranch_execz .LBB166_2221
; %bb.2220:                             ;   in Loop: Header=BB166_17 Depth=1
	flat_load_dwordx2 v[15:16], v[15:16]
	s_or_b64 s[78:79], s[74:75], exec
	s_waitcnt vmcnt(0) lgkmcnt(0)
	v_ffbh_u32_e32 v65, v16
	v_min_u32_e32 v65, 32, v65
	v_lshlrev_b64 v[15:16], v65, v[15:16]
	v_min_u32_e32 v15, 1, v15
	v_or_b32_e32 v15, v16, v15
	v_cvt_f32_u32_e32 v15, v15
	v_sub_u32_e32 v16, 32, v65
	v_ldexp_f32 v65, v15, v16
.LBB166_2221:                           ;   in Loop: Header=BB166_17 Depth=1
	s_or_b64 exec, exec, s[76:77]
	s_andn2_b64 s[74:75], s[74:75], exec
	s_and_b64 s[76:77], s[78:79], exec
	s_or_b64 s[74:75], s[74:75], s[76:77]
.LBB166_2222:                           ;   in Loop: Header=BB166_17 Depth=1
	s_or_b64 exec, exec, s[62:63]
	s_and_b64 s[62:63], s[74:75], exec
                                        ; implicit-def: $vgpr15_vgpr16
.LBB166_2223:                           ;   in Loop: Header=BB166_17 Depth=1
	s_andn2_saveexec_b64 s[72:73], s[72:73]
	s_cbranch_execz .LBB166_2237
; %bb.2224:                             ;   in Loop: Header=BB166_17 Depth=1
	v_cmp_gt_i16_sdwa s[74:75], v10, v29 src0_sel:BYTE_0 src1_sel:DWORD
                                        ; implicit-def: $vgpr65
	s_and_saveexec_b64 s[76:77], s[74:75]
	s_xor_b64 s[74:75], exec, s[76:77]
	s_cbranch_execz .LBB166_2230
; %bb.2225:                             ;   in Loop: Header=BB166_17 Depth=1
	v_cmp_gt_i16_sdwa s[76:77], v10, v30 src0_sel:BYTE_0 src1_sel:DWORD
                                        ; implicit-def: $vgpr65
	s_and_saveexec_b64 s[78:79], s[76:77]
	s_xor_b64 s[76:77], exec, s[78:79]
	s_cbranch_execz .LBB166_2227
; %bb.2226:                             ;   in Loop: Header=BB166_17 Depth=1
	flat_load_dword v15, v[15:16]
	s_waitcnt vmcnt(0) lgkmcnt(0)
	v_cvt_f32_u32_e32 v65, v15
                                        ; implicit-def: $vgpr15_vgpr16
.LBB166_2227:                           ;   in Loop: Header=BB166_17 Depth=1
	s_andn2_saveexec_b64 s[76:77], s[76:77]
	s_cbranch_execz .LBB166_2229
; %bb.2228:                             ;   in Loop: Header=BB166_17 Depth=1
	flat_load_ushort v15, v[15:16]
	s_waitcnt vmcnt(0) lgkmcnt(0)
	v_cvt_f32_u32_e32 v65, v15
.LBB166_2229:                           ;   in Loop: Header=BB166_17 Depth=1
	s_or_b64 exec, exec, s[76:77]
                                        ; implicit-def: $vgpr15_vgpr16
.LBB166_2230:                           ;   in Loop: Header=BB166_17 Depth=1
	s_andn2_saveexec_b64 s[74:75], s[74:75]
	s_cbranch_execz .LBB166_2236
; %bb.2231:                             ;   in Loop: Header=BB166_17 Depth=1
	flat_load_ubyte v15, v[15:16]
	s_movk_i32 s76, 0x7f
	s_waitcnt vmcnt(0) lgkmcnt(0)
	v_cmp_lt_i16_e32 vcc, s76, v15
	s_mov_b64 s[76:77], 0
	s_and_saveexec_b64 s[78:79], vcc
	s_xor_b64 s[78:79], exec, s[78:79]
	s_cbranch_execnz .LBB166_2770
; %bb.2232:                             ;   in Loop: Header=BB166_17 Depth=1
	s_or_saveexec_b64 s[78:79], s[78:79]
	v_mov_b32_e32 v65, 0x7f800001
	s_xor_b64 exec, exec, s[78:79]
	s_cbranch_execnz .LBB166_2773
.LBB166_2233:                           ;   in Loop: Header=BB166_17 Depth=1
	s_or_b64 exec, exec, s[78:79]
	s_and_saveexec_b64 s[78:79], s[76:77]
	s_cbranch_execz .LBB166_2235
.LBB166_2234:                           ;   in Loop: Header=BB166_17 Depth=1
	v_lshlrev_b32_e32 v16, 24, v15
	v_and_b32_e32 v15, 0xffff, v15
	v_and_b32_e32 v65, 7, v15
	v_ffbh_u32_e32 v67, v65
	v_min_u32_e32 v67, 32, v67
	v_subrev_u32_e32 v68, 28, v67
	v_bfe_u32 v66, v15, 3, 4
	v_lshlrev_b32_e32 v15, v68, v15
	v_sub_u32_e32 v67, 29, v67
	v_and_b32_e32 v15, 7, v15
	v_cmp_eq_u32_e32 vcc, 0, v66
	v_cndmask_b32_e32 v66, v66, v67, vcc
	v_cndmask_b32_e32 v15, v65, v15, vcc
	v_lshlrev_b32_e32 v15, 20, v15
	v_and_b32_e32 v16, 0x80000000, v16
	v_lshl_add_u32 v65, v66, 23, v31
	v_or3_b32 v65, v16, v65, v15
.LBB166_2235:                           ;   in Loop: Header=BB166_17 Depth=1
	s_or_b64 exec, exec, s[78:79]
.LBB166_2236:                           ;   in Loop: Header=BB166_17 Depth=1
	s_or_b64 exec, exec, s[74:75]
	s_or_b64 s[62:63], s[62:63], exec
.LBB166_2237:                           ;   in Loop: Header=BB166_17 Depth=1
	s_or_b64 exec, exec, s[72:73]
	s_and_b64 s[62:63], s[62:63], exec
                                        ; implicit-def: $vgpr15_vgpr16
.LBB166_2238:                           ;   in Loop: Header=BB166_17 Depth=1
	s_andn2_saveexec_b64 s[46:47], s[46:47]
	s_cbranch_execz .LBB166_2264
; %bb.2239:                             ;   in Loop: Header=BB166_17 Depth=1
	v_cmp_gt_i16_sdwa s[72:73], v10, v32 src0_sel:BYTE_0 src1_sel:DWORD
	s_mov_b64 s[74:75], s[62:63]
                                        ; implicit-def: $vgpr65
	s_and_saveexec_b64 s[76:77], s[72:73]
	s_xor_b64 s[72:73], exec, s[76:77]
	s_cbranch_execz .LBB166_2253
; %bb.2240:                             ;   in Loop: Header=BB166_17 Depth=1
	v_cmp_gt_i16_sdwa s[74:75], v10, v33 src0_sel:BYTE_0 src1_sel:DWORD
                                        ; implicit-def: $vgpr65
	s_and_saveexec_b64 s[76:77], s[74:75]
	s_xor_b64 s[74:75], exec, s[76:77]
	s_cbranch_execz .LBB166_2250
; %bb.2241:                             ;   in Loop: Header=BB166_17 Depth=1
	v_cmp_gt_i16_sdwa s[76:77], v10, v34 src0_sel:BYTE_0 src1_sel:DWORD
                                        ; implicit-def: $vgpr65
	s_and_saveexec_b64 s[78:79], s[76:77]
	s_xor_b64 s[76:77], exec, s[78:79]
	s_cbranch_execz .LBB166_2247
; %bb.2242:                             ;   in Loop: Header=BB166_17 Depth=1
	flat_load_ubyte v15, v[15:16]
	s_movk_i32 s78, 0x7f
	s_waitcnt vmcnt(0) lgkmcnt(0)
	v_cmp_lt_i16_e32 vcc, s78, v15
	s_mov_b64 s[78:79], 0
	s_and_saveexec_b64 s[88:89], vcc
	s_xor_b64 s[88:89], exec, s[88:89]
	s_cbranch_execnz .LBB166_2882
; %bb.2243:                             ;   in Loop: Header=BB166_17 Depth=1
	s_or_saveexec_b64 s[88:89], s[88:89]
	v_mov_b32_e32 v65, 0x7f800001
	s_xor_b64 exec, exec, s[88:89]
	s_cbranch_execnz .LBB166_2885
.LBB166_2244:                           ;   in Loop: Header=BB166_17 Depth=1
	s_or_b64 exec, exec, s[88:89]
	s_and_saveexec_b64 s[88:89], s[78:79]
	s_cbranch_execz .LBB166_2246
.LBB166_2245:                           ;   in Loop: Header=BB166_17 Depth=1
	v_lshlrev_b32_e32 v16, 24, v15
	v_and_b32_e32 v15, 0xffff, v15
	v_and_b32_e32 v65, 3, v15
	v_ffbh_u32_e32 v67, v65
	v_min_u32_e32 v67, 32, v67
	v_subrev_u32_e32 v68, 29, v67
	v_bfe_u32 v66, v15, 2, 5
	v_lshlrev_b32_e32 v15, v68, v15
	v_sub_u32_e32 v67, 30, v67
	v_and_b32_e32 v15, 3, v15
	v_cmp_eq_u32_e32 vcc, 0, v66
	v_cndmask_b32_e32 v66, v66, v67, vcc
	v_cndmask_b32_e32 v15, v65, v15, vcc
	v_lshlrev_b32_e32 v15, 21, v15
	v_and_b32_e32 v16, 0x80000000, v16
	v_lshl_add_u32 v65, v66, 23, v35
	v_or3_b32 v65, v16, v65, v15
.LBB166_2246:                           ;   in Loop: Header=BB166_17 Depth=1
	s_or_b64 exec, exec, s[88:89]
                                        ; implicit-def: $vgpr15_vgpr16
.LBB166_2247:                           ;   in Loop: Header=BB166_17 Depth=1
	s_andn2_saveexec_b64 s[76:77], s[76:77]
	s_cbranch_execz .LBB166_2249
; %bb.2248:                             ;   in Loop: Header=BB166_17 Depth=1
	flat_load_ubyte v15, v[15:16]
	s_mov_b32 s78, 0x7f800000
	s_waitcnt vmcnt(0) lgkmcnt(0)
	v_lshlrev_b32_e32 v15, 24, v15
	v_and_b32_e32 v16, 0x7f000000, v15
	v_ffbh_u32_e32 v65, v16
	v_min_u32_e32 v65, 32, v65
	v_sub_u32_e64 v65, v65, 4 clamp
	v_lshlrev_b32_e32 v67, v65, v16
	v_lshlrev_b32_e32 v65, 23, v65
	v_lshrrev_b32_e32 v67, 4, v67
	v_add_u32_e32 v66, 0x1000000, v16
	v_sub_u32_e32 v65, v67, v65
	v_ashrrev_i32_e32 v66, 8, v66
	v_add_u32_e32 v65, 0x3c000000, v65
	v_and_or_b32 v65, v66, s78, v65
	v_cmp_ne_u32_e32 vcc, 0, v16
	v_cndmask_b32_e32 v16, 0, v65, vcc
	s_brev_b32 s78, 1
	v_and_or_b32 v65, v15, s78, v16
.LBB166_2249:                           ;   in Loop: Header=BB166_17 Depth=1
	s_or_b64 exec, exec, s[76:77]
                                        ; implicit-def: $vgpr15_vgpr16
.LBB166_2250:                           ;   in Loop: Header=BB166_17 Depth=1
	s_andn2_saveexec_b64 s[74:75], s[74:75]
	s_cbranch_execz .LBB166_2252
; %bb.2251:                             ;   in Loop: Header=BB166_17 Depth=1
	flat_load_ubyte v15, v[15:16]
	s_movk_i32 s76, 0x7f00
	s_waitcnt vmcnt(0) lgkmcnt(0)
	v_lshlrev_b16_e32 v16, 8, v15
	v_lshlrev_b32_e32 v15, 25, v15
	v_lshrrev_b32_e32 v65, 4, v15
	v_and_or_b32 v66, v16, s76, 0.5
	v_or_b32_e32 v65, 0x70000000, v65
	s_brev_b32 s76, 16
	v_add_f32_e32 v66, -0.5, v66
	v_mul_f32_e32 v65, 0x7800000, v65
	v_cmp_gt_u32_e32 vcc, s76, v15
	v_cndmask_b32_e32 v15, v65, v66, vcc
	v_bfe_i32 v16, v16, 0, 16
	s_brev_b32 s76, 1
	v_and_or_b32 v65, v16, s76, v15
.LBB166_2252:                           ;   in Loop: Header=BB166_17 Depth=1
	s_or_b64 exec, exec, s[74:75]
	s_or_b64 s[74:75], s[62:63], exec
                                        ; implicit-def: $vgpr15_vgpr16
.LBB166_2253:                           ;   in Loop: Header=BB166_17 Depth=1
	s_andn2_saveexec_b64 s[72:73], s[72:73]
	s_cbranch_execz .LBB166_2263
; %bb.2254:                             ;   in Loop: Header=BB166_17 Depth=1
	v_cmp_gt_i16_sdwa s[78:79], v10, v36 src0_sel:BYTE_0 src1_sel:DWORD
	s_mov_b64 s[76:77], s[74:75]
                                        ; implicit-def: $vgpr65
	s_and_saveexec_b64 s[88:89], s[78:79]
	s_xor_b64 s[78:79], exec, s[88:89]
	s_cbranch_execz .LBB166_2258
; %bb.2255:                             ;   in Loop: Header=BB166_17 Depth=1
	v_cmp_eq_u16_sdwa s[90:91], v10, v37 src0_sel:BYTE_0 src1_sel:DWORD
	s_mov_b64 s[76:77], s[74:75]
                                        ; implicit-def: $vgpr65
	s_and_saveexec_b64 s[88:89], s[90:91]
	s_cbranch_execz .LBB166_2257
; %bb.2256:                             ;   in Loop: Header=BB166_17 Depth=1
	flat_load_ushort v15, v[15:16]
	s_or_b64 s[76:77], s[74:75], exec
	s_waitcnt vmcnt(0) lgkmcnt(0)
	v_lshlrev_b32_e32 v65, 16, v15
.LBB166_2257:                           ;   in Loop: Header=BB166_17 Depth=1
	s_or_b64 exec, exec, s[88:89]
	s_andn2_b64 s[88:89], s[74:75], exec
	s_and_b64 s[76:77], s[76:77], exec
	s_or_b64 s[76:77], s[88:89], s[76:77]
                                        ; implicit-def: $vgpr15_vgpr16
.LBB166_2258:                           ;   in Loop: Header=BB166_17 Depth=1
	s_andn2_saveexec_b64 s[78:79], s[78:79]
	s_cbranch_execz .LBB166_2262
; %bb.2259:                             ;   in Loop: Header=BB166_17 Depth=1
	v_cmp_eq_u16_sdwa s[94:95], v10, v38 src0_sel:BYTE_0 src1_sel:DWORD
	s_mov_b64 s[88:89], s[76:77]
                                        ; implicit-def: $vgpr65
	s_and_saveexec_b64 s[90:91], s[94:95]
	s_cbranch_execz .LBB166_2261
; %bb.2260:                             ;   in Loop: Header=BB166_17 Depth=1
	flat_load_ubyte v15, v[15:16]
	s_or_b64 s[88:89], s[76:77], exec
	s_waitcnt vmcnt(0) lgkmcnt(0)
	v_cmp_ne_u16_e32 vcc, 0, v15
	v_cndmask_b32_e64 v65, 0, 1.0, vcc
.LBB166_2261:                           ;   in Loop: Header=BB166_17 Depth=1
	s_or_b64 exec, exec, s[90:91]
	s_andn2_b64 s[76:77], s[76:77], exec
	s_and_b64 s[88:89], s[88:89], exec
	s_or_b64 s[76:77], s[76:77], s[88:89]
.LBB166_2262:                           ;   in Loop: Header=BB166_17 Depth=1
	s_or_b64 exec, exec, s[78:79]
	s_andn2_b64 s[74:75], s[74:75], exec
	s_and_b64 s[76:77], s[76:77], exec
	s_or_b64 s[74:75], s[74:75], s[76:77]
.LBB166_2263:                           ;   in Loop: Header=BB166_17 Depth=1
	s_or_b64 exec, exec, s[72:73]
	s_andn2_b64 s[62:63], s[62:63], exec
	s_and_b64 s[72:73], s[74:75], exec
	s_or_b64 s[62:63], s[62:63], s[72:73]
.LBB166_2264:                           ;   in Loop: Header=BB166_17 Depth=1
	s_or_b64 exec, exec, s[46:47]
	s_and_b64 s[46:47], s[62:63], exec
                                        ; implicit-def: $vgpr15_vgpr16
	s_andn2_saveexec_b64 s[44:45], s[44:45]
	s_cbranch_execz .LBB166_567
.LBB166_2265:                           ;   in Loop: Header=BB166_17 Depth=1
	v_cmp_gt_i16_sdwa s[62:63], v10, v39 src0_sel:BYTE_0 src1_sel:DWORD
                                        ; implicit-def: $vgpr65
	s_and_saveexec_b64 s[72:73], s[62:63]
	s_xor_b64 s[62:63], exec, s[72:73]
	s_cbranch_execz .LBB166_2287
; %bb.2266:                             ;   in Loop: Header=BB166_17 Depth=1
	v_cmp_gt_i16_sdwa s[72:73], v10, v48 src0_sel:BYTE_0 src1_sel:DWORD
                                        ; implicit-def: $vgpr65
	s_and_saveexec_b64 s[74:75], s[72:73]
	s_xor_b64 s[72:73], exec, s[74:75]
	s_cbranch_execz .LBB166_2276
; %bb.2267:                             ;   in Loop: Header=BB166_17 Depth=1
	v_cmp_gt_i16_sdwa s[74:75], v10, v49 src0_sel:BYTE_0 src1_sel:DWORD
                                        ; implicit-def: $vgpr65
	s_and_saveexec_b64 s[76:77], s[74:75]
	s_xor_b64 s[74:75], exec, s[76:77]
	s_cbranch_execz .LBB166_2273
; %bb.2268:                             ;   in Loop: Header=BB166_17 Depth=1
	v_cmp_gt_i16_sdwa s[76:77], v10, v50 src0_sel:BYTE_0 src1_sel:DWORD
                                        ; implicit-def: $vgpr65
	s_and_saveexec_b64 s[78:79], s[76:77]
	s_xor_b64 s[76:77], exec, s[78:79]
	s_cbranch_execz .LBB166_2270
; %bb.2269:                             ;   in Loop: Header=BB166_17 Depth=1
	flat_load_dwordx2 v[15:16], v[15:16]
	s_waitcnt vmcnt(0) lgkmcnt(0)
	v_cvt_f32_f64_e32 v65, v[15:16]
                                        ; implicit-def: $vgpr15_vgpr16
.LBB166_2270:                           ;   in Loop: Header=BB166_17 Depth=1
	s_andn2_saveexec_b64 s[76:77], s[76:77]
	s_cbranch_execz .LBB166_2272
; %bb.2271:                             ;   in Loop: Header=BB166_17 Depth=1
	flat_load_dword v65, v[15:16]
.LBB166_2272:                           ;   in Loop: Header=BB166_17 Depth=1
	s_or_b64 exec, exec, s[76:77]
                                        ; implicit-def: $vgpr15_vgpr16
.LBB166_2273:                           ;   in Loop: Header=BB166_17 Depth=1
	s_andn2_saveexec_b64 s[74:75], s[74:75]
	s_cbranch_execz .LBB166_2275
; %bb.2274:                             ;   in Loop: Header=BB166_17 Depth=1
	flat_load_dword v15, v[15:16]
	s_waitcnt vmcnt(0) lgkmcnt(0)
	v_cvt_f32_f16_e32 v65, v15
.LBB166_2275:                           ;   in Loop: Header=BB166_17 Depth=1
	s_or_b64 exec, exec, s[74:75]
                                        ; implicit-def: $vgpr15_vgpr16
.LBB166_2276:                           ;   in Loop: Header=BB166_17 Depth=1
	s_andn2_saveexec_b64 s[72:73], s[72:73]
	s_cbranch_execz .LBB166_2286
; %bb.2277:                             ;   in Loop: Header=BB166_17 Depth=1
	v_cmp_gt_i16_sdwa s[74:75], v10, v51 src0_sel:BYTE_0 src1_sel:DWORD
                                        ; implicit-def: $vgpr65
	s_and_saveexec_b64 s[76:77], s[74:75]
	s_xor_b64 s[74:75], exec, s[76:77]
	s_cbranch_execz .LBB166_2283
; %bb.2278:                             ;   in Loop: Header=BB166_17 Depth=1
	v_cmp_gt_i16_sdwa s[76:77], v10, v52 src0_sel:BYTE_0 src1_sel:DWORD
                                        ; implicit-def: $vgpr65
	s_and_saveexec_b64 s[78:79], s[76:77]
	s_xor_b64 s[76:77], exec, s[78:79]
	s_cbranch_execz .LBB166_2280
; %bb.2279:                             ;   in Loop: Header=BB166_17 Depth=1
	flat_load_dwordx2 v[15:16], v[15:16]
	s_waitcnt vmcnt(0) lgkmcnt(0)
	v_cvt_f32_f64_e32 v65, v[15:16]
                                        ; implicit-def: $vgpr15_vgpr16
.LBB166_2280:                           ;   in Loop: Header=BB166_17 Depth=1
	s_andn2_saveexec_b64 s[76:77], s[76:77]
	s_cbranch_execz .LBB166_2282
; %bb.2281:                             ;   in Loop: Header=BB166_17 Depth=1
	s_waitcnt vmcnt(0) lgkmcnt(0)
	flat_load_dword v65, v[15:16]
.LBB166_2282:                           ;   in Loop: Header=BB166_17 Depth=1
	s_or_b64 exec, exec, s[76:77]
                                        ; implicit-def: $vgpr15_vgpr16
.LBB166_2283:                           ;   in Loop: Header=BB166_17 Depth=1
	s_andn2_saveexec_b64 s[74:75], s[74:75]
	s_cbranch_execz .LBB166_2285
; %bb.2284:                             ;   in Loop: Header=BB166_17 Depth=1
	flat_load_ushort v15, v[15:16]
	s_waitcnt vmcnt(0) lgkmcnt(0)
	v_cvt_f32_f16_e32 v65, v15
.LBB166_2285:                           ;   in Loop: Header=BB166_17 Depth=1
	s_or_b64 exec, exec, s[74:75]
.LBB166_2286:                           ;   in Loop: Header=BB166_17 Depth=1
	s_or_b64 exec, exec, s[72:73]
                                        ; implicit-def: $vgpr15_vgpr16
.LBB166_2287:                           ;   in Loop: Header=BB166_17 Depth=1
	s_andn2_saveexec_b64 s[62:63], s[62:63]
	s_cbranch_execz .LBB166_2305
; %bb.2288:                             ;   in Loop: Header=BB166_17 Depth=1
	v_cmp_gt_i16_sdwa s[72:73], v10, v53 src0_sel:BYTE_0 src1_sel:DWORD
                                        ; implicit-def: $vgpr65
	s_and_saveexec_b64 s[74:75], s[72:73]
	s_xor_b64 s[72:73], exec, s[74:75]
	s_cbranch_execz .LBB166_2298
; %bb.2289:                             ;   in Loop: Header=BB166_17 Depth=1
	v_cmp_gt_i16_sdwa s[74:75], v10, v54 src0_sel:BYTE_0 src1_sel:DWORD
                                        ; implicit-def: $vgpr65
	s_and_saveexec_b64 s[76:77], s[74:75]
	s_xor_b64 s[74:75], exec, s[76:77]
	;; [unrolled: 6-line block ×3, first 2 shown]
	s_cbranch_execz .LBB166_2292
; %bb.2291:                             ;   in Loop: Header=BB166_17 Depth=1
	flat_load_dwordx2 v[15:16], v[15:16]
	s_waitcnt vmcnt(0) lgkmcnt(0)
	v_xor_b32_e32 v66, v15, v16
	v_ffbh_i32_e32 v65, v16
	v_ashrrev_i32_e32 v66, 31, v66
	v_add_u32_e32 v65, -1, v65
	v_add_u32_e32 v66, 32, v66
	v_min_u32_e32 v65, v65, v66
	v_lshlrev_b64 v[15:16], v65, v[15:16]
	v_min_u32_e32 v15, 1, v15
	v_or_b32_e32 v15, v16, v15
	v_cvt_f32_i32_e32 v15, v15
	v_sub_u32_e32 v16, 32, v65
	v_ldexp_f32 v65, v15, v16
                                        ; implicit-def: $vgpr15_vgpr16
.LBB166_2292:                           ;   in Loop: Header=BB166_17 Depth=1
	s_andn2_saveexec_b64 s[76:77], s[76:77]
	s_cbranch_execz .LBB166_2294
; %bb.2293:                             ;   in Loop: Header=BB166_17 Depth=1
	flat_load_dword v15, v[15:16]
	s_waitcnt vmcnt(0) lgkmcnt(0)
	v_cvt_f32_i32_e32 v65, v15
.LBB166_2294:                           ;   in Loop: Header=BB166_17 Depth=1
	s_or_b64 exec, exec, s[76:77]
                                        ; implicit-def: $vgpr15_vgpr16
.LBB166_2295:                           ;   in Loop: Header=BB166_17 Depth=1
	s_andn2_saveexec_b64 s[74:75], s[74:75]
	s_cbranch_execz .LBB166_2297
; %bb.2296:                             ;   in Loop: Header=BB166_17 Depth=1
	flat_load_sshort v15, v[15:16]
	s_waitcnt vmcnt(0) lgkmcnt(0)
	v_cvt_f32_i32_e32 v65, v15
.LBB166_2297:                           ;   in Loop: Header=BB166_17 Depth=1
	s_or_b64 exec, exec, s[74:75]
                                        ; implicit-def: $vgpr15_vgpr16
.LBB166_2298:                           ;   in Loop: Header=BB166_17 Depth=1
	s_andn2_saveexec_b64 s[72:73], s[72:73]
	s_cbranch_execz .LBB166_2304
; %bb.2299:                             ;   in Loop: Header=BB166_17 Depth=1
	v_cmp_gt_i16_sdwa s[74:75], v10, v18 src0_sel:BYTE_0 src1_sel:DWORD
                                        ; implicit-def: $vgpr65
	s_and_saveexec_b64 s[76:77], s[74:75]
	s_xor_b64 s[74:75], exec, s[76:77]
	s_cbranch_execz .LBB166_2301
; %bb.2300:                             ;   in Loop: Header=BB166_17 Depth=1
	flat_load_sbyte v15, v[15:16]
	s_waitcnt vmcnt(0) lgkmcnt(0)
	v_cvt_f32_i32_e32 v65, v15
                                        ; implicit-def: $vgpr15_vgpr16
.LBB166_2301:                           ;   in Loop: Header=BB166_17 Depth=1
	s_andn2_saveexec_b64 s[74:75], s[74:75]
	s_cbranch_execz .LBB166_2303
; %bb.2302:                             ;   in Loop: Header=BB166_17 Depth=1
	flat_load_ubyte v15, v[15:16]
	s_waitcnt vmcnt(0) lgkmcnt(0)
	v_cvt_f32_ubyte0_e32 v65, v15
.LBB166_2303:                           ;   in Loop: Header=BB166_17 Depth=1
	s_or_b64 exec, exec, s[74:75]
.LBB166_2304:                           ;   in Loop: Header=BB166_17 Depth=1
	s_or_b64 exec, exec, s[72:73]
.LBB166_2305:                           ;   in Loop: Header=BB166_17 Depth=1
	s_or_b64 exec, exec, s[62:63]
	s_or_b64 s[46:47], s[46:47], exec
	s_or_b64 exec, exec, s[44:45]
	s_mov_b64 s[62:63], 0
	s_and_saveexec_b64 s[44:45], s[46:47]
	s_cbranch_execnz .LBB166_568
	s_branch .LBB166_569
.LBB166_2306:                           ;   in Loop: Header=BB166_17 Depth=1
	s_movk_i32 s40, 0x80
	v_cmp_eq_u16_e32 vcc, s40, v15
	s_mov_b64 s[40:41], -1
	s_and_saveexec_b64 s[44:45], vcc
; %bb.2307:                             ;   in Loop: Header=BB166_17 Depth=1
	s_xor_b64 s[40:41], exec, -1
; %bb.2308:                             ;   in Loop: Header=BB166_17 Depth=1
	s_or_b64 exec, exec, s[44:45]
	s_and_b64 s[40:41], s[40:41], exec
	s_or_saveexec_b64 s[42:43], s[42:43]
	v_mov_b32_e32 v65, 0x7f800001
	s_xor_b64 exec, exec, s[42:43]
	s_cbranch_execz .LBB166_1821
.LBB166_2309:                           ;   in Loop: Header=BB166_17 Depth=1
	v_cmp_ne_u16_e32 vcc, 0, v15
	s_andn2_b64 s[40:41], s[40:41], exec
	s_and_b64 s[44:45], vcc, exec
	v_mov_b32_e32 v65, 0
	s_or_b64 s[40:41], s[40:41], s[44:45]
	s_or_b64 exec, exec, s[42:43]
	s_and_saveexec_b64 s[42:43], s[40:41]
	s_cbranch_execnz .LBB166_1822
	s_branch .LBB166_1823
.LBB166_2310:                           ;   in Loop: Header=BB166_17 Depth=1
	s_movk_i32 s42, 0x80
	v_cmp_eq_u16_e32 vcc, s42, v15
	s_mov_b64 s[42:43], -1
	s_and_saveexec_b64 s[46:47], vcc
; %bb.2311:                             ;   in Loop: Header=BB166_17 Depth=1
	s_xor_b64 s[42:43], exec, -1
; %bb.2312:                             ;   in Loop: Header=BB166_17 Depth=1
	s_or_b64 exec, exec, s[46:47]
	s_and_b64 s[42:43], s[42:43], exec
	s_or_saveexec_b64 s[44:45], s[44:45]
	v_mov_b32_e32 v66, 0x7f800001
	s_xor_b64 exec, exec, s[44:45]
	s_cbranch_execz .LBB166_168
.LBB166_2313:                           ;   in Loop: Header=BB166_17 Depth=1
	v_cmp_ne_u16_e32 vcc, 0, v15
	s_andn2_b64 s[42:43], s[42:43], exec
	s_and_b64 s[46:47], vcc, exec
	v_mov_b32_e32 v66, 0
	s_or_b64 s[42:43], s[42:43], s[46:47]
	s_or_b64 exec, exec, s[44:45]
	s_and_saveexec_b64 s[44:45], s[42:43]
	s_cbranch_execnz .LBB166_169
	s_branch .LBB166_170
.LBB166_2314:                           ;   in Loop: Header=BB166_17 Depth=1
	s_movk_i32 s46, 0x80
	v_cmp_eq_u16_e32 vcc, s46, v15
	s_mov_b64 s[46:47], -1
	s_and_saveexec_b64 s[58:59], vcc
; %bb.2315:                             ;   in Loop: Header=BB166_17 Depth=1
	s_xor_b64 s[46:47], exec, -1
; %bb.2316:                             ;   in Loop: Header=BB166_17 Depth=1
	s_or_b64 exec, exec, s[58:59]
	s_and_b64 s[46:47], s[46:47], exec
	s_or_saveexec_b64 s[56:57], s[56:57]
	v_mov_b32_e32 v66, 0x7f800001
	s_xor_b64 exec, exec, s[56:57]
	s_cbranch_execz .LBB166_268
.LBB166_2317:                           ;   in Loop: Header=BB166_17 Depth=1
	v_cmp_ne_u16_e32 vcc, 0, v15
	s_andn2_b64 s[46:47], s[46:47], exec
	s_and_b64 s[58:59], vcc, exec
	v_mov_b32_e32 v66, 0
	s_or_b64 s[46:47], s[46:47], s[58:59]
	s_or_b64 exec, exec, s[56:57]
	s_and_saveexec_b64 s[56:57], s[46:47]
	s_cbranch_execnz .LBB166_269
	s_branch .LBB166_270
.LBB166_2318:                           ;   in Loop: Header=BB166_17 Depth=1
	v_cmp_gt_i16_sdwa s[60:61], v10, v20 src0_sel:BYTE_0 src1_sel:DWORD
	s_mov_b64 s[76:77], 0
                                        ; implicit-def: $vgpr65
	s_and_saveexec_b64 s[78:79], s[60:61]
	s_xor_b64 s[60:61], exec, s[78:79]
	s_cbranch_execz .LBB166_2350
; %bb.2319:                             ;   in Loop: Header=BB166_17 Depth=1
	v_cmp_gt_i16_sdwa s[78:79], v10, v21 src0_sel:BYTE_0 src1_sel:DWORD
                                        ; implicit-def: $vgpr65
	s_and_saveexec_b64 s[88:89], s[78:79]
	s_xor_b64 s[78:79], exec, s[88:89]
	s_cbranch_execz .LBB166_2335
; %bb.2320:                             ;   in Loop: Header=BB166_17 Depth=1
	v_cmp_gt_i16_sdwa s[76:77], v10, v22 src0_sel:BYTE_0 src1_sel:DWORD
	s_mov_b64 s[88:89], 0
                                        ; implicit-def: $vgpr65
	s_and_saveexec_b64 s[90:91], s[76:77]
	s_xor_b64 s[76:77], exec, s[90:91]
	s_cbranch_execz .LBB166_2330
; %bb.2321:                             ;   in Loop: Header=BB166_17 Depth=1
	v_cmp_gt_i16_sdwa s[90:91], v10, v23 src0_sel:BYTE_0 src1_sel:DWORD
                                        ; implicit-def: $vgpr65
	s_and_saveexec_b64 s[92:93], s[90:91]
	s_xor_b64 s[90:91], exec, s[92:93]
	s_cbranch_execz .LBB166_2325
; %bb.2322:                             ;   in Loop: Header=BB166_17 Depth=1
	v_cmp_eq_u16_sdwa s[94:95], v10, v24 src0_sel:BYTE_0 src1_sel:DWORD
                                        ; implicit-def: $vgpr65
	s_and_saveexec_b64 s[92:93], s[94:95]
	s_cbranch_execz .LBB166_2324
; %bb.2323:                             ;   in Loop: Header=BB166_17 Depth=1
	flat_load_dword v15, v[15:16]
	s_mov_b64 s[88:89], exec
	s_waitcnt vmcnt(0) lgkmcnt(0)
	v_lshlrev_b32_e32 v65, 16, v15
.LBB166_2324:                           ;   in Loop: Header=BB166_17 Depth=1
	s_or_b64 exec, exec, s[92:93]
	s_and_b64 s[88:89], s[88:89], exec
                                        ; implicit-def: $vgpr15_vgpr16
.LBB166_2325:                           ;   in Loop: Header=BB166_17 Depth=1
	s_andn2_saveexec_b64 s[90:91], s[90:91]
	s_cbranch_execz .LBB166_2329
; %bb.2326:                             ;   in Loop: Header=BB166_17 Depth=1
	v_cmp_eq_u16_sdwa vcc, v10, v25 src0_sel:BYTE_0 src1_sel:DWORD
	s_mov_b64 s[94:95], s[88:89]
                                        ; implicit-def: $vgpr65
	s_and_saveexec_b64 s[92:93], vcc
	s_cbranch_execz .LBB166_2328
; %bb.2327:                             ;   in Loop: Header=BB166_17 Depth=1
	flat_load_ubyte v15, v[15:16]
	s_movk_i32 s94, 0xff
	s_waitcnt vmcnt(0) lgkmcnt(0)
	v_lshlrev_b32_e32 v16, 23, v15
	v_cmp_ne_u32_e32 vcc, s94, v15
	v_cndmask_b32_e32 v16, v26, v16, vcc
	v_cmp_ne_u32_e32 vcc, 0, v15
	v_cndmask_b32_e32 v65, v27, v16, vcc
	s_or_b64 s[94:95], s[88:89], exec
.LBB166_2328:                           ;   in Loop: Header=BB166_17 Depth=1
	s_or_b64 exec, exec, s[92:93]
	s_andn2_b64 s[88:89], s[88:89], exec
	s_and_b64 s[92:93], s[94:95], exec
	s_or_b64 s[88:89], s[88:89], s[92:93]
.LBB166_2329:                           ;   in Loop: Header=BB166_17 Depth=1
	s_or_b64 exec, exec, s[90:91]
	s_and_b64 s[88:89], s[88:89], exec
                                        ; implicit-def: $vgpr15_vgpr16
.LBB166_2330:                           ;   in Loop: Header=BB166_17 Depth=1
	s_andn2_saveexec_b64 s[76:77], s[76:77]
	s_cbranch_execz .LBB166_2334
; %bb.2331:                             ;   in Loop: Header=BB166_17 Depth=1
	v_cmp_eq_u16_sdwa s[94:95], v10, v28 src0_sel:BYTE_0 src1_sel:DWORD
	s_mov_b64 s[92:93], s[88:89]
                                        ; implicit-def: $vgpr65
	s_and_saveexec_b64 s[90:91], s[94:95]
	s_cbranch_execz .LBB166_2333
; %bb.2332:                             ;   in Loop: Header=BB166_17 Depth=1
	flat_load_dwordx2 v[15:16], v[15:16]
	s_or_b64 s[92:93], s[88:89], exec
	s_waitcnt vmcnt(0) lgkmcnt(0)
	v_ffbh_u32_e32 v65, v16
	v_min_u32_e32 v65, 32, v65
	v_lshlrev_b64 v[15:16], v65, v[15:16]
	v_min_u32_e32 v15, 1, v15
	v_or_b32_e32 v15, v16, v15
	v_cvt_f32_u32_e32 v15, v15
	v_sub_u32_e32 v16, 32, v65
	v_ldexp_f32 v65, v15, v16
.LBB166_2333:                           ;   in Loop: Header=BB166_17 Depth=1
	s_or_b64 exec, exec, s[90:91]
	s_andn2_b64 s[88:89], s[88:89], exec
	s_and_b64 s[90:91], s[92:93], exec
	s_or_b64 s[88:89], s[88:89], s[90:91]
.LBB166_2334:                           ;   in Loop: Header=BB166_17 Depth=1
	s_or_b64 exec, exec, s[76:77]
	s_and_b64 s[76:77], s[88:89], exec
                                        ; implicit-def: $vgpr15_vgpr16
.LBB166_2335:                           ;   in Loop: Header=BB166_17 Depth=1
	s_andn2_saveexec_b64 s[78:79], s[78:79]
	s_cbranch_execz .LBB166_2349
; %bb.2336:                             ;   in Loop: Header=BB166_17 Depth=1
	v_cmp_gt_i16_sdwa s[88:89], v10, v29 src0_sel:BYTE_0 src1_sel:DWORD
                                        ; implicit-def: $vgpr65
	s_and_saveexec_b64 s[90:91], s[88:89]
	s_xor_b64 s[88:89], exec, s[90:91]
	s_cbranch_execz .LBB166_2342
; %bb.2337:                             ;   in Loop: Header=BB166_17 Depth=1
	v_cmp_gt_i16_sdwa s[90:91], v10, v30 src0_sel:BYTE_0 src1_sel:DWORD
                                        ; implicit-def: $vgpr65
	s_and_saveexec_b64 s[92:93], s[90:91]
	s_xor_b64 s[90:91], exec, s[92:93]
	s_cbranch_execz .LBB166_2339
; %bb.2338:                             ;   in Loop: Header=BB166_17 Depth=1
	flat_load_dword v15, v[15:16]
	s_waitcnt vmcnt(0) lgkmcnt(0)
	v_cvt_f32_u32_e32 v65, v15
                                        ; implicit-def: $vgpr15_vgpr16
.LBB166_2339:                           ;   in Loop: Header=BB166_17 Depth=1
	s_andn2_saveexec_b64 s[90:91], s[90:91]
	s_cbranch_execz .LBB166_2341
; %bb.2340:                             ;   in Loop: Header=BB166_17 Depth=1
	flat_load_ushort v15, v[15:16]
	s_waitcnt vmcnt(0) lgkmcnt(0)
	v_cvt_f32_u32_e32 v65, v15
.LBB166_2341:                           ;   in Loop: Header=BB166_17 Depth=1
	s_or_b64 exec, exec, s[90:91]
                                        ; implicit-def: $vgpr15_vgpr16
.LBB166_2342:                           ;   in Loop: Header=BB166_17 Depth=1
	s_andn2_saveexec_b64 s[88:89], s[88:89]
	s_cbranch_execz .LBB166_2348
; %bb.2343:                             ;   in Loop: Header=BB166_17 Depth=1
	flat_load_ubyte v15, v[15:16]
	s_movk_i32 s90, 0x7f
	s_waitcnt vmcnt(0) lgkmcnt(0)
	v_cmp_lt_i16_e32 vcc, s90, v15
	s_mov_b64 s[90:91], 0
	s_and_saveexec_b64 s[92:93], vcc
	s_xor_b64 s[92:93], exec, s[92:93]
	s_cbranch_execnz .LBB166_2886
; %bb.2344:                             ;   in Loop: Header=BB166_17 Depth=1
	s_or_saveexec_b64 s[92:93], s[92:93]
	v_mov_b32_e32 v65, 0x7f800001
	s_xor_b64 exec, exec, s[92:93]
	s_cbranch_execnz .LBB166_2889
.LBB166_2345:                           ;   in Loop: Header=BB166_17 Depth=1
	s_or_b64 exec, exec, s[92:93]
	s_and_saveexec_b64 s[92:93], s[90:91]
	s_cbranch_execz .LBB166_2347
.LBB166_2346:                           ;   in Loop: Header=BB166_17 Depth=1
	v_lshlrev_b32_e32 v16, 24, v15
	v_and_b32_e32 v15, 0xffff, v15
	v_and_b32_e32 v65, 7, v15
	v_ffbh_u32_e32 v67, v65
	v_min_u32_e32 v67, 32, v67
	v_subrev_u32_e32 v68, 28, v67
	v_bfe_u32 v66, v15, 3, 4
	v_lshlrev_b32_e32 v15, v68, v15
	v_sub_u32_e32 v67, 29, v67
	v_and_b32_e32 v15, 7, v15
	v_cmp_eq_u32_e32 vcc, 0, v66
	v_cndmask_b32_e32 v66, v66, v67, vcc
	v_cndmask_b32_e32 v15, v65, v15, vcc
	v_lshlrev_b32_e32 v15, 20, v15
	v_and_b32_e32 v16, 0x80000000, v16
	v_lshl_add_u32 v65, v66, 23, v31
	v_or3_b32 v65, v16, v65, v15
.LBB166_2347:                           ;   in Loop: Header=BB166_17 Depth=1
	s_or_b64 exec, exec, s[92:93]
.LBB166_2348:                           ;   in Loop: Header=BB166_17 Depth=1
	s_or_b64 exec, exec, s[88:89]
	s_or_b64 s[76:77], s[76:77], exec
.LBB166_2349:                           ;   in Loop: Header=BB166_17 Depth=1
	s_or_b64 exec, exec, s[78:79]
	s_and_b64 s[76:77], s[76:77], exec
                                        ; implicit-def: $vgpr15_vgpr16
.LBB166_2350:                           ;   in Loop: Header=BB166_17 Depth=1
	s_andn2_saveexec_b64 s[60:61], s[60:61]
	s_cbranch_execz .LBB166_2376
; %bb.2351:                             ;   in Loop: Header=BB166_17 Depth=1
	v_cmp_gt_i16_sdwa s[78:79], v10, v32 src0_sel:BYTE_0 src1_sel:DWORD
	s_mov_b64 s[88:89], s[76:77]
                                        ; implicit-def: $vgpr65
	s_and_saveexec_b64 s[90:91], s[78:79]
	s_xor_b64 s[78:79], exec, s[90:91]
	s_cbranch_execz .LBB166_2365
; %bb.2352:                             ;   in Loop: Header=BB166_17 Depth=1
	v_cmp_gt_i16_sdwa s[88:89], v10, v33 src0_sel:BYTE_0 src1_sel:DWORD
                                        ; implicit-def: $vgpr65
	s_and_saveexec_b64 s[90:91], s[88:89]
	s_xor_b64 s[88:89], exec, s[90:91]
	s_cbranch_execz .LBB166_2362
; %bb.2353:                             ;   in Loop: Header=BB166_17 Depth=1
	v_cmp_gt_i16_sdwa s[90:91], v10, v34 src0_sel:BYTE_0 src1_sel:DWORD
                                        ; implicit-def: $vgpr65
	s_and_saveexec_b64 s[92:93], s[90:91]
	s_xor_b64 s[90:91], exec, s[92:93]
	s_cbranch_execz .LBB166_2359
; %bb.2354:                             ;   in Loop: Header=BB166_17 Depth=1
	flat_load_ubyte v15, v[15:16]
	s_movk_i32 s92, 0x7f
	s_waitcnt vmcnt(0) lgkmcnt(0)
	v_cmp_lt_i16_e32 vcc, s92, v15
	s_mov_b64 s[92:93], 0
	s_and_saveexec_b64 s[94:95], vcc
	s_xor_b64 s[94:95], exec, s[94:95]
	s_cbranch_execnz .LBB166_2998
; %bb.2355:                             ;   in Loop: Header=BB166_17 Depth=1
	s_or_saveexec_b64 s[94:95], s[94:95]
	v_mov_b32_e32 v65, 0x7f800001
	s_xor_b64 exec, exec, s[94:95]
	s_cbranch_execnz .LBB166_3001
.LBB166_2356:                           ;   in Loop: Header=BB166_17 Depth=1
	s_or_b64 exec, exec, s[94:95]
	s_and_saveexec_b64 s[94:95], s[92:93]
	s_cbranch_execz .LBB166_2358
.LBB166_2357:                           ;   in Loop: Header=BB166_17 Depth=1
	v_lshlrev_b32_e32 v16, 24, v15
	v_and_b32_e32 v15, 0xffff, v15
	v_and_b32_e32 v65, 3, v15
	v_ffbh_u32_e32 v67, v65
	v_min_u32_e32 v67, 32, v67
	v_subrev_u32_e32 v68, 29, v67
	v_bfe_u32 v66, v15, 2, 5
	v_lshlrev_b32_e32 v15, v68, v15
	v_sub_u32_e32 v67, 30, v67
	v_and_b32_e32 v15, 3, v15
	v_cmp_eq_u32_e32 vcc, 0, v66
	v_cndmask_b32_e32 v66, v66, v67, vcc
	v_cndmask_b32_e32 v15, v65, v15, vcc
	v_lshlrev_b32_e32 v15, 21, v15
	v_and_b32_e32 v16, 0x80000000, v16
	v_lshl_add_u32 v65, v66, 23, v35
	v_or3_b32 v65, v16, v65, v15
.LBB166_2358:                           ;   in Loop: Header=BB166_17 Depth=1
	s_or_b64 exec, exec, s[94:95]
                                        ; implicit-def: $vgpr15_vgpr16
.LBB166_2359:                           ;   in Loop: Header=BB166_17 Depth=1
	s_andn2_saveexec_b64 s[90:91], s[90:91]
	s_cbranch_execz .LBB166_2361
; %bb.2360:                             ;   in Loop: Header=BB166_17 Depth=1
	flat_load_ubyte v15, v[15:16]
	s_mov_b32 s92, 0x7f800000
	s_waitcnt vmcnt(0) lgkmcnt(0)
	v_lshlrev_b32_e32 v15, 24, v15
	v_and_b32_e32 v16, 0x7f000000, v15
	v_ffbh_u32_e32 v65, v16
	v_min_u32_e32 v65, 32, v65
	v_sub_u32_e64 v65, v65, 4 clamp
	v_lshlrev_b32_e32 v67, v65, v16
	v_lshlrev_b32_e32 v65, 23, v65
	v_lshrrev_b32_e32 v67, 4, v67
	v_add_u32_e32 v66, 0x1000000, v16
	v_sub_u32_e32 v65, v67, v65
	v_ashrrev_i32_e32 v66, 8, v66
	v_add_u32_e32 v65, 0x3c000000, v65
	v_and_or_b32 v65, v66, s92, v65
	v_cmp_ne_u32_e32 vcc, 0, v16
	v_cndmask_b32_e32 v16, 0, v65, vcc
	s_brev_b32 s92, 1
	v_and_or_b32 v65, v15, s92, v16
.LBB166_2361:                           ;   in Loop: Header=BB166_17 Depth=1
	s_or_b64 exec, exec, s[90:91]
                                        ; implicit-def: $vgpr15_vgpr16
.LBB166_2362:                           ;   in Loop: Header=BB166_17 Depth=1
	s_andn2_saveexec_b64 s[88:89], s[88:89]
	s_cbranch_execz .LBB166_2364
; %bb.2363:                             ;   in Loop: Header=BB166_17 Depth=1
	flat_load_ubyte v15, v[15:16]
	s_movk_i32 s90, 0x7f00
	s_waitcnt vmcnt(0) lgkmcnt(0)
	v_lshlrev_b16_e32 v16, 8, v15
	v_lshlrev_b32_e32 v15, 25, v15
	v_lshrrev_b32_e32 v65, 4, v15
	v_and_or_b32 v66, v16, s90, 0.5
	v_or_b32_e32 v65, 0x70000000, v65
	s_brev_b32 s90, 16
	v_add_f32_e32 v66, -0.5, v66
	v_mul_f32_e32 v65, 0x7800000, v65
	v_cmp_gt_u32_e32 vcc, s90, v15
	v_cndmask_b32_e32 v15, v65, v66, vcc
	v_bfe_i32 v16, v16, 0, 16
	s_brev_b32 s90, 1
	v_and_or_b32 v65, v16, s90, v15
.LBB166_2364:                           ;   in Loop: Header=BB166_17 Depth=1
	s_or_b64 exec, exec, s[88:89]
	s_or_b64 s[88:89], s[76:77], exec
                                        ; implicit-def: $vgpr15_vgpr16
.LBB166_2365:                           ;   in Loop: Header=BB166_17 Depth=1
	s_andn2_saveexec_b64 s[78:79], s[78:79]
	s_cbranch_execz .LBB166_2375
; %bb.2366:                             ;   in Loop: Header=BB166_17 Depth=1
	v_cmp_gt_i16_sdwa s[92:93], v10, v36 src0_sel:BYTE_0 src1_sel:DWORD
	s_mov_b64 s[90:91], s[88:89]
                                        ; implicit-def: $vgpr65
	s_and_saveexec_b64 s[94:95], s[92:93]
	s_xor_b64 s[92:93], exec, s[94:95]
	s_cbranch_execz .LBB166_2370
; %bb.2367:                             ;   in Loop: Header=BB166_17 Depth=1
	v_cmp_eq_u16_sdwa vcc, v10, v37 src0_sel:BYTE_0 src1_sel:DWORD
	s_mov_b64 s[90:91], s[88:89]
                                        ; implicit-def: $vgpr65
	s_and_saveexec_b64 s[94:95], vcc
	s_cbranch_execz .LBB166_2369
; %bb.2368:                             ;   in Loop: Header=BB166_17 Depth=1
	flat_load_ushort v15, v[15:16]
	s_or_b64 s[90:91], s[88:89], exec
	s_waitcnt vmcnt(0) lgkmcnt(0)
	v_lshlrev_b32_e32 v65, 16, v15
.LBB166_2369:                           ;   in Loop: Header=BB166_17 Depth=1
	s_or_b64 exec, exec, s[94:95]
	s_andn2_b64 s[94:95], s[88:89], exec
	s_and_b64 s[90:91], s[90:91], exec
	s_or_b64 s[90:91], s[94:95], s[90:91]
                                        ; implicit-def: $vgpr15_vgpr16
.LBB166_2370:                           ;   in Loop: Header=BB166_17 Depth=1
	s_andn2_saveexec_b64 s[92:93], s[92:93]
	s_cbranch_execz .LBB166_2374
; %bb.2371:                             ;   in Loop: Header=BB166_17 Depth=1
	v_cmp_eq_u16_sdwa vcc, v10, v38 src0_sel:BYTE_0 src1_sel:DWORD
	s_mov_b64 s[94:95], s[90:91]
                                        ; implicit-def: $vgpr65
	s_and_saveexec_b64 s[30:31], vcc
	s_cbranch_execz .LBB166_2373
; %bb.2372:                             ;   in Loop: Header=BB166_17 Depth=1
	flat_load_ubyte v15, v[15:16]
	s_or_b64 s[94:95], s[90:91], exec
	s_waitcnt vmcnt(0) lgkmcnt(0)
	v_cmp_ne_u16_e32 vcc, 0, v15
	v_cndmask_b32_e64 v65, 0, 1.0, vcc
.LBB166_2373:                           ;   in Loop: Header=BB166_17 Depth=1
	s_or_b64 exec, exec, s[30:31]
	s_andn2_b64 s[90:91], s[90:91], exec
	s_and_b64 s[94:95], s[94:95], exec
	s_or_b64 s[90:91], s[90:91], s[94:95]
.LBB166_2374:                           ;   in Loop: Header=BB166_17 Depth=1
	s_or_b64 exec, exec, s[92:93]
	s_andn2_b64 s[88:89], s[88:89], exec
	s_and_b64 s[90:91], s[90:91], exec
	s_or_b64 s[88:89], s[88:89], s[90:91]
.LBB166_2375:                           ;   in Loop: Header=BB166_17 Depth=1
	s_or_b64 exec, exec, s[78:79]
	s_andn2_b64 s[76:77], s[76:77], exec
	s_and_b64 s[78:79], s[88:89], exec
	s_or_b64 s[76:77], s[76:77], s[78:79]
.LBB166_2376:                           ;   in Loop: Header=BB166_17 Depth=1
	s_or_b64 exec, exec, s[60:61]
	s_and_b64 s[60:61], s[76:77], exec
                                        ; implicit-def: $vgpr15_vgpr16
	s_andn2_saveexec_b64 s[58:59], s[58:59]
	s_cbranch_execz .LBB166_678
.LBB166_2377:                           ;   in Loop: Header=BB166_17 Depth=1
	v_cmp_gt_i16_sdwa s[76:77], v10, v39 src0_sel:BYTE_0 src1_sel:DWORD
                                        ; implicit-def: $vgpr65
	s_and_saveexec_b64 s[78:79], s[76:77]
	s_xor_b64 s[76:77], exec, s[78:79]
	s_cbranch_execz .LBB166_2399
; %bb.2378:                             ;   in Loop: Header=BB166_17 Depth=1
	v_cmp_gt_i16_sdwa s[78:79], v10, v48 src0_sel:BYTE_0 src1_sel:DWORD
                                        ; implicit-def: $vgpr65
	s_and_saveexec_b64 s[88:89], s[78:79]
	s_xor_b64 s[78:79], exec, s[88:89]
	s_cbranch_execz .LBB166_2388
; %bb.2379:                             ;   in Loop: Header=BB166_17 Depth=1
	;; [unrolled: 6-line block ×4, first 2 shown]
	flat_load_dwordx2 v[15:16], v[15:16]
	s_waitcnt vmcnt(0) lgkmcnt(0)
	v_cvt_f32_f64_e32 v65, v[15:16]
                                        ; implicit-def: $vgpr15_vgpr16
.LBB166_2382:                           ;   in Loop: Header=BB166_17 Depth=1
	s_andn2_saveexec_b64 s[90:91], s[90:91]
	s_cbranch_execz .LBB166_2384
; %bb.2383:                             ;   in Loop: Header=BB166_17 Depth=1
	flat_load_dword v65, v[15:16]
.LBB166_2384:                           ;   in Loop: Header=BB166_17 Depth=1
	s_or_b64 exec, exec, s[90:91]
                                        ; implicit-def: $vgpr15_vgpr16
.LBB166_2385:                           ;   in Loop: Header=BB166_17 Depth=1
	s_andn2_saveexec_b64 s[88:89], s[88:89]
	s_cbranch_execz .LBB166_2387
; %bb.2386:                             ;   in Loop: Header=BB166_17 Depth=1
	flat_load_dword v15, v[15:16]
	s_waitcnt vmcnt(0) lgkmcnt(0)
	v_cvt_f32_f16_e32 v65, v15
.LBB166_2387:                           ;   in Loop: Header=BB166_17 Depth=1
	s_or_b64 exec, exec, s[88:89]
                                        ; implicit-def: $vgpr15_vgpr16
.LBB166_2388:                           ;   in Loop: Header=BB166_17 Depth=1
	s_andn2_saveexec_b64 s[78:79], s[78:79]
	s_cbranch_execz .LBB166_2398
; %bb.2389:                             ;   in Loop: Header=BB166_17 Depth=1
	v_cmp_gt_i16_sdwa s[88:89], v10, v51 src0_sel:BYTE_0 src1_sel:DWORD
                                        ; implicit-def: $vgpr65
	s_and_saveexec_b64 s[90:91], s[88:89]
	s_xor_b64 s[88:89], exec, s[90:91]
	s_cbranch_execz .LBB166_2395
; %bb.2390:                             ;   in Loop: Header=BB166_17 Depth=1
	v_cmp_gt_i16_sdwa s[90:91], v10, v52 src0_sel:BYTE_0 src1_sel:DWORD
                                        ; implicit-def: $vgpr65
	s_and_saveexec_b64 s[92:93], s[90:91]
	s_xor_b64 s[90:91], exec, s[92:93]
	s_cbranch_execz .LBB166_2392
; %bb.2391:                             ;   in Loop: Header=BB166_17 Depth=1
	flat_load_dwordx2 v[15:16], v[15:16]
	s_waitcnt vmcnt(0) lgkmcnt(0)
	v_cvt_f32_f64_e32 v65, v[15:16]
                                        ; implicit-def: $vgpr15_vgpr16
.LBB166_2392:                           ;   in Loop: Header=BB166_17 Depth=1
	s_andn2_saveexec_b64 s[90:91], s[90:91]
	s_cbranch_execz .LBB166_2394
; %bb.2393:                             ;   in Loop: Header=BB166_17 Depth=1
	s_waitcnt vmcnt(0) lgkmcnt(0)
	flat_load_dword v65, v[15:16]
.LBB166_2394:                           ;   in Loop: Header=BB166_17 Depth=1
	s_or_b64 exec, exec, s[90:91]
                                        ; implicit-def: $vgpr15_vgpr16
.LBB166_2395:                           ;   in Loop: Header=BB166_17 Depth=1
	s_andn2_saveexec_b64 s[88:89], s[88:89]
	s_cbranch_execz .LBB166_2397
; %bb.2396:                             ;   in Loop: Header=BB166_17 Depth=1
	flat_load_ushort v15, v[15:16]
	s_waitcnt vmcnt(0) lgkmcnt(0)
	v_cvt_f32_f16_e32 v65, v15
.LBB166_2397:                           ;   in Loop: Header=BB166_17 Depth=1
	s_or_b64 exec, exec, s[88:89]
.LBB166_2398:                           ;   in Loop: Header=BB166_17 Depth=1
	s_or_b64 exec, exec, s[78:79]
                                        ; implicit-def: $vgpr15_vgpr16
.LBB166_2399:                           ;   in Loop: Header=BB166_17 Depth=1
	s_andn2_saveexec_b64 s[76:77], s[76:77]
	s_cbranch_execz .LBB166_2417
; %bb.2400:                             ;   in Loop: Header=BB166_17 Depth=1
	v_cmp_gt_i16_sdwa s[78:79], v10, v53 src0_sel:BYTE_0 src1_sel:DWORD
                                        ; implicit-def: $vgpr65
	s_and_saveexec_b64 s[88:89], s[78:79]
	s_xor_b64 s[78:79], exec, s[88:89]
	s_cbranch_execz .LBB166_2410
; %bb.2401:                             ;   in Loop: Header=BB166_17 Depth=1
	v_cmp_gt_i16_sdwa s[88:89], v10, v54 src0_sel:BYTE_0 src1_sel:DWORD
                                        ; implicit-def: $vgpr65
	s_and_saveexec_b64 s[90:91], s[88:89]
	s_xor_b64 s[88:89], exec, s[90:91]
	;; [unrolled: 6-line block ×3, first 2 shown]
	s_cbranch_execz .LBB166_2404
; %bb.2403:                             ;   in Loop: Header=BB166_17 Depth=1
	flat_load_dwordx2 v[15:16], v[15:16]
	s_waitcnt vmcnt(0) lgkmcnt(0)
	v_xor_b32_e32 v66, v15, v16
	v_ffbh_i32_e32 v65, v16
	v_ashrrev_i32_e32 v66, 31, v66
	v_add_u32_e32 v65, -1, v65
	v_add_u32_e32 v66, 32, v66
	v_min_u32_e32 v65, v65, v66
	v_lshlrev_b64 v[15:16], v65, v[15:16]
	v_min_u32_e32 v15, 1, v15
	v_or_b32_e32 v15, v16, v15
	v_cvt_f32_i32_e32 v15, v15
	v_sub_u32_e32 v16, 32, v65
	v_ldexp_f32 v65, v15, v16
                                        ; implicit-def: $vgpr15_vgpr16
.LBB166_2404:                           ;   in Loop: Header=BB166_17 Depth=1
	s_andn2_saveexec_b64 s[90:91], s[90:91]
	s_cbranch_execz .LBB166_2406
; %bb.2405:                             ;   in Loop: Header=BB166_17 Depth=1
	flat_load_dword v15, v[15:16]
	s_waitcnt vmcnt(0) lgkmcnt(0)
	v_cvt_f32_i32_e32 v65, v15
.LBB166_2406:                           ;   in Loop: Header=BB166_17 Depth=1
	s_or_b64 exec, exec, s[90:91]
                                        ; implicit-def: $vgpr15_vgpr16
.LBB166_2407:                           ;   in Loop: Header=BB166_17 Depth=1
	s_andn2_saveexec_b64 s[88:89], s[88:89]
	s_cbranch_execz .LBB166_2409
; %bb.2408:                             ;   in Loop: Header=BB166_17 Depth=1
	flat_load_sshort v15, v[15:16]
	s_waitcnt vmcnt(0) lgkmcnt(0)
	v_cvt_f32_i32_e32 v65, v15
.LBB166_2409:                           ;   in Loop: Header=BB166_17 Depth=1
	s_or_b64 exec, exec, s[88:89]
                                        ; implicit-def: $vgpr15_vgpr16
.LBB166_2410:                           ;   in Loop: Header=BB166_17 Depth=1
	s_andn2_saveexec_b64 s[78:79], s[78:79]
	s_cbranch_execz .LBB166_2416
; %bb.2411:                             ;   in Loop: Header=BB166_17 Depth=1
	v_cmp_gt_i16_sdwa s[88:89], v10, v18 src0_sel:BYTE_0 src1_sel:DWORD
                                        ; implicit-def: $vgpr65
	s_and_saveexec_b64 s[90:91], s[88:89]
	s_xor_b64 s[88:89], exec, s[90:91]
	s_cbranch_execz .LBB166_2413
; %bb.2412:                             ;   in Loop: Header=BB166_17 Depth=1
	flat_load_sbyte v15, v[15:16]
	s_waitcnt vmcnt(0) lgkmcnt(0)
	v_cvt_f32_i32_e32 v65, v15
                                        ; implicit-def: $vgpr15_vgpr16
.LBB166_2413:                           ;   in Loop: Header=BB166_17 Depth=1
	s_andn2_saveexec_b64 s[88:89], s[88:89]
	s_cbranch_execz .LBB166_2415
; %bb.2414:                             ;   in Loop: Header=BB166_17 Depth=1
	flat_load_ubyte v15, v[15:16]
	s_waitcnt vmcnt(0) lgkmcnt(0)
	v_cvt_f32_ubyte0_e32 v65, v15
.LBB166_2415:                           ;   in Loop: Header=BB166_17 Depth=1
	s_or_b64 exec, exec, s[88:89]
.LBB166_2416:                           ;   in Loop: Header=BB166_17 Depth=1
	s_or_b64 exec, exec, s[78:79]
.LBB166_2417:                           ;   in Loop: Header=BB166_17 Depth=1
	s_or_b64 exec, exec, s[76:77]
	s_or_b64 s[60:61], s[60:61], exec
	s_or_b64 exec, exec, s[58:59]
	s_mov_b64 s[76:77], 0
	s_and_saveexec_b64 s[58:59], s[60:61]
	s_cbranch_execnz .LBB166_679
	s_branch .LBB166_680
.LBB166_2418:                           ;   in Loop: Header=BB166_17 Depth=1
	s_movk_i32 s42, 0x80
	v_cmp_eq_u16_e32 vcc, s42, v15
	s_mov_b64 s[42:43], -1
	s_and_saveexec_b64 s[46:47], vcc
; %bb.2419:                             ;   in Loop: Header=BB166_17 Depth=1
	s_xor_b64 s[42:43], exec, -1
; %bb.2420:                             ;   in Loop: Header=BB166_17 Depth=1
	s_or_b64 exec, exec, s[46:47]
	s_and_b64 s[42:43], s[42:43], exec
	s_or_saveexec_b64 s[44:45], s[44:45]
	v_mov_b32_e32 v65, 0x7f800001
	s_xor_b64 exec, exec, s[44:45]
	s_cbranch_execz .LBB166_1832
.LBB166_2421:                           ;   in Loop: Header=BB166_17 Depth=1
	v_cmp_ne_u16_e32 vcc, 0, v15
	s_andn2_b64 s[42:43], s[42:43], exec
	s_and_b64 s[46:47], vcc, exec
	v_mov_b32_e32 v65, 0
	s_or_b64 s[42:43], s[42:43], s[46:47]
	s_or_b64 exec, exec, s[44:45]
	s_and_saveexec_b64 s[44:45], s[42:43]
	s_cbranch_execnz .LBB166_1833
	s_branch .LBB166_1834
.LBB166_2422:                           ;   in Loop: Header=BB166_17 Depth=1
	s_movk_i32 s42, 0x80
	v_cmp_eq_u16_e32 vcc, s42, v15
	s_mov_b64 s[42:43], -1
	s_and_saveexec_b64 s[46:47], vcc
; %bb.2423:                             ;   in Loop: Header=BB166_17 Depth=1
	s_xor_b64 s[42:43], exec, -1
; %bb.2424:                             ;   in Loop: Header=BB166_17 Depth=1
	s_or_b64 exec, exec, s[46:47]
	s_and_b64 s[42:43], s[42:43], exec
	s_or_saveexec_b64 s[44:45], s[44:45]
	v_mov_b32_e32 v65, 0x7f800001
	s_xor_b64 exec, exec, s[44:45]
	s_cbranch_execz .LBB166_1921
.LBB166_2425:                           ;   in Loop: Header=BB166_17 Depth=1
	v_cmp_ne_u16_e32 vcc, 0, v15
	s_andn2_b64 s[42:43], s[42:43], exec
	s_and_b64 s[46:47], vcc, exec
	v_mov_b32_e32 v65, 0
	s_or_b64 s[42:43], s[42:43], s[46:47]
	s_or_b64 exec, exec, s[44:45]
	s_and_saveexec_b64 s[44:45], s[42:43]
	s_cbranch_execnz .LBB166_1922
	s_branch .LBB166_1923
.LBB166_2426:                           ;   in Loop: Header=BB166_17 Depth=1
	s_movk_i32 s56, 0x80
	v_cmp_eq_u16_e32 vcc, s56, v15
	s_mov_b64 s[56:57], -1
	s_and_saveexec_b64 s[60:61], vcc
; %bb.2427:                             ;   in Loop: Header=BB166_17 Depth=1
	s_xor_b64 s[56:57], exec, -1
; %bb.2428:                             ;   in Loop: Header=BB166_17 Depth=1
	s_or_b64 exec, exec, s[60:61]
	s_and_b64 s[56:57], s[56:57], exec
	s_or_saveexec_b64 s[58:59], s[58:59]
	v_mov_b32_e32 v66, 0x7f800001
	s_xor_b64 exec, exec, s[58:59]
	s_cbranch_execz .LBB166_279
.LBB166_2429:                           ;   in Loop: Header=BB166_17 Depth=1
	v_cmp_ne_u16_e32 vcc, 0, v15
	s_andn2_b64 s[56:57], s[56:57], exec
	s_and_b64 s[60:61], vcc, exec
	v_mov_b32_e32 v66, 0
	s_or_b64 s[56:57], s[56:57], s[60:61]
	s_or_b64 exec, exec, s[58:59]
	s_and_saveexec_b64 s[58:59], s[56:57]
	s_cbranch_execnz .LBB166_280
	s_branch .LBB166_281
.LBB166_2430:                           ;   in Loop: Header=BB166_17 Depth=1
	s_movk_i32 s60, 0x80
	v_cmp_eq_u16_e32 vcc, s60, v15
	s_mov_b64 s[60:61], -1
	s_and_saveexec_b64 s[72:73], vcc
; %bb.2431:                             ;   in Loop: Header=BB166_17 Depth=1
	s_xor_b64 s[60:61], exec, -1
; %bb.2432:                             ;   in Loop: Header=BB166_17 Depth=1
	s_or_b64 exec, exec, s[72:73]
	s_and_b64 s[60:61], s[60:61], exec
	s_or_saveexec_b64 s[62:63], s[62:63]
	v_mov_b32_e32 v66, 0x7f800001
	s_xor_b64 exec, exec, s[62:63]
	s_cbranch_execz .LBB166_379
.LBB166_2433:                           ;   in Loop: Header=BB166_17 Depth=1
	v_cmp_ne_u16_e32 vcc, 0, v15
	s_andn2_b64 s[60:61], s[60:61], exec
	s_and_b64 s[72:73], vcc, exec
	v_mov_b32_e32 v66, 0
	s_or_b64 s[60:61], s[60:61], s[72:73]
	s_or_b64 exec, exec, s[62:63]
	s_and_saveexec_b64 s[62:63], s[60:61]
	s_cbranch_execnz .LBB166_380
	s_branch .LBB166_381
.LBB166_2434:                           ;   in Loop: Header=BB166_17 Depth=1
	v_cmp_gt_i16_sdwa s[74:75], v10, v20 src0_sel:BYTE_0 src1_sel:DWORD
	s_mov_b64 s[90:91], 0
                                        ; implicit-def: $vgpr65
	s_and_saveexec_b64 s[92:93], s[74:75]
	s_xor_b64 s[74:75], exec, s[92:93]
	s_cbranch_execz .LBB166_2466
; %bb.2435:                             ;   in Loop: Header=BB166_17 Depth=1
	v_cmp_gt_i16_sdwa s[92:93], v10, v21 src0_sel:BYTE_0 src1_sel:DWORD
                                        ; implicit-def: $vgpr65
	s_and_saveexec_b64 s[94:95], s[92:93]
	s_xor_b64 s[92:93], exec, s[94:95]
	s_cbranch_execz .LBB166_2451
; %bb.2436:                             ;   in Loop: Header=BB166_17 Depth=1
	v_cmp_gt_i16_sdwa s[90:91], v10, v22 src0_sel:BYTE_0 src1_sel:DWORD
	s_mov_b64 s[94:95], 0
                                        ; implicit-def: $vgpr65
	s_and_saveexec_b64 vcc, s[90:91]
	s_xor_b64 s[90:91], exec, vcc
	s_cbranch_execz .LBB166_2446
; %bb.2437:                             ;   in Loop: Header=BB166_17 Depth=1
	v_cmp_gt_i16_sdwa vcc, v10, v23 src0_sel:BYTE_0 src1_sel:DWORD
                                        ; implicit-def: $vgpr65
	s_and_saveexec_b64 s[30:31], vcc
	s_xor_b64 vcc, exec, s[30:31]
	s_cbranch_execz .LBB166_2441
; %bb.2438:                             ;   in Loop: Header=BB166_17 Depth=1
	v_cmp_eq_u16_sdwa s[34:35], v10, v24 src0_sel:BYTE_0 src1_sel:DWORD
                                        ; implicit-def: $vgpr65
	s_and_saveexec_b64 s[30:31], s[34:35]
	s_cbranch_execz .LBB166_2440
; %bb.2439:                             ;   in Loop: Header=BB166_17 Depth=1
	flat_load_dword v15, v[15:16]
	s_mov_b64 s[94:95], exec
	s_waitcnt vmcnt(0) lgkmcnt(0)
	v_lshlrev_b32_e32 v65, 16, v15
.LBB166_2440:                           ;   in Loop: Header=BB166_17 Depth=1
	s_or_b64 exec, exec, s[30:31]
	s_and_b64 s[94:95], s[94:95], exec
                                        ; implicit-def: $vgpr15_vgpr16
.LBB166_2441:                           ;   in Loop: Header=BB166_17 Depth=1
	s_andn2_saveexec_b64 s[30:31], vcc
	s_cbranch_execz .LBB166_2445
; %bb.2442:                             ;   in Loop: Header=BB166_17 Depth=1
	v_cmp_eq_u16_sdwa s[36:37], v10, v25 src0_sel:BYTE_0 src1_sel:DWORD
	s_mov_b64 vcc, s[94:95]
                                        ; implicit-def: $vgpr65
	s_and_saveexec_b64 s[34:35], s[36:37]
	s_cbranch_execz .LBB166_2444
; %bb.2443:                             ;   in Loop: Header=BB166_17 Depth=1
	flat_load_ubyte v15, v[15:16]
	s_movk_i32 vcc_lo, 0xff
	s_waitcnt vmcnt(0) lgkmcnt(0)
	v_lshlrev_b32_e32 v16, 23, v15
	v_cmp_ne_u32_e32 vcc, vcc_lo, v15
	v_cndmask_b32_e32 v16, v26, v16, vcc
	v_cmp_ne_u32_e32 vcc, 0, v15
	v_cndmask_b32_e32 v65, v27, v16, vcc
	s_or_b64 vcc, s[94:95], exec
.LBB166_2444:                           ;   in Loop: Header=BB166_17 Depth=1
	s_or_b64 exec, exec, s[34:35]
	s_andn2_b64 s[94:95], s[94:95], exec
	s_and_b64 vcc, vcc, exec
	s_or_b64 s[94:95], s[94:95], vcc
.LBB166_2445:                           ;   in Loop: Header=BB166_17 Depth=1
	s_or_b64 exec, exec, s[30:31]
	s_and_b64 s[94:95], s[94:95], exec
                                        ; implicit-def: $vgpr15_vgpr16
.LBB166_2446:                           ;   in Loop: Header=BB166_17 Depth=1
	s_andn2_saveexec_b64 s[90:91], s[90:91]
	s_cbranch_execz .LBB166_2450
; %bb.2447:                             ;   in Loop: Header=BB166_17 Depth=1
	v_cmp_eq_u16_sdwa s[34:35], v10, v28 src0_sel:BYTE_0 src1_sel:DWORD
	s_mov_b64 s[30:31], s[94:95]
                                        ; implicit-def: $vgpr65
	s_and_saveexec_b64 vcc, s[34:35]
	s_cbranch_execz .LBB166_2449
; %bb.2448:                             ;   in Loop: Header=BB166_17 Depth=1
	flat_load_dwordx2 v[15:16], v[15:16]
	s_or_b64 s[30:31], s[94:95], exec
	s_waitcnt vmcnt(0) lgkmcnt(0)
	v_ffbh_u32_e32 v65, v16
	v_min_u32_e32 v65, 32, v65
	v_lshlrev_b64 v[15:16], v65, v[15:16]
	v_min_u32_e32 v15, 1, v15
	v_or_b32_e32 v15, v16, v15
	v_cvt_f32_u32_e32 v15, v15
	v_sub_u32_e32 v16, 32, v65
	v_ldexp_f32 v65, v15, v16
.LBB166_2449:                           ;   in Loop: Header=BB166_17 Depth=1
	s_or_b64 exec, exec, vcc
	s_andn2_b64 s[94:95], s[94:95], exec
	s_and_b64 vcc, s[30:31], exec
	s_or_b64 s[94:95], s[94:95], vcc
.LBB166_2450:                           ;   in Loop: Header=BB166_17 Depth=1
	s_or_b64 exec, exec, s[90:91]
	s_and_b64 s[90:91], s[94:95], exec
                                        ; implicit-def: $vgpr15_vgpr16
.LBB166_2451:                           ;   in Loop: Header=BB166_17 Depth=1
	s_andn2_saveexec_b64 s[92:93], s[92:93]
	s_cbranch_execz .LBB166_2465
; %bb.2452:                             ;   in Loop: Header=BB166_17 Depth=1
	v_cmp_gt_i16_sdwa s[94:95], v10, v29 src0_sel:BYTE_0 src1_sel:DWORD
                                        ; implicit-def: $vgpr65
	s_and_saveexec_b64 vcc, s[94:95]
	s_xor_b64 s[94:95], exec, vcc
	s_cbranch_execz .LBB166_2458
; %bb.2453:                             ;   in Loop: Header=BB166_17 Depth=1
	v_cmp_gt_i16_sdwa vcc, v10, v30 src0_sel:BYTE_0 src1_sel:DWORD
                                        ; implicit-def: $vgpr65
	s_and_saveexec_b64 s[30:31], vcc
	s_xor_b64 vcc, exec, s[30:31]
	s_cbranch_execz .LBB166_2455
; %bb.2454:                             ;   in Loop: Header=BB166_17 Depth=1
	flat_load_dword v15, v[15:16]
	s_waitcnt vmcnt(0) lgkmcnt(0)
	v_cvt_f32_u32_e32 v65, v15
                                        ; implicit-def: $vgpr15_vgpr16
.LBB166_2455:                           ;   in Loop: Header=BB166_17 Depth=1
	s_andn2_saveexec_b64 vcc, vcc
	s_cbranch_execz .LBB166_2457
; %bb.2456:                             ;   in Loop: Header=BB166_17 Depth=1
	flat_load_ushort v15, v[15:16]
	s_waitcnt vmcnt(0) lgkmcnt(0)
	v_cvt_f32_u32_e32 v65, v15
.LBB166_2457:                           ;   in Loop: Header=BB166_17 Depth=1
	s_or_b64 exec, exec, vcc
                                        ; implicit-def: $vgpr15_vgpr16
.LBB166_2458:                           ;   in Loop: Header=BB166_17 Depth=1
	s_andn2_saveexec_b64 s[94:95], s[94:95]
	s_cbranch_execz .LBB166_2464
; %bb.2459:                             ;   in Loop: Header=BB166_17 Depth=1
	flat_load_ubyte v15, v[15:16]
	s_movk_i32 vcc_lo, 0x7f
	s_mov_b64 s[30:31], 0
	s_waitcnt vmcnt(0) lgkmcnt(0)
	v_cmp_lt_i16_e32 vcc, vcc_lo, v15
	s_and_saveexec_b64 s[34:35], vcc
	s_xor_b64 s[34:35], exec, s[34:35]
	s_cbranch_execnz .LBB166_3002
; %bb.2460:                             ;   in Loop: Header=BB166_17 Depth=1
	s_or_saveexec_b64 s[34:35], s[34:35]
	v_mov_b32_e32 v65, 0x7f800001
	s_xor_b64 exec, exec, s[34:35]
	s_cbranch_execnz .LBB166_3005
.LBB166_2461:                           ;   in Loop: Header=BB166_17 Depth=1
	s_or_b64 exec, exec, s[34:35]
	s_and_saveexec_b64 s[34:35], s[30:31]
	s_cbranch_execz .LBB166_2463
.LBB166_2462:                           ;   in Loop: Header=BB166_17 Depth=1
	v_lshlrev_b32_e32 v16, 24, v15
	v_and_b32_e32 v15, 0xffff, v15
	v_and_b32_e32 v65, 7, v15
	v_ffbh_u32_e32 v67, v65
	v_min_u32_e32 v67, 32, v67
	v_subrev_u32_e32 v68, 28, v67
	v_bfe_u32 v66, v15, 3, 4
	v_lshlrev_b32_e32 v15, v68, v15
	v_sub_u32_e32 v67, 29, v67
	v_and_b32_e32 v15, 7, v15
	v_cmp_eq_u32_e32 vcc, 0, v66
	v_cndmask_b32_e32 v66, v66, v67, vcc
	v_cndmask_b32_e32 v15, v65, v15, vcc
	v_lshlrev_b32_e32 v15, 20, v15
	v_and_b32_e32 v16, 0x80000000, v16
	v_lshl_add_u32 v65, v66, 23, v31
	v_or3_b32 v65, v16, v65, v15
.LBB166_2463:                           ;   in Loop: Header=BB166_17 Depth=1
	s_or_b64 exec, exec, s[34:35]
.LBB166_2464:                           ;   in Loop: Header=BB166_17 Depth=1
	s_or_b64 exec, exec, s[94:95]
	s_or_b64 s[90:91], s[90:91], exec
.LBB166_2465:                           ;   in Loop: Header=BB166_17 Depth=1
	s_or_b64 exec, exec, s[92:93]
	s_and_b64 s[90:91], s[90:91], exec
                                        ; implicit-def: $vgpr15_vgpr16
.LBB166_2466:                           ;   in Loop: Header=BB166_17 Depth=1
	s_andn2_saveexec_b64 s[74:75], s[74:75]
	s_cbranch_execz .LBB166_2492
; %bb.2467:                             ;   in Loop: Header=BB166_17 Depth=1
	v_cmp_gt_i16_sdwa s[92:93], v10, v32 src0_sel:BYTE_0 src1_sel:DWORD
	s_mov_b64 s[94:95], s[90:91]
                                        ; implicit-def: $vgpr65
	s_and_saveexec_b64 vcc, s[92:93]
	s_xor_b64 s[92:93], exec, vcc
	s_cbranch_execz .LBB166_2481
; %bb.2468:                             ;   in Loop: Header=BB166_17 Depth=1
	v_cmp_gt_i16_sdwa s[94:95], v10, v33 src0_sel:BYTE_0 src1_sel:DWORD
                                        ; implicit-def: $vgpr65
	s_and_saveexec_b64 vcc, s[94:95]
	s_xor_b64 s[94:95], exec, vcc
	s_cbranch_execz .LBB166_2478
; %bb.2469:                             ;   in Loop: Header=BB166_17 Depth=1
	v_cmp_gt_i16_sdwa vcc, v10, v34 src0_sel:BYTE_0 src1_sel:DWORD
                                        ; implicit-def: $vgpr65
	s_and_saveexec_b64 s[30:31], vcc
	s_xor_b64 s[30:31], exec, s[30:31]
	s_cbranch_execz .LBB166_2475
; %bb.2470:                             ;   in Loop: Header=BB166_17 Depth=1
	flat_load_ubyte v15, v[15:16]
	s_movk_i32 vcc_lo, 0x7f
	s_mov_b64 s[34:35], 0
	s_waitcnt vmcnt(0) lgkmcnt(0)
	v_cmp_lt_i16_e32 vcc, vcc_lo, v15
	s_and_saveexec_b64 s[36:37], vcc
	s_xor_b64 s[36:37], exec, s[36:37]
	s_cbranch_execnz .LBB166_3114
; %bb.2471:                             ;   in Loop: Header=BB166_17 Depth=1
	s_or_saveexec_b64 s[36:37], s[36:37]
	v_mov_b32_e32 v65, 0x7f800001
	s_xor_b64 exec, exec, s[36:37]
	s_cbranch_execnz .LBB166_3117
.LBB166_2472:                           ;   in Loop: Header=BB166_17 Depth=1
	s_or_b64 exec, exec, s[36:37]
	s_and_saveexec_b64 s[36:37], s[34:35]
	s_cbranch_execz .LBB166_2474
.LBB166_2473:                           ;   in Loop: Header=BB166_17 Depth=1
	v_lshlrev_b32_e32 v16, 24, v15
	v_and_b32_e32 v15, 0xffff, v15
	v_and_b32_e32 v65, 3, v15
	v_ffbh_u32_e32 v67, v65
	v_min_u32_e32 v67, 32, v67
	v_subrev_u32_e32 v68, 29, v67
	v_bfe_u32 v66, v15, 2, 5
	v_lshlrev_b32_e32 v15, v68, v15
	v_sub_u32_e32 v67, 30, v67
	v_and_b32_e32 v15, 3, v15
	v_cmp_eq_u32_e32 vcc, 0, v66
	v_cndmask_b32_e32 v66, v66, v67, vcc
	v_cndmask_b32_e32 v15, v65, v15, vcc
	v_lshlrev_b32_e32 v15, 21, v15
	v_and_b32_e32 v16, 0x80000000, v16
	v_lshl_add_u32 v65, v66, 23, v35
	v_or3_b32 v65, v16, v65, v15
.LBB166_2474:                           ;   in Loop: Header=BB166_17 Depth=1
	s_or_b64 exec, exec, s[36:37]
                                        ; implicit-def: $vgpr15_vgpr16
.LBB166_2475:                           ;   in Loop: Header=BB166_17 Depth=1
	s_andn2_saveexec_b64 s[30:31], s[30:31]
	s_cbranch_execz .LBB166_2477
; %bb.2476:                             ;   in Loop: Header=BB166_17 Depth=1
	flat_load_ubyte v15, v[15:16]
	s_mov_b32 vcc_lo, 0x7f800000
	s_waitcnt vmcnt(0) lgkmcnt(0)
	v_lshlrev_b32_e32 v15, 24, v15
	v_and_b32_e32 v16, 0x7f000000, v15
	v_ffbh_u32_e32 v65, v16
	v_min_u32_e32 v65, 32, v65
	v_sub_u32_e64 v65, v65, 4 clamp
	v_lshlrev_b32_e32 v67, v65, v16
	v_lshlrev_b32_e32 v65, 23, v65
	v_lshrrev_b32_e32 v67, 4, v67
	v_add_u32_e32 v66, 0x1000000, v16
	v_sub_u32_e32 v65, v67, v65
	v_ashrrev_i32_e32 v66, 8, v66
	v_add_u32_e32 v65, 0x3c000000, v65
	v_and_or_b32 v65, v66, vcc_lo, v65
	v_cmp_ne_u32_e32 vcc, 0, v16
	v_cndmask_b32_e32 v16, 0, v65, vcc
	s_brev_b32 vcc_lo, 1
	v_and_or_b32 v65, v15, vcc_lo, v16
.LBB166_2477:                           ;   in Loop: Header=BB166_17 Depth=1
	s_or_b64 exec, exec, s[30:31]
                                        ; implicit-def: $vgpr15_vgpr16
.LBB166_2478:                           ;   in Loop: Header=BB166_17 Depth=1
	s_andn2_saveexec_b64 s[94:95], s[94:95]
	s_cbranch_execz .LBB166_2480
; %bb.2479:                             ;   in Loop: Header=BB166_17 Depth=1
	flat_load_ubyte v15, v[15:16]
	s_movk_i32 vcc_lo, 0x7f00
	s_waitcnt vmcnt(0) lgkmcnt(0)
	v_lshlrev_b16_e32 v16, 8, v15
	v_lshlrev_b32_e32 v15, 25, v15
	v_lshrrev_b32_e32 v65, 4, v15
	v_and_or_b32 v66, v16, vcc_lo, 0.5
	v_or_b32_e32 v65, 0x70000000, v65
	s_brev_b32 vcc_lo, 16
	v_add_f32_e32 v66, -0.5, v66
	v_mul_f32_e32 v65, 0x7800000, v65
	v_cmp_gt_u32_e32 vcc, vcc_lo, v15
	v_cndmask_b32_e32 v15, v65, v66, vcc
	v_bfe_i32 v16, v16, 0, 16
	s_brev_b32 vcc_lo, 1
	v_and_or_b32 v65, v16, vcc_lo, v15
.LBB166_2480:                           ;   in Loop: Header=BB166_17 Depth=1
	s_or_b64 exec, exec, s[94:95]
	s_or_b64 s[94:95], s[90:91], exec
                                        ; implicit-def: $vgpr15_vgpr16
.LBB166_2481:                           ;   in Loop: Header=BB166_17 Depth=1
	s_andn2_saveexec_b64 s[92:93], s[92:93]
	s_cbranch_execz .LBB166_2491
; %bb.2482:                             ;   in Loop: Header=BB166_17 Depth=1
	v_cmp_gt_i16_sdwa vcc, v10, v36 src0_sel:BYTE_0 src1_sel:DWORD
	s_mov_b64 s[30:31], s[94:95]
                                        ; implicit-def: $vgpr65
	s_and_saveexec_b64 s[34:35], vcc
	s_xor_b64 vcc, exec, s[34:35]
	s_cbranch_execz .LBB166_2486
; %bb.2483:                             ;   in Loop: Header=BB166_17 Depth=1
	v_cmp_eq_u16_sdwa s[36:37], v10, v37 src0_sel:BYTE_0 src1_sel:DWORD
	s_mov_b64 s[30:31], s[94:95]
                                        ; implicit-def: $vgpr65
	s_and_saveexec_b64 s[34:35], s[36:37]
	s_cbranch_execz .LBB166_2485
; %bb.2484:                             ;   in Loop: Header=BB166_17 Depth=1
	flat_load_ushort v15, v[15:16]
	s_or_b64 s[30:31], s[94:95], exec
	s_waitcnt vmcnt(0) lgkmcnt(0)
	v_lshlrev_b32_e32 v65, 16, v15
.LBB166_2485:                           ;   in Loop: Header=BB166_17 Depth=1
	s_or_b64 exec, exec, s[34:35]
	s_andn2_b64 s[34:35], s[94:95], exec
	s_and_b64 s[30:31], s[30:31], exec
	s_or_b64 s[30:31], s[34:35], s[30:31]
                                        ; implicit-def: $vgpr15_vgpr16
.LBB166_2486:                           ;   in Loop: Header=BB166_17 Depth=1
	s_andn2_saveexec_b64 s[34:35], vcc
	s_cbranch_execz .LBB166_2490
; %bb.2487:                             ;   in Loop: Header=BB166_17 Depth=1
	v_cmp_eq_u16_sdwa s[38:39], v10, v38 src0_sel:BYTE_0 src1_sel:DWORD
	s_mov_b64 vcc, s[30:31]
                                        ; implicit-def: $vgpr65
	s_and_saveexec_b64 s[36:37], s[38:39]
	s_cbranch_execz .LBB166_2489
; %bb.2488:                             ;   in Loop: Header=BB166_17 Depth=1
	flat_load_ubyte v15, v[15:16]
	s_waitcnt vmcnt(0) lgkmcnt(0)
	v_cmp_ne_u16_e32 vcc, 0, v15
	v_cndmask_b32_e64 v65, 0, 1.0, vcc
	s_or_b64 vcc, s[30:31], exec
.LBB166_2489:                           ;   in Loop: Header=BB166_17 Depth=1
	s_or_b64 exec, exec, s[36:37]
	s_andn2_b64 s[30:31], s[30:31], exec
	s_and_b64 vcc, vcc, exec
	s_or_b64 s[30:31], s[30:31], vcc
.LBB166_2490:                           ;   in Loop: Header=BB166_17 Depth=1
	s_or_b64 exec, exec, s[34:35]
	s_andn2_b64 s[94:95], s[94:95], exec
	s_and_b64 vcc, s[30:31], exec
	s_or_b64 s[94:95], s[94:95], vcc
.LBB166_2491:                           ;   in Loop: Header=BB166_17 Depth=1
	s_or_b64 exec, exec, s[92:93]
	s_andn2_b64 s[90:91], s[90:91], exec
	s_and_b64 s[92:93], s[94:95], exec
	s_or_b64 s[90:91], s[90:91], s[92:93]
.LBB166_2492:                           ;   in Loop: Header=BB166_17 Depth=1
	s_or_b64 exec, exec, s[74:75]
	s_and_b64 s[74:75], s[90:91], exec
                                        ; implicit-def: $vgpr15_vgpr16
	s_andn2_saveexec_b64 s[72:73], s[72:73]
	s_cbranch_execz .LBB166_789
.LBB166_2493:                           ;   in Loop: Header=BB166_17 Depth=1
	v_cmp_gt_i16_sdwa s[90:91], v10, v39 src0_sel:BYTE_0 src1_sel:DWORD
                                        ; implicit-def: $vgpr65
	s_and_saveexec_b64 s[92:93], s[90:91]
	s_xor_b64 s[90:91], exec, s[92:93]
	s_cbranch_execz .LBB166_2515
; %bb.2494:                             ;   in Loop: Header=BB166_17 Depth=1
	v_cmp_gt_i16_sdwa s[92:93], v10, v48 src0_sel:BYTE_0 src1_sel:DWORD
                                        ; implicit-def: $vgpr65
	s_and_saveexec_b64 s[94:95], s[92:93]
	s_xor_b64 s[92:93], exec, s[94:95]
	s_cbranch_execz .LBB166_2504
; %bb.2495:                             ;   in Loop: Header=BB166_17 Depth=1
	v_cmp_gt_i16_sdwa s[94:95], v10, v49 src0_sel:BYTE_0 src1_sel:DWORD
                                        ; implicit-def: $vgpr65
	s_and_saveexec_b64 vcc, s[94:95]
	s_xor_b64 s[94:95], exec, vcc
	s_cbranch_execz .LBB166_2501
; %bb.2496:                             ;   in Loop: Header=BB166_17 Depth=1
	v_cmp_gt_i16_sdwa vcc, v10, v50 src0_sel:BYTE_0 src1_sel:DWORD
                                        ; implicit-def: $vgpr65
	s_and_saveexec_b64 s[30:31], vcc
	s_xor_b64 vcc, exec, s[30:31]
	s_cbranch_execz .LBB166_2498
; %bb.2497:                             ;   in Loop: Header=BB166_17 Depth=1
	flat_load_dwordx2 v[15:16], v[15:16]
	s_waitcnt vmcnt(0) lgkmcnt(0)
	v_cvt_f32_f64_e32 v65, v[15:16]
                                        ; implicit-def: $vgpr15_vgpr16
.LBB166_2498:                           ;   in Loop: Header=BB166_17 Depth=1
	s_andn2_saveexec_b64 vcc, vcc
	s_cbranch_execz .LBB166_2500
; %bb.2499:                             ;   in Loop: Header=BB166_17 Depth=1
	flat_load_dword v65, v[15:16]
.LBB166_2500:                           ;   in Loop: Header=BB166_17 Depth=1
	s_or_b64 exec, exec, vcc
                                        ; implicit-def: $vgpr15_vgpr16
.LBB166_2501:                           ;   in Loop: Header=BB166_17 Depth=1
	s_andn2_saveexec_b64 s[94:95], s[94:95]
	s_cbranch_execz .LBB166_2503
; %bb.2502:                             ;   in Loop: Header=BB166_17 Depth=1
	flat_load_dword v15, v[15:16]
	s_waitcnt vmcnt(0) lgkmcnt(0)
	v_cvt_f32_f16_e32 v65, v15
.LBB166_2503:                           ;   in Loop: Header=BB166_17 Depth=1
	s_or_b64 exec, exec, s[94:95]
                                        ; implicit-def: $vgpr15_vgpr16
.LBB166_2504:                           ;   in Loop: Header=BB166_17 Depth=1
	s_andn2_saveexec_b64 s[92:93], s[92:93]
	s_cbranch_execz .LBB166_2514
; %bb.2505:                             ;   in Loop: Header=BB166_17 Depth=1
	v_cmp_gt_i16_sdwa s[94:95], v10, v51 src0_sel:BYTE_0 src1_sel:DWORD
                                        ; implicit-def: $vgpr65
	s_and_saveexec_b64 vcc, s[94:95]
	s_xor_b64 s[94:95], exec, vcc
	s_cbranch_execz .LBB166_2511
; %bb.2506:                             ;   in Loop: Header=BB166_17 Depth=1
	v_cmp_gt_i16_sdwa vcc, v10, v52 src0_sel:BYTE_0 src1_sel:DWORD
                                        ; implicit-def: $vgpr65
	s_and_saveexec_b64 s[30:31], vcc
	s_xor_b64 vcc, exec, s[30:31]
	s_cbranch_execz .LBB166_2508
; %bb.2507:                             ;   in Loop: Header=BB166_17 Depth=1
	flat_load_dwordx2 v[15:16], v[15:16]
	s_waitcnt vmcnt(0) lgkmcnt(0)
	v_cvt_f32_f64_e32 v65, v[15:16]
                                        ; implicit-def: $vgpr15_vgpr16
.LBB166_2508:                           ;   in Loop: Header=BB166_17 Depth=1
	s_andn2_saveexec_b64 vcc, vcc
	s_cbranch_execz .LBB166_2510
; %bb.2509:                             ;   in Loop: Header=BB166_17 Depth=1
	s_waitcnt vmcnt(0) lgkmcnt(0)
	flat_load_dword v65, v[15:16]
.LBB166_2510:                           ;   in Loop: Header=BB166_17 Depth=1
	s_or_b64 exec, exec, vcc
                                        ; implicit-def: $vgpr15_vgpr16
.LBB166_2511:                           ;   in Loop: Header=BB166_17 Depth=1
	s_andn2_saveexec_b64 s[94:95], s[94:95]
	s_cbranch_execz .LBB166_2513
; %bb.2512:                             ;   in Loop: Header=BB166_17 Depth=1
	flat_load_ushort v15, v[15:16]
	s_waitcnt vmcnt(0) lgkmcnt(0)
	v_cvt_f32_f16_e32 v65, v15
.LBB166_2513:                           ;   in Loop: Header=BB166_17 Depth=1
	s_or_b64 exec, exec, s[94:95]
.LBB166_2514:                           ;   in Loop: Header=BB166_17 Depth=1
	s_or_b64 exec, exec, s[92:93]
                                        ; implicit-def: $vgpr15_vgpr16
.LBB166_2515:                           ;   in Loop: Header=BB166_17 Depth=1
	s_andn2_saveexec_b64 s[90:91], s[90:91]
	s_cbranch_execz .LBB166_2533
; %bb.2516:                             ;   in Loop: Header=BB166_17 Depth=1
	v_cmp_gt_i16_sdwa s[92:93], v10, v53 src0_sel:BYTE_0 src1_sel:DWORD
                                        ; implicit-def: $vgpr65
	s_and_saveexec_b64 s[94:95], s[92:93]
	s_xor_b64 s[92:93], exec, s[94:95]
	s_cbranch_execz .LBB166_2526
; %bb.2517:                             ;   in Loop: Header=BB166_17 Depth=1
	v_cmp_gt_i16_sdwa s[94:95], v10, v54 src0_sel:BYTE_0 src1_sel:DWORD
                                        ; implicit-def: $vgpr65
	s_and_saveexec_b64 vcc, s[94:95]
	s_xor_b64 s[94:95], exec, vcc
	s_cbranch_execz .LBB166_2523
; %bb.2518:                             ;   in Loop: Header=BB166_17 Depth=1
	v_cmp_gt_i16_sdwa vcc, v10, v55 src0_sel:BYTE_0 src1_sel:DWORD
                                        ; implicit-def: $vgpr65
	s_and_saveexec_b64 s[30:31], vcc
	s_xor_b64 vcc, exec, s[30:31]
	s_cbranch_execz .LBB166_2520
; %bb.2519:                             ;   in Loop: Header=BB166_17 Depth=1
	flat_load_dwordx2 v[15:16], v[15:16]
	s_waitcnt vmcnt(0) lgkmcnt(0)
	v_xor_b32_e32 v66, v15, v16
	v_ffbh_i32_e32 v65, v16
	v_ashrrev_i32_e32 v66, 31, v66
	v_add_u32_e32 v65, -1, v65
	v_add_u32_e32 v66, 32, v66
	v_min_u32_e32 v65, v65, v66
	v_lshlrev_b64 v[15:16], v65, v[15:16]
	v_min_u32_e32 v15, 1, v15
	v_or_b32_e32 v15, v16, v15
	v_cvt_f32_i32_e32 v15, v15
	v_sub_u32_e32 v16, 32, v65
	v_ldexp_f32 v65, v15, v16
                                        ; implicit-def: $vgpr15_vgpr16
.LBB166_2520:                           ;   in Loop: Header=BB166_17 Depth=1
	s_andn2_saveexec_b64 vcc, vcc
	s_cbranch_execz .LBB166_2522
; %bb.2521:                             ;   in Loop: Header=BB166_17 Depth=1
	flat_load_dword v15, v[15:16]
	s_waitcnt vmcnt(0) lgkmcnt(0)
	v_cvt_f32_i32_e32 v65, v15
.LBB166_2522:                           ;   in Loop: Header=BB166_17 Depth=1
	s_or_b64 exec, exec, vcc
                                        ; implicit-def: $vgpr15_vgpr16
.LBB166_2523:                           ;   in Loop: Header=BB166_17 Depth=1
	s_andn2_saveexec_b64 s[94:95], s[94:95]
	s_cbranch_execz .LBB166_2525
; %bb.2524:                             ;   in Loop: Header=BB166_17 Depth=1
	flat_load_sshort v15, v[15:16]
	s_waitcnt vmcnt(0) lgkmcnt(0)
	v_cvt_f32_i32_e32 v65, v15
.LBB166_2525:                           ;   in Loop: Header=BB166_17 Depth=1
	s_or_b64 exec, exec, s[94:95]
                                        ; implicit-def: $vgpr15_vgpr16
.LBB166_2526:                           ;   in Loop: Header=BB166_17 Depth=1
	s_andn2_saveexec_b64 s[92:93], s[92:93]
	s_cbranch_execz .LBB166_2532
; %bb.2527:                             ;   in Loop: Header=BB166_17 Depth=1
	v_cmp_gt_i16_sdwa s[94:95], v10, v18 src0_sel:BYTE_0 src1_sel:DWORD
                                        ; implicit-def: $vgpr65
	s_and_saveexec_b64 vcc, s[94:95]
	s_xor_b64 s[94:95], exec, vcc
	s_cbranch_execz .LBB166_2529
; %bb.2528:                             ;   in Loop: Header=BB166_17 Depth=1
	flat_load_sbyte v15, v[15:16]
	s_waitcnt vmcnt(0) lgkmcnt(0)
	v_cvt_f32_i32_e32 v65, v15
                                        ; implicit-def: $vgpr15_vgpr16
.LBB166_2529:                           ;   in Loop: Header=BB166_17 Depth=1
	s_andn2_saveexec_b64 s[94:95], s[94:95]
	s_cbranch_execz .LBB166_2531
; %bb.2530:                             ;   in Loop: Header=BB166_17 Depth=1
	flat_load_ubyte v15, v[15:16]
	s_waitcnt vmcnt(0) lgkmcnt(0)
	v_cvt_f32_ubyte0_e32 v65, v15
.LBB166_2531:                           ;   in Loop: Header=BB166_17 Depth=1
	s_or_b64 exec, exec, s[94:95]
.LBB166_2532:                           ;   in Loop: Header=BB166_17 Depth=1
	s_or_b64 exec, exec, s[92:93]
.LBB166_2533:                           ;   in Loop: Header=BB166_17 Depth=1
	s_or_b64 exec, exec, s[90:91]
	s_or_b64 s[74:75], s[74:75], exec
	s_or_b64 exec, exec, s[72:73]
	s_mov_b64 s[90:91], 0
	s_and_saveexec_b64 s[72:73], s[74:75]
	s_cbranch_execnz .LBB166_790
	s_branch .LBB166_791
.LBB166_2534:                           ;   in Loop: Header=BB166_17 Depth=1
	s_movk_i32 s44, 0x80
	v_cmp_eq_u16_e32 vcc, s44, v15
	s_mov_b64 s[44:45], -1
	s_and_saveexec_b64 s[56:57], vcc
; %bb.2535:                             ;   in Loop: Header=BB166_17 Depth=1
	s_xor_b64 s[44:45], exec, -1
; %bb.2536:                             ;   in Loop: Header=BB166_17 Depth=1
	s_or_b64 exec, exec, s[56:57]
	s_and_b64 s[44:45], s[44:45], exec
	s_or_saveexec_b64 s[46:47], s[46:47]
	v_mov_b32_e32 v65, 0x7f800001
	s_xor_b64 exec, exec, s[46:47]
	s_cbranch_execz .LBB166_1932
.LBB166_2537:                           ;   in Loop: Header=BB166_17 Depth=1
	v_cmp_ne_u16_e32 vcc, 0, v15
	s_andn2_b64 s[44:45], s[44:45], exec
	s_and_b64 s[56:57], vcc, exec
	v_mov_b32_e32 v65, 0
	s_or_b64 s[44:45], s[44:45], s[56:57]
	s_or_b64 exec, exec, s[46:47]
	s_and_saveexec_b64 s[46:47], s[44:45]
	s_cbranch_execnz .LBB166_1933
	s_branch .LBB166_1934
.LBB166_2538:                           ;   in Loop: Header=BB166_17 Depth=1
	s_movk_i32 s56, 0x80
	v_cmp_eq_u16_e32 vcc, s56, v15
	s_mov_b64 s[56:57], -1
	s_and_saveexec_b64 s[60:61], vcc
; %bb.2539:                             ;   in Loop: Header=BB166_17 Depth=1
	s_xor_b64 s[56:57], exec, -1
; %bb.2540:                             ;   in Loop: Header=BB166_17 Depth=1
	s_or_b64 exec, exec, s[60:61]
	s_and_b64 s[56:57], s[56:57], exec
	s_or_saveexec_b64 s[58:59], s[58:59]
	v_mov_b32_e32 v65, 0x7f800001
	s_xor_b64 exec, exec, s[58:59]
	s_cbranch_execz .LBB166_2021
.LBB166_2541:                           ;   in Loop: Header=BB166_17 Depth=1
	v_cmp_ne_u16_e32 vcc, 0, v15
	s_andn2_b64 s[56:57], s[56:57], exec
	s_and_b64 s[60:61], vcc, exec
	v_mov_b32_e32 v65, 0
	s_or_b64 s[56:57], s[56:57], s[60:61]
	s_or_b64 exec, exec, s[58:59]
	s_and_saveexec_b64 s[58:59], s[56:57]
	s_cbranch_execnz .LBB166_2022
	s_branch .LBB166_2023
.LBB166_2542:                           ;   in Loop: Header=BB166_17 Depth=1
	s_movk_i32 s62, 0x80
	v_cmp_eq_u16_e32 vcc, s62, v15
	s_mov_b64 s[62:63], -1
	s_and_saveexec_b64 s[74:75], vcc
; %bb.2543:                             ;   in Loop: Header=BB166_17 Depth=1
	s_xor_b64 s[62:63], exec, -1
; %bb.2544:                             ;   in Loop: Header=BB166_17 Depth=1
	s_or_b64 exec, exec, s[74:75]
	s_and_b64 s[62:63], s[62:63], exec
	s_or_saveexec_b64 s[72:73], s[72:73]
	v_mov_b32_e32 v66, 0x7f800001
	s_xor_b64 exec, exec, s[72:73]
	s_cbranch_execz .LBB166_390
.LBB166_2545:                           ;   in Loop: Header=BB166_17 Depth=1
	v_cmp_ne_u16_e32 vcc, 0, v15
	s_andn2_b64 s[62:63], s[62:63], exec
	s_and_b64 s[74:75], vcc, exec
	v_mov_b32_e32 v66, 0
	s_or_b64 s[62:63], s[62:63], s[74:75]
	s_or_b64 exec, exec, s[72:73]
	s_and_saveexec_b64 s[72:73], s[62:63]
	s_cbranch_execnz .LBB166_391
	s_branch .LBB166_392
.LBB166_2546:                           ;   in Loop: Header=BB166_17 Depth=1
	s_movk_i32 s74, 0x80
	v_cmp_eq_u16_e32 vcc, s74, v15
	s_mov_b64 s[74:75], -1
	s_and_saveexec_b64 s[78:79], vcc
; %bb.2547:                             ;   in Loop: Header=BB166_17 Depth=1
	s_xor_b64 s[74:75], exec, -1
; %bb.2548:                             ;   in Loop: Header=BB166_17 Depth=1
	s_or_b64 exec, exec, s[78:79]
	s_and_b64 s[74:75], s[74:75], exec
	s_or_saveexec_b64 s[76:77], s[76:77]
	v_mov_b32_e32 v66, 0x7f800001
	s_xor_b64 exec, exec, s[76:77]
	s_cbranch_execz .LBB166_490
.LBB166_2549:                           ;   in Loop: Header=BB166_17 Depth=1
	v_cmp_ne_u16_e32 vcc, 0, v15
	s_andn2_b64 s[74:75], s[74:75], exec
	s_and_b64 s[78:79], vcc, exec
	v_mov_b32_e32 v66, 0
	s_or_b64 s[74:75], s[74:75], s[78:79]
	s_or_b64 exec, exec, s[76:77]
	s_and_saveexec_b64 s[76:77], s[74:75]
	s_cbranch_execnz .LBB166_491
	s_branch .LBB166_492
.LBB166_2550:                           ;   in Loop: Header=BB166_17 Depth=1
	v_cmp_gt_i16_sdwa s[88:89], v10, v20 src0_sel:BYTE_0 src1_sel:DWORD
                                        ; implicit-def: $vgpr65
	s_and_saveexec_b64 vcc, s[88:89]
	s_xor_b64 s[88:89], exec, vcc
	s_cbranch_execz .LBB166_2582
; %bb.2551:                             ;   in Loop: Header=BB166_17 Depth=1
	v_cmp_gt_i16_sdwa vcc, v10, v21 src0_sel:BYTE_0 src1_sel:DWORD
                                        ; implicit-def: $vgpr65
	s_and_saveexec_b64 s[34:35], vcc
	s_xor_b64 s[34:35], exec, s[34:35]
	s_cbranch_execz .LBB166_2567
; %bb.2552:                             ;   in Loop: Header=BB166_17 Depth=1
	v_cmp_gt_i16_sdwa s[30:31], v10, v22 src0_sel:BYTE_0 src1_sel:DWORD
	s_mov_b64 vcc, 0
                                        ; implicit-def: $vgpr65
	s_and_saveexec_b64 s[36:37], s[30:31]
	s_xor_b64 s[30:31], exec, s[36:37]
	s_cbranch_execz .LBB166_2562
; %bb.2553:                             ;   in Loop: Header=BB166_17 Depth=1
	v_cmp_gt_i16_sdwa vcc, v10, v23 src0_sel:BYTE_0 src1_sel:DWORD
	s_mov_b64 s[36:37], 0
                                        ; implicit-def: $vgpr65
	s_and_saveexec_b64 s[38:39], vcc
	s_xor_b64 vcc, exec, s[38:39]
	s_cbranch_execz .LBB166_2557
; %bb.2554:                             ;   in Loop: Header=BB166_17 Depth=1
	v_cmp_eq_u16_sdwa s[48:49], v10, v24 src0_sel:BYTE_0 src1_sel:DWORD
                                        ; implicit-def: $vgpr65
	s_and_saveexec_b64 s[38:39], s[48:49]
	s_cbranch_execz .LBB166_2556
; %bb.2555:                             ;   in Loop: Header=BB166_17 Depth=1
	flat_load_dword v15, v[15:16]
	s_mov_b64 s[36:37], exec
	s_waitcnt vmcnt(0) lgkmcnt(0)
	v_lshlrev_b32_e32 v65, 16, v15
.LBB166_2556:                           ;   in Loop: Header=BB166_17 Depth=1
	s_or_b64 exec, exec, s[38:39]
	s_and_b64 s[36:37], s[36:37], exec
                                        ; implicit-def: $vgpr15_vgpr16
.LBB166_2557:                           ;   in Loop: Header=BB166_17 Depth=1
	s_andn2_saveexec_b64 s[38:39], vcc
	s_cbranch_execz .LBB166_2561
; %bb.2558:                             ;   in Loop: Header=BB166_17 Depth=1
	v_cmp_eq_u16_sdwa s[50:51], v10, v25 src0_sel:BYTE_0 src1_sel:DWORD
	s_mov_b64 vcc, s[36:37]
                                        ; implicit-def: $vgpr65
	s_and_saveexec_b64 s[48:49], s[50:51]
	s_cbranch_execz .LBB166_2560
; %bb.2559:                             ;   in Loop: Header=BB166_17 Depth=1
	flat_load_ubyte v15, v[15:16]
	s_movk_i32 vcc_lo, 0xff
	s_waitcnt vmcnt(0) lgkmcnt(0)
	v_lshlrev_b32_e32 v16, 23, v15
	v_cmp_ne_u32_e32 vcc, vcc_lo, v15
	v_cndmask_b32_e32 v16, v26, v16, vcc
	v_cmp_ne_u32_e32 vcc, 0, v15
	v_cndmask_b32_e32 v65, v27, v16, vcc
	s_or_b64 vcc, s[36:37], exec
.LBB166_2560:                           ;   in Loop: Header=BB166_17 Depth=1
	s_or_b64 exec, exec, s[48:49]
	s_andn2_b64 s[36:37], s[36:37], exec
	s_and_b64 vcc, vcc, exec
	s_or_b64 s[36:37], s[36:37], vcc
.LBB166_2561:                           ;   in Loop: Header=BB166_17 Depth=1
	s_or_b64 exec, exec, s[38:39]
	s_and_b64 vcc, s[36:37], exec
                                        ; implicit-def: $vgpr15_vgpr16
.LBB166_2562:                           ;   in Loop: Header=BB166_17 Depth=1
	s_andn2_saveexec_b64 s[30:31], s[30:31]
	s_cbranch_execz .LBB166_2566
; %bb.2563:                             ;   in Loop: Header=BB166_17 Depth=1
	v_cmp_eq_u16_sdwa s[48:49], v10, v28 src0_sel:BYTE_0 src1_sel:DWORD
	s_mov_b64 s[38:39], vcc
                                        ; implicit-def: $vgpr65
	s_and_saveexec_b64 s[36:37], s[48:49]
	s_cbranch_execz .LBB166_2565
; %bb.2564:                             ;   in Loop: Header=BB166_17 Depth=1
	flat_load_dwordx2 v[15:16], v[15:16]
	s_or_b64 s[38:39], vcc, exec
	s_waitcnt vmcnt(0) lgkmcnt(0)
	v_ffbh_u32_e32 v65, v16
	v_min_u32_e32 v65, 32, v65
	v_lshlrev_b64 v[15:16], v65, v[15:16]
	v_min_u32_e32 v15, 1, v15
	v_or_b32_e32 v15, v16, v15
	v_cvt_f32_u32_e32 v15, v15
	v_sub_u32_e32 v16, 32, v65
	v_ldexp_f32 v65, v15, v16
.LBB166_2565:                           ;   in Loop: Header=BB166_17 Depth=1
	s_or_b64 exec, exec, s[36:37]
	s_andn2_b64 vcc, vcc, exec
	s_and_b64 s[36:37], s[38:39], exec
	s_or_b64 vcc, vcc, s[36:37]
.LBB166_2566:                           ;   in Loop: Header=BB166_17 Depth=1
	s_or_b64 exec, exec, s[30:31]
	s_and_b64 s[30:31], vcc, exec
                                        ; implicit-def: $vgpr15_vgpr16
.LBB166_2567:                           ;   in Loop: Header=BB166_17 Depth=1
	s_andn2_saveexec_b64 s[34:35], s[34:35]
	s_cbranch_execz .LBB166_2581
; %bb.2568:                             ;   in Loop: Header=BB166_17 Depth=1
	v_cmp_gt_i16_sdwa vcc, v10, v29 src0_sel:BYTE_0 src1_sel:DWORD
                                        ; implicit-def: $vgpr65
	s_and_saveexec_b64 s[36:37], vcc
	s_xor_b64 vcc, exec, s[36:37]
	s_cbranch_execz .LBB166_2574
; %bb.2569:                             ;   in Loop: Header=BB166_17 Depth=1
	v_cmp_gt_i16_sdwa s[36:37], v10, v30 src0_sel:BYTE_0 src1_sel:DWORD
                                        ; implicit-def: $vgpr65
	s_and_saveexec_b64 s[38:39], s[36:37]
	s_xor_b64 s[36:37], exec, s[38:39]
	s_cbranch_execz .LBB166_2571
; %bb.2570:                             ;   in Loop: Header=BB166_17 Depth=1
	flat_load_dword v15, v[15:16]
	s_waitcnt vmcnt(0) lgkmcnt(0)
	v_cvt_f32_u32_e32 v65, v15
                                        ; implicit-def: $vgpr15_vgpr16
.LBB166_2571:                           ;   in Loop: Header=BB166_17 Depth=1
	s_andn2_saveexec_b64 s[36:37], s[36:37]
	s_cbranch_execz .LBB166_2573
; %bb.2572:                             ;   in Loop: Header=BB166_17 Depth=1
	flat_load_ushort v15, v[15:16]
	s_waitcnt vmcnt(0) lgkmcnt(0)
	v_cvt_f32_u32_e32 v65, v15
.LBB166_2573:                           ;   in Loop: Header=BB166_17 Depth=1
	s_or_b64 exec, exec, s[36:37]
                                        ; implicit-def: $vgpr15_vgpr16
.LBB166_2574:                           ;   in Loop: Header=BB166_17 Depth=1
	s_andn2_saveexec_b64 s[36:37], vcc
	s_cbranch_execz .LBB166_2580
; %bb.2575:                             ;   in Loop: Header=BB166_17 Depth=1
	flat_load_ubyte v15, v[15:16]
	s_movk_i32 vcc_lo, 0x7f
	s_mov_b64 s[38:39], 0
	s_waitcnt vmcnt(0) lgkmcnt(0)
	v_cmp_lt_i16_e32 vcc, vcc_lo, v15
	s_and_saveexec_b64 s[48:49], vcc
	s_xor_b64 s[48:49], exec, s[48:49]
	s_cbranch_execnz .LBB166_3118
; %bb.2576:                             ;   in Loop: Header=BB166_17 Depth=1
	s_or_saveexec_b64 s[48:49], s[48:49]
	v_mov_b32_e32 v65, 0x7f800001
	s_xor_b64 exec, exec, s[48:49]
	s_cbranch_execnz .LBB166_3121
.LBB166_2577:                           ;   in Loop: Header=BB166_17 Depth=1
	s_or_b64 exec, exec, s[48:49]
	s_and_saveexec_b64 s[48:49], s[38:39]
	s_cbranch_execz .LBB166_2579
.LBB166_2578:                           ;   in Loop: Header=BB166_17 Depth=1
	v_lshlrev_b32_e32 v16, 24, v15
	v_and_b32_e32 v15, 0xffff, v15
	v_and_b32_e32 v65, 7, v15
	v_ffbh_u32_e32 v67, v65
	v_min_u32_e32 v67, 32, v67
	v_subrev_u32_e32 v68, 28, v67
	v_bfe_u32 v66, v15, 3, 4
	v_lshlrev_b32_e32 v15, v68, v15
	v_sub_u32_e32 v67, 29, v67
	v_and_b32_e32 v15, 7, v15
	v_cmp_eq_u32_e32 vcc, 0, v66
	v_cndmask_b32_e32 v66, v66, v67, vcc
	v_cndmask_b32_e32 v15, v65, v15, vcc
	v_lshlrev_b32_e32 v15, 20, v15
	v_and_b32_e32 v16, 0x80000000, v16
	v_lshl_add_u32 v65, v66, 23, v31
	v_or3_b32 v65, v16, v65, v15
.LBB166_2579:                           ;   in Loop: Header=BB166_17 Depth=1
	s_or_b64 exec, exec, s[48:49]
.LBB166_2580:                           ;   in Loop: Header=BB166_17 Depth=1
	s_or_b64 exec, exec, s[36:37]
	s_or_b64 s[30:31], s[30:31], exec
.LBB166_2581:                           ;   in Loop: Header=BB166_17 Depth=1
	s_or_b64 exec, exec, s[34:35]
	s_and_b64 s[30:31], s[30:31], exec
                                        ; implicit-def: $vgpr15_vgpr16
.LBB166_2582:                           ;   in Loop: Header=BB166_17 Depth=1
	s_andn2_saveexec_b64 s[88:89], s[88:89]
	s_cbranch_execz .LBB166_2608
; %bb.2583:                             ;   in Loop: Header=BB166_17 Depth=1
	v_cmp_gt_i16_sdwa vcc, v10, v32 src0_sel:BYTE_0 src1_sel:DWORD
	s_mov_b64 s[36:37], s[30:31]
                                        ; implicit-def: $vgpr65
	s_and_saveexec_b64 s[34:35], vcc
	s_xor_b64 s[34:35], exec, s[34:35]
	s_cbranch_execz .LBB166_2597
; %bb.2584:                             ;   in Loop: Header=BB166_17 Depth=1
	v_cmp_gt_i16_sdwa vcc, v10, v33 src0_sel:BYTE_0 src1_sel:DWORD
                                        ; implicit-def: $vgpr65
	s_and_saveexec_b64 s[36:37], vcc
	s_xor_b64 s[36:37], exec, s[36:37]
	s_cbranch_execz .LBB166_2594
; %bb.2585:                             ;   in Loop: Header=BB166_17 Depth=1
	v_cmp_gt_i16_sdwa vcc, v10, v34 src0_sel:BYTE_0 src1_sel:DWORD
                                        ; implicit-def: $vgpr65
	s_and_saveexec_b64 s[38:39], vcc
	s_xor_b64 s[38:39], exec, s[38:39]
	s_cbranch_execz .LBB166_2591
; %bb.2586:                             ;   in Loop: Header=BB166_17 Depth=1
	flat_load_ubyte v15, v[15:16]
	s_movk_i32 vcc_lo, 0x7f
	s_mov_b64 s[48:49], 0
	s_waitcnt vmcnt(0) lgkmcnt(0)
	v_cmp_lt_i16_e32 vcc, vcc_lo, v15
	s_and_saveexec_b64 s[50:51], vcc
	s_xor_b64 s[50:51], exec, s[50:51]
	s_cbranch_execnz .LBB166_3230
; %bb.2587:                             ;   in Loop: Header=BB166_17 Depth=1
	s_or_saveexec_b64 s[50:51], s[50:51]
	v_mov_b32_e32 v65, 0x7f800001
	s_xor_b64 exec, exec, s[50:51]
	s_cbranch_execnz .LBB166_3233
.LBB166_2588:                           ;   in Loop: Header=BB166_17 Depth=1
	s_or_b64 exec, exec, s[50:51]
	s_and_saveexec_b64 s[50:51], s[48:49]
	s_cbranch_execz .LBB166_2590
.LBB166_2589:                           ;   in Loop: Header=BB166_17 Depth=1
	v_lshlrev_b32_e32 v16, 24, v15
	v_and_b32_e32 v15, 0xffff, v15
	v_and_b32_e32 v65, 3, v15
	v_ffbh_u32_e32 v67, v65
	v_min_u32_e32 v67, 32, v67
	v_subrev_u32_e32 v68, 29, v67
	v_bfe_u32 v66, v15, 2, 5
	v_lshlrev_b32_e32 v15, v68, v15
	v_sub_u32_e32 v67, 30, v67
	v_and_b32_e32 v15, 3, v15
	v_cmp_eq_u32_e32 vcc, 0, v66
	v_cndmask_b32_e32 v66, v66, v67, vcc
	v_cndmask_b32_e32 v15, v65, v15, vcc
	v_lshlrev_b32_e32 v15, 21, v15
	v_and_b32_e32 v16, 0x80000000, v16
	v_lshl_add_u32 v65, v66, 23, v35
	v_or3_b32 v65, v16, v65, v15
.LBB166_2590:                           ;   in Loop: Header=BB166_17 Depth=1
	s_or_b64 exec, exec, s[50:51]
                                        ; implicit-def: $vgpr15_vgpr16
.LBB166_2591:                           ;   in Loop: Header=BB166_17 Depth=1
	s_andn2_saveexec_b64 s[38:39], s[38:39]
	s_cbranch_execz .LBB166_2593
; %bb.2592:                             ;   in Loop: Header=BB166_17 Depth=1
	flat_load_ubyte v15, v[15:16]
	s_mov_b32 vcc_lo, 0x7f800000
	s_waitcnt vmcnt(0) lgkmcnt(0)
	v_lshlrev_b32_e32 v15, 24, v15
	v_and_b32_e32 v16, 0x7f000000, v15
	v_ffbh_u32_e32 v65, v16
	v_min_u32_e32 v65, 32, v65
	v_sub_u32_e64 v65, v65, 4 clamp
	v_lshlrev_b32_e32 v67, v65, v16
	v_lshlrev_b32_e32 v65, 23, v65
	v_lshrrev_b32_e32 v67, 4, v67
	v_add_u32_e32 v66, 0x1000000, v16
	v_sub_u32_e32 v65, v67, v65
	v_ashrrev_i32_e32 v66, 8, v66
	v_add_u32_e32 v65, 0x3c000000, v65
	v_and_or_b32 v65, v66, vcc_lo, v65
	v_cmp_ne_u32_e32 vcc, 0, v16
	v_cndmask_b32_e32 v16, 0, v65, vcc
	s_brev_b32 vcc_lo, 1
	v_and_or_b32 v65, v15, vcc_lo, v16
.LBB166_2593:                           ;   in Loop: Header=BB166_17 Depth=1
	s_or_b64 exec, exec, s[38:39]
                                        ; implicit-def: $vgpr15_vgpr16
.LBB166_2594:                           ;   in Loop: Header=BB166_17 Depth=1
	s_andn2_saveexec_b64 s[36:37], s[36:37]
	s_cbranch_execz .LBB166_2596
; %bb.2595:                             ;   in Loop: Header=BB166_17 Depth=1
	flat_load_ubyte v15, v[15:16]
	s_movk_i32 vcc_lo, 0x7f00
	s_waitcnt vmcnt(0) lgkmcnt(0)
	v_lshlrev_b16_e32 v16, 8, v15
	v_lshlrev_b32_e32 v15, 25, v15
	v_lshrrev_b32_e32 v65, 4, v15
	v_and_or_b32 v66, v16, vcc_lo, 0.5
	v_or_b32_e32 v65, 0x70000000, v65
	s_brev_b32 vcc_lo, 16
	v_add_f32_e32 v66, -0.5, v66
	v_mul_f32_e32 v65, 0x7800000, v65
	v_cmp_gt_u32_e32 vcc, vcc_lo, v15
	v_cndmask_b32_e32 v15, v65, v66, vcc
	v_bfe_i32 v16, v16, 0, 16
	s_brev_b32 vcc_lo, 1
	v_and_or_b32 v65, v16, vcc_lo, v15
.LBB166_2596:                           ;   in Loop: Header=BB166_17 Depth=1
	s_or_b64 exec, exec, s[36:37]
	s_or_b64 s[36:37], s[30:31], exec
                                        ; implicit-def: $vgpr15_vgpr16
.LBB166_2597:                           ;   in Loop: Header=BB166_17 Depth=1
	s_andn2_saveexec_b64 s[34:35], s[34:35]
	s_cbranch_execz .LBB166_2607
; %bb.2598:                             ;   in Loop: Header=BB166_17 Depth=1
	v_cmp_gt_i16_sdwa vcc, v10, v36 src0_sel:BYTE_0 src1_sel:DWORD
	s_mov_b64 s[38:39], s[36:37]
                                        ; implicit-def: $vgpr65
	s_and_saveexec_b64 s[48:49], vcc
	s_xor_b64 vcc, exec, s[48:49]
	s_cbranch_execz .LBB166_2602
; %bb.2599:                             ;   in Loop: Header=BB166_17 Depth=1
	v_cmp_eq_u16_sdwa s[50:51], v10, v37 src0_sel:BYTE_0 src1_sel:DWORD
	s_mov_b64 s[38:39], s[36:37]
                                        ; implicit-def: $vgpr65
	s_and_saveexec_b64 s[48:49], s[50:51]
	s_cbranch_execz .LBB166_2601
; %bb.2600:                             ;   in Loop: Header=BB166_17 Depth=1
	flat_load_ushort v15, v[15:16]
	s_or_b64 s[38:39], s[36:37], exec
	s_waitcnt vmcnt(0) lgkmcnt(0)
	v_lshlrev_b32_e32 v65, 16, v15
.LBB166_2601:                           ;   in Loop: Header=BB166_17 Depth=1
	s_or_b64 exec, exec, s[48:49]
	s_andn2_b64 s[48:49], s[36:37], exec
	s_and_b64 s[38:39], s[38:39], exec
	s_or_b64 s[38:39], s[48:49], s[38:39]
                                        ; implicit-def: $vgpr15_vgpr16
.LBB166_2602:                           ;   in Loop: Header=BB166_17 Depth=1
	s_andn2_saveexec_b64 s[48:49], vcc
	s_cbranch_execz .LBB166_2606
; %bb.2603:                             ;   in Loop: Header=BB166_17 Depth=1
	v_cmp_eq_u16_sdwa s[52:53], v10, v38 src0_sel:BYTE_0 src1_sel:DWORD
	s_mov_b64 vcc, s[38:39]
                                        ; implicit-def: $vgpr65
	s_and_saveexec_b64 s[50:51], s[52:53]
	s_cbranch_execz .LBB166_2605
; %bb.2604:                             ;   in Loop: Header=BB166_17 Depth=1
	flat_load_ubyte v15, v[15:16]
	s_waitcnt vmcnt(0) lgkmcnt(0)
	v_cmp_ne_u16_e32 vcc, 0, v15
	v_cndmask_b32_e64 v65, 0, 1.0, vcc
	s_or_b64 vcc, s[38:39], exec
.LBB166_2605:                           ;   in Loop: Header=BB166_17 Depth=1
	s_or_b64 exec, exec, s[50:51]
	s_andn2_b64 s[38:39], s[38:39], exec
	s_and_b64 vcc, vcc, exec
	s_or_b64 s[38:39], s[38:39], vcc
.LBB166_2606:                           ;   in Loop: Header=BB166_17 Depth=1
	s_or_b64 exec, exec, s[48:49]
	s_andn2_b64 vcc, s[36:37], exec
	s_and_b64 s[36:37], s[38:39], exec
	s_or_b64 s[36:37], vcc, s[36:37]
.LBB166_2607:                           ;   in Loop: Header=BB166_17 Depth=1
	s_or_b64 exec, exec, s[34:35]
	s_andn2_b64 vcc, s[30:31], exec
	s_and_b64 s[30:31], s[36:37], exec
	s_or_b64 s[30:31], vcc, s[30:31]
.LBB166_2608:                           ;   in Loop: Header=BB166_17 Depth=1
	s_or_b64 exec, exec, s[88:89]
	s_and_b64 s[88:89], s[30:31], exec
                                        ; implicit-def: $vgpr15_vgpr16
	s_andn2_saveexec_b64 s[78:79], s[78:79]
	s_cbranch_execz .LBB166_900
.LBB166_2609:                           ;   in Loop: Header=BB166_17 Depth=1
	v_cmp_gt_i16_sdwa vcc, v10, v39 src0_sel:BYTE_0 src1_sel:DWORD
                                        ; implicit-def: $vgpr65
	s_and_saveexec_b64 s[30:31], vcc
	s_xor_b64 vcc, exec, s[30:31]
	s_cbranch_execz .LBB166_2631
; %bb.2610:                             ;   in Loop: Header=BB166_17 Depth=1
	v_cmp_gt_i16_sdwa s[30:31], v10, v48 src0_sel:BYTE_0 src1_sel:DWORD
                                        ; implicit-def: $vgpr65
	s_and_saveexec_b64 s[34:35], s[30:31]
	s_xor_b64 s[30:31], exec, s[34:35]
	s_cbranch_execz .LBB166_2620
; %bb.2611:                             ;   in Loop: Header=BB166_17 Depth=1
	v_cmp_gt_i16_sdwa s[34:35], v10, v49 src0_sel:BYTE_0 src1_sel:DWORD
                                        ; implicit-def: $vgpr65
	s_and_saveexec_b64 s[36:37], s[34:35]
	s_xor_b64 s[34:35], exec, s[36:37]
	;; [unrolled: 6-line block ×3, first 2 shown]
	s_cbranch_execz .LBB166_2614
; %bb.2613:                             ;   in Loop: Header=BB166_17 Depth=1
	flat_load_dwordx2 v[15:16], v[15:16]
	s_waitcnt vmcnt(0) lgkmcnt(0)
	v_cvt_f32_f64_e32 v65, v[15:16]
                                        ; implicit-def: $vgpr15_vgpr16
.LBB166_2614:                           ;   in Loop: Header=BB166_17 Depth=1
	s_andn2_saveexec_b64 s[36:37], s[36:37]
	s_cbranch_execz .LBB166_2616
; %bb.2615:                             ;   in Loop: Header=BB166_17 Depth=1
	flat_load_dword v65, v[15:16]
.LBB166_2616:                           ;   in Loop: Header=BB166_17 Depth=1
	s_or_b64 exec, exec, s[36:37]
                                        ; implicit-def: $vgpr15_vgpr16
.LBB166_2617:                           ;   in Loop: Header=BB166_17 Depth=1
	s_andn2_saveexec_b64 s[34:35], s[34:35]
	s_cbranch_execz .LBB166_2619
; %bb.2618:                             ;   in Loop: Header=BB166_17 Depth=1
	flat_load_dword v15, v[15:16]
	s_waitcnt vmcnt(0) lgkmcnt(0)
	v_cvt_f32_f16_e32 v65, v15
.LBB166_2619:                           ;   in Loop: Header=BB166_17 Depth=1
	s_or_b64 exec, exec, s[34:35]
                                        ; implicit-def: $vgpr15_vgpr16
.LBB166_2620:                           ;   in Loop: Header=BB166_17 Depth=1
	s_andn2_saveexec_b64 s[30:31], s[30:31]
	s_cbranch_execz .LBB166_2630
; %bb.2621:                             ;   in Loop: Header=BB166_17 Depth=1
	v_cmp_gt_i16_sdwa s[34:35], v10, v51 src0_sel:BYTE_0 src1_sel:DWORD
                                        ; implicit-def: $vgpr65
	s_and_saveexec_b64 s[36:37], s[34:35]
	s_xor_b64 s[34:35], exec, s[36:37]
	s_cbranch_execz .LBB166_2627
; %bb.2622:                             ;   in Loop: Header=BB166_17 Depth=1
	v_cmp_gt_i16_sdwa s[36:37], v10, v52 src0_sel:BYTE_0 src1_sel:DWORD
                                        ; implicit-def: $vgpr65
	s_and_saveexec_b64 s[38:39], s[36:37]
	s_xor_b64 s[36:37], exec, s[38:39]
	s_cbranch_execz .LBB166_2624
; %bb.2623:                             ;   in Loop: Header=BB166_17 Depth=1
	flat_load_dwordx2 v[15:16], v[15:16]
	s_waitcnt vmcnt(0) lgkmcnt(0)
	v_cvt_f32_f64_e32 v65, v[15:16]
                                        ; implicit-def: $vgpr15_vgpr16
.LBB166_2624:                           ;   in Loop: Header=BB166_17 Depth=1
	s_andn2_saveexec_b64 s[36:37], s[36:37]
	s_cbranch_execz .LBB166_2626
; %bb.2625:                             ;   in Loop: Header=BB166_17 Depth=1
	s_waitcnt vmcnt(0) lgkmcnt(0)
	flat_load_dword v65, v[15:16]
.LBB166_2626:                           ;   in Loop: Header=BB166_17 Depth=1
	s_or_b64 exec, exec, s[36:37]
                                        ; implicit-def: $vgpr15_vgpr16
.LBB166_2627:                           ;   in Loop: Header=BB166_17 Depth=1
	s_andn2_saveexec_b64 s[34:35], s[34:35]
	s_cbranch_execz .LBB166_2629
; %bb.2628:                             ;   in Loop: Header=BB166_17 Depth=1
	flat_load_ushort v15, v[15:16]
	s_waitcnt vmcnt(0) lgkmcnt(0)
	v_cvt_f32_f16_e32 v65, v15
.LBB166_2629:                           ;   in Loop: Header=BB166_17 Depth=1
	s_or_b64 exec, exec, s[34:35]
.LBB166_2630:                           ;   in Loop: Header=BB166_17 Depth=1
	s_or_b64 exec, exec, s[30:31]
                                        ; implicit-def: $vgpr15_vgpr16
.LBB166_2631:                           ;   in Loop: Header=BB166_17 Depth=1
	s_andn2_saveexec_b64 vcc, vcc
	s_cbranch_execz .LBB166_2649
; %bb.2632:                             ;   in Loop: Header=BB166_17 Depth=1
	v_cmp_gt_i16_sdwa s[30:31], v10, v53 src0_sel:BYTE_0 src1_sel:DWORD
                                        ; implicit-def: $vgpr65
	s_and_saveexec_b64 s[34:35], s[30:31]
	s_xor_b64 s[30:31], exec, s[34:35]
	s_cbranch_execz .LBB166_2642
; %bb.2633:                             ;   in Loop: Header=BB166_17 Depth=1
	v_cmp_gt_i16_sdwa s[34:35], v10, v54 src0_sel:BYTE_0 src1_sel:DWORD
                                        ; implicit-def: $vgpr65
	s_and_saveexec_b64 s[36:37], s[34:35]
	s_xor_b64 s[34:35], exec, s[36:37]
	;; [unrolled: 6-line block ×3, first 2 shown]
	s_cbranch_execz .LBB166_2636
; %bb.2635:                             ;   in Loop: Header=BB166_17 Depth=1
	flat_load_dwordx2 v[15:16], v[15:16]
	s_waitcnt vmcnt(0) lgkmcnt(0)
	v_xor_b32_e32 v66, v15, v16
	v_ffbh_i32_e32 v65, v16
	v_ashrrev_i32_e32 v66, 31, v66
	v_add_u32_e32 v65, -1, v65
	v_add_u32_e32 v66, 32, v66
	v_min_u32_e32 v65, v65, v66
	v_lshlrev_b64 v[15:16], v65, v[15:16]
	v_min_u32_e32 v15, 1, v15
	v_or_b32_e32 v15, v16, v15
	v_cvt_f32_i32_e32 v15, v15
	v_sub_u32_e32 v16, 32, v65
	v_ldexp_f32 v65, v15, v16
                                        ; implicit-def: $vgpr15_vgpr16
.LBB166_2636:                           ;   in Loop: Header=BB166_17 Depth=1
	s_andn2_saveexec_b64 s[36:37], s[36:37]
	s_cbranch_execz .LBB166_2638
; %bb.2637:                             ;   in Loop: Header=BB166_17 Depth=1
	flat_load_dword v15, v[15:16]
	s_waitcnt vmcnt(0) lgkmcnt(0)
	v_cvt_f32_i32_e32 v65, v15
.LBB166_2638:                           ;   in Loop: Header=BB166_17 Depth=1
	s_or_b64 exec, exec, s[36:37]
                                        ; implicit-def: $vgpr15_vgpr16
.LBB166_2639:                           ;   in Loop: Header=BB166_17 Depth=1
	s_andn2_saveexec_b64 s[34:35], s[34:35]
	s_cbranch_execz .LBB166_2641
; %bb.2640:                             ;   in Loop: Header=BB166_17 Depth=1
	flat_load_sshort v15, v[15:16]
	s_waitcnt vmcnt(0) lgkmcnt(0)
	v_cvt_f32_i32_e32 v65, v15
.LBB166_2641:                           ;   in Loop: Header=BB166_17 Depth=1
	s_or_b64 exec, exec, s[34:35]
                                        ; implicit-def: $vgpr15_vgpr16
.LBB166_2642:                           ;   in Loop: Header=BB166_17 Depth=1
	s_andn2_saveexec_b64 s[30:31], s[30:31]
	s_cbranch_execz .LBB166_2648
; %bb.2643:                             ;   in Loop: Header=BB166_17 Depth=1
	v_cmp_gt_i16_sdwa s[34:35], v10, v18 src0_sel:BYTE_0 src1_sel:DWORD
                                        ; implicit-def: $vgpr65
	s_and_saveexec_b64 s[36:37], s[34:35]
	s_xor_b64 s[34:35], exec, s[36:37]
	s_cbranch_execz .LBB166_2645
; %bb.2644:                             ;   in Loop: Header=BB166_17 Depth=1
	flat_load_sbyte v15, v[15:16]
	s_waitcnt vmcnt(0) lgkmcnt(0)
	v_cvt_f32_i32_e32 v65, v15
                                        ; implicit-def: $vgpr15_vgpr16
.LBB166_2645:                           ;   in Loop: Header=BB166_17 Depth=1
	s_andn2_saveexec_b64 s[34:35], s[34:35]
	s_cbranch_execz .LBB166_2647
; %bb.2646:                             ;   in Loop: Header=BB166_17 Depth=1
	flat_load_ubyte v15, v[15:16]
	s_waitcnt vmcnt(0) lgkmcnt(0)
	v_cvt_f32_ubyte0_e32 v65, v15
.LBB166_2647:                           ;   in Loop: Header=BB166_17 Depth=1
	s_or_b64 exec, exec, s[34:35]
.LBB166_2648:                           ;   in Loop: Header=BB166_17 Depth=1
	s_or_b64 exec, exec, s[30:31]
.LBB166_2649:                           ;   in Loop: Header=BB166_17 Depth=1
	s_or_b64 exec, exec, vcc
	s_or_b64 s[88:89], s[88:89], exec
	s_or_b64 exec, exec, s[78:79]
	s_mov_b64 vcc, 0
	s_and_saveexec_b64 s[78:79], s[88:89]
	s_cbranch_execnz .LBB166_901
	s_branch .LBB166_902
.LBB166_2650:                           ;   in Loop: Header=BB166_17 Depth=1
	s_movk_i32 s58, 0x80
	v_cmp_eq_u16_e32 vcc, s58, v15
	s_mov_b64 s[58:59], -1
	s_and_saveexec_b64 s[62:63], vcc
; %bb.2651:                             ;   in Loop: Header=BB166_17 Depth=1
	s_xor_b64 s[58:59], exec, -1
; %bb.2652:                             ;   in Loop: Header=BB166_17 Depth=1
	s_or_b64 exec, exec, s[62:63]
	s_and_b64 s[58:59], s[58:59], exec
	s_or_saveexec_b64 s[60:61], s[60:61]
	v_mov_b32_e32 v65, 0x7f800001
	s_xor_b64 exec, exec, s[60:61]
	s_cbranch_execz .LBB166_2032
.LBB166_2653:                           ;   in Loop: Header=BB166_17 Depth=1
	v_cmp_ne_u16_e32 vcc, 0, v15
	s_andn2_b64 s[58:59], s[58:59], exec
	s_and_b64 s[62:63], vcc, exec
	v_mov_b32_e32 v65, 0
	s_or_b64 s[58:59], s[58:59], s[62:63]
	s_or_b64 exec, exec, s[60:61]
	s_and_saveexec_b64 s[60:61], s[58:59]
	s_cbranch_execnz .LBB166_2033
	s_branch .LBB166_2034
.LBB166_2654:                           ;   in Loop: Header=BB166_17 Depth=1
	s_movk_i32 s62, 0x80
	v_cmp_eq_u16_e32 vcc, s62, v15
	s_mov_b64 s[62:63], -1
	s_and_saveexec_b64 s[74:75], vcc
; %bb.2655:                             ;   in Loop: Header=BB166_17 Depth=1
	s_xor_b64 s[62:63], exec, -1
; %bb.2656:                             ;   in Loop: Header=BB166_17 Depth=1
	s_or_b64 exec, exec, s[74:75]
	s_and_b64 s[62:63], s[62:63], exec
	s_or_saveexec_b64 s[72:73], s[72:73]
	v_mov_b32_e32 v65, 0x7f800001
	s_xor_b64 exec, exec, s[72:73]
	s_cbranch_execz .LBB166_2125
.LBB166_2657:                           ;   in Loop: Header=BB166_17 Depth=1
	v_cmp_ne_u16_e32 vcc, 0, v15
	s_andn2_b64 s[62:63], s[62:63], exec
	s_and_b64 s[74:75], vcc, exec
	v_mov_b32_e32 v65, 0
	s_or_b64 s[62:63], s[62:63], s[74:75]
	s_or_b64 exec, exec, s[72:73]
	s_and_saveexec_b64 s[72:73], s[62:63]
	s_cbranch_execnz .LBB166_2126
	s_branch .LBB166_2127
.LBB166_2658:                           ;   in Loop: Header=BB166_17 Depth=1
	s_movk_i32 s76, 0x80
	v_cmp_eq_u16_e32 vcc, s76, v15
	s_mov_b64 s[76:77], -1
	s_and_saveexec_b64 s[88:89], vcc
; %bb.2659:                             ;   in Loop: Header=BB166_17 Depth=1
	s_xor_b64 s[76:77], exec, -1
; %bb.2660:                             ;   in Loop: Header=BB166_17 Depth=1
	s_or_b64 exec, exec, s[88:89]
	s_and_b64 s[76:77], s[76:77], exec
	s_or_saveexec_b64 s[78:79], s[78:79]
	v_mov_b32_e32 v66, 0x7f800001
	s_xor_b64 exec, exec, s[78:79]
	s_cbranch_execz .LBB166_501
.LBB166_2661:                           ;   in Loop: Header=BB166_17 Depth=1
	v_cmp_ne_u16_e32 vcc, 0, v15
	s_andn2_b64 s[76:77], s[76:77], exec
	s_and_b64 s[88:89], vcc, exec
	v_mov_b32_e32 v66, 0
	s_or_b64 s[76:77], s[76:77], s[88:89]
	s_or_b64 exec, exec, s[78:79]
	s_and_saveexec_b64 s[78:79], s[76:77]
	s_cbranch_execnz .LBB166_502
	s_branch .LBB166_503
.LBB166_2662:                           ;   in Loop: Header=BB166_17 Depth=1
	s_movk_i32 s88, 0x80
	v_cmp_eq_u16_e32 vcc, s88, v15
	s_mov_b64 s[88:89], -1
	s_and_saveexec_b64 s[92:93], vcc
; %bb.2663:                             ;   in Loop: Header=BB166_17 Depth=1
	s_xor_b64 s[88:89], exec, -1
; %bb.2664:                             ;   in Loop: Header=BB166_17 Depth=1
	s_or_b64 exec, exec, s[92:93]
	s_and_b64 s[88:89], s[88:89], exec
	s_or_saveexec_b64 s[90:91], s[90:91]
	v_mov_b32_e32 v66, 0x7f800001
	s_xor_b64 exec, exec, s[90:91]
	s_cbranch_execz .LBB166_601
.LBB166_2665:                           ;   in Loop: Header=BB166_17 Depth=1
	v_cmp_ne_u16_e32 vcc, 0, v15
	s_andn2_b64 s[88:89], s[88:89], exec
	s_and_b64 s[92:93], vcc, exec
	v_mov_b32_e32 v66, 0
	s_or_b64 s[88:89], s[88:89], s[92:93]
	s_or_b64 exec, exec, s[90:91]
	s_and_saveexec_b64 s[90:91], s[88:89]
	s_cbranch_execnz .LBB166_602
	s_branch .LBB166_603
.LBB166_2666:                           ;   in Loop: Header=BB166_17 Depth=1
	v_cmp_gt_i16_sdwa s[94:95], v10, v20 src0_sel:BYTE_0 src1_sel:DWORD
                                        ; implicit-def: $vgpr65
	s_and_saveexec_b64 vcc, s[94:95]
	s_xor_b64 s[94:95], exec, vcc
	s_cbranch_execz .LBB166_2698
; %bb.2667:                             ;   in Loop: Header=BB166_17 Depth=1
	v_cmp_gt_i16_sdwa vcc, v10, v21 src0_sel:BYTE_0 src1_sel:DWORD
                                        ; implicit-def: $vgpr65
	s_and_saveexec_b64 s[48:49], vcc
	s_xor_b64 s[48:49], exec, s[48:49]
	s_cbranch_execz .LBB166_2683
; %bb.2668:                             ;   in Loop: Header=BB166_17 Depth=1
	v_cmp_gt_i16_sdwa s[38:39], v10, v22 src0_sel:BYTE_0 src1_sel:DWORD
	s_mov_b64 vcc, 0
                                        ; implicit-def: $vgpr65
	s_and_saveexec_b64 s[50:51], s[38:39]
	s_xor_b64 s[38:39], exec, s[50:51]
	s_cbranch_execz .LBB166_2678
; %bb.2669:                             ;   in Loop: Header=BB166_17 Depth=1
	v_cmp_gt_i16_sdwa vcc, v10, v23 src0_sel:BYTE_0 src1_sel:DWORD
	s_mov_b64 s[50:51], 0
                                        ; implicit-def: $vgpr65
	s_and_saveexec_b64 s[52:53], vcc
	s_xor_b64 vcc, exec, s[52:53]
	s_cbranch_execz .LBB166_2673
; %bb.2670:                             ;   in Loop: Header=BB166_17 Depth=1
	v_cmp_eq_u16_sdwa s[54:55], v10, v24 src0_sel:BYTE_0 src1_sel:DWORD
                                        ; implicit-def: $vgpr65
	s_and_saveexec_b64 s[52:53], s[54:55]
	s_cbranch_execz .LBB166_2672
; %bb.2671:                             ;   in Loop: Header=BB166_17 Depth=1
	flat_load_dword v15, v[15:16]
	s_mov_b64 s[50:51], exec
	s_waitcnt vmcnt(0) lgkmcnt(0)
	v_lshlrev_b32_e32 v65, 16, v15
.LBB166_2672:                           ;   in Loop: Header=BB166_17 Depth=1
	s_or_b64 exec, exec, s[52:53]
	s_and_b64 s[50:51], s[50:51], exec
                                        ; implicit-def: $vgpr15_vgpr16
.LBB166_2673:                           ;   in Loop: Header=BB166_17 Depth=1
	s_andn2_saveexec_b64 s[52:53], vcc
	s_cbranch_execz .LBB166_2677
; %bb.2674:                             ;   in Loop: Header=BB166_17 Depth=1
	v_cmp_eq_u16_sdwa s[64:65], v10, v25 src0_sel:BYTE_0 src1_sel:DWORD
	s_mov_b64 vcc, s[50:51]
                                        ; implicit-def: $vgpr65
	s_and_saveexec_b64 s[54:55], s[64:65]
	s_cbranch_execz .LBB166_2676
; %bb.2675:                             ;   in Loop: Header=BB166_17 Depth=1
	flat_load_ubyte v15, v[15:16]
	s_movk_i32 vcc_lo, 0xff
	s_waitcnt vmcnt(0) lgkmcnt(0)
	v_lshlrev_b32_e32 v16, 23, v15
	v_cmp_ne_u32_e32 vcc, vcc_lo, v15
	v_cndmask_b32_e32 v16, v26, v16, vcc
	v_cmp_ne_u32_e32 vcc, 0, v15
	v_cndmask_b32_e32 v65, v27, v16, vcc
	s_or_b64 vcc, s[50:51], exec
.LBB166_2676:                           ;   in Loop: Header=BB166_17 Depth=1
	s_or_b64 exec, exec, s[54:55]
	s_andn2_b64 s[50:51], s[50:51], exec
	s_and_b64 vcc, vcc, exec
	s_or_b64 s[50:51], s[50:51], vcc
.LBB166_2677:                           ;   in Loop: Header=BB166_17 Depth=1
	s_or_b64 exec, exec, s[52:53]
	s_and_b64 vcc, s[50:51], exec
                                        ; implicit-def: $vgpr15_vgpr16
.LBB166_2678:                           ;   in Loop: Header=BB166_17 Depth=1
	s_andn2_saveexec_b64 s[38:39], s[38:39]
	s_cbranch_execz .LBB166_2682
; %bb.2679:                             ;   in Loop: Header=BB166_17 Depth=1
	v_cmp_eq_u16_sdwa s[54:55], v10, v28 src0_sel:BYTE_0 src1_sel:DWORD
	s_mov_b64 s[52:53], vcc
                                        ; implicit-def: $vgpr65
	s_and_saveexec_b64 s[50:51], s[54:55]
	s_cbranch_execz .LBB166_2681
; %bb.2680:                             ;   in Loop: Header=BB166_17 Depth=1
	flat_load_dwordx2 v[15:16], v[15:16]
	s_or_b64 s[52:53], vcc, exec
	s_waitcnt vmcnt(0) lgkmcnt(0)
	v_ffbh_u32_e32 v65, v16
	v_min_u32_e32 v65, 32, v65
	v_lshlrev_b64 v[15:16], v65, v[15:16]
	v_min_u32_e32 v15, 1, v15
	v_or_b32_e32 v15, v16, v15
	v_cvt_f32_u32_e32 v15, v15
	v_sub_u32_e32 v16, 32, v65
	v_ldexp_f32 v65, v15, v16
.LBB166_2681:                           ;   in Loop: Header=BB166_17 Depth=1
	s_or_b64 exec, exec, s[50:51]
	s_andn2_b64 vcc, vcc, exec
	s_and_b64 s[50:51], s[52:53], exec
	s_or_b64 vcc, vcc, s[50:51]
.LBB166_2682:                           ;   in Loop: Header=BB166_17 Depth=1
	s_or_b64 exec, exec, s[38:39]
	s_and_b64 s[38:39], vcc, exec
                                        ; implicit-def: $vgpr15_vgpr16
.LBB166_2683:                           ;   in Loop: Header=BB166_17 Depth=1
	s_andn2_saveexec_b64 s[48:49], s[48:49]
	s_cbranch_execz .LBB166_2697
; %bb.2684:                             ;   in Loop: Header=BB166_17 Depth=1
	v_cmp_gt_i16_sdwa vcc, v10, v29 src0_sel:BYTE_0 src1_sel:DWORD
                                        ; implicit-def: $vgpr65
	s_and_saveexec_b64 s[50:51], vcc
	s_xor_b64 vcc, exec, s[50:51]
	s_cbranch_execz .LBB166_2690
; %bb.2685:                             ;   in Loop: Header=BB166_17 Depth=1
	v_cmp_gt_i16_sdwa s[50:51], v10, v30 src0_sel:BYTE_0 src1_sel:DWORD
                                        ; implicit-def: $vgpr65
	s_and_saveexec_b64 s[52:53], s[50:51]
	s_xor_b64 s[50:51], exec, s[52:53]
	s_cbranch_execz .LBB166_2687
; %bb.2686:                             ;   in Loop: Header=BB166_17 Depth=1
	flat_load_dword v15, v[15:16]
	s_waitcnt vmcnt(0) lgkmcnt(0)
	v_cvt_f32_u32_e32 v65, v15
                                        ; implicit-def: $vgpr15_vgpr16
.LBB166_2687:                           ;   in Loop: Header=BB166_17 Depth=1
	s_andn2_saveexec_b64 s[50:51], s[50:51]
	s_cbranch_execz .LBB166_2689
; %bb.2688:                             ;   in Loop: Header=BB166_17 Depth=1
	flat_load_ushort v15, v[15:16]
	s_waitcnt vmcnt(0) lgkmcnt(0)
	v_cvt_f32_u32_e32 v65, v15
.LBB166_2689:                           ;   in Loop: Header=BB166_17 Depth=1
	s_or_b64 exec, exec, s[50:51]
                                        ; implicit-def: $vgpr15_vgpr16
.LBB166_2690:                           ;   in Loop: Header=BB166_17 Depth=1
	s_andn2_saveexec_b64 s[50:51], vcc
	s_cbranch_execz .LBB166_2696
; %bb.2691:                             ;   in Loop: Header=BB166_17 Depth=1
	flat_load_ubyte v15, v[15:16]
	s_movk_i32 vcc_lo, 0x7f
	s_mov_b64 s[52:53], 0
	s_waitcnt vmcnt(0) lgkmcnt(0)
	v_cmp_lt_i16_e32 vcc, vcc_lo, v15
	s_and_saveexec_b64 s[54:55], vcc
	s_xor_b64 s[54:55], exec, s[54:55]
	s_cbranch_execnz .LBB166_3234
; %bb.2692:                             ;   in Loop: Header=BB166_17 Depth=1
	s_or_saveexec_b64 s[54:55], s[54:55]
	v_mov_b32_e32 v65, 0x7f800001
	s_xor_b64 exec, exec, s[54:55]
	s_cbranch_execnz .LBB166_3237
.LBB166_2693:                           ;   in Loop: Header=BB166_17 Depth=1
	s_or_b64 exec, exec, s[54:55]
	s_and_saveexec_b64 s[54:55], s[52:53]
	s_cbranch_execz .LBB166_2695
.LBB166_2694:                           ;   in Loop: Header=BB166_17 Depth=1
	v_lshlrev_b32_e32 v16, 24, v15
	v_and_b32_e32 v15, 0xffff, v15
	v_and_b32_e32 v65, 7, v15
	v_ffbh_u32_e32 v67, v65
	v_min_u32_e32 v67, 32, v67
	v_subrev_u32_e32 v68, 28, v67
	v_bfe_u32 v66, v15, 3, 4
	v_lshlrev_b32_e32 v15, v68, v15
	v_sub_u32_e32 v67, 29, v67
	v_and_b32_e32 v15, 7, v15
	v_cmp_eq_u32_e32 vcc, 0, v66
	v_cndmask_b32_e32 v66, v66, v67, vcc
	v_cndmask_b32_e32 v15, v65, v15, vcc
	v_lshlrev_b32_e32 v15, 20, v15
	v_and_b32_e32 v16, 0x80000000, v16
	v_lshl_add_u32 v65, v66, 23, v31
	v_or3_b32 v65, v16, v65, v15
.LBB166_2695:                           ;   in Loop: Header=BB166_17 Depth=1
	s_or_b64 exec, exec, s[54:55]
.LBB166_2696:                           ;   in Loop: Header=BB166_17 Depth=1
	s_or_b64 exec, exec, s[50:51]
	s_or_b64 s[38:39], s[38:39], exec
.LBB166_2697:                           ;   in Loop: Header=BB166_17 Depth=1
	s_or_b64 exec, exec, s[48:49]
	s_and_b64 s[38:39], s[38:39], exec
                                        ; implicit-def: $vgpr15_vgpr16
.LBB166_2698:                           ;   in Loop: Header=BB166_17 Depth=1
	s_andn2_saveexec_b64 s[94:95], s[94:95]
	s_cbranch_execz .LBB166_2724
; %bb.2699:                             ;   in Loop: Header=BB166_17 Depth=1
	v_cmp_gt_i16_sdwa vcc, v10, v32 src0_sel:BYTE_0 src1_sel:DWORD
	s_mov_b64 s[50:51], s[38:39]
                                        ; implicit-def: $vgpr65
	s_and_saveexec_b64 s[48:49], vcc
	s_xor_b64 s[48:49], exec, s[48:49]
	s_cbranch_execz .LBB166_2713
; %bb.2700:                             ;   in Loop: Header=BB166_17 Depth=1
	v_cmp_gt_i16_sdwa vcc, v10, v33 src0_sel:BYTE_0 src1_sel:DWORD
                                        ; implicit-def: $vgpr65
	s_and_saveexec_b64 s[50:51], vcc
	s_xor_b64 s[50:51], exec, s[50:51]
	s_cbranch_execz .LBB166_2710
; %bb.2701:                             ;   in Loop: Header=BB166_17 Depth=1
	v_cmp_gt_i16_sdwa vcc, v10, v34 src0_sel:BYTE_0 src1_sel:DWORD
                                        ; implicit-def: $vgpr65
	s_and_saveexec_b64 s[52:53], vcc
	s_xor_b64 s[52:53], exec, s[52:53]
	s_cbranch_execz .LBB166_2707
; %bb.2702:                             ;   in Loop: Header=BB166_17 Depth=1
	flat_load_ubyte v15, v[15:16]
	s_movk_i32 vcc_lo, 0x7f
	s_mov_b64 s[54:55], 0
	s_waitcnt vmcnt(0) lgkmcnt(0)
	v_cmp_lt_i16_e32 vcc, vcc_lo, v15
	s_and_saveexec_b64 s[64:65], vcc
	s_xor_b64 s[64:65], exec, s[64:65]
	s_cbranch_execnz .LBB166_3346
; %bb.2703:                             ;   in Loop: Header=BB166_17 Depth=1
	s_or_saveexec_b64 s[64:65], s[64:65]
	v_mov_b32_e32 v65, 0x7f800001
	s_xor_b64 exec, exec, s[64:65]
	s_cbranch_execnz .LBB166_3349
.LBB166_2704:                           ;   in Loop: Header=BB166_17 Depth=1
	s_or_b64 exec, exec, s[64:65]
	s_and_saveexec_b64 s[64:65], s[54:55]
	s_cbranch_execz .LBB166_2706
.LBB166_2705:                           ;   in Loop: Header=BB166_17 Depth=1
	v_lshlrev_b32_e32 v16, 24, v15
	v_and_b32_e32 v15, 0xffff, v15
	v_and_b32_e32 v65, 3, v15
	v_ffbh_u32_e32 v67, v65
	v_min_u32_e32 v67, 32, v67
	v_subrev_u32_e32 v68, 29, v67
	v_bfe_u32 v66, v15, 2, 5
	v_lshlrev_b32_e32 v15, v68, v15
	v_sub_u32_e32 v67, 30, v67
	v_and_b32_e32 v15, 3, v15
	v_cmp_eq_u32_e32 vcc, 0, v66
	v_cndmask_b32_e32 v66, v66, v67, vcc
	v_cndmask_b32_e32 v15, v65, v15, vcc
	v_lshlrev_b32_e32 v15, 21, v15
	v_and_b32_e32 v16, 0x80000000, v16
	v_lshl_add_u32 v65, v66, 23, v35
	v_or3_b32 v65, v16, v65, v15
.LBB166_2706:                           ;   in Loop: Header=BB166_17 Depth=1
	s_or_b64 exec, exec, s[64:65]
                                        ; implicit-def: $vgpr15_vgpr16
.LBB166_2707:                           ;   in Loop: Header=BB166_17 Depth=1
	s_andn2_saveexec_b64 s[52:53], s[52:53]
	s_cbranch_execz .LBB166_2709
; %bb.2708:                             ;   in Loop: Header=BB166_17 Depth=1
	flat_load_ubyte v15, v[15:16]
	s_mov_b32 vcc_lo, 0x7f800000
	s_waitcnt vmcnt(0) lgkmcnt(0)
	v_lshlrev_b32_e32 v15, 24, v15
	v_and_b32_e32 v16, 0x7f000000, v15
	v_ffbh_u32_e32 v65, v16
	v_min_u32_e32 v65, 32, v65
	v_sub_u32_e64 v65, v65, 4 clamp
	v_lshlrev_b32_e32 v67, v65, v16
	v_lshlrev_b32_e32 v65, 23, v65
	v_lshrrev_b32_e32 v67, 4, v67
	v_add_u32_e32 v66, 0x1000000, v16
	v_sub_u32_e32 v65, v67, v65
	v_ashrrev_i32_e32 v66, 8, v66
	v_add_u32_e32 v65, 0x3c000000, v65
	v_and_or_b32 v65, v66, vcc_lo, v65
	v_cmp_ne_u32_e32 vcc, 0, v16
	v_cndmask_b32_e32 v16, 0, v65, vcc
	s_brev_b32 vcc_lo, 1
	v_and_or_b32 v65, v15, vcc_lo, v16
.LBB166_2709:                           ;   in Loop: Header=BB166_17 Depth=1
	s_or_b64 exec, exec, s[52:53]
                                        ; implicit-def: $vgpr15_vgpr16
.LBB166_2710:                           ;   in Loop: Header=BB166_17 Depth=1
	s_andn2_saveexec_b64 s[50:51], s[50:51]
	s_cbranch_execz .LBB166_2712
; %bb.2711:                             ;   in Loop: Header=BB166_17 Depth=1
	flat_load_ubyte v15, v[15:16]
	s_movk_i32 vcc_lo, 0x7f00
	s_waitcnt vmcnt(0) lgkmcnt(0)
	v_lshlrev_b16_e32 v16, 8, v15
	v_lshlrev_b32_e32 v15, 25, v15
	v_lshrrev_b32_e32 v65, 4, v15
	v_and_or_b32 v66, v16, vcc_lo, 0.5
	v_or_b32_e32 v65, 0x70000000, v65
	s_brev_b32 vcc_lo, 16
	v_add_f32_e32 v66, -0.5, v66
	v_mul_f32_e32 v65, 0x7800000, v65
	v_cmp_gt_u32_e32 vcc, vcc_lo, v15
	v_cndmask_b32_e32 v15, v65, v66, vcc
	v_bfe_i32 v16, v16, 0, 16
	s_brev_b32 vcc_lo, 1
	v_and_or_b32 v65, v16, vcc_lo, v15
.LBB166_2712:                           ;   in Loop: Header=BB166_17 Depth=1
	s_or_b64 exec, exec, s[50:51]
	s_or_b64 s[50:51], s[38:39], exec
                                        ; implicit-def: $vgpr15_vgpr16
.LBB166_2713:                           ;   in Loop: Header=BB166_17 Depth=1
	s_andn2_saveexec_b64 s[48:49], s[48:49]
	s_cbranch_execz .LBB166_2723
; %bb.2714:                             ;   in Loop: Header=BB166_17 Depth=1
	v_cmp_gt_i16_sdwa vcc, v10, v36 src0_sel:BYTE_0 src1_sel:DWORD
	s_mov_b64 s[52:53], s[50:51]
                                        ; implicit-def: $vgpr65
	s_and_saveexec_b64 s[54:55], vcc
	s_xor_b64 vcc, exec, s[54:55]
	s_cbranch_execz .LBB166_2718
; %bb.2715:                             ;   in Loop: Header=BB166_17 Depth=1
	v_cmp_eq_u16_sdwa s[64:65], v10, v37 src0_sel:BYTE_0 src1_sel:DWORD
	s_mov_b64 s[52:53], s[50:51]
                                        ; implicit-def: $vgpr65
	s_and_saveexec_b64 s[54:55], s[64:65]
	s_cbranch_execz .LBB166_2717
; %bb.2716:                             ;   in Loop: Header=BB166_17 Depth=1
	flat_load_ushort v15, v[15:16]
	s_or_b64 s[52:53], s[50:51], exec
	s_waitcnt vmcnt(0) lgkmcnt(0)
	v_lshlrev_b32_e32 v65, 16, v15
.LBB166_2717:                           ;   in Loop: Header=BB166_17 Depth=1
	s_or_b64 exec, exec, s[54:55]
	s_andn2_b64 s[54:55], s[50:51], exec
	s_and_b64 s[52:53], s[52:53], exec
	s_or_b64 s[52:53], s[54:55], s[52:53]
                                        ; implicit-def: $vgpr15_vgpr16
.LBB166_2718:                           ;   in Loop: Header=BB166_17 Depth=1
	s_andn2_saveexec_b64 s[54:55], vcc
	s_cbranch_execz .LBB166_2722
; %bb.2719:                             ;   in Loop: Header=BB166_17 Depth=1
	v_cmp_eq_u16_sdwa s[66:67], v10, v38 src0_sel:BYTE_0 src1_sel:DWORD
	s_mov_b64 vcc, s[52:53]
                                        ; implicit-def: $vgpr65
	s_and_saveexec_b64 s[64:65], s[66:67]
	s_cbranch_execz .LBB166_2721
; %bb.2720:                             ;   in Loop: Header=BB166_17 Depth=1
	flat_load_ubyte v15, v[15:16]
	s_waitcnt vmcnt(0) lgkmcnt(0)
	v_cmp_ne_u16_e32 vcc, 0, v15
	v_cndmask_b32_e64 v65, 0, 1.0, vcc
	s_or_b64 vcc, s[52:53], exec
.LBB166_2721:                           ;   in Loop: Header=BB166_17 Depth=1
	s_or_b64 exec, exec, s[64:65]
	s_andn2_b64 s[52:53], s[52:53], exec
	s_and_b64 vcc, vcc, exec
	s_or_b64 s[52:53], s[52:53], vcc
.LBB166_2722:                           ;   in Loop: Header=BB166_17 Depth=1
	s_or_b64 exec, exec, s[54:55]
	s_andn2_b64 vcc, s[50:51], exec
	s_and_b64 s[50:51], s[52:53], exec
	s_or_b64 s[50:51], vcc, s[50:51]
.LBB166_2723:                           ;   in Loop: Header=BB166_17 Depth=1
	s_or_b64 exec, exec, s[48:49]
	s_andn2_b64 vcc, s[38:39], exec
	s_and_b64 s[38:39], s[50:51], exec
	s_or_b64 s[38:39], vcc, s[38:39]
.LBB166_2724:                           ;   in Loop: Header=BB166_17 Depth=1
	s_or_b64 exec, exec, s[94:95]
	s_and_b64 s[94:95], s[38:39], exec
                                        ; implicit-def: $vgpr15_vgpr16
	s_andn2_saveexec_b64 s[92:93], s[92:93]
	s_cbranch_execz .LBB166_1011
.LBB166_2725:                           ;   in Loop: Header=BB166_17 Depth=1
	v_cmp_gt_i16_sdwa vcc, v10, v39 src0_sel:BYTE_0 src1_sel:DWORD
                                        ; implicit-def: $vgpr65
	s_and_saveexec_b64 s[38:39], vcc
	s_xor_b64 vcc, exec, s[38:39]
	s_cbranch_execz .LBB166_2747
; %bb.2726:                             ;   in Loop: Header=BB166_17 Depth=1
	v_cmp_gt_i16_sdwa s[38:39], v10, v48 src0_sel:BYTE_0 src1_sel:DWORD
                                        ; implicit-def: $vgpr65
	s_and_saveexec_b64 s[48:49], s[38:39]
	s_xor_b64 s[38:39], exec, s[48:49]
	s_cbranch_execz .LBB166_2736
; %bb.2727:                             ;   in Loop: Header=BB166_17 Depth=1
	v_cmp_gt_i16_sdwa s[48:49], v10, v49 src0_sel:BYTE_0 src1_sel:DWORD
                                        ; implicit-def: $vgpr65
	s_and_saveexec_b64 s[50:51], s[48:49]
	s_xor_b64 s[48:49], exec, s[50:51]
	;; [unrolled: 6-line block ×3, first 2 shown]
	s_cbranch_execz .LBB166_2730
; %bb.2729:                             ;   in Loop: Header=BB166_17 Depth=1
	flat_load_dwordx2 v[15:16], v[15:16]
	s_waitcnt vmcnt(0) lgkmcnt(0)
	v_cvt_f32_f64_e32 v65, v[15:16]
                                        ; implicit-def: $vgpr15_vgpr16
.LBB166_2730:                           ;   in Loop: Header=BB166_17 Depth=1
	s_andn2_saveexec_b64 s[50:51], s[50:51]
	s_cbranch_execz .LBB166_2732
; %bb.2731:                             ;   in Loop: Header=BB166_17 Depth=1
	flat_load_dword v65, v[15:16]
.LBB166_2732:                           ;   in Loop: Header=BB166_17 Depth=1
	s_or_b64 exec, exec, s[50:51]
                                        ; implicit-def: $vgpr15_vgpr16
.LBB166_2733:                           ;   in Loop: Header=BB166_17 Depth=1
	s_andn2_saveexec_b64 s[48:49], s[48:49]
	s_cbranch_execz .LBB166_2735
; %bb.2734:                             ;   in Loop: Header=BB166_17 Depth=1
	flat_load_dword v15, v[15:16]
	s_waitcnt vmcnt(0) lgkmcnt(0)
	v_cvt_f32_f16_e32 v65, v15
.LBB166_2735:                           ;   in Loop: Header=BB166_17 Depth=1
	s_or_b64 exec, exec, s[48:49]
                                        ; implicit-def: $vgpr15_vgpr16
.LBB166_2736:                           ;   in Loop: Header=BB166_17 Depth=1
	s_andn2_saveexec_b64 s[38:39], s[38:39]
	s_cbranch_execz .LBB166_2746
; %bb.2737:                             ;   in Loop: Header=BB166_17 Depth=1
	v_cmp_gt_i16_sdwa s[48:49], v10, v51 src0_sel:BYTE_0 src1_sel:DWORD
                                        ; implicit-def: $vgpr65
	s_and_saveexec_b64 s[50:51], s[48:49]
	s_xor_b64 s[48:49], exec, s[50:51]
	s_cbranch_execz .LBB166_2743
; %bb.2738:                             ;   in Loop: Header=BB166_17 Depth=1
	v_cmp_gt_i16_sdwa s[50:51], v10, v52 src0_sel:BYTE_0 src1_sel:DWORD
                                        ; implicit-def: $vgpr65
	s_and_saveexec_b64 s[52:53], s[50:51]
	s_xor_b64 s[50:51], exec, s[52:53]
	s_cbranch_execz .LBB166_2740
; %bb.2739:                             ;   in Loop: Header=BB166_17 Depth=1
	flat_load_dwordx2 v[15:16], v[15:16]
	s_waitcnt vmcnt(0) lgkmcnt(0)
	v_cvt_f32_f64_e32 v65, v[15:16]
                                        ; implicit-def: $vgpr15_vgpr16
.LBB166_2740:                           ;   in Loop: Header=BB166_17 Depth=1
	s_andn2_saveexec_b64 s[50:51], s[50:51]
	s_cbranch_execz .LBB166_2742
; %bb.2741:                             ;   in Loop: Header=BB166_17 Depth=1
	s_waitcnt vmcnt(0) lgkmcnt(0)
	flat_load_dword v65, v[15:16]
.LBB166_2742:                           ;   in Loop: Header=BB166_17 Depth=1
	s_or_b64 exec, exec, s[50:51]
                                        ; implicit-def: $vgpr15_vgpr16
.LBB166_2743:                           ;   in Loop: Header=BB166_17 Depth=1
	s_andn2_saveexec_b64 s[48:49], s[48:49]
	s_cbranch_execz .LBB166_2745
; %bb.2744:                             ;   in Loop: Header=BB166_17 Depth=1
	flat_load_ushort v15, v[15:16]
	s_waitcnt vmcnt(0) lgkmcnt(0)
	v_cvt_f32_f16_e32 v65, v15
.LBB166_2745:                           ;   in Loop: Header=BB166_17 Depth=1
	s_or_b64 exec, exec, s[48:49]
.LBB166_2746:                           ;   in Loop: Header=BB166_17 Depth=1
	s_or_b64 exec, exec, s[38:39]
                                        ; implicit-def: $vgpr15_vgpr16
.LBB166_2747:                           ;   in Loop: Header=BB166_17 Depth=1
	s_andn2_saveexec_b64 vcc, vcc
	s_cbranch_execz .LBB166_2765
; %bb.2748:                             ;   in Loop: Header=BB166_17 Depth=1
	v_cmp_gt_i16_sdwa s[38:39], v10, v53 src0_sel:BYTE_0 src1_sel:DWORD
                                        ; implicit-def: $vgpr65
	s_and_saveexec_b64 s[48:49], s[38:39]
	s_xor_b64 s[38:39], exec, s[48:49]
	s_cbranch_execz .LBB166_2758
; %bb.2749:                             ;   in Loop: Header=BB166_17 Depth=1
	v_cmp_gt_i16_sdwa s[48:49], v10, v54 src0_sel:BYTE_0 src1_sel:DWORD
                                        ; implicit-def: $vgpr65
	s_and_saveexec_b64 s[50:51], s[48:49]
	s_xor_b64 s[48:49], exec, s[50:51]
	;; [unrolled: 6-line block ×3, first 2 shown]
	s_cbranch_execz .LBB166_2752
; %bb.2751:                             ;   in Loop: Header=BB166_17 Depth=1
	flat_load_dwordx2 v[15:16], v[15:16]
	s_waitcnt vmcnt(0) lgkmcnt(0)
	v_xor_b32_e32 v66, v15, v16
	v_ffbh_i32_e32 v65, v16
	v_ashrrev_i32_e32 v66, 31, v66
	v_add_u32_e32 v65, -1, v65
	v_add_u32_e32 v66, 32, v66
	v_min_u32_e32 v65, v65, v66
	v_lshlrev_b64 v[15:16], v65, v[15:16]
	v_min_u32_e32 v15, 1, v15
	v_or_b32_e32 v15, v16, v15
	v_cvt_f32_i32_e32 v15, v15
	v_sub_u32_e32 v16, 32, v65
	v_ldexp_f32 v65, v15, v16
                                        ; implicit-def: $vgpr15_vgpr16
.LBB166_2752:                           ;   in Loop: Header=BB166_17 Depth=1
	s_andn2_saveexec_b64 s[50:51], s[50:51]
	s_cbranch_execz .LBB166_2754
; %bb.2753:                             ;   in Loop: Header=BB166_17 Depth=1
	flat_load_dword v15, v[15:16]
	s_waitcnt vmcnt(0) lgkmcnt(0)
	v_cvt_f32_i32_e32 v65, v15
.LBB166_2754:                           ;   in Loop: Header=BB166_17 Depth=1
	s_or_b64 exec, exec, s[50:51]
                                        ; implicit-def: $vgpr15_vgpr16
.LBB166_2755:                           ;   in Loop: Header=BB166_17 Depth=1
	s_andn2_saveexec_b64 s[48:49], s[48:49]
	s_cbranch_execz .LBB166_2757
; %bb.2756:                             ;   in Loop: Header=BB166_17 Depth=1
	flat_load_sshort v15, v[15:16]
	s_waitcnt vmcnt(0) lgkmcnt(0)
	v_cvt_f32_i32_e32 v65, v15
.LBB166_2757:                           ;   in Loop: Header=BB166_17 Depth=1
	s_or_b64 exec, exec, s[48:49]
                                        ; implicit-def: $vgpr15_vgpr16
.LBB166_2758:                           ;   in Loop: Header=BB166_17 Depth=1
	s_andn2_saveexec_b64 s[38:39], s[38:39]
	s_cbranch_execz .LBB166_2764
; %bb.2759:                             ;   in Loop: Header=BB166_17 Depth=1
	v_cmp_gt_i16_sdwa s[48:49], v10, v18 src0_sel:BYTE_0 src1_sel:DWORD
                                        ; implicit-def: $vgpr65
	s_and_saveexec_b64 s[50:51], s[48:49]
	s_xor_b64 s[48:49], exec, s[50:51]
	s_cbranch_execz .LBB166_2761
; %bb.2760:                             ;   in Loop: Header=BB166_17 Depth=1
	flat_load_sbyte v15, v[15:16]
	s_waitcnt vmcnt(0) lgkmcnt(0)
	v_cvt_f32_i32_e32 v65, v15
                                        ; implicit-def: $vgpr15_vgpr16
.LBB166_2761:                           ;   in Loop: Header=BB166_17 Depth=1
	s_andn2_saveexec_b64 s[48:49], s[48:49]
	s_cbranch_execz .LBB166_2763
; %bb.2762:                             ;   in Loop: Header=BB166_17 Depth=1
	flat_load_ubyte v15, v[15:16]
	s_waitcnt vmcnt(0) lgkmcnt(0)
	v_cvt_f32_ubyte0_e32 v65, v15
.LBB166_2763:                           ;   in Loop: Header=BB166_17 Depth=1
	s_or_b64 exec, exec, s[48:49]
.LBB166_2764:                           ;   in Loop: Header=BB166_17 Depth=1
	s_or_b64 exec, exec, s[38:39]
.LBB166_2765:                           ;   in Loop: Header=BB166_17 Depth=1
	s_or_b64 exec, exec, vcc
	s_or_b64 s[94:95], s[94:95], exec
	s_or_b64 exec, exec, s[92:93]
	s_mov_b64 vcc, 0
	s_and_saveexec_b64 s[92:93], s[94:95]
	s_cbranch_execnz .LBB166_1012
	s_branch .LBB166_1013
.LBB166_2766:                           ;   in Loop: Header=BB166_17 Depth=1
	s_movk_i32 s72, 0x80
	v_cmp_eq_u16_e32 vcc, s72, v15
	s_mov_b64 s[72:73], -1
	s_and_saveexec_b64 s[76:77], vcc
; %bb.2767:                             ;   in Loop: Header=BB166_17 Depth=1
	s_xor_b64 s[72:73], exec, -1
; %bb.2768:                             ;   in Loop: Header=BB166_17 Depth=1
	s_or_b64 exec, exec, s[76:77]
	s_and_b64 s[72:73], s[72:73], exec
	s_or_saveexec_b64 s[74:75], s[74:75]
	v_mov_b32_e32 v65, 0x7f800001
	s_xor_b64 exec, exec, s[74:75]
	s_cbranch_execz .LBB166_2136
.LBB166_2769:                           ;   in Loop: Header=BB166_17 Depth=1
	v_cmp_ne_u16_e32 vcc, 0, v15
	s_andn2_b64 s[72:73], s[72:73], exec
	s_and_b64 s[76:77], vcc, exec
	v_mov_b32_e32 v65, 0
	s_or_b64 s[72:73], s[72:73], s[76:77]
	s_or_b64 exec, exec, s[74:75]
	s_and_saveexec_b64 s[74:75], s[72:73]
	s_cbranch_execnz .LBB166_2137
	s_branch .LBB166_2138
.LBB166_2770:                           ;   in Loop: Header=BB166_17 Depth=1
	s_movk_i32 s76, 0x80
	v_cmp_eq_u16_e32 vcc, s76, v15
	s_mov_b64 s[76:77], -1
	s_and_saveexec_b64 s[88:89], vcc
; %bb.2771:                             ;   in Loop: Header=BB166_17 Depth=1
	s_xor_b64 s[76:77], exec, -1
; %bb.2772:                             ;   in Loop: Header=BB166_17 Depth=1
	s_or_b64 exec, exec, s[88:89]
	s_and_b64 s[76:77], s[76:77], exec
	s_or_saveexec_b64 s[78:79], s[78:79]
	v_mov_b32_e32 v65, 0x7f800001
	s_xor_b64 exec, exec, s[78:79]
	s_cbranch_execz .LBB166_2233
.LBB166_2773:                           ;   in Loop: Header=BB166_17 Depth=1
	v_cmp_ne_u16_e32 vcc, 0, v15
	s_andn2_b64 s[76:77], s[76:77], exec
	s_and_b64 s[88:89], vcc, exec
	v_mov_b32_e32 v65, 0
	s_or_b64 s[76:77], s[76:77], s[88:89]
	s_or_b64 exec, exec, s[78:79]
	s_and_saveexec_b64 s[78:79], s[76:77]
	s_cbranch_execnz .LBB166_2234
	s_branch .LBB166_2235
.LBB166_2774:                           ;   in Loop: Header=BB166_17 Depth=1
	s_movk_i32 s90, 0x80
	v_cmp_eq_u16_e32 vcc, s90, v15
	s_mov_b64 s[90:91], -1
	s_and_saveexec_b64 s[94:95], vcc
; %bb.2775:                             ;   in Loop: Header=BB166_17 Depth=1
	s_xor_b64 s[90:91], exec, -1
; %bb.2776:                             ;   in Loop: Header=BB166_17 Depth=1
	s_or_b64 exec, exec, s[94:95]
	s_and_b64 s[90:91], s[90:91], exec
	s_or_saveexec_b64 s[92:93], s[92:93]
	v_mov_b32_e32 v66, 0x7f800001
	s_xor_b64 exec, exec, s[92:93]
	s_cbranch_execz .LBB166_612
.LBB166_2777:                           ;   in Loop: Header=BB166_17 Depth=1
	v_cmp_ne_u16_e32 vcc, 0, v15
	s_andn2_b64 s[90:91], s[90:91], exec
	s_and_b64 s[94:95], vcc, exec
	v_mov_b32_e32 v66, 0
	s_or_b64 s[90:91], s[90:91], s[94:95]
	s_or_b64 exec, exec, s[92:93]
	s_and_saveexec_b64 s[92:93], s[90:91]
	s_cbranch_execnz .LBB166_613
	s_branch .LBB166_614
.LBB166_2778:                           ;   in Loop: Header=BB166_17 Depth=1
	s_movk_i32 s94, 0x80
	v_cmp_eq_u16_e32 vcc, s94, v15
	s_mov_b64 s[94:95], -1
	s_and_saveexec_b64 s[34:35], vcc
; %bb.2779:                             ;   in Loop: Header=BB166_17 Depth=1
	s_xor_b64 s[94:95], exec, -1
; %bb.2780:                             ;   in Loop: Header=BB166_17 Depth=1
	s_or_b64 exec, exec, s[34:35]
	s_and_b64 s[94:95], s[94:95], exec
	s_or_saveexec_b64 s[30:31], s[30:31]
	v_mov_b32_e32 v66, 0x7f800001
	s_xor_b64 exec, exec, s[30:31]
	s_cbranch_execz .LBB166_712
.LBB166_2781:                           ;   in Loop: Header=BB166_17 Depth=1
	v_cmp_ne_u16_e32 vcc, 0, v15
	s_andn2_b64 s[94:95], s[94:95], exec
	s_and_b64 vcc, vcc, exec
	v_mov_b32_e32 v66, 0
	s_or_b64 s[94:95], s[94:95], vcc
	s_or_b64 exec, exec, s[30:31]
	s_and_saveexec_b64 s[30:31], s[94:95]
	s_cbranch_execnz .LBB166_713
	s_branch .LBB166_714
.LBB166_2782:                           ;   in Loop: Header=BB166_17 Depth=1
	v_cmp_gt_i16_sdwa vcc, v10, v20 src0_sel:BYTE_0 src1_sel:DWORD
                                        ; implicit-def: $vgpr65
	s_and_saveexec_b64 s[36:37], vcc
	s_xor_b64 s[36:37], exec, s[36:37]
	s_cbranch_execz .LBB166_2814
; %bb.2783:                             ;   in Loop: Header=BB166_17 Depth=1
	v_cmp_gt_i16_sdwa vcc, v10, v21 src0_sel:BYTE_0 src1_sel:DWORD
                                        ; implicit-def: $vgpr65
	s_and_saveexec_b64 s[54:55], vcc
	s_xor_b64 s[54:55], exec, s[54:55]
	s_cbranch_execz .LBB166_2799
; %bb.2784:                             ;   in Loop: Header=BB166_17 Depth=1
	v_cmp_gt_i16_sdwa s[52:53], v10, v22 src0_sel:BYTE_0 src1_sel:DWORD
	s_mov_b64 vcc, 0
                                        ; implicit-def: $vgpr65
	s_and_saveexec_b64 s[64:65], s[52:53]
	s_xor_b64 s[52:53], exec, s[64:65]
	s_cbranch_execz .LBB166_2794
; %bb.2785:                             ;   in Loop: Header=BB166_17 Depth=1
	v_cmp_gt_i16_sdwa vcc, v10, v23 src0_sel:BYTE_0 src1_sel:DWORD
	s_mov_b64 s[64:65], 0
                                        ; implicit-def: $vgpr65
	s_and_saveexec_b64 s[66:67], vcc
	s_xor_b64 vcc, exec, s[66:67]
	s_cbranch_execz .LBB166_2789
; %bb.2786:                             ;   in Loop: Header=BB166_17 Depth=1
	v_cmp_eq_u16_sdwa s[68:69], v10, v24 src0_sel:BYTE_0 src1_sel:DWORD
                                        ; implicit-def: $vgpr65
	s_and_saveexec_b64 s[66:67], s[68:69]
	s_cbranch_execz .LBB166_2788
; %bb.2787:                             ;   in Loop: Header=BB166_17 Depth=1
	flat_load_dword v15, v[15:16]
	s_mov_b64 s[64:65], exec
	s_waitcnt vmcnt(0) lgkmcnt(0)
	v_lshlrev_b32_e32 v65, 16, v15
.LBB166_2788:                           ;   in Loop: Header=BB166_17 Depth=1
	s_or_b64 exec, exec, s[66:67]
	s_and_b64 s[64:65], s[64:65], exec
                                        ; implicit-def: $vgpr15_vgpr16
.LBB166_2789:                           ;   in Loop: Header=BB166_17 Depth=1
	s_andn2_saveexec_b64 s[66:67], vcc
	s_cbranch_execz .LBB166_2793
; %bb.2790:                             ;   in Loop: Header=BB166_17 Depth=1
	v_cmp_eq_u16_sdwa s[70:71], v10, v25 src0_sel:BYTE_0 src1_sel:DWORD
	s_mov_b64 vcc, s[64:65]
                                        ; implicit-def: $vgpr65
	s_and_saveexec_b64 s[68:69], s[70:71]
	s_cbranch_execz .LBB166_2792
; %bb.2791:                             ;   in Loop: Header=BB166_17 Depth=1
	flat_load_ubyte v15, v[15:16]
	s_movk_i32 vcc_lo, 0xff
	s_waitcnt vmcnt(0) lgkmcnt(0)
	v_lshlrev_b32_e32 v16, 23, v15
	v_cmp_ne_u32_e32 vcc, vcc_lo, v15
	v_cndmask_b32_e32 v16, v26, v16, vcc
	v_cmp_ne_u32_e32 vcc, 0, v15
	v_cndmask_b32_e32 v65, v27, v16, vcc
	s_or_b64 vcc, s[64:65], exec
.LBB166_2792:                           ;   in Loop: Header=BB166_17 Depth=1
	s_or_b64 exec, exec, s[68:69]
	s_andn2_b64 s[64:65], s[64:65], exec
	s_and_b64 vcc, vcc, exec
	s_or_b64 s[64:65], s[64:65], vcc
.LBB166_2793:                           ;   in Loop: Header=BB166_17 Depth=1
	s_or_b64 exec, exec, s[66:67]
	s_and_b64 vcc, s[64:65], exec
                                        ; implicit-def: $vgpr15_vgpr16
.LBB166_2794:                           ;   in Loop: Header=BB166_17 Depth=1
	s_andn2_saveexec_b64 s[52:53], s[52:53]
	s_cbranch_execz .LBB166_2798
; %bb.2795:                             ;   in Loop: Header=BB166_17 Depth=1
	v_cmp_eq_u16_sdwa s[68:69], v10, v28 src0_sel:BYTE_0 src1_sel:DWORD
	s_mov_b64 s[66:67], vcc
                                        ; implicit-def: $vgpr65
	s_and_saveexec_b64 s[64:65], s[68:69]
	s_cbranch_execz .LBB166_2797
; %bb.2796:                             ;   in Loop: Header=BB166_17 Depth=1
	flat_load_dwordx2 v[15:16], v[15:16]
	s_or_b64 s[66:67], vcc, exec
	s_waitcnt vmcnt(0) lgkmcnt(0)
	v_ffbh_u32_e32 v65, v16
	v_min_u32_e32 v65, 32, v65
	v_lshlrev_b64 v[15:16], v65, v[15:16]
	v_min_u32_e32 v15, 1, v15
	v_or_b32_e32 v15, v16, v15
	v_cvt_f32_u32_e32 v15, v15
	v_sub_u32_e32 v16, 32, v65
	v_ldexp_f32 v65, v15, v16
.LBB166_2797:                           ;   in Loop: Header=BB166_17 Depth=1
	s_or_b64 exec, exec, s[64:65]
	s_andn2_b64 vcc, vcc, exec
	s_and_b64 s[64:65], s[66:67], exec
	s_or_b64 vcc, vcc, s[64:65]
.LBB166_2798:                           ;   in Loop: Header=BB166_17 Depth=1
	s_or_b64 exec, exec, s[52:53]
	s_and_b64 s[52:53], vcc, exec
                                        ; implicit-def: $vgpr15_vgpr16
.LBB166_2799:                           ;   in Loop: Header=BB166_17 Depth=1
	s_andn2_saveexec_b64 s[54:55], s[54:55]
	s_cbranch_execz .LBB166_2813
; %bb.2800:                             ;   in Loop: Header=BB166_17 Depth=1
	v_cmp_gt_i16_sdwa vcc, v10, v29 src0_sel:BYTE_0 src1_sel:DWORD
                                        ; implicit-def: $vgpr65
	s_and_saveexec_b64 s[64:65], vcc
	s_xor_b64 vcc, exec, s[64:65]
	s_cbranch_execz .LBB166_2806
; %bb.2801:                             ;   in Loop: Header=BB166_17 Depth=1
	v_cmp_gt_i16_sdwa s[64:65], v10, v30 src0_sel:BYTE_0 src1_sel:DWORD
                                        ; implicit-def: $vgpr65
	s_and_saveexec_b64 s[66:67], s[64:65]
	s_xor_b64 s[64:65], exec, s[66:67]
	s_cbranch_execz .LBB166_2803
; %bb.2802:                             ;   in Loop: Header=BB166_17 Depth=1
	flat_load_dword v15, v[15:16]
	s_waitcnt vmcnt(0) lgkmcnt(0)
	v_cvt_f32_u32_e32 v65, v15
                                        ; implicit-def: $vgpr15_vgpr16
.LBB166_2803:                           ;   in Loop: Header=BB166_17 Depth=1
	s_andn2_saveexec_b64 s[64:65], s[64:65]
	s_cbranch_execz .LBB166_2805
; %bb.2804:                             ;   in Loop: Header=BB166_17 Depth=1
	flat_load_ushort v15, v[15:16]
	s_waitcnt vmcnt(0) lgkmcnt(0)
	v_cvt_f32_u32_e32 v65, v15
.LBB166_2805:                           ;   in Loop: Header=BB166_17 Depth=1
	s_or_b64 exec, exec, s[64:65]
                                        ; implicit-def: $vgpr15_vgpr16
.LBB166_2806:                           ;   in Loop: Header=BB166_17 Depth=1
	s_andn2_saveexec_b64 s[64:65], vcc
	s_cbranch_execz .LBB166_2812
; %bb.2807:                             ;   in Loop: Header=BB166_17 Depth=1
	flat_load_ubyte v15, v[15:16]
	s_movk_i32 vcc_lo, 0x7f
	s_mov_b64 s[66:67], 0
	s_waitcnt vmcnt(0) lgkmcnt(0)
	v_cmp_lt_i16_e32 vcc, vcc_lo, v15
	s_and_saveexec_b64 s[68:69], vcc
	s_xor_b64 s[68:69], exec, s[68:69]
	s_cbranch_execnz .LBB166_3350
; %bb.2808:                             ;   in Loop: Header=BB166_17 Depth=1
	s_or_saveexec_b64 s[68:69], s[68:69]
	v_mov_b32_e32 v65, 0x7f800001
	s_xor_b64 exec, exec, s[68:69]
	s_cbranch_execnz .LBB166_3353
.LBB166_2809:                           ;   in Loop: Header=BB166_17 Depth=1
	s_or_b64 exec, exec, s[68:69]
	s_and_saveexec_b64 s[68:69], s[66:67]
	s_cbranch_execz .LBB166_2811
.LBB166_2810:                           ;   in Loop: Header=BB166_17 Depth=1
	v_lshlrev_b32_e32 v16, 24, v15
	v_and_b32_e32 v15, 0xffff, v15
	v_and_b32_e32 v65, 7, v15
	v_ffbh_u32_e32 v67, v65
	v_min_u32_e32 v67, 32, v67
	v_subrev_u32_e32 v68, 28, v67
	v_bfe_u32 v66, v15, 3, 4
	v_lshlrev_b32_e32 v15, v68, v15
	v_sub_u32_e32 v67, 29, v67
	v_and_b32_e32 v15, 7, v15
	v_cmp_eq_u32_e32 vcc, 0, v66
	v_cndmask_b32_e32 v66, v66, v67, vcc
	v_cndmask_b32_e32 v15, v65, v15, vcc
	v_lshlrev_b32_e32 v15, 20, v15
	v_and_b32_e32 v16, 0x80000000, v16
	v_lshl_add_u32 v65, v66, 23, v31
	v_or3_b32 v65, v16, v65, v15
.LBB166_2811:                           ;   in Loop: Header=BB166_17 Depth=1
	s_or_b64 exec, exec, s[68:69]
.LBB166_2812:                           ;   in Loop: Header=BB166_17 Depth=1
	s_or_b64 exec, exec, s[64:65]
	s_or_b64 s[52:53], s[52:53], exec
.LBB166_2813:                           ;   in Loop: Header=BB166_17 Depth=1
	s_or_b64 exec, exec, s[54:55]
	s_and_b64 s[52:53], s[52:53], exec
                                        ; implicit-def: $vgpr15_vgpr16
.LBB166_2814:                           ;   in Loop: Header=BB166_17 Depth=1
	s_andn2_saveexec_b64 s[36:37], s[36:37]
	s_cbranch_execz .LBB166_2840
; %bb.2815:                             ;   in Loop: Header=BB166_17 Depth=1
	v_cmp_gt_i16_sdwa vcc, v10, v32 src0_sel:BYTE_0 src1_sel:DWORD
	s_mov_b64 s[64:65], s[52:53]
                                        ; implicit-def: $vgpr65
	s_and_saveexec_b64 s[54:55], vcc
	s_xor_b64 s[54:55], exec, s[54:55]
	s_cbranch_execz .LBB166_2829
; %bb.2816:                             ;   in Loop: Header=BB166_17 Depth=1
	v_cmp_gt_i16_sdwa vcc, v10, v33 src0_sel:BYTE_0 src1_sel:DWORD
                                        ; implicit-def: $vgpr65
	s_and_saveexec_b64 s[64:65], vcc
	s_xor_b64 s[64:65], exec, s[64:65]
	s_cbranch_execz .LBB166_2826
; %bb.2817:                             ;   in Loop: Header=BB166_17 Depth=1
	v_cmp_gt_i16_sdwa vcc, v10, v34 src0_sel:BYTE_0 src1_sel:DWORD
                                        ; implicit-def: $vgpr65
	s_and_saveexec_b64 s[66:67], vcc
	s_xor_b64 s[66:67], exec, s[66:67]
	s_cbranch_execz .LBB166_2823
; %bb.2818:                             ;   in Loop: Header=BB166_17 Depth=1
	flat_load_ubyte v15, v[15:16]
	s_movk_i32 vcc_lo, 0x7f
	s_mov_b64 s[68:69], 0
	s_waitcnt vmcnt(0) lgkmcnt(0)
	v_cmp_lt_i16_e32 vcc, vcc_lo, v15
	s_and_saveexec_b64 s[70:71], vcc
	s_xor_b64 s[70:71], exec, s[70:71]
	s_cbranch_execnz .LBB166_3462
; %bb.2819:                             ;   in Loop: Header=BB166_17 Depth=1
	s_or_saveexec_b64 s[70:71], s[70:71]
	v_mov_b32_e32 v65, 0x7f800001
	s_xor_b64 exec, exec, s[70:71]
	s_cbranch_execnz .LBB166_3465
.LBB166_2820:                           ;   in Loop: Header=BB166_17 Depth=1
	s_or_b64 exec, exec, s[70:71]
	s_and_saveexec_b64 s[70:71], s[68:69]
	s_cbranch_execz .LBB166_2822
.LBB166_2821:                           ;   in Loop: Header=BB166_17 Depth=1
	v_lshlrev_b32_e32 v16, 24, v15
	v_and_b32_e32 v15, 0xffff, v15
	v_and_b32_e32 v65, 3, v15
	v_ffbh_u32_e32 v67, v65
	v_min_u32_e32 v67, 32, v67
	v_subrev_u32_e32 v68, 29, v67
	v_bfe_u32 v66, v15, 2, 5
	v_lshlrev_b32_e32 v15, v68, v15
	v_sub_u32_e32 v67, 30, v67
	v_and_b32_e32 v15, 3, v15
	v_cmp_eq_u32_e32 vcc, 0, v66
	v_cndmask_b32_e32 v66, v66, v67, vcc
	v_cndmask_b32_e32 v15, v65, v15, vcc
	v_lshlrev_b32_e32 v15, 21, v15
	v_and_b32_e32 v16, 0x80000000, v16
	v_lshl_add_u32 v65, v66, 23, v35
	v_or3_b32 v65, v16, v65, v15
.LBB166_2822:                           ;   in Loop: Header=BB166_17 Depth=1
	s_or_b64 exec, exec, s[70:71]
                                        ; implicit-def: $vgpr15_vgpr16
.LBB166_2823:                           ;   in Loop: Header=BB166_17 Depth=1
	s_andn2_saveexec_b64 s[66:67], s[66:67]
	s_cbranch_execz .LBB166_2825
; %bb.2824:                             ;   in Loop: Header=BB166_17 Depth=1
	flat_load_ubyte v15, v[15:16]
	s_mov_b32 vcc_lo, 0x7f800000
	s_waitcnt vmcnt(0) lgkmcnt(0)
	v_lshlrev_b32_e32 v15, 24, v15
	v_and_b32_e32 v16, 0x7f000000, v15
	v_ffbh_u32_e32 v65, v16
	v_min_u32_e32 v65, 32, v65
	v_sub_u32_e64 v65, v65, 4 clamp
	v_lshlrev_b32_e32 v67, v65, v16
	v_lshlrev_b32_e32 v65, 23, v65
	v_lshrrev_b32_e32 v67, 4, v67
	v_add_u32_e32 v66, 0x1000000, v16
	v_sub_u32_e32 v65, v67, v65
	v_ashrrev_i32_e32 v66, 8, v66
	v_add_u32_e32 v65, 0x3c000000, v65
	v_and_or_b32 v65, v66, vcc_lo, v65
	v_cmp_ne_u32_e32 vcc, 0, v16
	v_cndmask_b32_e32 v16, 0, v65, vcc
	s_brev_b32 vcc_lo, 1
	v_and_or_b32 v65, v15, vcc_lo, v16
.LBB166_2825:                           ;   in Loop: Header=BB166_17 Depth=1
	s_or_b64 exec, exec, s[66:67]
                                        ; implicit-def: $vgpr15_vgpr16
.LBB166_2826:                           ;   in Loop: Header=BB166_17 Depth=1
	s_andn2_saveexec_b64 s[64:65], s[64:65]
	s_cbranch_execz .LBB166_2828
; %bb.2827:                             ;   in Loop: Header=BB166_17 Depth=1
	flat_load_ubyte v15, v[15:16]
	s_movk_i32 vcc_lo, 0x7f00
	s_waitcnt vmcnt(0) lgkmcnt(0)
	v_lshlrev_b16_e32 v16, 8, v15
	v_lshlrev_b32_e32 v15, 25, v15
	v_lshrrev_b32_e32 v65, 4, v15
	v_and_or_b32 v66, v16, vcc_lo, 0.5
	v_or_b32_e32 v65, 0x70000000, v65
	s_brev_b32 vcc_lo, 16
	v_add_f32_e32 v66, -0.5, v66
	v_mul_f32_e32 v65, 0x7800000, v65
	v_cmp_gt_u32_e32 vcc, vcc_lo, v15
	v_cndmask_b32_e32 v15, v65, v66, vcc
	v_bfe_i32 v16, v16, 0, 16
	s_brev_b32 vcc_lo, 1
	v_and_or_b32 v65, v16, vcc_lo, v15
.LBB166_2828:                           ;   in Loop: Header=BB166_17 Depth=1
	s_or_b64 exec, exec, s[64:65]
	s_or_b64 s[64:65], s[52:53], exec
                                        ; implicit-def: $vgpr15_vgpr16
.LBB166_2829:                           ;   in Loop: Header=BB166_17 Depth=1
	s_andn2_saveexec_b64 s[54:55], s[54:55]
	s_cbranch_execz .LBB166_2839
; %bb.2830:                             ;   in Loop: Header=BB166_17 Depth=1
	v_cmp_gt_i16_sdwa vcc, v10, v36 src0_sel:BYTE_0 src1_sel:DWORD
	s_mov_b64 s[66:67], s[64:65]
                                        ; implicit-def: $vgpr65
	s_and_saveexec_b64 s[68:69], vcc
	s_xor_b64 vcc, exec, s[68:69]
	s_cbranch_execz .LBB166_2834
; %bb.2831:                             ;   in Loop: Header=BB166_17 Depth=1
	v_cmp_eq_u16_sdwa s[70:71], v10, v37 src0_sel:BYTE_0 src1_sel:DWORD
	s_mov_b64 s[66:67], s[64:65]
                                        ; implicit-def: $vgpr65
	s_and_saveexec_b64 s[68:69], s[70:71]
	s_cbranch_execz .LBB166_2833
; %bb.2832:                             ;   in Loop: Header=BB166_17 Depth=1
	flat_load_ushort v15, v[15:16]
	s_or_b64 s[66:67], s[64:65], exec
	s_waitcnt vmcnt(0) lgkmcnt(0)
	v_lshlrev_b32_e32 v65, 16, v15
.LBB166_2833:                           ;   in Loop: Header=BB166_17 Depth=1
	s_or_b64 exec, exec, s[68:69]
	s_andn2_b64 s[68:69], s[64:65], exec
	s_and_b64 s[66:67], s[66:67], exec
	s_or_b64 s[66:67], s[68:69], s[66:67]
                                        ; implicit-def: $vgpr15_vgpr16
.LBB166_2834:                           ;   in Loop: Header=BB166_17 Depth=1
	s_andn2_saveexec_b64 s[68:69], vcc
	s_cbranch_execz .LBB166_2838
; %bb.2835:                             ;   in Loop: Header=BB166_17 Depth=1
	v_cmp_eq_u16_sdwa s[80:81], v10, v38 src0_sel:BYTE_0 src1_sel:DWORD
	s_mov_b64 vcc, s[66:67]
                                        ; implicit-def: $vgpr65
	s_and_saveexec_b64 s[70:71], s[80:81]
	s_cbranch_execz .LBB166_2837
; %bb.2836:                             ;   in Loop: Header=BB166_17 Depth=1
	flat_load_ubyte v15, v[15:16]
	s_waitcnt vmcnt(0) lgkmcnt(0)
	v_cmp_ne_u16_e32 vcc, 0, v15
	v_cndmask_b32_e64 v65, 0, 1.0, vcc
	s_or_b64 vcc, s[66:67], exec
.LBB166_2837:                           ;   in Loop: Header=BB166_17 Depth=1
	s_or_b64 exec, exec, s[70:71]
	s_andn2_b64 s[66:67], s[66:67], exec
	s_and_b64 vcc, vcc, exec
	s_or_b64 s[66:67], s[66:67], vcc
.LBB166_2838:                           ;   in Loop: Header=BB166_17 Depth=1
	s_or_b64 exec, exec, s[68:69]
	s_andn2_b64 vcc, s[64:65], exec
	s_and_b64 s[64:65], s[66:67], exec
	s_or_b64 s[64:65], vcc, s[64:65]
.LBB166_2839:                           ;   in Loop: Header=BB166_17 Depth=1
	s_or_b64 exec, exec, s[54:55]
	s_andn2_b64 vcc, s[52:53], exec
	s_and_b64 s[52:53], s[64:65], exec
	s_or_b64 s[52:53], vcc, s[52:53]
.LBB166_2840:                           ;   in Loop: Header=BB166_17 Depth=1
	s_or_b64 exec, exec, s[36:37]
	s_and_b64 vcc, s[52:53], exec
                                        ; implicit-def: $vgpr15_vgpr16
	s_andn2_saveexec_b64 s[34:35], s[34:35]
	s_cbranch_execz .LBB166_1122
.LBB166_2841:                           ;   in Loop: Header=BB166_17 Depth=1
	v_cmp_gt_i16_sdwa s[36:37], v10, v39 src0_sel:BYTE_0 src1_sel:DWORD
                                        ; implicit-def: $vgpr65
	s_and_saveexec_b64 s[52:53], s[36:37]
	s_xor_b64 s[36:37], exec, s[52:53]
	s_cbranch_execz .LBB166_2863
; %bb.2842:                             ;   in Loop: Header=BB166_17 Depth=1
	v_cmp_gt_i16_sdwa s[52:53], v10, v48 src0_sel:BYTE_0 src1_sel:DWORD
                                        ; implicit-def: $vgpr65
	s_and_saveexec_b64 s[54:55], s[52:53]
	s_xor_b64 s[52:53], exec, s[54:55]
	s_cbranch_execz .LBB166_2852
; %bb.2843:                             ;   in Loop: Header=BB166_17 Depth=1
	;; [unrolled: 6-line block ×4, first 2 shown]
	flat_load_dwordx2 v[15:16], v[15:16]
	s_waitcnt vmcnt(0) lgkmcnt(0)
	v_cvt_f32_f64_e32 v65, v[15:16]
                                        ; implicit-def: $vgpr15_vgpr16
.LBB166_2846:                           ;   in Loop: Header=BB166_17 Depth=1
	s_andn2_saveexec_b64 s[64:65], s[64:65]
	s_cbranch_execz .LBB166_2848
; %bb.2847:                             ;   in Loop: Header=BB166_17 Depth=1
	flat_load_dword v65, v[15:16]
.LBB166_2848:                           ;   in Loop: Header=BB166_17 Depth=1
	s_or_b64 exec, exec, s[64:65]
                                        ; implicit-def: $vgpr15_vgpr16
.LBB166_2849:                           ;   in Loop: Header=BB166_17 Depth=1
	s_andn2_saveexec_b64 s[54:55], s[54:55]
	s_cbranch_execz .LBB166_2851
; %bb.2850:                             ;   in Loop: Header=BB166_17 Depth=1
	flat_load_dword v15, v[15:16]
	s_waitcnt vmcnt(0) lgkmcnt(0)
	v_cvt_f32_f16_e32 v65, v15
.LBB166_2851:                           ;   in Loop: Header=BB166_17 Depth=1
	s_or_b64 exec, exec, s[54:55]
                                        ; implicit-def: $vgpr15_vgpr16
.LBB166_2852:                           ;   in Loop: Header=BB166_17 Depth=1
	s_andn2_saveexec_b64 s[52:53], s[52:53]
	s_cbranch_execz .LBB166_2862
; %bb.2853:                             ;   in Loop: Header=BB166_17 Depth=1
	v_cmp_gt_i16_sdwa s[54:55], v10, v51 src0_sel:BYTE_0 src1_sel:DWORD
                                        ; implicit-def: $vgpr65
	s_and_saveexec_b64 s[64:65], s[54:55]
	s_xor_b64 s[54:55], exec, s[64:65]
	s_cbranch_execz .LBB166_2859
; %bb.2854:                             ;   in Loop: Header=BB166_17 Depth=1
	v_cmp_gt_i16_sdwa s[64:65], v10, v52 src0_sel:BYTE_0 src1_sel:DWORD
                                        ; implicit-def: $vgpr65
	s_and_saveexec_b64 s[66:67], s[64:65]
	s_xor_b64 s[64:65], exec, s[66:67]
	s_cbranch_execz .LBB166_2856
; %bb.2855:                             ;   in Loop: Header=BB166_17 Depth=1
	flat_load_dwordx2 v[15:16], v[15:16]
	s_waitcnt vmcnt(0) lgkmcnt(0)
	v_cvt_f32_f64_e32 v65, v[15:16]
                                        ; implicit-def: $vgpr15_vgpr16
.LBB166_2856:                           ;   in Loop: Header=BB166_17 Depth=1
	s_andn2_saveexec_b64 s[64:65], s[64:65]
	s_cbranch_execz .LBB166_2858
; %bb.2857:                             ;   in Loop: Header=BB166_17 Depth=1
	s_waitcnt vmcnt(0) lgkmcnt(0)
	flat_load_dword v65, v[15:16]
.LBB166_2858:                           ;   in Loop: Header=BB166_17 Depth=1
	s_or_b64 exec, exec, s[64:65]
                                        ; implicit-def: $vgpr15_vgpr16
.LBB166_2859:                           ;   in Loop: Header=BB166_17 Depth=1
	s_andn2_saveexec_b64 s[54:55], s[54:55]
	s_cbranch_execz .LBB166_2861
; %bb.2860:                             ;   in Loop: Header=BB166_17 Depth=1
	flat_load_ushort v15, v[15:16]
	s_waitcnt vmcnt(0) lgkmcnt(0)
	v_cvt_f32_f16_e32 v65, v15
.LBB166_2861:                           ;   in Loop: Header=BB166_17 Depth=1
	s_or_b64 exec, exec, s[54:55]
.LBB166_2862:                           ;   in Loop: Header=BB166_17 Depth=1
	s_or_b64 exec, exec, s[52:53]
                                        ; implicit-def: $vgpr15_vgpr16
.LBB166_2863:                           ;   in Loop: Header=BB166_17 Depth=1
	s_andn2_saveexec_b64 s[36:37], s[36:37]
	s_cbranch_execz .LBB166_2881
; %bb.2864:                             ;   in Loop: Header=BB166_17 Depth=1
	v_cmp_gt_i16_sdwa s[52:53], v10, v53 src0_sel:BYTE_0 src1_sel:DWORD
                                        ; implicit-def: $vgpr65
	s_and_saveexec_b64 s[54:55], s[52:53]
	s_xor_b64 s[52:53], exec, s[54:55]
	s_cbranch_execz .LBB166_2874
; %bb.2865:                             ;   in Loop: Header=BB166_17 Depth=1
	v_cmp_gt_i16_sdwa s[54:55], v10, v54 src0_sel:BYTE_0 src1_sel:DWORD
                                        ; implicit-def: $vgpr65
	s_and_saveexec_b64 s[64:65], s[54:55]
	s_xor_b64 s[54:55], exec, s[64:65]
	;; [unrolled: 6-line block ×3, first 2 shown]
	s_cbranch_execz .LBB166_2868
; %bb.2867:                             ;   in Loop: Header=BB166_17 Depth=1
	flat_load_dwordx2 v[15:16], v[15:16]
	s_waitcnt vmcnt(0) lgkmcnt(0)
	v_xor_b32_e32 v66, v15, v16
	v_ffbh_i32_e32 v65, v16
	v_ashrrev_i32_e32 v66, 31, v66
	v_add_u32_e32 v65, -1, v65
	v_add_u32_e32 v66, 32, v66
	v_min_u32_e32 v65, v65, v66
	v_lshlrev_b64 v[15:16], v65, v[15:16]
	v_min_u32_e32 v15, 1, v15
	v_or_b32_e32 v15, v16, v15
	v_cvt_f32_i32_e32 v15, v15
	v_sub_u32_e32 v16, 32, v65
	v_ldexp_f32 v65, v15, v16
                                        ; implicit-def: $vgpr15_vgpr16
.LBB166_2868:                           ;   in Loop: Header=BB166_17 Depth=1
	s_andn2_saveexec_b64 s[64:65], s[64:65]
	s_cbranch_execz .LBB166_2870
; %bb.2869:                             ;   in Loop: Header=BB166_17 Depth=1
	flat_load_dword v15, v[15:16]
	s_waitcnt vmcnt(0) lgkmcnt(0)
	v_cvt_f32_i32_e32 v65, v15
.LBB166_2870:                           ;   in Loop: Header=BB166_17 Depth=1
	s_or_b64 exec, exec, s[64:65]
                                        ; implicit-def: $vgpr15_vgpr16
.LBB166_2871:                           ;   in Loop: Header=BB166_17 Depth=1
	s_andn2_saveexec_b64 s[54:55], s[54:55]
	s_cbranch_execz .LBB166_2873
; %bb.2872:                             ;   in Loop: Header=BB166_17 Depth=1
	flat_load_sshort v15, v[15:16]
	s_waitcnt vmcnt(0) lgkmcnt(0)
	v_cvt_f32_i32_e32 v65, v15
.LBB166_2873:                           ;   in Loop: Header=BB166_17 Depth=1
	s_or_b64 exec, exec, s[54:55]
                                        ; implicit-def: $vgpr15_vgpr16
.LBB166_2874:                           ;   in Loop: Header=BB166_17 Depth=1
	s_andn2_saveexec_b64 s[52:53], s[52:53]
	s_cbranch_execz .LBB166_2880
; %bb.2875:                             ;   in Loop: Header=BB166_17 Depth=1
	v_cmp_gt_i16_sdwa s[54:55], v10, v18 src0_sel:BYTE_0 src1_sel:DWORD
                                        ; implicit-def: $vgpr65
	s_and_saveexec_b64 s[64:65], s[54:55]
	s_xor_b64 s[54:55], exec, s[64:65]
	s_cbranch_execz .LBB166_2877
; %bb.2876:                             ;   in Loop: Header=BB166_17 Depth=1
	flat_load_sbyte v15, v[15:16]
	s_waitcnt vmcnt(0) lgkmcnt(0)
	v_cvt_f32_i32_e32 v65, v15
                                        ; implicit-def: $vgpr15_vgpr16
.LBB166_2877:                           ;   in Loop: Header=BB166_17 Depth=1
	s_andn2_saveexec_b64 s[54:55], s[54:55]
	s_cbranch_execz .LBB166_2879
; %bb.2878:                             ;   in Loop: Header=BB166_17 Depth=1
	flat_load_ubyte v15, v[15:16]
	s_waitcnt vmcnt(0) lgkmcnt(0)
	v_cvt_f32_ubyte0_e32 v65, v15
.LBB166_2879:                           ;   in Loop: Header=BB166_17 Depth=1
	s_or_b64 exec, exec, s[54:55]
.LBB166_2880:                           ;   in Loop: Header=BB166_17 Depth=1
	s_or_b64 exec, exec, s[52:53]
.LBB166_2881:                           ;   in Loop: Header=BB166_17 Depth=1
	s_or_b64 exec, exec, s[36:37]
	s_or_b64 vcc, vcc, exec
	s_or_b64 exec, exec, s[34:35]
	s_mov_b64 s[52:53], 0
	s_and_saveexec_b64 s[34:35], vcc
	s_cbranch_execnz .LBB166_1123
	s_branch .LBB166_1124
.LBB166_2882:                           ;   in Loop: Header=BB166_17 Depth=1
	s_movk_i32 s78, 0x80
	v_cmp_eq_u16_e32 vcc, s78, v15
	s_mov_b64 s[78:79], -1
	s_and_saveexec_b64 s[90:91], vcc
; %bb.2883:                             ;   in Loop: Header=BB166_17 Depth=1
	s_xor_b64 s[78:79], exec, -1
; %bb.2884:                             ;   in Loop: Header=BB166_17 Depth=1
	s_or_b64 exec, exec, s[90:91]
	s_and_b64 s[78:79], s[78:79], exec
	s_or_saveexec_b64 s[88:89], s[88:89]
	v_mov_b32_e32 v65, 0x7f800001
	s_xor_b64 exec, exec, s[88:89]
	s_cbranch_execz .LBB166_2244
.LBB166_2885:                           ;   in Loop: Header=BB166_17 Depth=1
	v_cmp_ne_u16_e32 vcc, 0, v15
	s_andn2_b64 s[78:79], s[78:79], exec
	s_and_b64 s[90:91], vcc, exec
	v_mov_b32_e32 v65, 0
	s_or_b64 s[78:79], s[78:79], s[90:91]
	s_or_b64 exec, exec, s[88:89]
	s_and_saveexec_b64 s[88:89], s[78:79]
	s_cbranch_execnz .LBB166_2245
	s_branch .LBB166_2246
.LBB166_2886:                           ;   in Loop: Header=BB166_17 Depth=1
	s_movk_i32 s90, 0x80
	v_cmp_eq_u16_e32 vcc, s90, v15
	s_mov_b64 s[90:91], -1
	s_and_saveexec_b64 s[94:95], vcc
; %bb.2887:                             ;   in Loop: Header=BB166_17 Depth=1
	s_xor_b64 s[90:91], exec, -1
; %bb.2888:                             ;   in Loop: Header=BB166_17 Depth=1
	s_or_b64 exec, exec, s[94:95]
	s_and_b64 s[90:91], s[90:91], exec
	s_or_saveexec_b64 s[92:93], s[92:93]
	v_mov_b32_e32 v65, 0x7f800001
	s_xor_b64 exec, exec, s[92:93]
	s_cbranch_execz .LBB166_2345
.LBB166_2889:                           ;   in Loop: Header=BB166_17 Depth=1
	v_cmp_ne_u16_e32 vcc, 0, v15
	s_andn2_b64 s[90:91], s[90:91], exec
	s_and_b64 s[94:95], vcc, exec
	v_mov_b32_e32 v65, 0
	s_or_b64 s[90:91], s[90:91], s[94:95]
	s_or_b64 exec, exec, s[92:93]
	s_and_saveexec_b64 s[92:93], s[90:91]
	s_cbranch_execnz .LBB166_2346
	s_branch .LBB166_2347
.LBB166_2890:                           ;   in Loop: Header=BB166_17 Depth=1
	s_movk_i32 vcc_lo, 0x80
	v_cmp_eq_u16_e32 vcc, vcc_lo, v15
	s_mov_b64 s[30:31], -1
	s_and_saveexec_b64 s[36:37], vcc
; %bb.2891:                             ;   in Loop: Header=BB166_17 Depth=1
	s_xor_b64 s[30:31], exec, -1
; %bb.2892:                             ;   in Loop: Header=BB166_17 Depth=1
	s_or_b64 exec, exec, s[36:37]
	s_and_b64 s[30:31], s[30:31], exec
	s_or_saveexec_b64 s[34:35], s[34:35]
	v_mov_b32_e32 v66, 0x7f800001
	s_xor_b64 exec, exec, s[34:35]
	s_cbranch_execz .LBB166_723
.LBB166_2893:                           ;   in Loop: Header=BB166_17 Depth=1
	v_cmp_ne_u16_e32 vcc, 0, v15
	s_andn2_b64 s[30:31], s[30:31], exec
	s_and_b64 vcc, vcc, exec
	v_mov_b32_e32 v66, 0
	s_or_b64 s[30:31], s[30:31], vcc
	s_or_b64 exec, exec, s[34:35]
	s_and_saveexec_b64 s[34:35], s[30:31]
	s_cbranch_execnz .LBB166_724
	s_branch .LBB166_725
.LBB166_2894:                           ;   in Loop: Header=BB166_17 Depth=1
	s_movk_i32 vcc_lo, 0x80
	v_cmp_eq_u16_e32 vcc, vcc_lo, v15
	s_mov_b64 s[36:37], -1
	s_and_saveexec_b64 s[48:49], vcc
; %bb.2895:                             ;   in Loop: Header=BB166_17 Depth=1
	s_xor_b64 s[36:37], exec, -1
; %bb.2896:                             ;   in Loop: Header=BB166_17 Depth=1
	s_or_b64 exec, exec, s[48:49]
	s_and_b64 s[36:37], s[36:37], exec
	s_or_saveexec_b64 s[38:39], s[38:39]
	v_mov_b32_e32 v66, 0x7f800001
	s_xor_b64 exec, exec, s[38:39]
	s_cbranch_execz .LBB166_823
.LBB166_2897:                           ;   in Loop: Header=BB166_17 Depth=1
	v_cmp_ne_u16_e32 vcc, 0, v15
	s_andn2_b64 s[36:37], s[36:37], exec
	s_and_b64 vcc, vcc, exec
	v_mov_b32_e32 v66, 0
	s_or_b64 s[36:37], s[36:37], vcc
	s_or_b64 exec, exec, s[38:39]
	s_and_saveexec_b64 s[38:39], s[36:37]
	s_cbranch_execnz .LBB166_824
	s_branch .LBB166_825
.LBB166_2898:                           ;   in Loop: Header=BB166_17 Depth=1
	v_cmp_gt_i16_sdwa vcc, v10, v20 src0_sel:BYTE_0 src1_sel:DWORD
                                        ; implicit-def: $vgpr65
	s_and_saveexec_b64 s[50:51], vcc
	s_xor_b64 s[50:51], exec, s[50:51]
	s_cbranch_execz .LBB166_2930
; %bb.2899:                             ;   in Loop: Header=BB166_17 Depth=1
	v_cmp_gt_i16_sdwa vcc, v10, v21 src0_sel:BYTE_0 src1_sel:DWORD
                                        ; implicit-def: $vgpr65
	s_and_saveexec_b64 s[68:69], vcc
	s_xor_b64 s[68:69], exec, s[68:69]
	s_cbranch_execz .LBB166_2915
; %bb.2900:                             ;   in Loop: Header=BB166_17 Depth=1
	v_cmp_gt_i16_sdwa s[66:67], v10, v22 src0_sel:BYTE_0 src1_sel:DWORD
	s_mov_b64 vcc, 0
                                        ; implicit-def: $vgpr65
	s_and_saveexec_b64 s[70:71], s[66:67]
	s_xor_b64 s[66:67], exec, s[70:71]
	s_cbranch_execz .LBB166_2910
; %bb.2901:                             ;   in Loop: Header=BB166_17 Depth=1
	v_cmp_gt_i16_sdwa vcc, v10, v23 src0_sel:BYTE_0 src1_sel:DWORD
	s_mov_b64 s[70:71], 0
                                        ; implicit-def: $vgpr65
	s_and_saveexec_b64 s[80:81], vcc
	s_xor_b64 vcc, exec, s[80:81]
	s_cbranch_execz .LBB166_2905
; %bb.2902:                             ;   in Loop: Header=BB166_17 Depth=1
	v_cmp_eq_u16_sdwa s[82:83], v10, v24 src0_sel:BYTE_0 src1_sel:DWORD
                                        ; implicit-def: $vgpr65
	s_and_saveexec_b64 s[80:81], s[82:83]
	s_cbranch_execz .LBB166_2904
; %bb.2903:                             ;   in Loop: Header=BB166_17 Depth=1
	flat_load_dword v15, v[15:16]
	s_mov_b64 s[70:71], exec
	s_waitcnt vmcnt(0) lgkmcnt(0)
	v_lshlrev_b32_e32 v65, 16, v15
.LBB166_2904:                           ;   in Loop: Header=BB166_17 Depth=1
	s_or_b64 exec, exec, s[80:81]
	s_and_b64 s[70:71], s[70:71], exec
                                        ; implicit-def: $vgpr15_vgpr16
.LBB166_2905:                           ;   in Loop: Header=BB166_17 Depth=1
	s_andn2_saveexec_b64 s[80:81], vcc
	s_cbranch_execz .LBB166_2909
; %bb.2906:                             ;   in Loop: Header=BB166_17 Depth=1
	v_cmp_eq_u16_sdwa s[84:85], v10, v25 src0_sel:BYTE_0 src1_sel:DWORD
	s_mov_b64 vcc, s[70:71]
                                        ; implicit-def: $vgpr65
	s_and_saveexec_b64 s[82:83], s[84:85]
	s_cbranch_execz .LBB166_2908
; %bb.2907:                             ;   in Loop: Header=BB166_17 Depth=1
	flat_load_ubyte v15, v[15:16]
	s_movk_i32 vcc_lo, 0xff
	s_waitcnt vmcnt(0) lgkmcnt(0)
	v_lshlrev_b32_e32 v16, 23, v15
	v_cmp_ne_u32_e32 vcc, vcc_lo, v15
	v_cndmask_b32_e32 v16, v26, v16, vcc
	v_cmp_ne_u32_e32 vcc, 0, v15
	v_cndmask_b32_e32 v65, v27, v16, vcc
	s_or_b64 vcc, s[70:71], exec
.LBB166_2908:                           ;   in Loop: Header=BB166_17 Depth=1
	s_or_b64 exec, exec, s[82:83]
	s_andn2_b64 s[70:71], s[70:71], exec
	s_and_b64 vcc, vcc, exec
	s_or_b64 s[70:71], s[70:71], vcc
.LBB166_2909:                           ;   in Loop: Header=BB166_17 Depth=1
	s_or_b64 exec, exec, s[80:81]
	s_and_b64 vcc, s[70:71], exec
                                        ; implicit-def: $vgpr15_vgpr16
.LBB166_2910:                           ;   in Loop: Header=BB166_17 Depth=1
	s_andn2_saveexec_b64 s[66:67], s[66:67]
	s_cbranch_execz .LBB166_2914
; %bb.2911:                             ;   in Loop: Header=BB166_17 Depth=1
	v_cmp_eq_u16_sdwa s[82:83], v10, v28 src0_sel:BYTE_0 src1_sel:DWORD
	s_mov_b64 s[80:81], vcc
                                        ; implicit-def: $vgpr65
	s_and_saveexec_b64 s[70:71], s[82:83]
	s_cbranch_execz .LBB166_2913
; %bb.2912:                             ;   in Loop: Header=BB166_17 Depth=1
	flat_load_dwordx2 v[15:16], v[15:16]
	s_or_b64 s[80:81], vcc, exec
	s_waitcnt vmcnt(0) lgkmcnt(0)
	v_ffbh_u32_e32 v65, v16
	v_min_u32_e32 v65, 32, v65
	v_lshlrev_b64 v[15:16], v65, v[15:16]
	v_min_u32_e32 v15, 1, v15
	v_or_b32_e32 v15, v16, v15
	v_cvt_f32_u32_e32 v15, v15
	v_sub_u32_e32 v16, 32, v65
	v_ldexp_f32 v65, v15, v16
.LBB166_2913:                           ;   in Loop: Header=BB166_17 Depth=1
	s_or_b64 exec, exec, s[70:71]
	s_andn2_b64 vcc, vcc, exec
	s_and_b64 s[70:71], s[80:81], exec
	s_or_b64 vcc, vcc, s[70:71]
.LBB166_2914:                           ;   in Loop: Header=BB166_17 Depth=1
	s_or_b64 exec, exec, s[66:67]
	s_and_b64 s[66:67], vcc, exec
                                        ; implicit-def: $vgpr15_vgpr16
.LBB166_2915:                           ;   in Loop: Header=BB166_17 Depth=1
	s_andn2_saveexec_b64 s[68:69], s[68:69]
	s_cbranch_execz .LBB166_2929
; %bb.2916:                             ;   in Loop: Header=BB166_17 Depth=1
	v_cmp_gt_i16_sdwa vcc, v10, v29 src0_sel:BYTE_0 src1_sel:DWORD
                                        ; implicit-def: $vgpr65
	s_and_saveexec_b64 s[70:71], vcc
	s_xor_b64 vcc, exec, s[70:71]
	s_cbranch_execz .LBB166_2922
; %bb.2917:                             ;   in Loop: Header=BB166_17 Depth=1
	v_cmp_gt_i16_sdwa s[70:71], v10, v30 src0_sel:BYTE_0 src1_sel:DWORD
                                        ; implicit-def: $vgpr65
	s_and_saveexec_b64 s[80:81], s[70:71]
	s_xor_b64 s[70:71], exec, s[80:81]
	s_cbranch_execz .LBB166_2919
; %bb.2918:                             ;   in Loop: Header=BB166_17 Depth=1
	flat_load_dword v15, v[15:16]
	s_waitcnt vmcnt(0) lgkmcnt(0)
	v_cvt_f32_u32_e32 v65, v15
                                        ; implicit-def: $vgpr15_vgpr16
.LBB166_2919:                           ;   in Loop: Header=BB166_17 Depth=1
	s_andn2_saveexec_b64 s[70:71], s[70:71]
	s_cbranch_execz .LBB166_2921
; %bb.2920:                             ;   in Loop: Header=BB166_17 Depth=1
	flat_load_ushort v15, v[15:16]
	s_waitcnt vmcnt(0) lgkmcnt(0)
	v_cvt_f32_u32_e32 v65, v15
.LBB166_2921:                           ;   in Loop: Header=BB166_17 Depth=1
	s_or_b64 exec, exec, s[70:71]
                                        ; implicit-def: $vgpr15_vgpr16
.LBB166_2922:                           ;   in Loop: Header=BB166_17 Depth=1
	s_andn2_saveexec_b64 s[70:71], vcc
	s_cbranch_execz .LBB166_2928
; %bb.2923:                             ;   in Loop: Header=BB166_17 Depth=1
	flat_load_ubyte v15, v[15:16]
	s_movk_i32 vcc_lo, 0x7f
	s_mov_b64 s[80:81], 0
	s_waitcnt vmcnt(0) lgkmcnt(0)
	v_cmp_lt_i16_e32 vcc, vcc_lo, v15
	s_and_saveexec_b64 s[82:83], vcc
	s_xor_b64 s[82:83], exec, s[82:83]
	s_cbranch_execnz .LBB166_3466
; %bb.2924:                             ;   in Loop: Header=BB166_17 Depth=1
	s_or_saveexec_b64 s[82:83], s[82:83]
	v_mov_b32_e32 v65, 0x7f800001
	s_xor_b64 exec, exec, s[82:83]
	s_cbranch_execnz .LBB166_3469
.LBB166_2925:                           ;   in Loop: Header=BB166_17 Depth=1
	s_or_b64 exec, exec, s[82:83]
	s_and_saveexec_b64 s[82:83], s[80:81]
	s_cbranch_execz .LBB166_2927
.LBB166_2926:                           ;   in Loop: Header=BB166_17 Depth=1
	v_lshlrev_b32_e32 v16, 24, v15
	v_and_b32_e32 v15, 0xffff, v15
	v_and_b32_e32 v65, 7, v15
	v_ffbh_u32_e32 v67, v65
	v_min_u32_e32 v67, 32, v67
	v_subrev_u32_e32 v68, 28, v67
	v_bfe_u32 v66, v15, 3, 4
	v_lshlrev_b32_e32 v15, v68, v15
	v_sub_u32_e32 v67, 29, v67
	v_and_b32_e32 v15, 7, v15
	v_cmp_eq_u32_e32 vcc, 0, v66
	v_cndmask_b32_e32 v66, v66, v67, vcc
	v_cndmask_b32_e32 v15, v65, v15, vcc
	v_lshlrev_b32_e32 v15, 20, v15
	v_and_b32_e32 v16, 0x80000000, v16
	v_lshl_add_u32 v65, v66, 23, v31
	v_or3_b32 v65, v16, v65, v15
.LBB166_2927:                           ;   in Loop: Header=BB166_17 Depth=1
	s_or_b64 exec, exec, s[82:83]
.LBB166_2928:                           ;   in Loop: Header=BB166_17 Depth=1
	s_or_b64 exec, exec, s[70:71]
	s_or_b64 s[66:67], s[66:67], exec
.LBB166_2929:                           ;   in Loop: Header=BB166_17 Depth=1
	s_or_b64 exec, exec, s[68:69]
	s_and_b64 s[66:67], s[66:67], exec
                                        ; implicit-def: $vgpr15_vgpr16
.LBB166_2930:                           ;   in Loop: Header=BB166_17 Depth=1
	s_andn2_saveexec_b64 s[50:51], s[50:51]
	s_cbranch_execz .LBB166_2956
; %bb.2931:                             ;   in Loop: Header=BB166_17 Depth=1
	v_cmp_gt_i16_sdwa vcc, v10, v32 src0_sel:BYTE_0 src1_sel:DWORD
	s_mov_b64 s[70:71], s[66:67]
                                        ; implicit-def: $vgpr65
	s_and_saveexec_b64 s[68:69], vcc
	s_xor_b64 s[68:69], exec, s[68:69]
	s_cbranch_execz .LBB166_2945
; %bb.2932:                             ;   in Loop: Header=BB166_17 Depth=1
	v_cmp_gt_i16_sdwa vcc, v10, v33 src0_sel:BYTE_0 src1_sel:DWORD
                                        ; implicit-def: $vgpr65
	s_and_saveexec_b64 s[70:71], vcc
	s_xor_b64 s[70:71], exec, s[70:71]
	s_cbranch_execz .LBB166_2942
; %bb.2933:                             ;   in Loop: Header=BB166_17 Depth=1
	v_cmp_gt_i16_sdwa vcc, v10, v34 src0_sel:BYTE_0 src1_sel:DWORD
                                        ; implicit-def: $vgpr65
	s_and_saveexec_b64 s[80:81], vcc
	s_xor_b64 s[80:81], exec, s[80:81]
	s_cbranch_execz .LBB166_2939
; %bb.2934:                             ;   in Loop: Header=BB166_17 Depth=1
	flat_load_ubyte v15, v[15:16]
	s_movk_i32 vcc_lo, 0x7f
	s_mov_b64 s[82:83], 0
	s_waitcnt vmcnt(0) lgkmcnt(0)
	v_cmp_lt_i16_e32 vcc, vcc_lo, v15
	s_and_saveexec_b64 s[84:85], vcc
	s_xor_b64 s[84:85], exec, s[84:85]
	s_cbranch_execnz .LBB166_3578
; %bb.2935:                             ;   in Loop: Header=BB166_17 Depth=1
	s_or_saveexec_b64 s[84:85], s[84:85]
	v_mov_b32_e32 v65, 0x7f800001
	s_xor_b64 exec, exec, s[84:85]
	s_cbranch_execnz .LBB166_3581
.LBB166_2936:                           ;   in Loop: Header=BB166_17 Depth=1
	s_or_b64 exec, exec, s[84:85]
	s_and_saveexec_b64 s[84:85], s[82:83]
	s_cbranch_execz .LBB166_2938
.LBB166_2937:                           ;   in Loop: Header=BB166_17 Depth=1
	v_lshlrev_b32_e32 v16, 24, v15
	v_and_b32_e32 v15, 0xffff, v15
	v_and_b32_e32 v65, 3, v15
	v_ffbh_u32_e32 v67, v65
	v_min_u32_e32 v67, 32, v67
	v_subrev_u32_e32 v68, 29, v67
	v_bfe_u32 v66, v15, 2, 5
	v_lshlrev_b32_e32 v15, v68, v15
	v_sub_u32_e32 v67, 30, v67
	v_and_b32_e32 v15, 3, v15
	v_cmp_eq_u32_e32 vcc, 0, v66
	v_cndmask_b32_e32 v66, v66, v67, vcc
	v_cndmask_b32_e32 v15, v65, v15, vcc
	v_lshlrev_b32_e32 v15, 21, v15
	v_and_b32_e32 v16, 0x80000000, v16
	v_lshl_add_u32 v65, v66, 23, v35
	v_or3_b32 v65, v16, v65, v15
.LBB166_2938:                           ;   in Loop: Header=BB166_17 Depth=1
	s_or_b64 exec, exec, s[84:85]
                                        ; implicit-def: $vgpr15_vgpr16
.LBB166_2939:                           ;   in Loop: Header=BB166_17 Depth=1
	s_andn2_saveexec_b64 s[80:81], s[80:81]
	s_cbranch_execz .LBB166_2941
; %bb.2940:                             ;   in Loop: Header=BB166_17 Depth=1
	flat_load_ubyte v15, v[15:16]
	s_mov_b32 vcc_lo, 0x7f800000
	s_waitcnt vmcnt(0) lgkmcnt(0)
	v_lshlrev_b32_e32 v15, 24, v15
	v_and_b32_e32 v16, 0x7f000000, v15
	v_ffbh_u32_e32 v65, v16
	v_min_u32_e32 v65, 32, v65
	v_sub_u32_e64 v65, v65, 4 clamp
	v_lshlrev_b32_e32 v67, v65, v16
	v_lshlrev_b32_e32 v65, 23, v65
	v_lshrrev_b32_e32 v67, 4, v67
	v_add_u32_e32 v66, 0x1000000, v16
	v_sub_u32_e32 v65, v67, v65
	v_ashrrev_i32_e32 v66, 8, v66
	v_add_u32_e32 v65, 0x3c000000, v65
	v_and_or_b32 v65, v66, vcc_lo, v65
	v_cmp_ne_u32_e32 vcc, 0, v16
	v_cndmask_b32_e32 v16, 0, v65, vcc
	s_brev_b32 vcc_lo, 1
	v_and_or_b32 v65, v15, vcc_lo, v16
.LBB166_2941:                           ;   in Loop: Header=BB166_17 Depth=1
	s_or_b64 exec, exec, s[80:81]
                                        ; implicit-def: $vgpr15_vgpr16
.LBB166_2942:                           ;   in Loop: Header=BB166_17 Depth=1
	s_andn2_saveexec_b64 s[70:71], s[70:71]
	s_cbranch_execz .LBB166_2944
; %bb.2943:                             ;   in Loop: Header=BB166_17 Depth=1
	flat_load_ubyte v15, v[15:16]
	s_movk_i32 vcc_lo, 0x7f00
	s_waitcnt vmcnt(0) lgkmcnt(0)
	v_lshlrev_b16_e32 v16, 8, v15
	v_lshlrev_b32_e32 v15, 25, v15
	v_lshrrev_b32_e32 v65, 4, v15
	v_and_or_b32 v66, v16, vcc_lo, 0.5
	v_or_b32_e32 v65, 0x70000000, v65
	s_brev_b32 vcc_lo, 16
	v_add_f32_e32 v66, -0.5, v66
	v_mul_f32_e32 v65, 0x7800000, v65
	v_cmp_gt_u32_e32 vcc, vcc_lo, v15
	v_cndmask_b32_e32 v15, v65, v66, vcc
	v_bfe_i32 v16, v16, 0, 16
	s_brev_b32 vcc_lo, 1
	v_and_or_b32 v65, v16, vcc_lo, v15
.LBB166_2944:                           ;   in Loop: Header=BB166_17 Depth=1
	s_or_b64 exec, exec, s[70:71]
	s_or_b64 s[70:71], s[66:67], exec
                                        ; implicit-def: $vgpr15_vgpr16
.LBB166_2945:                           ;   in Loop: Header=BB166_17 Depth=1
	s_andn2_saveexec_b64 s[68:69], s[68:69]
	s_cbranch_execz .LBB166_2955
; %bb.2946:                             ;   in Loop: Header=BB166_17 Depth=1
	v_cmp_gt_i16_sdwa vcc, v10, v36 src0_sel:BYTE_0 src1_sel:DWORD
	s_mov_b64 s[80:81], s[70:71]
                                        ; implicit-def: $vgpr65
	s_and_saveexec_b64 s[82:83], vcc
	s_xor_b64 vcc, exec, s[82:83]
	s_cbranch_execz .LBB166_2950
; %bb.2947:                             ;   in Loop: Header=BB166_17 Depth=1
	v_cmp_eq_u16_sdwa s[84:85], v10, v37 src0_sel:BYTE_0 src1_sel:DWORD
	s_mov_b64 s[80:81], s[70:71]
                                        ; implicit-def: $vgpr65
	s_and_saveexec_b64 s[82:83], s[84:85]
	s_cbranch_execz .LBB166_2949
; %bb.2948:                             ;   in Loop: Header=BB166_17 Depth=1
	flat_load_ushort v15, v[15:16]
	s_or_b64 s[80:81], s[70:71], exec
	s_waitcnt vmcnt(0) lgkmcnt(0)
	v_lshlrev_b32_e32 v65, 16, v15
.LBB166_2949:                           ;   in Loop: Header=BB166_17 Depth=1
	s_or_b64 exec, exec, s[82:83]
	s_andn2_b64 s[82:83], s[70:71], exec
	s_and_b64 s[80:81], s[80:81], exec
	s_or_b64 s[80:81], s[82:83], s[80:81]
                                        ; implicit-def: $vgpr15_vgpr16
.LBB166_2950:                           ;   in Loop: Header=BB166_17 Depth=1
	s_andn2_saveexec_b64 s[82:83], vcc
	s_cbranch_execz .LBB166_2954
; %bb.2951:                             ;   in Loop: Header=BB166_17 Depth=1
	v_cmp_eq_u16_sdwa s[86:87], v10, v38 src0_sel:BYTE_0 src1_sel:DWORD
	s_mov_b64 vcc, s[80:81]
                                        ; implicit-def: $vgpr65
	s_and_saveexec_b64 s[84:85], s[86:87]
	s_cbranch_execz .LBB166_2953
; %bb.2952:                             ;   in Loop: Header=BB166_17 Depth=1
	flat_load_ubyte v15, v[15:16]
	s_waitcnt vmcnt(0) lgkmcnt(0)
	v_cmp_ne_u16_e32 vcc, 0, v15
	v_cndmask_b32_e64 v65, 0, 1.0, vcc
	s_or_b64 vcc, s[80:81], exec
.LBB166_2953:                           ;   in Loop: Header=BB166_17 Depth=1
	s_or_b64 exec, exec, s[84:85]
	s_andn2_b64 s[80:81], s[80:81], exec
	s_and_b64 vcc, vcc, exec
	s_or_b64 s[80:81], s[80:81], vcc
.LBB166_2954:                           ;   in Loop: Header=BB166_17 Depth=1
	s_or_b64 exec, exec, s[82:83]
	s_andn2_b64 vcc, s[70:71], exec
	s_and_b64 s[70:71], s[80:81], exec
	s_or_b64 s[70:71], vcc, s[70:71]
.LBB166_2955:                           ;   in Loop: Header=BB166_17 Depth=1
	s_or_b64 exec, exec, s[68:69]
	s_andn2_b64 vcc, s[66:67], exec
	s_and_b64 s[66:67], s[70:71], exec
	s_or_b64 s[66:67], vcc, s[66:67]
.LBB166_2956:                           ;   in Loop: Header=BB166_17 Depth=1
	s_or_b64 exec, exec, s[50:51]
	s_and_b64 vcc, s[66:67], exec
                                        ; implicit-def: $vgpr15_vgpr16
	s_andn2_saveexec_b64 s[48:49], s[48:49]
	s_cbranch_execz .LBB166_1233
.LBB166_2957:                           ;   in Loop: Header=BB166_17 Depth=1
	v_cmp_gt_i16_sdwa s[50:51], v10, v39 src0_sel:BYTE_0 src1_sel:DWORD
                                        ; implicit-def: $vgpr65
	s_and_saveexec_b64 s[66:67], s[50:51]
	s_xor_b64 s[50:51], exec, s[66:67]
	s_cbranch_execz .LBB166_2979
; %bb.2958:                             ;   in Loop: Header=BB166_17 Depth=1
	v_cmp_gt_i16_sdwa s[66:67], v10, v48 src0_sel:BYTE_0 src1_sel:DWORD
                                        ; implicit-def: $vgpr65
	s_and_saveexec_b64 s[68:69], s[66:67]
	s_xor_b64 s[66:67], exec, s[68:69]
	s_cbranch_execz .LBB166_2968
; %bb.2959:                             ;   in Loop: Header=BB166_17 Depth=1
	;; [unrolled: 6-line block ×4, first 2 shown]
	flat_load_dwordx2 v[15:16], v[15:16]
	s_waitcnt vmcnt(0) lgkmcnt(0)
	v_cvt_f32_f64_e32 v65, v[15:16]
                                        ; implicit-def: $vgpr15_vgpr16
.LBB166_2962:                           ;   in Loop: Header=BB166_17 Depth=1
	s_andn2_saveexec_b64 s[70:71], s[70:71]
	s_cbranch_execz .LBB166_2964
; %bb.2963:                             ;   in Loop: Header=BB166_17 Depth=1
	flat_load_dword v65, v[15:16]
.LBB166_2964:                           ;   in Loop: Header=BB166_17 Depth=1
	s_or_b64 exec, exec, s[70:71]
                                        ; implicit-def: $vgpr15_vgpr16
.LBB166_2965:                           ;   in Loop: Header=BB166_17 Depth=1
	s_andn2_saveexec_b64 s[68:69], s[68:69]
	s_cbranch_execz .LBB166_2967
; %bb.2966:                             ;   in Loop: Header=BB166_17 Depth=1
	flat_load_dword v15, v[15:16]
	s_waitcnt vmcnt(0) lgkmcnt(0)
	v_cvt_f32_f16_e32 v65, v15
.LBB166_2967:                           ;   in Loop: Header=BB166_17 Depth=1
	s_or_b64 exec, exec, s[68:69]
                                        ; implicit-def: $vgpr15_vgpr16
.LBB166_2968:                           ;   in Loop: Header=BB166_17 Depth=1
	s_andn2_saveexec_b64 s[66:67], s[66:67]
	s_cbranch_execz .LBB166_2978
; %bb.2969:                             ;   in Loop: Header=BB166_17 Depth=1
	v_cmp_gt_i16_sdwa s[68:69], v10, v51 src0_sel:BYTE_0 src1_sel:DWORD
                                        ; implicit-def: $vgpr65
	s_and_saveexec_b64 s[70:71], s[68:69]
	s_xor_b64 s[68:69], exec, s[70:71]
	s_cbranch_execz .LBB166_2975
; %bb.2970:                             ;   in Loop: Header=BB166_17 Depth=1
	v_cmp_gt_i16_sdwa s[70:71], v10, v52 src0_sel:BYTE_0 src1_sel:DWORD
                                        ; implicit-def: $vgpr65
	s_and_saveexec_b64 s[80:81], s[70:71]
	s_xor_b64 s[70:71], exec, s[80:81]
	s_cbranch_execz .LBB166_2972
; %bb.2971:                             ;   in Loop: Header=BB166_17 Depth=1
	flat_load_dwordx2 v[15:16], v[15:16]
	s_waitcnt vmcnt(0) lgkmcnt(0)
	v_cvt_f32_f64_e32 v65, v[15:16]
                                        ; implicit-def: $vgpr15_vgpr16
.LBB166_2972:                           ;   in Loop: Header=BB166_17 Depth=1
	s_andn2_saveexec_b64 s[70:71], s[70:71]
	s_cbranch_execz .LBB166_2974
; %bb.2973:                             ;   in Loop: Header=BB166_17 Depth=1
	s_waitcnt vmcnt(0) lgkmcnt(0)
	flat_load_dword v65, v[15:16]
.LBB166_2974:                           ;   in Loop: Header=BB166_17 Depth=1
	s_or_b64 exec, exec, s[70:71]
                                        ; implicit-def: $vgpr15_vgpr16
.LBB166_2975:                           ;   in Loop: Header=BB166_17 Depth=1
	s_andn2_saveexec_b64 s[68:69], s[68:69]
	s_cbranch_execz .LBB166_2977
; %bb.2976:                             ;   in Loop: Header=BB166_17 Depth=1
	flat_load_ushort v15, v[15:16]
	s_waitcnt vmcnt(0) lgkmcnt(0)
	v_cvt_f32_f16_e32 v65, v15
.LBB166_2977:                           ;   in Loop: Header=BB166_17 Depth=1
	s_or_b64 exec, exec, s[68:69]
.LBB166_2978:                           ;   in Loop: Header=BB166_17 Depth=1
	s_or_b64 exec, exec, s[66:67]
                                        ; implicit-def: $vgpr15_vgpr16
.LBB166_2979:                           ;   in Loop: Header=BB166_17 Depth=1
	s_andn2_saveexec_b64 s[50:51], s[50:51]
	s_cbranch_execz .LBB166_2997
; %bb.2980:                             ;   in Loop: Header=BB166_17 Depth=1
	v_cmp_gt_i16_sdwa s[66:67], v10, v53 src0_sel:BYTE_0 src1_sel:DWORD
                                        ; implicit-def: $vgpr65
	s_and_saveexec_b64 s[68:69], s[66:67]
	s_xor_b64 s[66:67], exec, s[68:69]
	s_cbranch_execz .LBB166_2990
; %bb.2981:                             ;   in Loop: Header=BB166_17 Depth=1
	v_cmp_gt_i16_sdwa s[68:69], v10, v54 src0_sel:BYTE_0 src1_sel:DWORD
                                        ; implicit-def: $vgpr65
	s_and_saveexec_b64 s[70:71], s[68:69]
	s_xor_b64 s[68:69], exec, s[70:71]
	;; [unrolled: 6-line block ×3, first 2 shown]
	s_cbranch_execz .LBB166_2984
; %bb.2983:                             ;   in Loop: Header=BB166_17 Depth=1
	flat_load_dwordx2 v[15:16], v[15:16]
	s_waitcnt vmcnt(0) lgkmcnt(0)
	v_xor_b32_e32 v66, v15, v16
	v_ffbh_i32_e32 v65, v16
	v_ashrrev_i32_e32 v66, 31, v66
	v_add_u32_e32 v65, -1, v65
	v_add_u32_e32 v66, 32, v66
	v_min_u32_e32 v65, v65, v66
	v_lshlrev_b64 v[15:16], v65, v[15:16]
	v_min_u32_e32 v15, 1, v15
	v_or_b32_e32 v15, v16, v15
	v_cvt_f32_i32_e32 v15, v15
	v_sub_u32_e32 v16, 32, v65
	v_ldexp_f32 v65, v15, v16
                                        ; implicit-def: $vgpr15_vgpr16
.LBB166_2984:                           ;   in Loop: Header=BB166_17 Depth=1
	s_andn2_saveexec_b64 s[70:71], s[70:71]
	s_cbranch_execz .LBB166_2986
; %bb.2985:                             ;   in Loop: Header=BB166_17 Depth=1
	flat_load_dword v15, v[15:16]
	s_waitcnt vmcnt(0) lgkmcnt(0)
	v_cvt_f32_i32_e32 v65, v15
.LBB166_2986:                           ;   in Loop: Header=BB166_17 Depth=1
	s_or_b64 exec, exec, s[70:71]
                                        ; implicit-def: $vgpr15_vgpr16
.LBB166_2987:                           ;   in Loop: Header=BB166_17 Depth=1
	s_andn2_saveexec_b64 s[68:69], s[68:69]
	s_cbranch_execz .LBB166_2989
; %bb.2988:                             ;   in Loop: Header=BB166_17 Depth=1
	flat_load_sshort v15, v[15:16]
	s_waitcnt vmcnt(0) lgkmcnt(0)
	v_cvt_f32_i32_e32 v65, v15
.LBB166_2989:                           ;   in Loop: Header=BB166_17 Depth=1
	s_or_b64 exec, exec, s[68:69]
                                        ; implicit-def: $vgpr15_vgpr16
.LBB166_2990:                           ;   in Loop: Header=BB166_17 Depth=1
	s_andn2_saveexec_b64 s[66:67], s[66:67]
	s_cbranch_execz .LBB166_2996
; %bb.2991:                             ;   in Loop: Header=BB166_17 Depth=1
	v_cmp_gt_i16_sdwa s[68:69], v10, v18 src0_sel:BYTE_0 src1_sel:DWORD
                                        ; implicit-def: $vgpr65
	s_and_saveexec_b64 s[70:71], s[68:69]
	s_xor_b64 s[68:69], exec, s[70:71]
	s_cbranch_execz .LBB166_2993
; %bb.2992:                             ;   in Loop: Header=BB166_17 Depth=1
	flat_load_sbyte v15, v[15:16]
	s_waitcnt vmcnt(0) lgkmcnt(0)
	v_cvt_f32_i32_e32 v65, v15
                                        ; implicit-def: $vgpr15_vgpr16
.LBB166_2993:                           ;   in Loop: Header=BB166_17 Depth=1
	s_andn2_saveexec_b64 s[68:69], s[68:69]
	s_cbranch_execz .LBB166_2995
; %bb.2994:                             ;   in Loop: Header=BB166_17 Depth=1
	flat_load_ubyte v15, v[15:16]
	s_waitcnt vmcnt(0) lgkmcnt(0)
	v_cvt_f32_ubyte0_e32 v65, v15
.LBB166_2995:                           ;   in Loop: Header=BB166_17 Depth=1
	s_or_b64 exec, exec, s[68:69]
.LBB166_2996:                           ;   in Loop: Header=BB166_17 Depth=1
	s_or_b64 exec, exec, s[66:67]
.LBB166_2997:                           ;   in Loop: Header=BB166_17 Depth=1
	s_or_b64 exec, exec, s[50:51]
	s_or_b64 vcc, vcc, exec
	s_or_b64 exec, exec, s[48:49]
	s_mov_b64 s[66:67], 0
	s_and_saveexec_b64 s[48:49], vcc
	s_cbranch_execnz .LBB166_1234
	s_branch .LBB166_1235
.LBB166_2998:                           ;   in Loop: Header=BB166_17 Depth=1
	s_movk_i32 s92, 0x80
	v_cmp_eq_u16_e32 vcc, s92, v15
	s_mov_b64 s[92:93], -1
	s_and_saveexec_b64 s[30:31], vcc
; %bb.2999:                             ;   in Loop: Header=BB166_17 Depth=1
	s_xor_b64 s[92:93], exec, -1
; %bb.3000:                             ;   in Loop: Header=BB166_17 Depth=1
	s_or_b64 exec, exec, s[30:31]
	s_and_b64 s[92:93], s[92:93], exec
	s_or_saveexec_b64 s[94:95], s[94:95]
	v_mov_b32_e32 v65, 0x7f800001
	s_xor_b64 exec, exec, s[94:95]
	s_cbranch_execz .LBB166_2356
.LBB166_3001:                           ;   in Loop: Header=BB166_17 Depth=1
	v_cmp_ne_u16_e32 vcc, 0, v15
	s_andn2_b64 s[92:93], s[92:93], exec
	s_and_b64 vcc, vcc, exec
	v_mov_b32_e32 v65, 0
	s_or_b64 s[92:93], s[92:93], vcc
	s_or_b64 exec, exec, s[94:95]
	s_and_saveexec_b64 s[94:95], s[92:93]
	s_cbranch_execnz .LBB166_2357
	s_branch .LBB166_2358
.LBB166_3002:                           ;   in Loop: Header=BB166_17 Depth=1
	s_movk_i32 vcc_lo, 0x80
	v_cmp_eq_u16_e32 vcc, vcc_lo, v15
	s_mov_b64 s[30:31], -1
	s_and_saveexec_b64 s[36:37], vcc
; %bb.3003:                             ;   in Loop: Header=BB166_17 Depth=1
	s_xor_b64 s[30:31], exec, -1
; %bb.3004:                             ;   in Loop: Header=BB166_17 Depth=1
	s_or_b64 exec, exec, s[36:37]
	s_and_b64 s[30:31], s[30:31], exec
	s_or_saveexec_b64 s[34:35], s[34:35]
	v_mov_b32_e32 v65, 0x7f800001
	s_xor_b64 exec, exec, s[34:35]
	s_cbranch_execz .LBB166_2461
.LBB166_3005:                           ;   in Loop: Header=BB166_17 Depth=1
	v_cmp_ne_u16_e32 vcc, 0, v15
	s_andn2_b64 s[30:31], s[30:31], exec
	s_and_b64 vcc, vcc, exec
	v_mov_b32_e32 v65, 0
	s_or_b64 s[30:31], s[30:31], vcc
	s_or_b64 exec, exec, s[34:35]
	s_and_saveexec_b64 s[34:35], s[30:31]
	s_cbranch_execnz .LBB166_2462
	s_branch .LBB166_2463
.LBB166_3006:                           ;   in Loop: Header=BB166_17 Depth=1
	s_movk_i32 vcc_lo, 0x80
	v_cmp_eq_u16_e32 vcc, vcc_lo, v15
	s_mov_b64 s[38:39], -1
	s_and_saveexec_b64 s[50:51], vcc
; %bb.3007:                             ;   in Loop: Header=BB166_17 Depth=1
	s_xor_b64 s[38:39], exec, -1
; %bb.3008:                             ;   in Loop: Header=BB166_17 Depth=1
	s_or_b64 exec, exec, s[50:51]
	s_and_b64 s[38:39], s[38:39], exec
	s_or_saveexec_b64 s[48:49], s[48:49]
	v_mov_b32_e32 v66, 0x7f800001
	s_xor_b64 exec, exec, s[48:49]
	s_cbranch_execz .LBB166_834
.LBB166_3009:                           ;   in Loop: Header=BB166_17 Depth=1
	v_cmp_ne_u16_e32 vcc, 0, v15
	s_andn2_b64 s[38:39], s[38:39], exec
	s_and_b64 vcc, vcc, exec
	v_mov_b32_e32 v66, 0
	s_or_b64 s[38:39], s[38:39], vcc
	s_or_b64 exec, exec, s[48:49]
	s_and_saveexec_b64 s[48:49], s[38:39]
	s_cbranch_execnz .LBB166_835
	s_branch .LBB166_836
.LBB166_3010:                           ;   in Loop: Header=BB166_17 Depth=1
	s_movk_i32 vcc_lo, 0x80
	v_cmp_eq_u16_e32 vcc, vcc_lo, v15
	s_mov_b64 s[50:51], -1
	s_and_saveexec_b64 s[54:55], vcc
; %bb.3011:                             ;   in Loop: Header=BB166_17 Depth=1
	s_xor_b64 s[50:51], exec, -1
; %bb.3012:                             ;   in Loop: Header=BB166_17 Depth=1
	s_or_b64 exec, exec, s[54:55]
	s_and_b64 s[50:51], s[50:51], exec
	s_or_saveexec_b64 s[52:53], s[52:53]
	v_mov_b32_e32 v66, 0x7f800001
	s_xor_b64 exec, exec, s[52:53]
	s_cbranch_execz .LBB166_934
.LBB166_3013:                           ;   in Loop: Header=BB166_17 Depth=1
	v_cmp_ne_u16_e32 vcc, 0, v15
	s_andn2_b64 s[50:51], s[50:51], exec
	s_and_b64 vcc, vcc, exec
	v_mov_b32_e32 v66, 0
	s_or_b64 s[50:51], s[50:51], vcc
	s_or_b64 exec, exec, s[52:53]
	s_and_saveexec_b64 s[52:53], s[50:51]
	s_cbranch_execnz .LBB166_935
	s_branch .LBB166_936
.LBB166_3014:                           ;   in Loop: Header=BB166_17 Depth=1
	v_cmp_gt_i16_sdwa vcc, v10, v20 src0_sel:BYTE_0 src1_sel:DWORD
	s_mov_b64 s[80:81], 0
                                        ; implicit-def: $vgpr65
	s_and_saveexec_b64 s[48:49], vcc
	s_xor_b64 s[64:65], exec, s[48:49]
	s_cbranch_execz .LBB166_3046
; %bb.3015:                             ;   in Loop: Header=BB166_17 Depth=1
	v_cmp_gt_i16_sdwa vcc, v10, v21 src0_sel:BYTE_0 src1_sel:DWORD
                                        ; implicit-def: $vgpr65
	s_and_saveexec_b64 s[48:49], vcc
	s_xor_b64 s[82:83], exec, s[48:49]
	s_cbranch_execz .LBB166_3031
; %bb.3016:                             ;   in Loop: Header=BB166_17 Depth=1
	v_cmp_gt_i16_sdwa s[48:49], v10, v22 src0_sel:BYTE_0 src1_sel:DWORD
	s_mov_b64 vcc, 0
                                        ; implicit-def: $vgpr65
	s_and_saveexec_b64 s[80:81], s[48:49]
	s_xor_b64 s[80:81], exec, s[80:81]
	s_cbranch_execz .LBB166_3026
; %bb.3017:                             ;   in Loop: Header=BB166_17 Depth=1
	v_cmp_gt_i16_sdwa vcc, v10, v23 src0_sel:BYTE_0 src1_sel:DWORD
	s_mov_b64 s[84:85], 0
                                        ; implicit-def: $vgpr65
	s_and_saveexec_b64 s[48:49], vcc
	s_xor_b64 vcc, exec, s[48:49]
	s_cbranch_execz .LBB166_3021
; %bb.3018:                             ;   in Loop: Header=BB166_17 Depth=1
	v_cmp_eq_u16_sdwa s[48:49], v10, v24 src0_sel:BYTE_0 src1_sel:DWORD
                                        ; implicit-def: $vgpr65
	s_and_saveexec_b64 s[86:87], s[48:49]
	s_cbranch_execz .LBB166_3020
; %bb.3019:                             ;   in Loop: Header=BB166_17 Depth=1
	flat_load_dword v15, v[15:16]
	s_mov_b64 s[84:85], exec
	s_waitcnt vmcnt(0) lgkmcnt(0)
	v_lshlrev_b32_e32 v65, 16, v15
.LBB166_3020:                           ;   in Loop: Header=BB166_17 Depth=1
	s_or_b64 exec, exec, s[86:87]
	s_and_b64 s[84:85], s[84:85], exec
                                        ; implicit-def: $vgpr15_vgpr16
.LBB166_3021:                           ;   in Loop: Header=BB166_17 Depth=1
	s_andn2_saveexec_b64 s[86:87], vcc
	s_cbranch_execz .LBB166_3025
; %bb.3022:                             ;   in Loop: Header=BB166_17 Depth=1
	v_cmp_eq_u16_sdwa s[48:49], v10, v25 src0_sel:BYTE_0 src1_sel:DWORD
	s_mov_b64 vcc, s[84:85]
                                        ; implicit-def: $vgpr65
	s_and_saveexec_b64 s[96:97], s[48:49]
	s_cbranch_execz .LBB166_3024
; %bb.3023:                             ;   in Loop: Header=BB166_17 Depth=1
	flat_load_ubyte v15, v[15:16]
	s_movk_i32 vcc_lo, 0xff
	s_waitcnt vmcnt(0) lgkmcnt(0)
	v_lshlrev_b32_e32 v16, 23, v15
	v_cmp_ne_u32_e32 vcc, vcc_lo, v15
	v_cndmask_b32_e32 v16, v26, v16, vcc
	v_cmp_ne_u32_e32 vcc, 0, v15
	v_cndmask_b32_e32 v65, v27, v16, vcc
	s_or_b64 vcc, s[84:85], exec
.LBB166_3024:                           ;   in Loop: Header=BB166_17 Depth=1
	s_or_b64 exec, exec, s[96:97]
	s_andn2_b64 s[48:49], s[84:85], exec
	s_and_b64 vcc, vcc, exec
	s_or_b64 s[84:85], s[48:49], vcc
.LBB166_3025:                           ;   in Loop: Header=BB166_17 Depth=1
	s_or_b64 exec, exec, s[86:87]
	s_and_b64 vcc, s[84:85], exec
                                        ; implicit-def: $vgpr15_vgpr16
.LBB166_3026:                           ;   in Loop: Header=BB166_17 Depth=1
	s_andn2_saveexec_b64 s[80:81], s[80:81]
	s_cbranch_execz .LBB166_3030
; %bb.3027:                             ;   in Loop: Header=BB166_17 Depth=1
	v_cmp_eq_u16_sdwa s[48:49], v10, v28 src0_sel:BYTE_0 src1_sel:DWORD
	s_mov_b64 s[86:87], vcc
                                        ; implicit-def: $vgpr65
	s_and_saveexec_b64 s[84:85], s[48:49]
	s_cbranch_execz .LBB166_3029
; %bb.3028:                             ;   in Loop: Header=BB166_17 Depth=1
	flat_load_dwordx2 v[15:16], v[15:16]
	s_or_b64 s[86:87], vcc, exec
	s_waitcnt vmcnt(0) lgkmcnt(0)
	v_ffbh_u32_e32 v65, v16
	v_min_u32_e32 v65, 32, v65
	v_lshlrev_b64 v[15:16], v65, v[15:16]
	v_min_u32_e32 v15, 1, v15
	v_or_b32_e32 v15, v16, v15
	v_cvt_f32_u32_e32 v15, v15
	v_sub_u32_e32 v16, 32, v65
	v_ldexp_f32 v65, v15, v16
.LBB166_3029:                           ;   in Loop: Header=BB166_17 Depth=1
	s_or_b64 exec, exec, s[84:85]
	s_andn2_b64 vcc, vcc, exec
	s_and_b64 s[48:49], s[86:87], exec
	s_or_b64 vcc, vcc, s[48:49]
.LBB166_3030:                           ;   in Loop: Header=BB166_17 Depth=1
	s_or_b64 exec, exec, s[80:81]
	s_and_b64 s[80:81], vcc, exec
                                        ; implicit-def: $vgpr15_vgpr16
.LBB166_3031:                           ;   in Loop: Header=BB166_17 Depth=1
	s_andn2_saveexec_b64 s[82:83], s[82:83]
	s_cbranch_execz .LBB166_3045
; %bb.3032:                             ;   in Loop: Header=BB166_17 Depth=1
	v_cmp_gt_i16_sdwa vcc, v10, v29 src0_sel:BYTE_0 src1_sel:DWORD
                                        ; implicit-def: $vgpr65
	s_and_saveexec_b64 s[48:49], vcc
	s_xor_b64 vcc, exec, s[48:49]
	s_cbranch_execz .LBB166_3038
; %bb.3033:                             ;   in Loop: Header=BB166_17 Depth=1
	v_cmp_gt_i16_sdwa s[48:49], v10, v30 src0_sel:BYTE_0 src1_sel:DWORD
                                        ; implicit-def: $vgpr65
	s_and_saveexec_b64 s[84:85], s[48:49]
	s_xor_b64 s[48:49], exec, s[84:85]
	s_cbranch_execz .LBB166_3035
; %bb.3034:                             ;   in Loop: Header=BB166_17 Depth=1
	flat_load_dword v15, v[15:16]
	s_waitcnt vmcnt(0) lgkmcnt(0)
	v_cvt_f32_u32_e32 v65, v15
                                        ; implicit-def: $vgpr15_vgpr16
.LBB166_3035:                           ;   in Loop: Header=BB166_17 Depth=1
	s_andn2_saveexec_b64 s[48:49], s[48:49]
	s_cbranch_execz .LBB166_3037
; %bb.3036:                             ;   in Loop: Header=BB166_17 Depth=1
	flat_load_ushort v15, v[15:16]
	s_waitcnt vmcnt(0) lgkmcnt(0)
	v_cvt_f32_u32_e32 v65, v15
.LBB166_3037:                           ;   in Loop: Header=BB166_17 Depth=1
	s_or_b64 exec, exec, s[48:49]
                                        ; implicit-def: $vgpr15_vgpr16
.LBB166_3038:                           ;   in Loop: Header=BB166_17 Depth=1
	s_andn2_saveexec_b64 s[84:85], vcc
	s_cbranch_execz .LBB166_3044
; %bb.3039:                             ;   in Loop: Header=BB166_17 Depth=1
	flat_load_ubyte v15, v[15:16]
	s_movk_i32 vcc_lo, 0x7f
	s_mov_b64 s[86:87], 0
	s_waitcnt vmcnt(0) lgkmcnt(0)
	v_cmp_lt_i16_e32 vcc, vcc_lo, v15
	s_and_saveexec_b64 s[48:49], vcc
	s_xor_b64 s[96:97], exec, s[48:49]
	s_cbranch_execnz .LBB166_3582
; %bb.3040:                             ;   in Loop: Header=BB166_17 Depth=1
	s_or_saveexec_b64 s[96:97], s[96:97]
	v_mov_b32_e32 v65, 0x7f800001
	s_xor_b64 exec, exec, s[96:97]
	s_cbranch_execnz .LBB166_3585
.LBB166_3041:                           ;   in Loop: Header=BB166_17 Depth=1
	s_or_b64 exec, exec, s[96:97]
	s_and_saveexec_b64 s[96:97], s[86:87]
	s_cbranch_execz .LBB166_3043
.LBB166_3042:                           ;   in Loop: Header=BB166_17 Depth=1
	v_lshlrev_b32_e32 v16, 24, v15
	v_and_b32_e32 v15, 0xffff, v15
	v_and_b32_e32 v65, 7, v15
	v_ffbh_u32_e32 v67, v65
	v_min_u32_e32 v67, 32, v67
	v_subrev_u32_e32 v68, 28, v67
	v_bfe_u32 v66, v15, 3, 4
	v_lshlrev_b32_e32 v15, v68, v15
	v_sub_u32_e32 v67, 29, v67
	v_and_b32_e32 v15, 7, v15
	v_cmp_eq_u32_e32 vcc, 0, v66
	v_cndmask_b32_e32 v66, v66, v67, vcc
	v_cndmask_b32_e32 v15, v65, v15, vcc
	v_lshlrev_b32_e32 v15, 20, v15
	v_and_b32_e32 v16, 0x80000000, v16
	v_lshl_add_u32 v65, v66, 23, v31
	v_or3_b32 v65, v16, v65, v15
.LBB166_3043:                           ;   in Loop: Header=BB166_17 Depth=1
	s_or_b64 exec, exec, s[96:97]
.LBB166_3044:                           ;   in Loop: Header=BB166_17 Depth=1
	s_or_b64 exec, exec, s[84:85]
	s_or_b64 s[80:81], s[80:81], exec
.LBB166_3045:                           ;   in Loop: Header=BB166_17 Depth=1
	s_or_b64 exec, exec, s[82:83]
	s_and_b64 s[80:81], s[80:81], exec
                                        ; implicit-def: $vgpr15_vgpr16
.LBB166_3046:                           ;   in Loop: Header=BB166_17 Depth=1
	s_andn2_saveexec_b64 s[64:65], s[64:65]
	s_cbranch_execz .LBB166_3072
; %bb.3047:                             ;   in Loop: Header=BB166_17 Depth=1
	v_cmp_gt_i16_sdwa vcc, v10, v32 src0_sel:BYTE_0 src1_sel:DWORD
	s_mov_b64 s[84:85], s[80:81]
                                        ; implicit-def: $vgpr65
	s_and_saveexec_b64 s[48:49], vcc
	s_xor_b64 s[82:83], exec, s[48:49]
	s_cbranch_execz .LBB166_3061
; %bb.3048:                             ;   in Loop: Header=BB166_17 Depth=1
	v_cmp_gt_i16_sdwa vcc, v10, v33 src0_sel:BYTE_0 src1_sel:DWORD
                                        ; implicit-def: $vgpr65
	s_and_saveexec_b64 s[48:49], vcc
	s_xor_b64 s[84:85], exec, s[48:49]
	s_cbranch_execz .LBB166_3058
; %bb.3049:                             ;   in Loop: Header=BB166_17 Depth=1
	v_cmp_gt_i16_sdwa vcc, v10, v34 src0_sel:BYTE_0 src1_sel:DWORD
                                        ; implicit-def: $vgpr65
	s_and_saveexec_b64 s[48:49], vcc
	s_xor_b64 s[50:51], exec, s[48:49]
	s_cbranch_execz .LBB166_3055
; %bb.3050:                             ;   in Loop: Header=BB166_17 Depth=1
	flat_load_ubyte v15, v[15:16]
	s_movk_i32 vcc_lo, 0x7f
	s_mov_b64 s[96:97], 0
	s_waitcnt vmcnt(0) lgkmcnt(0)
	v_cmp_lt_i16_e32 vcc, vcc_lo, v15
	s_and_saveexec_b64 s[48:49], vcc
	s_xor_b64 s[86:87], exec, s[48:49]
	s_cbranch_execnz .LBB166_3594
; %bb.3051:                             ;   in Loop: Header=BB166_17 Depth=1
	s_or_saveexec_b64 s[86:87], s[86:87]
	v_mov_b32_e32 v65, 0x7f800001
	s_xor_b64 exec, exec, s[86:87]
	s_cbranch_execnz .LBB166_3597
.LBB166_3052:                           ;   in Loop: Header=BB166_17 Depth=1
	s_or_b64 exec, exec, s[86:87]
	s_and_saveexec_b64 s[86:87], s[96:97]
	s_cbranch_execz .LBB166_3054
.LBB166_3053:                           ;   in Loop: Header=BB166_17 Depth=1
	v_lshlrev_b32_e32 v16, 24, v15
	v_and_b32_e32 v15, 0xffff, v15
	v_and_b32_e32 v65, 3, v15
	v_ffbh_u32_e32 v67, v65
	v_min_u32_e32 v67, 32, v67
	v_subrev_u32_e32 v68, 29, v67
	v_bfe_u32 v66, v15, 2, 5
	v_lshlrev_b32_e32 v15, v68, v15
	v_sub_u32_e32 v67, 30, v67
	v_and_b32_e32 v15, 3, v15
	v_cmp_eq_u32_e32 vcc, 0, v66
	v_cndmask_b32_e32 v66, v66, v67, vcc
	v_cndmask_b32_e32 v15, v65, v15, vcc
	v_lshlrev_b32_e32 v15, 21, v15
	v_and_b32_e32 v16, 0x80000000, v16
	v_lshl_add_u32 v65, v66, 23, v35
	v_or3_b32 v65, v16, v65, v15
.LBB166_3054:                           ;   in Loop: Header=BB166_17 Depth=1
	s_or_b64 exec, exec, s[86:87]
                                        ; implicit-def: $vgpr15_vgpr16
.LBB166_3055:                           ;   in Loop: Header=BB166_17 Depth=1
	s_andn2_saveexec_b64 s[86:87], s[50:51]
	s_cbranch_execz .LBB166_3057
; %bb.3056:                             ;   in Loop: Header=BB166_17 Depth=1
	flat_load_ubyte v15, v[15:16]
	s_mov_b32 vcc_lo, 0x7f800000
	s_waitcnt vmcnt(0) lgkmcnt(0)
	v_lshlrev_b32_e32 v15, 24, v15
	v_and_b32_e32 v16, 0x7f000000, v15
	v_ffbh_u32_e32 v65, v16
	v_min_u32_e32 v65, 32, v65
	v_sub_u32_e64 v65, v65, 4 clamp
	v_lshlrev_b32_e32 v67, v65, v16
	v_lshlrev_b32_e32 v65, 23, v65
	v_lshrrev_b32_e32 v67, 4, v67
	v_add_u32_e32 v66, 0x1000000, v16
	v_sub_u32_e32 v65, v67, v65
	v_ashrrev_i32_e32 v66, 8, v66
	v_add_u32_e32 v65, 0x3c000000, v65
	v_and_or_b32 v65, v66, vcc_lo, v65
	v_cmp_ne_u32_e32 vcc, 0, v16
	v_cndmask_b32_e32 v16, 0, v65, vcc
	s_brev_b32 vcc_lo, 1
	v_and_or_b32 v65, v15, vcc_lo, v16
.LBB166_3057:                           ;   in Loop: Header=BB166_17 Depth=1
	s_or_b64 exec, exec, s[86:87]
                                        ; implicit-def: $vgpr15_vgpr16
.LBB166_3058:                           ;   in Loop: Header=BB166_17 Depth=1
	s_andn2_saveexec_b64 s[84:85], s[84:85]
	s_cbranch_execz .LBB166_3060
; %bb.3059:                             ;   in Loop: Header=BB166_17 Depth=1
	flat_load_ubyte v15, v[15:16]
	s_movk_i32 vcc_lo, 0x7f00
	s_waitcnt vmcnt(0) lgkmcnt(0)
	v_lshlrev_b16_e32 v16, 8, v15
	v_lshlrev_b32_e32 v15, 25, v15
	v_lshrrev_b32_e32 v65, 4, v15
	v_and_or_b32 v66, v16, vcc_lo, 0.5
	v_or_b32_e32 v65, 0x70000000, v65
	s_brev_b32 vcc_lo, 16
	v_add_f32_e32 v66, -0.5, v66
	v_mul_f32_e32 v65, 0x7800000, v65
	v_cmp_gt_u32_e32 vcc, vcc_lo, v15
	v_cndmask_b32_e32 v15, v65, v66, vcc
	v_bfe_i32 v16, v16, 0, 16
	s_brev_b32 vcc_lo, 1
	v_and_or_b32 v65, v16, vcc_lo, v15
.LBB166_3060:                           ;   in Loop: Header=BB166_17 Depth=1
	s_or_b64 exec, exec, s[84:85]
	s_or_b64 s[84:85], s[80:81], exec
                                        ; implicit-def: $vgpr15_vgpr16
.LBB166_3061:                           ;   in Loop: Header=BB166_17 Depth=1
	s_andn2_saveexec_b64 s[82:83], s[82:83]
	s_cbranch_execz .LBB166_3071
; %bb.3062:                             ;   in Loop: Header=BB166_17 Depth=1
	v_cmp_gt_i16_sdwa vcc, v10, v36 src0_sel:BYTE_0 src1_sel:DWORD
	s_mov_b64 s[86:87], s[84:85]
                                        ; implicit-def: $vgpr65
	s_and_saveexec_b64 s[48:49], vcc
	s_xor_b64 vcc, exec, s[48:49]
	s_cbranch_execz .LBB166_3066
; %bb.3063:                             ;   in Loop: Header=BB166_17 Depth=1
	v_cmp_eq_u16_sdwa s[96:97], v10, v37 src0_sel:BYTE_0 src1_sel:DWORD
	s_mov_b64 s[86:87], s[84:85]
                                        ; implicit-def: $vgpr65
	s_and_saveexec_b64 s[48:49], s[96:97]
	s_cbranch_execz .LBB166_3065
; %bb.3064:                             ;   in Loop: Header=BB166_17 Depth=1
	flat_load_ushort v15, v[15:16]
	s_or_b64 s[86:87], s[84:85], exec
	s_waitcnt vmcnt(0) lgkmcnt(0)
	v_lshlrev_b32_e32 v65, 16, v15
.LBB166_3065:                           ;   in Loop: Header=BB166_17 Depth=1
	s_or_b64 exec, exec, s[48:49]
	s_andn2_b64 s[48:49], s[84:85], exec
	s_and_b64 s[86:87], s[86:87], exec
	s_or_b64 s[86:87], s[48:49], s[86:87]
                                        ; implicit-def: $vgpr15_vgpr16
.LBB166_3066:                           ;   in Loop: Header=BB166_17 Depth=1
	s_andn2_saveexec_b64 s[96:97], vcc
	s_cbranch_execz .LBB166_3070
; %bb.3067:                             ;   in Loop: Header=BB166_17 Depth=1
	s_mov_b64 s[50:51], s[52:53]
	v_cmp_eq_u16_sdwa s[52:53], v10, v38 src0_sel:BYTE_0 src1_sel:DWORD
	s_mov_b64 vcc, s[86:87]
                                        ; implicit-def: $vgpr65
	s_and_saveexec_b64 s[48:49], s[52:53]
	s_cbranch_execz .LBB166_3069
; %bb.3068:                             ;   in Loop: Header=BB166_17 Depth=1
	flat_load_ubyte v15, v[15:16]
	s_waitcnt vmcnt(0) lgkmcnt(0)
	v_cmp_ne_u16_e32 vcc, 0, v15
	v_cndmask_b32_e64 v65, 0, 1.0, vcc
	s_or_b64 vcc, s[86:87], exec
.LBB166_3069:                           ;   in Loop: Header=BB166_17 Depth=1
	s_or_b64 exec, exec, s[48:49]
	s_andn2_b64 s[48:49], s[86:87], exec
	s_and_b64 vcc, vcc, exec
	s_or_b64 s[86:87], s[48:49], vcc
	s_mov_b64 s[52:53], s[50:51]
.LBB166_3070:                           ;   in Loop: Header=BB166_17 Depth=1
	s_or_b64 exec, exec, s[96:97]
	s_andn2_b64 vcc, s[84:85], exec
	s_and_b64 s[48:49], s[86:87], exec
	s_or_b64 s[84:85], vcc, s[48:49]
.LBB166_3071:                           ;   in Loop: Header=BB166_17 Depth=1
	s_or_b64 exec, exec, s[82:83]
	s_andn2_b64 vcc, s[80:81], exec
	s_and_b64 s[48:49], s[84:85], exec
	s_or_b64 s[80:81], vcc, s[48:49]
.LBB166_3072:                           ;   in Loop: Header=BB166_17 Depth=1
	s_or_b64 exec, exec, s[64:65]
	s_and_b64 vcc, s[80:81], exec
                                        ; implicit-def: $vgpr15_vgpr16
	s_andn2_saveexec_b64 s[54:55], s[54:55]
	s_cbranch_execz .LBB166_1344
.LBB166_3073:                           ;   in Loop: Header=BB166_17 Depth=1
	s_mov_b64 s[86:87], s[52:53]
	v_cmp_gt_i16_sdwa s[48:49], v10, v39 src0_sel:BYTE_0 src1_sel:DWORD
                                        ; implicit-def: $vgpr65
	s_and_saveexec_b64 s[52:53], s[48:49]
	s_xor_b64 s[64:65], exec, s[52:53]
	s_cbranch_execz .LBB166_3095
; %bb.3074:                             ;   in Loop: Header=BB166_17 Depth=1
	v_cmp_gt_i16_sdwa s[48:49], v10, v48 src0_sel:BYTE_0 src1_sel:DWORD
                                        ; implicit-def: $vgpr65
	s_and_saveexec_b64 s[52:53], s[48:49]
	s_xor_b64 s[80:81], exec, s[52:53]
	s_cbranch_execz .LBB166_3084
; %bb.3075:                             ;   in Loop: Header=BB166_17 Depth=1
	;; [unrolled: 6-line block ×4, first 2 shown]
	flat_load_dwordx2 v[15:16], v[15:16]
	s_waitcnt vmcnt(0) lgkmcnt(0)
	v_cvt_f32_f64_e32 v65, v[15:16]
                                        ; implicit-def: $vgpr15_vgpr16
.LBB166_3078:                           ;   in Loop: Header=BB166_17 Depth=1
	s_andn2_saveexec_b64 s[48:49], s[48:49]
	s_cbranch_execz .LBB166_3080
; %bb.3079:                             ;   in Loop: Header=BB166_17 Depth=1
	flat_load_dword v65, v[15:16]
.LBB166_3080:                           ;   in Loop: Header=BB166_17 Depth=1
	s_or_b64 exec, exec, s[48:49]
                                        ; implicit-def: $vgpr15_vgpr16
.LBB166_3081:                           ;   in Loop: Header=BB166_17 Depth=1
	s_andn2_saveexec_b64 s[48:49], s[82:83]
	s_cbranch_execz .LBB166_3083
; %bb.3082:                             ;   in Loop: Header=BB166_17 Depth=1
	flat_load_dword v15, v[15:16]
	s_waitcnt vmcnt(0) lgkmcnt(0)
	v_cvt_f32_f16_e32 v65, v15
.LBB166_3083:                           ;   in Loop: Header=BB166_17 Depth=1
	s_or_b64 exec, exec, s[48:49]
                                        ; implicit-def: $vgpr15_vgpr16
.LBB166_3084:                           ;   in Loop: Header=BB166_17 Depth=1
	s_andn2_saveexec_b64 s[80:81], s[80:81]
	s_cbranch_execz .LBB166_3094
; %bb.3085:                             ;   in Loop: Header=BB166_17 Depth=1
	v_cmp_gt_i16_sdwa s[48:49], v10, v51 src0_sel:BYTE_0 src1_sel:DWORD
                                        ; implicit-def: $vgpr65
	s_and_saveexec_b64 s[52:53], s[48:49]
	s_xor_b64 s[82:83], exec, s[52:53]
	s_cbranch_execz .LBB166_3091
; %bb.3086:                             ;   in Loop: Header=BB166_17 Depth=1
	v_cmp_gt_i16_sdwa s[48:49], v10, v52 src0_sel:BYTE_0 src1_sel:DWORD
                                        ; implicit-def: $vgpr65
	s_and_saveexec_b64 s[52:53], s[48:49]
	s_xor_b64 s[48:49], exec, s[52:53]
	s_cbranch_execz .LBB166_3088
; %bb.3087:                             ;   in Loop: Header=BB166_17 Depth=1
	flat_load_dwordx2 v[15:16], v[15:16]
	s_waitcnt vmcnt(0) lgkmcnt(0)
	v_cvt_f32_f64_e32 v65, v[15:16]
                                        ; implicit-def: $vgpr15_vgpr16
.LBB166_3088:                           ;   in Loop: Header=BB166_17 Depth=1
	s_andn2_saveexec_b64 s[48:49], s[48:49]
	s_cbranch_execz .LBB166_3090
; %bb.3089:                             ;   in Loop: Header=BB166_17 Depth=1
	s_waitcnt vmcnt(0) lgkmcnt(0)
	flat_load_dword v65, v[15:16]
.LBB166_3090:                           ;   in Loop: Header=BB166_17 Depth=1
	s_or_b64 exec, exec, s[48:49]
                                        ; implicit-def: $vgpr15_vgpr16
.LBB166_3091:                           ;   in Loop: Header=BB166_17 Depth=1
	s_andn2_saveexec_b64 s[48:49], s[82:83]
	s_cbranch_execz .LBB166_3093
; %bb.3092:                             ;   in Loop: Header=BB166_17 Depth=1
	flat_load_ushort v15, v[15:16]
	s_waitcnt vmcnt(0) lgkmcnt(0)
	v_cvt_f32_f16_e32 v65, v15
.LBB166_3093:                           ;   in Loop: Header=BB166_17 Depth=1
	s_or_b64 exec, exec, s[48:49]
.LBB166_3094:                           ;   in Loop: Header=BB166_17 Depth=1
	s_or_b64 exec, exec, s[80:81]
                                        ; implicit-def: $vgpr15_vgpr16
.LBB166_3095:                           ;   in Loop: Header=BB166_17 Depth=1
	s_andn2_saveexec_b64 s[64:65], s[64:65]
	s_cbranch_execz .LBB166_3113
; %bb.3096:                             ;   in Loop: Header=BB166_17 Depth=1
	v_cmp_gt_i16_sdwa s[48:49], v10, v53 src0_sel:BYTE_0 src1_sel:DWORD
                                        ; implicit-def: $vgpr65
	s_and_saveexec_b64 s[52:53], s[48:49]
	s_xor_b64 s[80:81], exec, s[52:53]
	s_cbranch_execz .LBB166_3106
; %bb.3097:                             ;   in Loop: Header=BB166_17 Depth=1
	v_cmp_gt_i16_sdwa s[48:49], v10, v54 src0_sel:BYTE_0 src1_sel:DWORD
                                        ; implicit-def: $vgpr65
	s_and_saveexec_b64 s[52:53], s[48:49]
	s_xor_b64 s[82:83], exec, s[52:53]
	s_cbranch_execz .LBB166_3103
; %bb.3098:                             ;   in Loop: Header=BB166_17 Depth=1
	v_cmp_gt_i16_sdwa s[48:49], v10, v55 src0_sel:BYTE_0 src1_sel:DWORD
                                        ; implicit-def: $vgpr65
	s_and_saveexec_b64 s[52:53], s[48:49]
	s_xor_b64 s[84:85], exec, s[52:53]
	s_cbranch_execz .LBB166_3100
; %bb.3099:                             ;   in Loop: Header=BB166_17 Depth=1
	flat_load_dwordx2 v[15:16], v[15:16]
	s_waitcnt vmcnt(0) lgkmcnt(0)
	v_xor_b32_e32 v66, v15, v16
	v_ffbh_i32_e32 v65, v16
	v_ashrrev_i32_e32 v66, 31, v66
	v_add_u32_e32 v65, -1, v65
	v_add_u32_e32 v66, 32, v66
	v_min_u32_e32 v65, v65, v66
	v_lshlrev_b64 v[15:16], v65, v[15:16]
	v_min_u32_e32 v15, 1, v15
	v_or_b32_e32 v15, v16, v15
	v_cvt_f32_i32_e32 v15, v15
	v_sub_u32_e32 v16, 32, v65
	v_ldexp_f32 v65, v15, v16
                                        ; implicit-def: $vgpr15_vgpr16
.LBB166_3100:                           ;   in Loop: Header=BB166_17 Depth=1
	s_andn2_saveexec_b64 s[48:49], s[84:85]
	s_cbranch_execz .LBB166_3102
; %bb.3101:                             ;   in Loop: Header=BB166_17 Depth=1
	flat_load_dword v15, v[15:16]
	s_waitcnt vmcnt(0) lgkmcnt(0)
	v_cvt_f32_i32_e32 v65, v15
.LBB166_3102:                           ;   in Loop: Header=BB166_17 Depth=1
	s_or_b64 exec, exec, s[48:49]
                                        ; implicit-def: $vgpr15_vgpr16
.LBB166_3103:                           ;   in Loop: Header=BB166_17 Depth=1
	s_andn2_saveexec_b64 s[48:49], s[82:83]
	s_cbranch_execz .LBB166_3105
; %bb.3104:                             ;   in Loop: Header=BB166_17 Depth=1
	flat_load_sshort v15, v[15:16]
	s_waitcnt vmcnt(0) lgkmcnt(0)
	v_cvt_f32_i32_e32 v65, v15
.LBB166_3105:                           ;   in Loop: Header=BB166_17 Depth=1
	s_or_b64 exec, exec, s[48:49]
                                        ; implicit-def: $vgpr15_vgpr16
.LBB166_3106:                           ;   in Loop: Header=BB166_17 Depth=1
	s_andn2_saveexec_b64 s[80:81], s[80:81]
	s_cbranch_execz .LBB166_3112
; %bb.3107:                             ;   in Loop: Header=BB166_17 Depth=1
	v_cmp_gt_i16_sdwa s[48:49], v10, v18 src0_sel:BYTE_0 src1_sel:DWORD
                                        ; implicit-def: $vgpr65
	s_and_saveexec_b64 s[52:53], s[48:49]
	s_xor_b64 s[48:49], exec, s[52:53]
	s_cbranch_execz .LBB166_3109
; %bb.3108:                             ;   in Loop: Header=BB166_17 Depth=1
	flat_load_sbyte v15, v[15:16]
	s_waitcnt vmcnt(0) lgkmcnt(0)
	v_cvt_f32_i32_e32 v65, v15
                                        ; implicit-def: $vgpr15_vgpr16
.LBB166_3109:                           ;   in Loop: Header=BB166_17 Depth=1
	s_andn2_saveexec_b64 s[48:49], s[48:49]
	s_cbranch_execz .LBB166_3111
; %bb.3110:                             ;   in Loop: Header=BB166_17 Depth=1
	flat_load_ubyte v15, v[15:16]
	s_waitcnt vmcnt(0) lgkmcnt(0)
	v_cvt_f32_ubyte0_e32 v65, v15
.LBB166_3111:                           ;   in Loop: Header=BB166_17 Depth=1
	s_or_b64 exec, exec, s[48:49]
.LBB166_3112:                           ;   in Loop: Header=BB166_17 Depth=1
	s_or_b64 exec, exec, s[80:81]
.LBB166_3113:                           ;   in Loop: Header=BB166_17 Depth=1
	s_or_b64 exec, exec, s[64:65]
	s_or_b64 vcc, vcc, exec
	s_mov_b64 s[52:53], s[86:87]
	s_or_b64 exec, exec, s[54:55]
	s_mov_b64 s[54:55], 0
	s_and_saveexec_b64 s[64:65], vcc
	s_cbranch_execnz .LBB166_1345
	s_branch .LBB166_1346
.LBB166_3114:                           ;   in Loop: Header=BB166_17 Depth=1
	s_movk_i32 vcc_lo, 0x80
	v_cmp_eq_u16_e32 vcc, vcc_lo, v15
	s_mov_b64 s[34:35], -1
	s_and_saveexec_b64 s[38:39], vcc
; %bb.3115:                             ;   in Loop: Header=BB166_17 Depth=1
	s_xor_b64 s[34:35], exec, -1
; %bb.3116:                             ;   in Loop: Header=BB166_17 Depth=1
	s_or_b64 exec, exec, s[38:39]
	s_and_b64 s[34:35], s[34:35], exec
	s_or_saveexec_b64 s[36:37], s[36:37]
	v_mov_b32_e32 v65, 0x7f800001
	s_xor_b64 exec, exec, s[36:37]
	s_cbranch_execz .LBB166_2472
.LBB166_3117:                           ;   in Loop: Header=BB166_17 Depth=1
	v_cmp_ne_u16_e32 vcc, 0, v15
	s_andn2_b64 s[34:35], s[34:35], exec
	s_and_b64 vcc, vcc, exec
	v_mov_b32_e32 v65, 0
	s_or_b64 s[34:35], s[34:35], vcc
	s_or_b64 exec, exec, s[36:37]
	s_and_saveexec_b64 s[36:37], s[34:35]
	s_cbranch_execnz .LBB166_2473
	s_branch .LBB166_2474
.LBB166_3118:                           ;   in Loop: Header=BB166_17 Depth=1
	s_movk_i32 vcc_lo, 0x80
	v_cmp_eq_u16_e32 vcc, vcc_lo, v15
	s_mov_b64 s[38:39], -1
	s_and_saveexec_b64 s[50:51], vcc
; %bb.3119:                             ;   in Loop: Header=BB166_17 Depth=1
	s_xor_b64 s[38:39], exec, -1
; %bb.3120:                             ;   in Loop: Header=BB166_17 Depth=1
	s_or_b64 exec, exec, s[50:51]
	s_and_b64 s[38:39], s[38:39], exec
	s_or_saveexec_b64 s[48:49], s[48:49]
	v_mov_b32_e32 v65, 0x7f800001
	s_xor_b64 exec, exec, s[48:49]
	s_cbranch_execz .LBB166_2577
.LBB166_3121:                           ;   in Loop: Header=BB166_17 Depth=1
	v_cmp_ne_u16_e32 vcc, 0, v15
	s_andn2_b64 s[38:39], s[38:39], exec
	s_and_b64 vcc, vcc, exec
	v_mov_b32_e32 v65, 0
	s_or_b64 s[38:39], s[38:39], vcc
	s_or_b64 exec, exec, s[48:49]
	s_and_saveexec_b64 s[48:49], s[38:39]
	s_cbranch_execnz .LBB166_2578
	s_branch .LBB166_2579
.LBB166_3122:                           ;   in Loop: Header=BB166_17 Depth=1
	s_movk_i32 vcc_lo, 0x80
	v_cmp_eq_u16_e32 vcc, vcc_lo, v15
	s_mov_b64 s[52:53], -1
	s_and_saveexec_b64 s[64:65], vcc
; %bb.3123:                             ;   in Loop: Header=BB166_17 Depth=1
	s_xor_b64 s[52:53], exec, -1
; %bb.3124:                             ;   in Loop: Header=BB166_17 Depth=1
	s_or_b64 exec, exec, s[64:65]
	s_and_b64 s[52:53], s[52:53], exec
	s_or_saveexec_b64 s[54:55], s[54:55]
	v_mov_b32_e32 v66, 0x7f800001
	s_xor_b64 exec, exec, s[54:55]
	s_cbranch_execz .LBB166_945
.LBB166_3125:                           ;   in Loop: Header=BB166_17 Depth=1
	v_cmp_ne_u16_e32 vcc, 0, v15
	s_andn2_b64 s[52:53], s[52:53], exec
	s_and_b64 vcc, vcc, exec
	v_mov_b32_e32 v66, 0
	s_or_b64 s[52:53], s[52:53], vcc
	s_or_b64 exec, exec, s[54:55]
	s_and_saveexec_b64 s[54:55], s[52:53]
	s_cbranch_execnz .LBB166_946
	s_branch .LBB166_947
.LBB166_3126:                           ;   in Loop: Header=BB166_17 Depth=1
	s_movk_i32 vcc_lo, 0x80
	v_cmp_eq_u16_e32 vcc, vcc_lo, v15
	s_mov_b64 s[64:65], -1
	s_and_saveexec_b64 s[68:69], vcc
; %bb.3127:                             ;   in Loop: Header=BB166_17 Depth=1
	s_xor_b64 s[64:65], exec, -1
; %bb.3128:                             ;   in Loop: Header=BB166_17 Depth=1
	s_or_b64 exec, exec, s[68:69]
	s_and_b64 s[64:65], s[64:65], exec
	s_or_saveexec_b64 s[66:67], s[66:67]
	v_mov_b32_e32 v66, 0x7f800001
	s_xor_b64 exec, exec, s[66:67]
	s_cbranch_execz .LBB166_1045
.LBB166_3129:                           ;   in Loop: Header=BB166_17 Depth=1
	v_cmp_ne_u16_e32 vcc, 0, v15
	s_andn2_b64 s[64:65], s[64:65], exec
	s_and_b64 vcc, vcc, exec
	v_mov_b32_e32 v66, 0
	s_or_b64 s[64:65], s[64:65], vcc
	s_or_b64 exec, exec, s[66:67]
	s_and_saveexec_b64 s[66:67], s[64:65]
	s_cbranch_execnz .LBB166_1046
	s_branch .LBB166_1047
.LBB166_3130:                           ;   in Loop: Header=BB166_17 Depth=1
	v_cmp_gt_i16_sdwa vcc, v10, v20 src0_sel:BYTE_0 src1_sel:DWORD
	s_mov_b64 s[96:97], 0
                                        ; implicit-def: $vgpr65
	s_and_saveexec_b64 s[48:49], vcc
	s_xor_b64 s[70:71], exec, s[48:49]
	s_cbranch_execz .LBB166_3162
; %bb.3131:                             ;   in Loop: Header=BB166_17 Depth=1
	v_cmp_gt_i16_sdwa vcc, v10, v21 src0_sel:BYTE_0 src1_sel:DWORD
	s_mov_b64 s[86:87], 0
                                        ; implicit-def: $vgpr65
	s_and_saveexec_b64 s[48:49], vcc
	s_xor_b64 s[96:97], exec, s[48:49]
	s_cbranch_execz .LBB166_3147
; %bb.3132:                             ;   in Loop: Header=BB166_17 Depth=1
	v_cmp_gt_i16_sdwa s[48:49], v10, v22 src0_sel:BYTE_0 src1_sel:DWORD
	s_mov_b64 vcc, 0
                                        ; implicit-def: $vgpr65
	s_and_saveexec_b64 s[50:51], s[48:49]
	s_xor_b64 s[86:87], exec, s[50:51]
	s_cbranch_execz .LBB166_3142
; %bb.3133:                             ;   in Loop: Header=BB166_17 Depth=1
	v_cmp_gt_i16_sdwa vcc, v10, v23 src0_sel:BYTE_0 src1_sel:DWORD
                                        ; implicit-def: $vgpr65
	s_and_saveexec_b64 s[48:49], vcc
	s_xor_b64 vcc, exec, s[48:49]
	s_cbranch_execz .LBB166_3137
; %bb.3134:                             ;   in Loop: Header=BB166_17 Depth=1
	v_cmp_eq_u16_sdwa s[50:51], v10, v24 src0_sel:BYTE_0 src1_sel:DWORD
                                        ; implicit-def: $vgpr65
	s_and_saveexec_b64 s[48:49], s[50:51]
	s_cbranch_execz .LBB166_3136
; %bb.3135:                             ;   in Loop: Header=BB166_17 Depth=1
	flat_load_dword v15, v[15:16]
	s_mov_b64 s[54:55], exec
	s_waitcnt vmcnt(0) lgkmcnt(0)
	v_lshlrev_b32_e32 v65, 16, v15
.LBB166_3136:                           ;   in Loop: Header=BB166_17 Depth=1
	s_or_b64 exec, exec, s[48:49]
	s_and_b64 s[54:55], s[54:55], exec
                                        ; implicit-def: $vgpr15_vgpr16
.LBB166_3137:                           ;   in Loop: Header=BB166_17 Depth=1
	s_andn2_saveexec_b64 s[64:65], vcc
	s_cbranch_execz .LBB166_3141
; %bb.3138:                             ;   in Loop: Header=BB166_17 Depth=1
	v_cmp_eq_u16_sdwa s[48:49], v10, v25 src0_sel:BYTE_0 src1_sel:DWORD
	s_mov_b64 vcc, s[54:55]
                                        ; implicit-def: $vgpr65
	s_and_saveexec_b64 s[66:67], s[48:49]
	s_cbranch_execz .LBB166_3140
; %bb.3139:                             ;   in Loop: Header=BB166_17 Depth=1
	flat_load_ubyte v15, v[15:16]
	s_movk_i32 vcc_lo, 0xff
	s_waitcnt vmcnt(0) lgkmcnt(0)
	v_lshlrev_b32_e32 v16, 23, v15
	v_cmp_ne_u32_e32 vcc, vcc_lo, v15
	v_cndmask_b32_e32 v16, v26, v16, vcc
	v_cmp_ne_u32_e32 vcc, 0, v15
	v_cndmask_b32_e32 v65, v27, v16, vcc
	s_or_b64 vcc, s[54:55], exec
.LBB166_3140:                           ;   in Loop: Header=BB166_17 Depth=1
	s_or_b64 exec, exec, s[66:67]
	s_andn2_b64 s[48:49], s[54:55], exec
	s_and_b64 vcc, vcc, exec
	s_or_b64 s[54:55], s[48:49], vcc
.LBB166_3141:                           ;   in Loop: Header=BB166_17 Depth=1
	s_or_b64 exec, exec, s[64:65]
	s_and_b64 vcc, s[54:55], exec
                                        ; implicit-def: $vgpr15_vgpr16
.LBB166_3142:                           ;   in Loop: Header=BB166_17 Depth=1
	s_andn2_saveexec_b64 s[54:55], s[86:87]
	s_cbranch_execz .LBB166_3146
; %bb.3143:                             ;   in Loop: Header=BB166_17 Depth=1
	v_cmp_eq_u16_sdwa s[48:49], v10, v28 src0_sel:BYTE_0 src1_sel:DWORD
	s_mov_b64 s[66:67], vcc
                                        ; implicit-def: $vgpr65
	s_and_saveexec_b64 s[64:65], s[48:49]
	s_cbranch_execz .LBB166_3145
; %bb.3144:                             ;   in Loop: Header=BB166_17 Depth=1
	flat_load_dwordx2 v[15:16], v[15:16]
	s_or_b64 s[66:67], vcc, exec
	s_waitcnt vmcnt(0) lgkmcnt(0)
	v_ffbh_u32_e32 v65, v16
	v_min_u32_e32 v65, 32, v65
	v_lshlrev_b64 v[15:16], v65, v[15:16]
	v_min_u32_e32 v15, 1, v15
	v_or_b32_e32 v15, v16, v15
	v_cvt_f32_u32_e32 v15, v15
	v_sub_u32_e32 v16, 32, v65
	v_ldexp_f32 v65, v15, v16
.LBB166_3145:                           ;   in Loop: Header=BB166_17 Depth=1
	s_or_b64 exec, exec, s[64:65]
	s_andn2_b64 vcc, vcc, exec
	s_and_b64 s[48:49], s[66:67], exec
	s_or_b64 vcc, vcc, s[48:49]
.LBB166_3146:                           ;   in Loop: Header=BB166_17 Depth=1
	s_or_b64 exec, exec, s[54:55]
	s_and_b64 s[86:87], vcc, exec
                                        ; implicit-def: $vgpr15_vgpr16
.LBB166_3147:                           ;   in Loop: Header=BB166_17 Depth=1
	s_andn2_saveexec_b64 s[96:97], s[96:97]
	s_cbranch_execz .LBB166_3161
; %bb.3148:                             ;   in Loop: Header=BB166_17 Depth=1
	v_cmp_gt_i16_sdwa vcc, v10, v29 src0_sel:BYTE_0 src1_sel:DWORD
                                        ; implicit-def: $vgpr65
	s_and_saveexec_b64 s[48:49], vcc
	s_xor_b64 vcc, exec, s[48:49]
	s_cbranch_execz .LBB166_3154
; %bb.3149:                             ;   in Loop: Header=BB166_17 Depth=1
	s_mov_b64 s[54:55], s[52:53]
	v_cmp_gt_i16_sdwa s[48:49], v10, v30 src0_sel:BYTE_0 src1_sel:DWORD
                                        ; implicit-def: $vgpr65
	s_and_saveexec_b64 s[50:51], s[48:49]
	s_xor_b64 s[48:49], exec, s[50:51]
	s_cbranch_execz .LBB166_3151
; %bb.3150:                             ;   in Loop: Header=BB166_17 Depth=1
	flat_load_dword v15, v[15:16]
	s_waitcnt vmcnt(0) lgkmcnt(0)
	v_cvt_f32_u32_e32 v65, v15
                                        ; implicit-def: $vgpr15_vgpr16
.LBB166_3151:                           ;   in Loop: Header=BB166_17 Depth=1
	s_andn2_saveexec_b64 s[48:49], s[48:49]
	s_cbranch_execz .LBB166_3153
; %bb.3152:                             ;   in Loop: Header=BB166_17 Depth=1
	flat_load_ushort v15, v[15:16]
	s_waitcnt vmcnt(0) lgkmcnt(0)
	v_cvt_f32_u32_e32 v65, v15
.LBB166_3153:                           ;   in Loop: Header=BB166_17 Depth=1
	s_or_b64 exec, exec, s[48:49]
	s_mov_b64 s[52:53], s[54:55]
                                        ; implicit-def: $vgpr15_vgpr16
.LBB166_3154:                           ;   in Loop: Header=BB166_17 Depth=1
	s_andn2_saveexec_b64 s[54:55], vcc
	s_cbranch_execz .LBB166_3160
; %bb.3155:                             ;   in Loop: Header=BB166_17 Depth=1
	flat_load_ubyte v15, v[15:16]
	s_movk_i32 vcc_lo, 0x7f
	s_mov_b64 s[64:65], 0
	s_waitcnt vmcnt(0) lgkmcnt(0)
	v_cmp_lt_i16_e32 vcc, vcc_lo, v15
	s_and_saveexec_b64 s[48:49], vcc
	s_xor_b64 s[66:67], exec, s[48:49]
	s_cbranch_execnz .LBB166_3598
; %bb.3156:                             ;   in Loop: Header=BB166_17 Depth=1
	s_or_saveexec_b64 s[66:67], s[66:67]
	v_mov_b32_e32 v65, 0x7f800001
	s_xor_b64 exec, exec, s[66:67]
	s_cbranch_execnz .LBB166_3601
.LBB166_3157:                           ;   in Loop: Header=BB166_17 Depth=1
	s_or_b64 exec, exec, s[66:67]
	s_and_saveexec_b64 s[66:67], s[64:65]
	s_cbranch_execz .LBB166_3159
.LBB166_3158:                           ;   in Loop: Header=BB166_17 Depth=1
	v_lshlrev_b32_e32 v16, 24, v15
	v_and_b32_e32 v15, 0xffff, v15
	v_and_b32_e32 v65, 7, v15
	v_ffbh_u32_e32 v67, v65
	v_min_u32_e32 v67, 32, v67
	v_subrev_u32_e32 v68, 28, v67
	v_bfe_u32 v66, v15, 3, 4
	v_lshlrev_b32_e32 v15, v68, v15
	v_sub_u32_e32 v67, 29, v67
	v_and_b32_e32 v15, 7, v15
	v_cmp_eq_u32_e32 vcc, 0, v66
	v_cndmask_b32_e32 v66, v66, v67, vcc
	v_cndmask_b32_e32 v15, v65, v15, vcc
	v_lshlrev_b32_e32 v15, 20, v15
	v_and_b32_e32 v16, 0x80000000, v16
	v_lshl_add_u32 v65, v66, 23, v31
	v_or3_b32 v65, v16, v65, v15
.LBB166_3159:                           ;   in Loop: Header=BB166_17 Depth=1
	s_or_b64 exec, exec, s[66:67]
.LBB166_3160:                           ;   in Loop: Header=BB166_17 Depth=1
	s_or_b64 exec, exec, s[54:55]
	s_or_b64 s[86:87], s[86:87], exec
.LBB166_3161:                           ;   in Loop: Header=BB166_17 Depth=1
	s_or_b64 exec, exec, s[96:97]
	s_and_b64 s[96:97], s[86:87], exec
                                        ; implicit-def: $vgpr15_vgpr16
.LBB166_3162:                           ;   in Loop: Header=BB166_17 Depth=1
	s_andn2_saveexec_b64 s[70:71], s[70:71]
	s_cbranch_execz .LBB166_3188
; %bb.3163:                             ;   in Loop: Header=BB166_17 Depth=1
	v_cmp_gt_i16_sdwa vcc, v10, v32 src0_sel:BYTE_0 src1_sel:DWORD
	s_mov_b64 s[86:87], s[96:97]
                                        ; implicit-def: $vgpr65
	s_and_saveexec_b64 s[48:49], vcc
	s_xor_b64 s[50:51], exec, s[48:49]
	s_cbranch_execz .LBB166_3177
; %bb.3164:                             ;   in Loop: Header=BB166_17 Depth=1
	v_cmp_gt_i16_sdwa vcc, v10, v33 src0_sel:BYTE_0 src1_sel:DWORD
                                        ; implicit-def: $vgpr65
	s_and_saveexec_b64 s[48:49], vcc
	s_xor_b64 s[86:87], exec, s[48:49]
	s_cbranch_execz .LBB166_3174
; %bb.3165:                             ;   in Loop: Header=BB166_17 Depth=1
	v_cmp_gt_i16_sdwa vcc, v10, v34 src0_sel:BYTE_0 src1_sel:DWORD
                                        ; implicit-def: $vgpr65
	s_and_saveexec_b64 s[48:49], vcc
	s_xor_b64 s[54:55], exec, s[48:49]
	s_cbranch_execz .LBB166_3171
; %bb.3166:                             ;   in Loop: Header=BB166_17 Depth=1
	flat_load_ubyte v15, v[15:16]
	s_movk_i32 vcc_lo, 0x7f
	s_mov_b64 s[64:65], 0
	s_waitcnt vmcnt(0) lgkmcnt(0)
	v_cmp_lt_i16_e32 vcc, vcc_lo, v15
	s_and_saveexec_b64 s[48:49], vcc
	s_xor_b64 s[66:67], exec, s[48:49]
	s_cbranch_execnz .LBB166_3610
; %bb.3167:                             ;   in Loop: Header=BB166_17 Depth=1
	s_or_saveexec_b64 s[66:67], s[66:67]
	v_mov_b32_e32 v65, 0x7f800001
	s_xor_b64 exec, exec, s[66:67]
	s_cbranch_execnz .LBB166_3613
.LBB166_3168:                           ;   in Loop: Header=BB166_17 Depth=1
	s_or_b64 exec, exec, s[66:67]
	s_and_saveexec_b64 s[66:67], s[64:65]
	s_cbranch_execz .LBB166_3170
.LBB166_3169:                           ;   in Loop: Header=BB166_17 Depth=1
	v_lshlrev_b32_e32 v16, 24, v15
	v_and_b32_e32 v15, 0xffff, v15
	v_and_b32_e32 v65, 3, v15
	v_ffbh_u32_e32 v67, v65
	v_min_u32_e32 v67, 32, v67
	v_subrev_u32_e32 v68, 29, v67
	v_bfe_u32 v66, v15, 2, 5
	v_lshlrev_b32_e32 v15, v68, v15
	v_sub_u32_e32 v67, 30, v67
	v_and_b32_e32 v15, 3, v15
	v_cmp_eq_u32_e32 vcc, 0, v66
	v_cndmask_b32_e32 v66, v66, v67, vcc
	v_cndmask_b32_e32 v15, v65, v15, vcc
	v_lshlrev_b32_e32 v15, 21, v15
	v_and_b32_e32 v16, 0x80000000, v16
	v_lshl_add_u32 v65, v66, 23, v35
	v_or3_b32 v65, v16, v65, v15
.LBB166_3170:                           ;   in Loop: Header=BB166_17 Depth=1
	s_or_b64 exec, exec, s[66:67]
                                        ; implicit-def: $vgpr15_vgpr16
.LBB166_3171:                           ;   in Loop: Header=BB166_17 Depth=1
	s_andn2_saveexec_b64 s[54:55], s[54:55]
	s_cbranch_execz .LBB166_3173
; %bb.3172:                             ;   in Loop: Header=BB166_17 Depth=1
	flat_load_ubyte v15, v[15:16]
	s_mov_b32 vcc_lo, 0x7f800000
	s_waitcnt vmcnt(0) lgkmcnt(0)
	v_lshlrev_b32_e32 v15, 24, v15
	v_and_b32_e32 v16, 0x7f000000, v15
	v_ffbh_u32_e32 v65, v16
	v_min_u32_e32 v65, 32, v65
	v_sub_u32_e64 v65, v65, 4 clamp
	v_lshlrev_b32_e32 v67, v65, v16
	v_lshlrev_b32_e32 v65, 23, v65
	v_lshrrev_b32_e32 v67, 4, v67
	v_add_u32_e32 v66, 0x1000000, v16
	v_sub_u32_e32 v65, v67, v65
	v_ashrrev_i32_e32 v66, 8, v66
	v_add_u32_e32 v65, 0x3c000000, v65
	v_and_or_b32 v65, v66, vcc_lo, v65
	v_cmp_ne_u32_e32 vcc, 0, v16
	v_cndmask_b32_e32 v16, 0, v65, vcc
	s_brev_b32 vcc_lo, 1
	v_and_or_b32 v65, v15, vcc_lo, v16
.LBB166_3173:                           ;   in Loop: Header=BB166_17 Depth=1
	s_or_b64 exec, exec, s[54:55]
                                        ; implicit-def: $vgpr15_vgpr16
.LBB166_3174:                           ;   in Loop: Header=BB166_17 Depth=1
	s_andn2_saveexec_b64 s[54:55], s[86:87]
	s_cbranch_execz .LBB166_3176
; %bb.3175:                             ;   in Loop: Header=BB166_17 Depth=1
	flat_load_ubyte v15, v[15:16]
	s_movk_i32 vcc_lo, 0x7f00
	s_waitcnt vmcnt(0) lgkmcnt(0)
	v_lshlrev_b16_e32 v16, 8, v15
	v_lshlrev_b32_e32 v15, 25, v15
	v_lshrrev_b32_e32 v65, 4, v15
	v_and_or_b32 v66, v16, vcc_lo, 0.5
	v_or_b32_e32 v65, 0x70000000, v65
	s_brev_b32 vcc_lo, 16
	v_add_f32_e32 v66, -0.5, v66
	v_mul_f32_e32 v65, 0x7800000, v65
	v_cmp_gt_u32_e32 vcc, vcc_lo, v15
	v_cndmask_b32_e32 v15, v65, v66, vcc
	v_bfe_i32 v16, v16, 0, 16
	s_brev_b32 vcc_lo, 1
	v_and_or_b32 v65, v16, vcc_lo, v15
.LBB166_3176:                           ;   in Loop: Header=BB166_17 Depth=1
	s_or_b64 exec, exec, s[54:55]
	s_or_b64 s[86:87], s[96:97], exec
                                        ; implicit-def: $vgpr15_vgpr16
.LBB166_3177:                           ;   in Loop: Header=BB166_17 Depth=1
	s_andn2_saveexec_b64 s[54:55], s[50:51]
	s_cbranch_execz .LBB166_3187
; %bb.3178:                             ;   in Loop: Header=BB166_17 Depth=1
	v_cmp_gt_i16_sdwa vcc, v10, v36 src0_sel:BYTE_0 src1_sel:DWORD
	s_mov_b64 s[64:65], s[86:87]
                                        ; implicit-def: $vgpr65
	s_and_saveexec_b64 s[48:49], vcc
	s_xor_b64 vcc, exec, s[48:49]
	s_cbranch_execz .LBB166_3182
; %bb.3179:                             ;   in Loop: Header=BB166_17 Depth=1
	v_cmp_eq_u16_sdwa s[50:51], v10, v37 src0_sel:BYTE_0 src1_sel:DWORD
	s_mov_b64 s[64:65], s[86:87]
                                        ; implicit-def: $vgpr65
	s_and_saveexec_b64 s[48:49], s[50:51]
	s_cbranch_execz .LBB166_3181
; %bb.3180:                             ;   in Loop: Header=BB166_17 Depth=1
	flat_load_ushort v15, v[15:16]
	s_or_b64 s[64:65], s[86:87], exec
	s_waitcnt vmcnt(0) lgkmcnt(0)
	v_lshlrev_b32_e32 v65, 16, v15
.LBB166_3181:                           ;   in Loop: Header=BB166_17 Depth=1
	s_or_b64 exec, exec, s[48:49]
	s_andn2_b64 s[48:49], s[86:87], exec
	s_and_b64 s[50:51], s[64:65], exec
	s_or_b64 s[64:65], s[48:49], s[50:51]
                                        ; implicit-def: $vgpr15_vgpr16
.LBB166_3182:                           ;   in Loop: Header=BB166_17 Depth=1
	s_andn2_saveexec_b64 s[66:67], vcc
	s_cbranch_execz .LBB166_3186
; %bb.3183:                             ;   in Loop: Header=BB166_17 Depth=1
	v_cmp_eq_u16_sdwa s[50:51], v10, v38 src0_sel:BYTE_0 src1_sel:DWORD
	s_mov_b64 vcc, s[64:65]
                                        ; implicit-def: $vgpr65
	s_and_saveexec_b64 s[48:49], s[50:51]
	s_cbranch_execz .LBB166_3185
; %bb.3184:                             ;   in Loop: Header=BB166_17 Depth=1
	flat_load_ubyte v15, v[15:16]
	s_waitcnt vmcnt(0) lgkmcnt(0)
	v_cmp_ne_u16_e32 vcc, 0, v15
	v_cndmask_b32_e64 v65, 0, 1.0, vcc
	s_or_b64 vcc, s[64:65], exec
.LBB166_3185:                           ;   in Loop: Header=BB166_17 Depth=1
	s_or_b64 exec, exec, s[48:49]
	s_andn2_b64 s[48:49], s[64:65], exec
	s_and_b64 vcc, vcc, exec
	s_or_b64 s[64:65], s[48:49], vcc
.LBB166_3186:                           ;   in Loop: Header=BB166_17 Depth=1
	s_or_b64 exec, exec, s[66:67]
	s_andn2_b64 vcc, s[86:87], exec
	s_and_b64 s[48:49], s[64:65], exec
	s_or_b64 s[86:87], vcc, s[48:49]
.LBB166_3187:                           ;   in Loop: Header=BB166_17 Depth=1
	s_or_b64 exec, exec, s[54:55]
	s_andn2_b64 vcc, s[96:97], exec
	s_and_b64 s[48:49], s[86:87], exec
	s_or_b64 s[96:97], vcc, s[48:49]
.LBB166_3188:                           ;   in Loop: Header=BB166_17 Depth=1
	s_or_b64 exec, exec, s[70:71]
	s_and_b64 vcc, s[96:97], exec
                                        ; implicit-def: $vgpr15_vgpr16
	s_andn2_saveexec_b64 s[68:69], s[68:69]
	s_cbranch_execz .LBB166_1455
.LBB166_3189:                           ;   in Loop: Header=BB166_17 Depth=1
	v_cmp_gt_i16_sdwa s[48:49], v10, v39 src0_sel:BYTE_0 src1_sel:DWORD
                                        ; implicit-def: $vgpr65
	s_and_saveexec_b64 s[50:51], s[48:49]
	s_xor_b64 s[70:71], exec, s[50:51]
	s_cbranch_execz .LBB166_3211
; %bb.3190:                             ;   in Loop: Header=BB166_17 Depth=1
	v_cmp_gt_i16_sdwa s[48:49], v10, v48 src0_sel:BYTE_0 src1_sel:DWORD
                                        ; implicit-def: $vgpr65
	s_and_saveexec_b64 s[50:51], s[48:49]
	s_xor_b64 s[54:55], exec, s[50:51]
	s_cbranch_execz .LBB166_3200
; %bb.3191:                             ;   in Loop: Header=BB166_17 Depth=1
	;; [unrolled: 6-line block ×3, first 2 shown]
	s_mov_b64 s[66:67], s[52:53]
	v_cmp_gt_i16_sdwa s[48:49], v10, v50 src0_sel:BYTE_0 src1_sel:DWORD
                                        ; implicit-def: $vgpr65
	s_and_saveexec_b64 s[50:51], s[48:49]
	s_xor_b64 s[48:49], exec, s[50:51]
	s_cbranch_execz .LBB166_3194
; %bb.3193:                             ;   in Loop: Header=BB166_17 Depth=1
	flat_load_dwordx2 v[15:16], v[15:16]
	s_waitcnt vmcnt(0) lgkmcnt(0)
	v_cvt_f32_f64_e32 v65, v[15:16]
                                        ; implicit-def: $vgpr15_vgpr16
.LBB166_3194:                           ;   in Loop: Header=BB166_17 Depth=1
	s_andn2_saveexec_b64 s[48:49], s[48:49]
	s_cbranch_execz .LBB166_3196
; %bb.3195:                             ;   in Loop: Header=BB166_17 Depth=1
	flat_load_dword v65, v[15:16]
.LBB166_3196:                           ;   in Loop: Header=BB166_17 Depth=1
	s_or_b64 exec, exec, s[48:49]
	s_mov_b64 s[52:53], s[66:67]
                                        ; implicit-def: $vgpr15_vgpr16
.LBB166_3197:                           ;   in Loop: Header=BB166_17 Depth=1
	s_andn2_saveexec_b64 s[48:49], s[64:65]
	s_cbranch_execz .LBB166_3199
; %bb.3198:                             ;   in Loop: Header=BB166_17 Depth=1
	flat_load_dword v15, v[15:16]
	s_waitcnt vmcnt(0) lgkmcnt(0)
	v_cvt_f32_f16_e32 v65, v15
.LBB166_3199:                           ;   in Loop: Header=BB166_17 Depth=1
	s_or_b64 exec, exec, s[48:49]
                                        ; implicit-def: $vgpr15_vgpr16
.LBB166_3200:                           ;   in Loop: Header=BB166_17 Depth=1
	s_andn2_saveexec_b64 s[54:55], s[54:55]
	s_cbranch_execz .LBB166_3210
; %bb.3201:                             ;   in Loop: Header=BB166_17 Depth=1
	v_cmp_gt_i16_sdwa s[48:49], v10, v51 src0_sel:BYTE_0 src1_sel:DWORD
                                        ; implicit-def: $vgpr65
	s_and_saveexec_b64 s[50:51], s[48:49]
	s_xor_b64 s[64:65], exec, s[50:51]
	s_cbranch_execz .LBB166_3207
; %bb.3202:                             ;   in Loop: Header=BB166_17 Depth=1
	s_mov_b64 s[66:67], s[52:53]
	v_cmp_gt_i16_sdwa s[48:49], v10, v52 src0_sel:BYTE_0 src1_sel:DWORD
                                        ; implicit-def: $vgpr65
	s_and_saveexec_b64 s[50:51], s[48:49]
	s_xor_b64 s[48:49], exec, s[50:51]
	s_cbranch_execz .LBB166_3204
; %bb.3203:                             ;   in Loop: Header=BB166_17 Depth=1
	flat_load_dwordx2 v[15:16], v[15:16]
	s_waitcnt vmcnt(0) lgkmcnt(0)
	v_cvt_f32_f64_e32 v65, v[15:16]
                                        ; implicit-def: $vgpr15_vgpr16
.LBB166_3204:                           ;   in Loop: Header=BB166_17 Depth=1
	s_andn2_saveexec_b64 s[48:49], s[48:49]
	s_cbranch_execz .LBB166_3206
; %bb.3205:                             ;   in Loop: Header=BB166_17 Depth=1
	s_waitcnt vmcnt(0) lgkmcnt(0)
	flat_load_dword v65, v[15:16]
.LBB166_3206:                           ;   in Loop: Header=BB166_17 Depth=1
	s_or_b64 exec, exec, s[48:49]
	s_mov_b64 s[52:53], s[66:67]
                                        ; implicit-def: $vgpr15_vgpr16
.LBB166_3207:                           ;   in Loop: Header=BB166_17 Depth=1
	s_andn2_saveexec_b64 s[48:49], s[64:65]
	s_cbranch_execz .LBB166_3209
; %bb.3208:                             ;   in Loop: Header=BB166_17 Depth=1
	flat_load_ushort v15, v[15:16]
	s_waitcnt vmcnt(0) lgkmcnt(0)
	v_cvt_f32_f16_e32 v65, v15
.LBB166_3209:                           ;   in Loop: Header=BB166_17 Depth=1
	s_or_b64 exec, exec, s[48:49]
.LBB166_3210:                           ;   in Loop: Header=BB166_17 Depth=1
	s_or_b64 exec, exec, s[54:55]
                                        ; implicit-def: $vgpr15_vgpr16
.LBB166_3211:                           ;   in Loop: Header=BB166_17 Depth=1
	s_andn2_saveexec_b64 s[70:71], s[70:71]
	s_cbranch_execz .LBB166_3229
; %bb.3212:                             ;   in Loop: Header=BB166_17 Depth=1
	v_cmp_gt_i16_sdwa s[48:49], v10, v53 src0_sel:BYTE_0 src1_sel:DWORD
                                        ; implicit-def: $vgpr65
	s_and_saveexec_b64 s[50:51], s[48:49]
	s_xor_b64 s[54:55], exec, s[50:51]
	s_cbranch_execz .LBB166_3222
; %bb.3213:                             ;   in Loop: Header=BB166_17 Depth=1
	v_cmp_gt_i16_sdwa s[48:49], v10, v54 src0_sel:BYTE_0 src1_sel:DWORD
                                        ; implicit-def: $vgpr65
	s_and_saveexec_b64 s[50:51], s[48:49]
	s_xor_b64 s[64:65], exec, s[50:51]
	;; [unrolled: 6-line block ×3, first 2 shown]
	s_cbranch_execz .LBB166_3216
; %bb.3215:                             ;   in Loop: Header=BB166_17 Depth=1
	flat_load_dwordx2 v[15:16], v[15:16]
	s_waitcnt vmcnt(0) lgkmcnt(0)
	v_xor_b32_e32 v66, v15, v16
	v_ffbh_i32_e32 v65, v16
	v_ashrrev_i32_e32 v66, 31, v66
	v_add_u32_e32 v65, -1, v65
	v_add_u32_e32 v66, 32, v66
	v_min_u32_e32 v65, v65, v66
	v_lshlrev_b64 v[15:16], v65, v[15:16]
	v_min_u32_e32 v15, 1, v15
	v_or_b32_e32 v15, v16, v15
	v_cvt_f32_i32_e32 v15, v15
	v_sub_u32_e32 v16, 32, v65
	v_ldexp_f32 v65, v15, v16
                                        ; implicit-def: $vgpr15_vgpr16
.LBB166_3216:                           ;   in Loop: Header=BB166_17 Depth=1
	s_andn2_saveexec_b64 s[48:49], s[66:67]
	s_cbranch_execz .LBB166_3218
; %bb.3217:                             ;   in Loop: Header=BB166_17 Depth=1
	flat_load_dword v15, v[15:16]
	s_waitcnt vmcnt(0) lgkmcnt(0)
	v_cvt_f32_i32_e32 v65, v15
.LBB166_3218:                           ;   in Loop: Header=BB166_17 Depth=1
	s_or_b64 exec, exec, s[48:49]
                                        ; implicit-def: $vgpr15_vgpr16
.LBB166_3219:                           ;   in Loop: Header=BB166_17 Depth=1
	s_andn2_saveexec_b64 s[48:49], s[64:65]
	s_cbranch_execz .LBB166_3221
; %bb.3220:                             ;   in Loop: Header=BB166_17 Depth=1
	flat_load_sshort v15, v[15:16]
	s_waitcnt vmcnt(0) lgkmcnt(0)
	v_cvt_f32_i32_e32 v65, v15
.LBB166_3221:                           ;   in Loop: Header=BB166_17 Depth=1
	s_or_b64 exec, exec, s[48:49]
                                        ; implicit-def: $vgpr15_vgpr16
.LBB166_3222:                           ;   in Loop: Header=BB166_17 Depth=1
	s_andn2_saveexec_b64 s[54:55], s[54:55]
	s_cbranch_execz .LBB166_3228
; %bb.3223:                             ;   in Loop: Header=BB166_17 Depth=1
	s_mov_b64 s[64:65], s[52:53]
	v_cmp_gt_i16_sdwa s[48:49], v10, v18 src0_sel:BYTE_0 src1_sel:DWORD
                                        ; implicit-def: $vgpr65
	s_and_saveexec_b64 s[50:51], s[48:49]
	s_xor_b64 s[48:49], exec, s[50:51]
	s_cbranch_execz .LBB166_3225
; %bb.3224:                             ;   in Loop: Header=BB166_17 Depth=1
	flat_load_sbyte v15, v[15:16]
	s_waitcnt vmcnt(0) lgkmcnt(0)
	v_cvt_f32_i32_e32 v65, v15
                                        ; implicit-def: $vgpr15_vgpr16
.LBB166_3225:                           ;   in Loop: Header=BB166_17 Depth=1
	s_andn2_saveexec_b64 s[48:49], s[48:49]
	s_cbranch_execz .LBB166_3227
; %bb.3226:                             ;   in Loop: Header=BB166_17 Depth=1
	flat_load_ubyte v15, v[15:16]
	s_waitcnt vmcnt(0) lgkmcnt(0)
	v_cvt_f32_ubyte0_e32 v65, v15
.LBB166_3227:                           ;   in Loop: Header=BB166_17 Depth=1
	s_or_b64 exec, exec, s[48:49]
	s_mov_b64 s[52:53], s[64:65]
.LBB166_3228:                           ;   in Loop: Header=BB166_17 Depth=1
	s_or_b64 exec, exec, s[54:55]
.LBB166_3229:                           ;   in Loop: Header=BB166_17 Depth=1
	s_or_b64 exec, exec, s[70:71]
	s_or_b64 vcc, vcc, exec
	s_or_b64 exec, exec, s[68:69]
	s_mov_b64 s[54:55], 0
	s_and_saveexec_b64 s[64:65], vcc
	s_cbranch_execnz .LBB166_1456
	s_branch .LBB166_1457
.LBB166_3230:                           ;   in Loop: Header=BB166_17 Depth=1
	s_movk_i32 vcc_lo, 0x80
	v_cmp_eq_u16_e32 vcc, vcc_lo, v15
	s_mov_b64 s[48:49], -1
	s_and_saveexec_b64 s[52:53], vcc
; %bb.3231:                             ;   in Loop: Header=BB166_17 Depth=1
	s_xor_b64 s[48:49], exec, -1
; %bb.3232:                             ;   in Loop: Header=BB166_17 Depth=1
	s_or_b64 exec, exec, s[52:53]
	s_and_b64 s[48:49], s[48:49], exec
	s_or_saveexec_b64 s[50:51], s[50:51]
	v_mov_b32_e32 v65, 0x7f800001
	s_xor_b64 exec, exec, s[50:51]
	s_cbranch_execz .LBB166_2588
.LBB166_3233:                           ;   in Loop: Header=BB166_17 Depth=1
	v_cmp_ne_u16_e32 vcc, 0, v15
	s_andn2_b64 s[48:49], s[48:49], exec
	s_and_b64 vcc, vcc, exec
	v_mov_b32_e32 v65, 0
	s_or_b64 s[48:49], s[48:49], vcc
	s_or_b64 exec, exec, s[50:51]
	s_and_saveexec_b64 s[50:51], s[48:49]
	s_cbranch_execnz .LBB166_2589
	s_branch .LBB166_2590
.LBB166_3234:                           ;   in Loop: Header=BB166_17 Depth=1
	s_movk_i32 vcc_lo, 0x80
	v_cmp_eq_u16_e32 vcc, vcc_lo, v15
	s_mov_b64 s[52:53], -1
	s_and_saveexec_b64 s[64:65], vcc
; %bb.3235:                             ;   in Loop: Header=BB166_17 Depth=1
	s_xor_b64 s[52:53], exec, -1
; %bb.3236:                             ;   in Loop: Header=BB166_17 Depth=1
	s_or_b64 exec, exec, s[64:65]
	s_and_b64 s[52:53], s[52:53], exec
	s_or_saveexec_b64 s[54:55], s[54:55]
	v_mov_b32_e32 v65, 0x7f800001
	s_xor_b64 exec, exec, s[54:55]
	s_cbranch_execz .LBB166_2693
.LBB166_3237:                           ;   in Loop: Header=BB166_17 Depth=1
	v_cmp_ne_u16_e32 vcc, 0, v15
	s_andn2_b64 s[52:53], s[52:53], exec
	s_and_b64 vcc, vcc, exec
	v_mov_b32_e32 v65, 0
	s_or_b64 s[52:53], s[52:53], vcc
	s_or_b64 exec, exec, s[54:55]
	s_and_saveexec_b64 s[54:55], s[52:53]
	s_cbranch_execnz .LBB166_2694
	s_branch .LBB166_2695
.LBB166_3238:                           ;   in Loop: Header=BB166_17 Depth=1
	s_movk_i32 vcc_lo, 0x80
	v_cmp_eq_u16_e32 vcc, vcc_lo, v15
	s_mov_b64 s[66:67], -1
	s_and_saveexec_b64 s[70:71], vcc
; %bb.3239:                             ;   in Loop: Header=BB166_17 Depth=1
	s_xor_b64 s[66:67], exec, -1
; %bb.3240:                             ;   in Loop: Header=BB166_17 Depth=1
	s_or_b64 exec, exec, s[70:71]
	s_and_b64 s[66:67], s[66:67], exec
	s_or_saveexec_b64 s[68:69], s[68:69]
	v_mov_b32_e32 v66, 0x7f800001
	s_xor_b64 exec, exec, s[68:69]
	s_cbranch_execz .LBB166_1056
.LBB166_3241:                           ;   in Loop: Header=BB166_17 Depth=1
	v_cmp_ne_u16_e32 vcc, 0, v15
	s_andn2_b64 s[66:67], s[66:67], exec
	s_and_b64 vcc, vcc, exec
	v_mov_b32_e32 v66, 0
	s_or_b64 s[66:67], s[66:67], vcc
	s_or_b64 exec, exec, s[68:69]
	s_and_saveexec_b64 s[68:69], s[66:67]
	s_cbranch_execnz .LBB166_1057
	s_branch .LBB166_1058
.LBB166_3242:                           ;   in Loop: Header=BB166_17 Depth=1
	s_movk_i32 vcc_lo, 0x80
	v_cmp_eq_u16_e32 vcc, vcc_lo, v15
	s_mov_b64 s[70:71], -1
	s_and_saveexec_b64 s[82:83], vcc
; %bb.3243:                             ;   in Loop: Header=BB166_17 Depth=1
	s_xor_b64 s[70:71], exec, -1
; %bb.3244:                             ;   in Loop: Header=BB166_17 Depth=1
	s_or_b64 exec, exec, s[82:83]
	s_and_b64 s[70:71], s[70:71], exec
	s_or_saveexec_b64 s[80:81], s[80:81]
	v_mov_b32_e32 v66, 0x7f800001
	s_xor_b64 exec, exec, s[80:81]
	s_cbranch_execz .LBB166_1156
.LBB166_3245:                           ;   in Loop: Header=BB166_17 Depth=1
	v_cmp_ne_u16_e32 vcc, 0, v15
	s_andn2_b64 s[70:71], s[70:71], exec
	s_and_b64 vcc, vcc, exec
	v_mov_b32_e32 v66, 0
	s_or_b64 s[70:71], s[70:71], vcc
	s_or_b64 exec, exec, s[80:81]
	s_and_saveexec_b64 s[80:81], s[70:71]
	s_cbranch_execnz .LBB166_1157
	s_branch .LBB166_1158
.LBB166_3246:                           ;   in Loop: Header=BB166_17 Depth=1
	v_cmp_gt_i16_sdwa vcc, v10, v20 src0_sel:BYTE_0 src1_sel:DWORD
	s_mov_b64 s[68:69], 0
                                        ; implicit-def: $vgpr65
	s_and_saveexec_b64 s[48:49], vcc
	s_xor_b64 s[84:85], exec, s[48:49]
	s_cbranch_execz .LBB166_3278
; %bb.3247:                             ;   in Loop: Header=BB166_17 Depth=1
	v_cmp_gt_i16_sdwa vcc, v10, v21 src0_sel:BYTE_0 src1_sel:DWORD
                                        ; implicit-def: $vgpr65
	s_and_saveexec_b64 s[48:49], vcc
	s_xor_b64 s[70:71], exec, s[48:49]
	s_cbranch_execz .LBB166_3263
; %bb.3248:                             ;   in Loop: Header=BB166_17 Depth=1
	s_mov_b64 s[80:81], s[50:51]
	v_cmp_gt_i16_sdwa s[48:49], v10, v22 src0_sel:BYTE_0 src1_sel:DWORD
	s_mov_b64 vcc, 0
                                        ; implicit-def: $vgpr65
	s_and_saveexec_b64 s[50:51], s[48:49]
	s_xor_b64 s[68:69], exec, s[50:51]
	s_cbranch_execz .LBB166_3258
; %bb.3249:                             ;   in Loop: Header=BB166_17 Depth=1
	v_cmp_gt_i16_sdwa vcc, v10, v23 src0_sel:BYTE_0 src1_sel:DWORD
                                        ; implicit-def: $vgpr65
	s_and_saveexec_b64 s[48:49], vcc
	s_xor_b64 vcc, exec, s[48:49]
	s_cbranch_execz .LBB166_3253
; %bb.3250:                             ;   in Loop: Header=BB166_17 Depth=1
	v_cmp_eq_u16_sdwa s[50:51], v10, v24 src0_sel:BYTE_0 src1_sel:DWORD
                                        ; implicit-def: $vgpr65
	s_and_saveexec_b64 s[48:49], s[50:51]
	s_cbranch_execz .LBB166_3252
; %bb.3251:                             ;   in Loop: Header=BB166_17 Depth=1
	flat_load_dword v15, v[15:16]
	s_mov_b64 s[54:55], exec
	s_waitcnt vmcnt(0) lgkmcnt(0)
	v_lshlrev_b32_e32 v65, 16, v15
.LBB166_3252:                           ;   in Loop: Header=BB166_17 Depth=1
	s_or_b64 exec, exec, s[48:49]
	s_and_b64 s[54:55], s[54:55], exec
                                        ; implicit-def: $vgpr15_vgpr16
.LBB166_3253:                           ;   in Loop: Header=BB166_17 Depth=1
	s_andn2_saveexec_b64 s[64:65], vcc
	s_cbranch_execz .LBB166_3257
; %bb.3254:                             ;   in Loop: Header=BB166_17 Depth=1
	v_cmp_eq_u16_sdwa s[48:49], v10, v25 src0_sel:BYTE_0 src1_sel:DWORD
	s_mov_b64 vcc, s[54:55]
                                        ; implicit-def: $vgpr65
	s_and_saveexec_b64 s[66:67], s[48:49]
	s_cbranch_execz .LBB166_3256
; %bb.3255:                             ;   in Loop: Header=BB166_17 Depth=1
	flat_load_ubyte v15, v[15:16]
	s_movk_i32 vcc_lo, 0xff
	s_waitcnt vmcnt(0) lgkmcnt(0)
	v_lshlrev_b32_e32 v16, 23, v15
	v_cmp_ne_u32_e32 vcc, vcc_lo, v15
	v_cndmask_b32_e32 v16, v26, v16, vcc
	v_cmp_ne_u32_e32 vcc, 0, v15
	v_cndmask_b32_e32 v65, v27, v16, vcc
	s_or_b64 vcc, s[54:55], exec
.LBB166_3256:                           ;   in Loop: Header=BB166_17 Depth=1
	s_or_b64 exec, exec, s[66:67]
	s_andn2_b64 s[48:49], s[54:55], exec
	s_and_b64 vcc, vcc, exec
	s_or_b64 s[54:55], s[48:49], vcc
.LBB166_3257:                           ;   in Loop: Header=BB166_17 Depth=1
	s_or_b64 exec, exec, s[64:65]
	s_and_b64 vcc, s[54:55], exec
                                        ; implicit-def: $vgpr15_vgpr16
.LBB166_3258:                           ;   in Loop: Header=BB166_17 Depth=1
	s_or_saveexec_b64 s[54:55], s[68:69]
	s_mov_b64 s[50:51], s[80:81]
	s_xor_b64 exec, exec, s[54:55]
	s_cbranch_execz .LBB166_3262
; %bb.3259:                             ;   in Loop: Header=BB166_17 Depth=1
	v_cmp_eq_u16_sdwa s[48:49], v10, v28 src0_sel:BYTE_0 src1_sel:DWORD
	s_mov_b64 s[66:67], vcc
                                        ; implicit-def: $vgpr65
	s_and_saveexec_b64 s[64:65], s[48:49]
	s_cbranch_execz .LBB166_3261
; %bb.3260:                             ;   in Loop: Header=BB166_17 Depth=1
	flat_load_dwordx2 v[15:16], v[15:16]
	s_or_b64 s[66:67], vcc, exec
	s_waitcnt vmcnt(0) lgkmcnt(0)
	v_ffbh_u32_e32 v65, v16
	v_min_u32_e32 v65, 32, v65
	v_lshlrev_b64 v[15:16], v65, v[15:16]
	v_min_u32_e32 v15, 1, v15
	v_or_b32_e32 v15, v16, v15
	v_cvt_f32_u32_e32 v15, v15
	v_sub_u32_e32 v16, 32, v65
	v_ldexp_f32 v65, v15, v16
.LBB166_3261:                           ;   in Loop: Header=BB166_17 Depth=1
	s_or_b64 exec, exec, s[64:65]
	s_andn2_b64 vcc, vcc, exec
	s_and_b64 s[48:49], s[66:67], exec
	s_or_b64 vcc, vcc, s[48:49]
.LBB166_3262:                           ;   in Loop: Header=BB166_17 Depth=1
	s_or_b64 exec, exec, s[54:55]
	s_and_b64 s[68:69], vcc, exec
                                        ; implicit-def: $vgpr15_vgpr16
.LBB166_3263:                           ;   in Loop: Header=BB166_17 Depth=1
	s_andn2_saveexec_b64 s[70:71], s[70:71]
	s_cbranch_execz .LBB166_3277
; %bb.3264:                             ;   in Loop: Header=BB166_17 Depth=1
	s_mov_b64 s[80:81], s[50:51]
	v_cmp_gt_i16_sdwa vcc, v10, v29 src0_sel:BYTE_0 src1_sel:DWORD
                                        ; implicit-def: $vgpr65
	s_and_saveexec_b64 s[48:49], vcc
	s_xor_b64 vcc, exec, s[48:49]
	s_cbranch_execz .LBB166_3270
; %bb.3265:                             ;   in Loop: Header=BB166_17 Depth=1
	s_mov_b64 s[54:55], s[52:53]
	v_cmp_gt_i16_sdwa s[48:49], v10, v30 src0_sel:BYTE_0 src1_sel:DWORD
                                        ; implicit-def: $vgpr65
	s_and_saveexec_b64 s[50:51], s[48:49]
	s_xor_b64 s[48:49], exec, s[50:51]
	s_cbranch_execz .LBB166_3267
; %bb.3266:                             ;   in Loop: Header=BB166_17 Depth=1
	flat_load_dword v15, v[15:16]
	s_waitcnt vmcnt(0) lgkmcnt(0)
	v_cvt_f32_u32_e32 v65, v15
                                        ; implicit-def: $vgpr15_vgpr16
.LBB166_3267:                           ;   in Loop: Header=BB166_17 Depth=1
	s_andn2_saveexec_b64 s[48:49], s[48:49]
	s_cbranch_execz .LBB166_3269
; %bb.3268:                             ;   in Loop: Header=BB166_17 Depth=1
	flat_load_ushort v15, v[15:16]
	s_waitcnt vmcnt(0) lgkmcnt(0)
	v_cvt_f32_u32_e32 v65, v15
.LBB166_3269:                           ;   in Loop: Header=BB166_17 Depth=1
	s_or_b64 exec, exec, s[48:49]
	s_mov_b64 s[52:53], s[54:55]
                                        ; implicit-def: $vgpr15_vgpr16
.LBB166_3270:                           ;   in Loop: Header=BB166_17 Depth=1
	s_andn2_saveexec_b64 s[54:55], vcc
	s_cbranch_execz .LBB166_3276
; %bb.3271:                             ;   in Loop: Header=BB166_17 Depth=1
	flat_load_ubyte v15, v[15:16]
	s_movk_i32 vcc_lo, 0x7f
	s_mov_b64 s[64:65], 0
	s_waitcnt vmcnt(0) lgkmcnt(0)
	v_cmp_lt_i16_e32 vcc, vcc_lo, v15
	s_and_saveexec_b64 s[48:49], vcc
	s_xor_b64 s[66:67], exec, s[48:49]
	s_cbranch_execnz .LBB166_3614
; %bb.3272:                             ;   in Loop: Header=BB166_17 Depth=1
	s_or_saveexec_b64 s[66:67], s[66:67]
	v_mov_b32_e32 v65, 0x7f800001
	s_xor_b64 exec, exec, s[66:67]
	s_cbranch_execnz .LBB166_3617
.LBB166_3273:                           ;   in Loop: Header=BB166_17 Depth=1
	s_or_b64 exec, exec, s[66:67]
	s_and_saveexec_b64 s[66:67], s[64:65]
	s_cbranch_execz .LBB166_3275
.LBB166_3274:                           ;   in Loop: Header=BB166_17 Depth=1
	v_lshlrev_b32_e32 v16, 24, v15
	v_and_b32_e32 v15, 0xffff, v15
	v_and_b32_e32 v65, 7, v15
	v_ffbh_u32_e32 v67, v65
	v_min_u32_e32 v67, 32, v67
	v_subrev_u32_e32 v68, 28, v67
	v_bfe_u32 v66, v15, 3, 4
	v_lshlrev_b32_e32 v15, v68, v15
	v_sub_u32_e32 v67, 29, v67
	v_and_b32_e32 v15, 7, v15
	v_cmp_eq_u32_e32 vcc, 0, v66
	v_cndmask_b32_e32 v66, v66, v67, vcc
	v_cndmask_b32_e32 v15, v65, v15, vcc
	v_lshlrev_b32_e32 v15, 20, v15
	v_and_b32_e32 v16, 0x80000000, v16
	v_lshl_add_u32 v65, v66, 23, v31
	v_or3_b32 v65, v16, v65, v15
.LBB166_3275:                           ;   in Loop: Header=BB166_17 Depth=1
	s_or_b64 exec, exec, s[66:67]
.LBB166_3276:                           ;   in Loop: Header=BB166_17 Depth=1
	s_or_b64 exec, exec, s[54:55]
	s_or_b64 s[68:69], s[68:69], exec
	s_mov_b64 s[50:51], s[80:81]
.LBB166_3277:                           ;   in Loop: Header=BB166_17 Depth=1
	s_or_b64 exec, exec, s[70:71]
	s_and_b64 s[68:69], s[68:69], exec
                                        ; implicit-def: $vgpr15_vgpr16
.LBB166_3278:                           ;   in Loop: Header=BB166_17 Depth=1
	s_andn2_saveexec_b64 s[84:85], s[84:85]
	s_cbranch_execz .LBB166_3304
; %bb.3279:                             ;   in Loop: Header=BB166_17 Depth=1
	v_cmp_gt_i16_sdwa vcc, v10, v32 src0_sel:BYTE_0 src1_sel:DWORD
	s_mov_b64 s[80:81], s[68:69]
                                        ; implicit-def: $vgpr65
	s_and_saveexec_b64 s[48:49], vcc
	s_xor_b64 s[70:71], exec, s[48:49]
	s_cbranch_execz .LBB166_3293
; %bb.3280:                             ;   in Loop: Header=BB166_17 Depth=1
	v_cmp_gt_i16_sdwa vcc, v10, v33 src0_sel:BYTE_0 src1_sel:DWORD
                                        ; implicit-def: $vgpr65
	s_and_saveexec_b64 s[48:49], vcc
	s_xor_b64 s[80:81], exec, s[48:49]
	s_cbranch_execz .LBB166_3290
; %bb.3281:                             ;   in Loop: Header=BB166_17 Depth=1
	v_cmp_gt_i16_sdwa vcc, v10, v34 src0_sel:BYTE_0 src1_sel:DWORD
                                        ; implicit-def: $vgpr65
	s_and_saveexec_b64 s[48:49], vcc
	s_xor_b64 s[54:55], exec, s[48:49]
	s_cbranch_execz .LBB166_3287
; %bb.3282:                             ;   in Loop: Header=BB166_17 Depth=1
	flat_load_ubyte v15, v[15:16]
	s_movk_i32 vcc_lo, 0x7f
	s_mov_b64 s[64:65], 0
	s_waitcnt vmcnt(0) lgkmcnt(0)
	v_cmp_lt_i16_e32 vcc, vcc_lo, v15
	s_and_saveexec_b64 s[48:49], vcc
	s_xor_b64 s[66:67], exec, s[48:49]
	s_cbranch_execnz .LBB166_3626
; %bb.3283:                             ;   in Loop: Header=BB166_17 Depth=1
	s_or_saveexec_b64 s[66:67], s[66:67]
	v_mov_b32_e32 v65, 0x7f800001
	s_xor_b64 exec, exec, s[66:67]
	s_cbranch_execnz .LBB166_3629
.LBB166_3284:                           ;   in Loop: Header=BB166_17 Depth=1
	s_or_b64 exec, exec, s[66:67]
	s_and_saveexec_b64 s[66:67], s[64:65]
	s_cbranch_execz .LBB166_3286
.LBB166_3285:                           ;   in Loop: Header=BB166_17 Depth=1
	v_lshlrev_b32_e32 v16, 24, v15
	v_and_b32_e32 v15, 0xffff, v15
	v_and_b32_e32 v65, 3, v15
	v_ffbh_u32_e32 v67, v65
	v_min_u32_e32 v67, 32, v67
	v_subrev_u32_e32 v68, 29, v67
	v_bfe_u32 v66, v15, 2, 5
	v_lshlrev_b32_e32 v15, v68, v15
	v_sub_u32_e32 v67, 30, v67
	v_and_b32_e32 v15, 3, v15
	v_cmp_eq_u32_e32 vcc, 0, v66
	v_cndmask_b32_e32 v66, v66, v67, vcc
	v_cndmask_b32_e32 v15, v65, v15, vcc
	v_lshlrev_b32_e32 v15, 21, v15
	v_and_b32_e32 v16, 0x80000000, v16
	v_lshl_add_u32 v65, v66, 23, v35
	v_or3_b32 v65, v16, v65, v15
.LBB166_3286:                           ;   in Loop: Header=BB166_17 Depth=1
	s_or_b64 exec, exec, s[66:67]
                                        ; implicit-def: $vgpr15_vgpr16
.LBB166_3287:                           ;   in Loop: Header=BB166_17 Depth=1
	s_andn2_saveexec_b64 s[54:55], s[54:55]
	s_cbranch_execz .LBB166_3289
; %bb.3288:                             ;   in Loop: Header=BB166_17 Depth=1
	flat_load_ubyte v15, v[15:16]
	s_mov_b32 vcc_lo, 0x7f800000
	s_waitcnt vmcnt(0) lgkmcnt(0)
	v_lshlrev_b32_e32 v15, 24, v15
	v_and_b32_e32 v16, 0x7f000000, v15
	v_ffbh_u32_e32 v65, v16
	v_min_u32_e32 v65, 32, v65
	v_sub_u32_e64 v65, v65, 4 clamp
	v_lshlrev_b32_e32 v67, v65, v16
	v_lshlrev_b32_e32 v65, 23, v65
	v_lshrrev_b32_e32 v67, 4, v67
	v_add_u32_e32 v66, 0x1000000, v16
	v_sub_u32_e32 v65, v67, v65
	v_ashrrev_i32_e32 v66, 8, v66
	v_add_u32_e32 v65, 0x3c000000, v65
	v_and_or_b32 v65, v66, vcc_lo, v65
	v_cmp_ne_u32_e32 vcc, 0, v16
	v_cndmask_b32_e32 v16, 0, v65, vcc
	s_brev_b32 vcc_lo, 1
	v_and_or_b32 v65, v15, vcc_lo, v16
.LBB166_3289:                           ;   in Loop: Header=BB166_17 Depth=1
	s_or_b64 exec, exec, s[54:55]
                                        ; implicit-def: $vgpr15_vgpr16
.LBB166_3290:                           ;   in Loop: Header=BB166_17 Depth=1
	s_andn2_saveexec_b64 s[54:55], s[80:81]
	s_cbranch_execz .LBB166_3292
; %bb.3291:                             ;   in Loop: Header=BB166_17 Depth=1
	flat_load_ubyte v15, v[15:16]
	s_movk_i32 vcc_lo, 0x7f00
	s_waitcnt vmcnt(0) lgkmcnt(0)
	v_lshlrev_b16_e32 v16, 8, v15
	v_lshlrev_b32_e32 v15, 25, v15
	v_lshrrev_b32_e32 v65, 4, v15
	v_and_or_b32 v66, v16, vcc_lo, 0.5
	v_or_b32_e32 v65, 0x70000000, v65
	s_brev_b32 vcc_lo, 16
	v_add_f32_e32 v66, -0.5, v66
	v_mul_f32_e32 v65, 0x7800000, v65
	v_cmp_gt_u32_e32 vcc, vcc_lo, v15
	v_cndmask_b32_e32 v15, v65, v66, vcc
	v_bfe_i32 v16, v16, 0, 16
	s_brev_b32 vcc_lo, 1
	v_and_or_b32 v65, v16, vcc_lo, v15
.LBB166_3292:                           ;   in Loop: Header=BB166_17 Depth=1
	s_or_b64 exec, exec, s[54:55]
	s_or_b64 s[80:81], s[68:69], exec
                                        ; implicit-def: $vgpr15_vgpr16
.LBB166_3293:                           ;   in Loop: Header=BB166_17 Depth=1
	s_andn2_saveexec_b64 s[54:55], s[70:71]
	s_cbranch_execz .LBB166_3303
; %bb.3294:                             ;   in Loop: Header=BB166_17 Depth=1
	s_mov_b64 s[70:71], s[50:51]
	v_cmp_gt_i16_sdwa vcc, v10, v36 src0_sel:BYTE_0 src1_sel:DWORD
	s_mov_b64 s[64:65], s[80:81]
                                        ; implicit-def: $vgpr65
	s_and_saveexec_b64 s[48:49], vcc
	s_xor_b64 vcc, exec, s[48:49]
	s_cbranch_execz .LBB166_3298
; %bb.3295:                             ;   in Loop: Header=BB166_17 Depth=1
	v_cmp_eq_u16_sdwa s[50:51], v10, v37 src0_sel:BYTE_0 src1_sel:DWORD
	s_mov_b64 s[64:65], s[80:81]
                                        ; implicit-def: $vgpr65
	s_and_saveexec_b64 s[48:49], s[50:51]
	s_cbranch_execz .LBB166_3297
; %bb.3296:                             ;   in Loop: Header=BB166_17 Depth=1
	flat_load_ushort v15, v[15:16]
	s_or_b64 s[64:65], s[80:81], exec
	s_waitcnt vmcnt(0) lgkmcnt(0)
	v_lshlrev_b32_e32 v65, 16, v15
.LBB166_3297:                           ;   in Loop: Header=BB166_17 Depth=1
	s_or_b64 exec, exec, s[48:49]
	s_andn2_b64 s[48:49], s[80:81], exec
	s_and_b64 s[50:51], s[64:65], exec
	s_or_b64 s[64:65], s[48:49], s[50:51]
                                        ; implicit-def: $vgpr15_vgpr16
.LBB166_3298:                           ;   in Loop: Header=BB166_17 Depth=1
	s_andn2_saveexec_b64 s[66:67], vcc
	s_cbranch_execz .LBB166_3302
; %bb.3299:                             ;   in Loop: Header=BB166_17 Depth=1
	v_cmp_eq_u16_sdwa s[50:51], v10, v38 src0_sel:BYTE_0 src1_sel:DWORD
	s_mov_b64 vcc, s[64:65]
                                        ; implicit-def: $vgpr65
	s_and_saveexec_b64 s[48:49], s[50:51]
	s_cbranch_execz .LBB166_3301
; %bb.3300:                             ;   in Loop: Header=BB166_17 Depth=1
	flat_load_ubyte v15, v[15:16]
	s_waitcnt vmcnt(0) lgkmcnt(0)
	v_cmp_ne_u16_e32 vcc, 0, v15
	v_cndmask_b32_e64 v65, 0, 1.0, vcc
	s_or_b64 vcc, s[64:65], exec
.LBB166_3301:                           ;   in Loop: Header=BB166_17 Depth=1
	s_or_b64 exec, exec, s[48:49]
	s_andn2_b64 s[48:49], s[64:65], exec
	s_and_b64 vcc, vcc, exec
	s_or_b64 s[64:65], s[48:49], vcc
.LBB166_3302:                           ;   in Loop: Header=BB166_17 Depth=1
	s_or_b64 exec, exec, s[66:67]
	s_andn2_b64 vcc, s[80:81], exec
	s_and_b64 s[48:49], s[64:65], exec
	s_or_b64 s[80:81], vcc, s[48:49]
	s_mov_b64 s[50:51], s[70:71]
.LBB166_3303:                           ;   in Loop: Header=BB166_17 Depth=1
	s_or_b64 exec, exec, s[54:55]
	s_andn2_b64 vcc, s[68:69], exec
	s_and_b64 s[48:49], s[80:81], exec
	s_or_b64 s[68:69], vcc, s[48:49]
.LBB166_3304:                           ;   in Loop: Header=BB166_17 Depth=1
	s_or_b64 exec, exec, s[84:85]
	s_and_b64 vcc, s[68:69], exec
                                        ; implicit-def: $vgpr15_vgpr16
	s_andn2_saveexec_b64 s[68:69], s[50:51]
	s_cbranch_execz .LBB166_1566
.LBB166_3305:                           ;   in Loop: Header=BB166_17 Depth=1
	v_cmp_gt_i16_sdwa s[48:49], v10, v39 src0_sel:BYTE_0 src1_sel:DWORD
                                        ; implicit-def: $vgpr65
	s_and_saveexec_b64 s[50:51], s[48:49]
	s_xor_b64 s[70:71], exec, s[50:51]
	s_cbranch_execz .LBB166_3327
; %bb.3306:                             ;   in Loop: Header=BB166_17 Depth=1
	v_cmp_gt_i16_sdwa s[48:49], v10, v48 src0_sel:BYTE_0 src1_sel:DWORD
                                        ; implicit-def: $vgpr65
	s_and_saveexec_b64 s[50:51], s[48:49]
	s_xor_b64 s[54:55], exec, s[50:51]
	s_cbranch_execz .LBB166_3316
; %bb.3307:                             ;   in Loop: Header=BB166_17 Depth=1
	;; [unrolled: 6-line block ×3, first 2 shown]
	s_mov_b64 s[66:67], s[52:53]
	v_cmp_gt_i16_sdwa s[48:49], v10, v50 src0_sel:BYTE_0 src1_sel:DWORD
                                        ; implicit-def: $vgpr65
	s_and_saveexec_b64 s[50:51], s[48:49]
	s_xor_b64 s[48:49], exec, s[50:51]
	s_cbranch_execz .LBB166_3310
; %bb.3309:                             ;   in Loop: Header=BB166_17 Depth=1
	flat_load_dwordx2 v[15:16], v[15:16]
	s_waitcnt vmcnt(0) lgkmcnt(0)
	v_cvt_f32_f64_e32 v65, v[15:16]
                                        ; implicit-def: $vgpr15_vgpr16
.LBB166_3310:                           ;   in Loop: Header=BB166_17 Depth=1
	s_andn2_saveexec_b64 s[48:49], s[48:49]
	s_cbranch_execz .LBB166_3312
; %bb.3311:                             ;   in Loop: Header=BB166_17 Depth=1
	flat_load_dword v65, v[15:16]
.LBB166_3312:                           ;   in Loop: Header=BB166_17 Depth=1
	s_or_b64 exec, exec, s[48:49]
	s_mov_b64 s[52:53], s[66:67]
                                        ; implicit-def: $vgpr15_vgpr16
.LBB166_3313:                           ;   in Loop: Header=BB166_17 Depth=1
	s_andn2_saveexec_b64 s[48:49], s[64:65]
	s_cbranch_execz .LBB166_3315
; %bb.3314:                             ;   in Loop: Header=BB166_17 Depth=1
	flat_load_dword v15, v[15:16]
	s_waitcnt vmcnt(0) lgkmcnt(0)
	v_cvt_f32_f16_e32 v65, v15
.LBB166_3315:                           ;   in Loop: Header=BB166_17 Depth=1
	s_or_b64 exec, exec, s[48:49]
                                        ; implicit-def: $vgpr15_vgpr16
.LBB166_3316:                           ;   in Loop: Header=BB166_17 Depth=1
	s_andn2_saveexec_b64 s[54:55], s[54:55]
	s_cbranch_execz .LBB166_3326
; %bb.3317:                             ;   in Loop: Header=BB166_17 Depth=1
	v_cmp_gt_i16_sdwa s[48:49], v10, v51 src0_sel:BYTE_0 src1_sel:DWORD
                                        ; implicit-def: $vgpr65
	s_and_saveexec_b64 s[50:51], s[48:49]
	s_xor_b64 s[64:65], exec, s[50:51]
	s_cbranch_execz .LBB166_3323
; %bb.3318:                             ;   in Loop: Header=BB166_17 Depth=1
	s_mov_b64 s[66:67], s[52:53]
	v_cmp_gt_i16_sdwa s[48:49], v10, v52 src0_sel:BYTE_0 src1_sel:DWORD
                                        ; implicit-def: $vgpr65
	s_and_saveexec_b64 s[50:51], s[48:49]
	s_xor_b64 s[48:49], exec, s[50:51]
	s_cbranch_execz .LBB166_3320
; %bb.3319:                             ;   in Loop: Header=BB166_17 Depth=1
	flat_load_dwordx2 v[15:16], v[15:16]
	s_waitcnt vmcnt(0) lgkmcnt(0)
	v_cvt_f32_f64_e32 v65, v[15:16]
                                        ; implicit-def: $vgpr15_vgpr16
.LBB166_3320:                           ;   in Loop: Header=BB166_17 Depth=1
	s_andn2_saveexec_b64 s[48:49], s[48:49]
	s_cbranch_execz .LBB166_3322
; %bb.3321:                             ;   in Loop: Header=BB166_17 Depth=1
	s_waitcnt vmcnt(0) lgkmcnt(0)
	flat_load_dword v65, v[15:16]
.LBB166_3322:                           ;   in Loop: Header=BB166_17 Depth=1
	s_or_b64 exec, exec, s[48:49]
	s_mov_b64 s[52:53], s[66:67]
                                        ; implicit-def: $vgpr15_vgpr16
.LBB166_3323:                           ;   in Loop: Header=BB166_17 Depth=1
	s_andn2_saveexec_b64 s[48:49], s[64:65]
	s_cbranch_execz .LBB166_3325
; %bb.3324:                             ;   in Loop: Header=BB166_17 Depth=1
	flat_load_ushort v15, v[15:16]
	s_waitcnt vmcnt(0) lgkmcnt(0)
	v_cvt_f32_f16_e32 v65, v15
.LBB166_3325:                           ;   in Loop: Header=BB166_17 Depth=1
	s_or_b64 exec, exec, s[48:49]
.LBB166_3326:                           ;   in Loop: Header=BB166_17 Depth=1
	s_or_b64 exec, exec, s[54:55]
                                        ; implicit-def: $vgpr15_vgpr16
.LBB166_3327:                           ;   in Loop: Header=BB166_17 Depth=1
	s_andn2_saveexec_b64 s[70:71], s[70:71]
	s_cbranch_execz .LBB166_3345
; %bb.3328:                             ;   in Loop: Header=BB166_17 Depth=1
	v_cmp_gt_i16_sdwa s[48:49], v10, v53 src0_sel:BYTE_0 src1_sel:DWORD
                                        ; implicit-def: $vgpr65
	s_and_saveexec_b64 s[50:51], s[48:49]
	s_xor_b64 s[54:55], exec, s[50:51]
	s_cbranch_execz .LBB166_3338
; %bb.3329:                             ;   in Loop: Header=BB166_17 Depth=1
	v_cmp_gt_i16_sdwa s[48:49], v10, v54 src0_sel:BYTE_0 src1_sel:DWORD
                                        ; implicit-def: $vgpr65
	s_and_saveexec_b64 s[50:51], s[48:49]
	s_xor_b64 s[64:65], exec, s[50:51]
	;; [unrolled: 6-line block ×3, first 2 shown]
	s_cbranch_execz .LBB166_3332
; %bb.3331:                             ;   in Loop: Header=BB166_17 Depth=1
	flat_load_dwordx2 v[15:16], v[15:16]
	s_waitcnt vmcnt(0) lgkmcnt(0)
	v_xor_b32_e32 v66, v15, v16
	v_ffbh_i32_e32 v65, v16
	v_ashrrev_i32_e32 v66, 31, v66
	v_add_u32_e32 v65, -1, v65
	v_add_u32_e32 v66, 32, v66
	v_min_u32_e32 v65, v65, v66
	v_lshlrev_b64 v[15:16], v65, v[15:16]
	v_min_u32_e32 v15, 1, v15
	v_or_b32_e32 v15, v16, v15
	v_cvt_f32_i32_e32 v15, v15
	v_sub_u32_e32 v16, 32, v65
	v_ldexp_f32 v65, v15, v16
                                        ; implicit-def: $vgpr15_vgpr16
.LBB166_3332:                           ;   in Loop: Header=BB166_17 Depth=1
	s_andn2_saveexec_b64 s[48:49], s[66:67]
	s_cbranch_execz .LBB166_3334
; %bb.3333:                             ;   in Loop: Header=BB166_17 Depth=1
	flat_load_dword v15, v[15:16]
	s_waitcnt vmcnt(0) lgkmcnt(0)
	v_cvt_f32_i32_e32 v65, v15
.LBB166_3334:                           ;   in Loop: Header=BB166_17 Depth=1
	s_or_b64 exec, exec, s[48:49]
                                        ; implicit-def: $vgpr15_vgpr16
.LBB166_3335:                           ;   in Loop: Header=BB166_17 Depth=1
	s_andn2_saveexec_b64 s[48:49], s[64:65]
	s_cbranch_execz .LBB166_3337
; %bb.3336:                             ;   in Loop: Header=BB166_17 Depth=1
	flat_load_sshort v15, v[15:16]
	s_waitcnt vmcnt(0) lgkmcnt(0)
	v_cvt_f32_i32_e32 v65, v15
.LBB166_3337:                           ;   in Loop: Header=BB166_17 Depth=1
	s_or_b64 exec, exec, s[48:49]
                                        ; implicit-def: $vgpr15_vgpr16
.LBB166_3338:                           ;   in Loop: Header=BB166_17 Depth=1
	s_andn2_saveexec_b64 s[54:55], s[54:55]
	s_cbranch_execz .LBB166_3344
; %bb.3339:                             ;   in Loop: Header=BB166_17 Depth=1
	s_mov_b64 s[64:65], s[52:53]
	v_cmp_gt_i16_sdwa s[48:49], v10, v18 src0_sel:BYTE_0 src1_sel:DWORD
                                        ; implicit-def: $vgpr65
	s_and_saveexec_b64 s[50:51], s[48:49]
	s_xor_b64 s[48:49], exec, s[50:51]
	s_cbranch_execz .LBB166_3341
; %bb.3340:                             ;   in Loop: Header=BB166_17 Depth=1
	flat_load_sbyte v15, v[15:16]
	s_waitcnt vmcnt(0) lgkmcnt(0)
	v_cvt_f32_i32_e32 v65, v15
                                        ; implicit-def: $vgpr15_vgpr16
.LBB166_3341:                           ;   in Loop: Header=BB166_17 Depth=1
	s_andn2_saveexec_b64 s[48:49], s[48:49]
	s_cbranch_execz .LBB166_3343
; %bb.3342:                             ;   in Loop: Header=BB166_17 Depth=1
	flat_load_ubyte v15, v[15:16]
	s_waitcnt vmcnt(0) lgkmcnt(0)
	v_cvt_f32_ubyte0_e32 v65, v15
.LBB166_3343:                           ;   in Loop: Header=BB166_17 Depth=1
	s_or_b64 exec, exec, s[48:49]
	s_mov_b64 s[52:53], s[64:65]
.LBB166_3344:                           ;   in Loop: Header=BB166_17 Depth=1
	s_or_b64 exec, exec, s[54:55]
.LBB166_3345:                           ;   in Loop: Header=BB166_17 Depth=1
	s_or_b64 exec, exec, s[70:71]
	s_or_b64 vcc, vcc, exec
	s_or_b64 exec, exec, s[68:69]
	s_mov_b64 s[54:55], 0
	s_and_saveexec_b64 s[64:65], vcc
	s_cbranch_execnz .LBB166_1567
	s_branch .LBB166_1568
.LBB166_3346:                           ;   in Loop: Header=BB166_17 Depth=1
	s_movk_i32 vcc_lo, 0x80
	v_cmp_eq_u16_e32 vcc, vcc_lo, v15
	s_mov_b64 s[54:55], -1
	s_and_saveexec_b64 s[66:67], vcc
; %bb.3347:                             ;   in Loop: Header=BB166_17 Depth=1
	s_xor_b64 s[54:55], exec, -1
; %bb.3348:                             ;   in Loop: Header=BB166_17 Depth=1
	s_or_b64 exec, exec, s[66:67]
	s_and_b64 s[54:55], s[54:55], exec
	s_or_saveexec_b64 s[64:65], s[64:65]
	v_mov_b32_e32 v65, 0x7f800001
	s_xor_b64 exec, exec, s[64:65]
	s_cbranch_execz .LBB166_2704
.LBB166_3349:                           ;   in Loop: Header=BB166_17 Depth=1
	v_cmp_ne_u16_e32 vcc, 0, v15
	s_andn2_b64 s[54:55], s[54:55], exec
	s_and_b64 vcc, vcc, exec
	v_mov_b32_e32 v65, 0
	s_or_b64 s[54:55], s[54:55], vcc
	s_or_b64 exec, exec, s[64:65]
	s_and_saveexec_b64 s[64:65], s[54:55]
	s_cbranch_execnz .LBB166_2705
	s_branch .LBB166_2706
.LBB166_3350:                           ;   in Loop: Header=BB166_17 Depth=1
	s_movk_i32 vcc_lo, 0x80
	v_cmp_eq_u16_e32 vcc, vcc_lo, v15
	s_mov_b64 s[66:67], -1
	s_and_saveexec_b64 s[70:71], vcc
; %bb.3351:                             ;   in Loop: Header=BB166_17 Depth=1
	s_xor_b64 s[66:67], exec, -1
; %bb.3352:                             ;   in Loop: Header=BB166_17 Depth=1
	s_or_b64 exec, exec, s[70:71]
	s_and_b64 s[66:67], s[66:67], exec
	s_or_saveexec_b64 s[68:69], s[68:69]
	v_mov_b32_e32 v65, 0x7f800001
	s_xor_b64 exec, exec, s[68:69]
	s_cbranch_execz .LBB166_2809
.LBB166_3353:                           ;   in Loop: Header=BB166_17 Depth=1
	v_cmp_ne_u16_e32 vcc, 0, v15
	s_andn2_b64 s[66:67], s[66:67], exec
	s_and_b64 vcc, vcc, exec
	v_mov_b32_e32 v65, 0
	s_or_b64 s[66:67], s[66:67], vcc
	s_or_b64 exec, exec, s[68:69]
	s_and_saveexec_b64 s[68:69], s[66:67]
	s_cbranch_execnz .LBB166_2810
	s_branch .LBB166_2811
.LBB166_3354:                           ;   in Loop: Header=BB166_17 Depth=1
	s_movk_i32 vcc_lo, 0x80
	v_cmp_eq_u16_e32 vcc, vcc_lo, v15
	s_mov_b64 s[80:81], -1
	s_and_saveexec_b64 s[84:85], vcc
; %bb.3355:                             ;   in Loop: Header=BB166_17 Depth=1
	s_xor_b64 s[80:81], exec, -1
; %bb.3356:                             ;   in Loop: Header=BB166_17 Depth=1
	s_or_b64 exec, exec, s[84:85]
	s_and_b64 s[80:81], s[80:81], exec
	s_or_saveexec_b64 s[82:83], s[82:83]
	v_mov_b32_e32 v66, 0x7f800001
	s_xor_b64 exec, exec, s[82:83]
	s_cbranch_execz .LBB166_1167
.LBB166_3357:                           ;   in Loop: Header=BB166_17 Depth=1
	v_cmp_ne_u16_e32 vcc, 0, v15
	s_andn2_b64 s[80:81], s[80:81], exec
	s_and_b64 vcc, vcc, exec
	v_mov_b32_e32 v66, 0
	s_or_b64 s[80:81], s[80:81], vcc
	s_or_b64 exec, exec, s[82:83]
	s_and_saveexec_b64 s[82:83], s[80:81]
	s_cbranch_execnz .LBB166_1168
	s_branch .LBB166_1169
.LBB166_3358:                           ;   in Loop: Header=BB166_17 Depth=1
	s_movk_i32 vcc_lo, 0x80
	v_cmp_eq_u16_e32 vcc, vcc_lo, v15
	s_mov_b64 s[48:49], -1
	s_and_saveexec_b64 s[84:85], vcc
; %bb.3359:                             ;   in Loop: Header=BB166_17 Depth=1
	s_xor_b64 s[48:49], exec, -1
; %bb.3360:                             ;   in Loop: Header=BB166_17 Depth=1
	s_or_b64 exec, exec, s[84:85]
	s_and_b64 s[84:85], s[48:49], exec
	s_or_saveexec_b64 s[86:87], s[86:87]
	v_mov_b32_e32 v66, 0x7f800001
	s_xor_b64 exec, exec, s[86:87]
	s_cbranch_execz .LBB166_1267
.LBB166_3361:                           ;   in Loop: Header=BB166_17 Depth=1
	v_cmp_ne_u16_e32 vcc, 0, v15
	s_andn2_b64 s[48:49], s[84:85], exec
	s_and_b64 vcc, vcc, exec
	v_mov_b32_e32 v66, 0
	s_or_b64 s[84:85], s[48:49], vcc
	s_or_b64 exec, exec, s[86:87]
	s_and_saveexec_b64 s[86:87], s[84:85]
	s_cbranch_execnz .LBB166_1268
	s_branch .LBB166_1269
.LBB166_3362:                           ;   in Loop: Header=BB166_17 Depth=1
	v_cmp_gt_i16_sdwa vcc, v10, v20 src0_sel:BYTE_0 src1_sel:DWORD
	s_mov_b64 s[68:69], 0
                                        ; implicit-def: $vgpr65
	s_and_saveexec_b64 s[48:49], vcc
	s_xor_b64 s[84:85], exec, s[48:49]
	s_cbranch_execz .LBB166_3394
; %bb.3363:                             ;   in Loop: Header=BB166_17 Depth=1
	v_cmp_gt_i16_sdwa vcc, v10, v21 src0_sel:BYTE_0 src1_sel:DWORD
                                        ; implicit-def: $vgpr65
	s_and_saveexec_b64 s[48:49], vcc
	s_xor_b64 s[70:71], exec, s[48:49]
	s_cbranch_execz .LBB166_3379
; %bb.3364:                             ;   in Loop: Header=BB166_17 Depth=1
	s_mov_b64 s[80:81], s[50:51]
	v_cmp_gt_i16_sdwa s[48:49], v10, v22 src0_sel:BYTE_0 src1_sel:DWORD
	s_mov_b64 vcc, 0
                                        ; implicit-def: $vgpr65
	s_and_saveexec_b64 s[50:51], s[48:49]
	s_xor_b64 s[68:69], exec, s[50:51]
	s_cbranch_execz .LBB166_3374
; %bb.3365:                             ;   in Loop: Header=BB166_17 Depth=1
	v_cmp_gt_i16_sdwa vcc, v10, v23 src0_sel:BYTE_0 src1_sel:DWORD
                                        ; implicit-def: $vgpr65
	s_and_saveexec_b64 s[48:49], vcc
	s_xor_b64 vcc, exec, s[48:49]
	s_cbranch_execz .LBB166_3369
; %bb.3366:                             ;   in Loop: Header=BB166_17 Depth=1
	v_cmp_eq_u16_sdwa s[50:51], v10, v24 src0_sel:BYTE_0 src1_sel:DWORD
                                        ; implicit-def: $vgpr65
	s_and_saveexec_b64 s[48:49], s[50:51]
	s_cbranch_execz .LBB166_3368
; %bb.3367:                             ;   in Loop: Header=BB166_17 Depth=1
	flat_load_dword v15, v[15:16]
	s_mov_b64 s[54:55], exec
	s_waitcnt vmcnt(0) lgkmcnt(0)
	v_lshlrev_b32_e32 v65, 16, v15
.LBB166_3368:                           ;   in Loop: Header=BB166_17 Depth=1
	s_or_b64 exec, exec, s[48:49]
	s_and_b64 s[54:55], s[54:55], exec
                                        ; implicit-def: $vgpr15_vgpr16
.LBB166_3369:                           ;   in Loop: Header=BB166_17 Depth=1
	s_andn2_saveexec_b64 s[64:65], vcc
	s_cbranch_execz .LBB166_3373
; %bb.3370:                             ;   in Loop: Header=BB166_17 Depth=1
	v_cmp_eq_u16_sdwa s[48:49], v10, v25 src0_sel:BYTE_0 src1_sel:DWORD
	s_mov_b64 vcc, s[54:55]
                                        ; implicit-def: $vgpr65
	s_and_saveexec_b64 s[66:67], s[48:49]
	s_cbranch_execz .LBB166_3372
; %bb.3371:                             ;   in Loop: Header=BB166_17 Depth=1
	flat_load_ubyte v15, v[15:16]
	s_movk_i32 vcc_lo, 0xff
	s_waitcnt vmcnt(0) lgkmcnt(0)
	v_lshlrev_b32_e32 v16, 23, v15
	v_cmp_ne_u32_e32 vcc, vcc_lo, v15
	v_cndmask_b32_e32 v16, v26, v16, vcc
	v_cmp_ne_u32_e32 vcc, 0, v15
	v_cndmask_b32_e32 v65, v27, v16, vcc
	s_or_b64 vcc, s[54:55], exec
.LBB166_3372:                           ;   in Loop: Header=BB166_17 Depth=1
	s_or_b64 exec, exec, s[66:67]
	s_andn2_b64 s[48:49], s[54:55], exec
	s_and_b64 vcc, vcc, exec
	s_or_b64 s[54:55], s[48:49], vcc
.LBB166_3373:                           ;   in Loop: Header=BB166_17 Depth=1
	s_or_b64 exec, exec, s[64:65]
	s_and_b64 vcc, s[54:55], exec
                                        ; implicit-def: $vgpr15_vgpr16
.LBB166_3374:                           ;   in Loop: Header=BB166_17 Depth=1
	s_andn2_saveexec_b64 s[54:55], s[68:69]
	s_cbranch_execz .LBB166_3378
; %bb.3375:                             ;   in Loop: Header=BB166_17 Depth=1
	v_cmp_eq_u16_sdwa s[48:49], v10, v28 src0_sel:BYTE_0 src1_sel:DWORD
	s_mov_b64 s[66:67], vcc
                                        ; implicit-def: $vgpr65
	s_and_saveexec_b64 s[64:65], s[48:49]
	s_cbranch_execz .LBB166_3377
; %bb.3376:                             ;   in Loop: Header=BB166_17 Depth=1
	flat_load_dwordx2 v[15:16], v[15:16]
	s_or_b64 s[66:67], vcc, exec
	s_waitcnt vmcnt(0) lgkmcnt(0)
	v_ffbh_u32_e32 v65, v16
	v_min_u32_e32 v65, 32, v65
	v_lshlrev_b64 v[15:16], v65, v[15:16]
	v_min_u32_e32 v15, 1, v15
	v_or_b32_e32 v15, v16, v15
	v_cvt_f32_u32_e32 v15, v15
	v_sub_u32_e32 v16, 32, v65
	v_ldexp_f32 v65, v15, v16
.LBB166_3377:                           ;   in Loop: Header=BB166_17 Depth=1
	s_or_b64 exec, exec, s[64:65]
	s_andn2_b64 vcc, vcc, exec
	s_and_b64 s[48:49], s[66:67], exec
	s_or_b64 vcc, vcc, s[48:49]
.LBB166_3378:                           ;   in Loop: Header=BB166_17 Depth=1
	s_or_b64 exec, exec, s[54:55]
	s_and_b64 s[68:69], vcc, exec
	s_mov_b64 s[50:51], s[80:81]
                                        ; implicit-def: $vgpr15_vgpr16
.LBB166_3379:                           ;   in Loop: Header=BB166_17 Depth=1
	s_andn2_saveexec_b64 s[70:71], s[70:71]
	s_cbranch_execz .LBB166_3393
; %bb.3380:                             ;   in Loop: Header=BB166_17 Depth=1
	v_writelane_b32 v41, s50, 28
	s_mov_b64 s[80:81], s[52:53]
	v_cmp_gt_i16_sdwa vcc, v10, v29 src0_sel:BYTE_0 src1_sel:DWORD
	v_writelane_b32 v41, s51, 29
                                        ; implicit-def: $vgpr65
	s_and_saveexec_b64 s[48:49], vcc
	s_xor_b64 vcc, exec, s[48:49]
	s_cbranch_execz .LBB166_3386
; %bb.3381:                             ;   in Loop: Header=BB166_17 Depth=1
	v_cmp_gt_i16_sdwa s[48:49], v10, v30 src0_sel:BYTE_0 src1_sel:DWORD
                                        ; implicit-def: $vgpr65
	s_and_saveexec_b64 s[50:51], s[48:49]
	s_xor_b64 s[48:49], exec, s[50:51]
	s_cbranch_execz .LBB166_3383
; %bb.3382:                             ;   in Loop: Header=BB166_17 Depth=1
	flat_load_dword v15, v[15:16]
	s_waitcnt vmcnt(0) lgkmcnt(0)
	v_cvt_f32_u32_e32 v65, v15
                                        ; implicit-def: $vgpr15_vgpr16
.LBB166_3383:                           ;   in Loop: Header=BB166_17 Depth=1
	s_andn2_saveexec_b64 s[48:49], s[48:49]
	s_cbranch_execz .LBB166_3385
; %bb.3384:                             ;   in Loop: Header=BB166_17 Depth=1
	flat_load_ushort v15, v[15:16]
	s_waitcnt vmcnt(0) lgkmcnt(0)
	v_cvt_f32_u32_e32 v65, v15
.LBB166_3385:                           ;   in Loop: Header=BB166_17 Depth=1
	s_or_b64 exec, exec, s[48:49]
                                        ; implicit-def: $vgpr15_vgpr16
.LBB166_3386:                           ;   in Loop: Header=BB166_17 Depth=1
	s_andn2_saveexec_b64 s[54:55], vcc
	s_cbranch_execz .LBB166_3392
; %bb.3387:                             ;   in Loop: Header=BB166_17 Depth=1
	flat_load_ubyte v15, v[15:16]
	s_movk_i32 vcc_lo, 0x7f
	s_mov_b64 s[64:65], 0
	s_waitcnt vmcnt(0) lgkmcnt(0)
	v_cmp_lt_i16_e32 vcc, vcc_lo, v15
	s_and_saveexec_b64 s[48:49], vcc
	s_xor_b64 s[66:67], exec, s[48:49]
	s_cbranch_execnz .LBB166_3630
; %bb.3388:                             ;   in Loop: Header=BB166_17 Depth=1
	s_or_saveexec_b64 s[66:67], s[66:67]
	v_mov_b32_e32 v65, 0x7f800001
	s_xor_b64 exec, exec, s[66:67]
	s_cbranch_execnz .LBB166_3633
.LBB166_3389:                           ;   in Loop: Header=BB166_17 Depth=1
	s_or_b64 exec, exec, s[66:67]
	s_and_saveexec_b64 s[66:67], s[64:65]
	s_cbranch_execz .LBB166_3391
.LBB166_3390:                           ;   in Loop: Header=BB166_17 Depth=1
	v_lshlrev_b32_e32 v16, 24, v15
	v_and_b32_e32 v15, 0xffff, v15
	v_and_b32_e32 v65, 7, v15
	v_ffbh_u32_e32 v67, v65
	v_min_u32_e32 v67, 32, v67
	v_subrev_u32_e32 v68, 28, v67
	v_bfe_u32 v66, v15, 3, 4
	v_lshlrev_b32_e32 v15, v68, v15
	v_sub_u32_e32 v67, 29, v67
	v_and_b32_e32 v15, 7, v15
	v_cmp_eq_u32_e32 vcc, 0, v66
	v_cndmask_b32_e32 v66, v66, v67, vcc
	v_cndmask_b32_e32 v15, v65, v15, vcc
	v_lshlrev_b32_e32 v15, 20, v15
	v_and_b32_e32 v16, 0x80000000, v16
	v_lshl_add_u32 v65, v66, 23, v31
	v_or3_b32 v65, v16, v65, v15
.LBB166_3391:                           ;   in Loop: Header=BB166_17 Depth=1
	s_or_b64 exec, exec, s[66:67]
.LBB166_3392:                           ;   in Loop: Header=BB166_17 Depth=1
	s_or_b64 exec, exec, s[54:55]
	v_readlane_b32 s50, v41, 28
	s_or_b64 s[68:69], s[68:69], exec
	s_mov_b64 s[52:53], s[80:81]
	v_readlane_b32 s51, v41, 29
.LBB166_3393:                           ;   in Loop: Header=BB166_17 Depth=1
	s_or_b64 exec, exec, s[70:71]
	s_and_b64 s[68:69], s[68:69], exec
                                        ; implicit-def: $vgpr15_vgpr16
.LBB166_3394:                           ;   in Loop: Header=BB166_17 Depth=1
	s_andn2_saveexec_b64 s[84:85], s[84:85]
	s_cbranch_execz .LBB166_3420
; %bb.3395:                             ;   in Loop: Header=BB166_17 Depth=1
	v_cmp_gt_i16_sdwa vcc, v10, v32 src0_sel:BYTE_0 src1_sel:DWORD
	s_mov_b64 s[80:81], s[68:69]
                                        ; implicit-def: $vgpr65
	s_and_saveexec_b64 s[48:49], vcc
	s_xor_b64 s[70:71], exec, s[48:49]
	s_cbranch_execz .LBB166_3409
; %bb.3396:                             ;   in Loop: Header=BB166_17 Depth=1
	v_cmp_gt_i16_sdwa vcc, v10, v33 src0_sel:BYTE_0 src1_sel:DWORD
                                        ; implicit-def: $vgpr65
	s_and_saveexec_b64 s[48:49], vcc
	s_xor_b64 s[80:81], exec, s[48:49]
	s_cbranch_execz .LBB166_3406
; %bb.3397:                             ;   in Loop: Header=BB166_17 Depth=1
	v_cmp_gt_i16_sdwa vcc, v10, v34 src0_sel:BYTE_0 src1_sel:DWORD
                                        ; implicit-def: $vgpr65
	s_and_saveexec_b64 s[48:49], vcc
	s_xor_b64 s[54:55], exec, s[48:49]
	s_cbranch_execz .LBB166_3403
; %bb.3398:                             ;   in Loop: Header=BB166_17 Depth=1
	flat_load_ubyte v15, v[15:16]
	s_movk_i32 vcc_lo, 0x7f
	s_mov_b64 s[64:65], 0
	s_waitcnt vmcnt(0) lgkmcnt(0)
	v_cmp_lt_i16_e32 vcc, vcc_lo, v15
	s_and_saveexec_b64 s[48:49], vcc
	s_xor_b64 s[66:67], exec, s[48:49]
	s_cbranch_execnz .LBB166_3638
; %bb.3399:                             ;   in Loop: Header=BB166_17 Depth=1
	s_or_saveexec_b64 s[66:67], s[66:67]
	v_mov_b32_e32 v65, 0x7f800001
	s_xor_b64 exec, exec, s[66:67]
	s_cbranch_execnz .LBB166_3641
.LBB166_3400:                           ;   in Loop: Header=BB166_17 Depth=1
	s_or_b64 exec, exec, s[66:67]
	s_and_saveexec_b64 s[66:67], s[64:65]
	s_cbranch_execz .LBB166_3402
.LBB166_3401:                           ;   in Loop: Header=BB166_17 Depth=1
	v_lshlrev_b32_e32 v16, 24, v15
	v_and_b32_e32 v15, 0xffff, v15
	v_and_b32_e32 v65, 3, v15
	v_ffbh_u32_e32 v67, v65
	v_min_u32_e32 v67, 32, v67
	v_subrev_u32_e32 v68, 29, v67
	v_bfe_u32 v66, v15, 2, 5
	v_lshlrev_b32_e32 v15, v68, v15
	v_sub_u32_e32 v67, 30, v67
	v_and_b32_e32 v15, 3, v15
	v_cmp_eq_u32_e32 vcc, 0, v66
	v_cndmask_b32_e32 v66, v66, v67, vcc
	v_cndmask_b32_e32 v15, v65, v15, vcc
	v_lshlrev_b32_e32 v15, 21, v15
	v_and_b32_e32 v16, 0x80000000, v16
	v_lshl_add_u32 v65, v66, 23, v35
	v_or3_b32 v65, v16, v65, v15
.LBB166_3402:                           ;   in Loop: Header=BB166_17 Depth=1
	s_or_b64 exec, exec, s[66:67]
                                        ; implicit-def: $vgpr15_vgpr16
.LBB166_3403:                           ;   in Loop: Header=BB166_17 Depth=1
	s_andn2_saveexec_b64 s[54:55], s[54:55]
	s_cbranch_execz .LBB166_3405
; %bb.3404:                             ;   in Loop: Header=BB166_17 Depth=1
	flat_load_ubyte v15, v[15:16]
	s_mov_b32 vcc_lo, 0x7f800000
	s_waitcnt vmcnt(0) lgkmcnt(0)
	v_lshlrev_b32_e32 v15, 24, v15
	v_and_b32_e32 v16, 0x7f000000, v15
	v_ffbh_u32_e32 v65, v16
	v_min_u32_e32 v65, 32, v65
	v_sub_u32_e64 v65, v65, 4 clamp
	v_lshlrev_b32_e32 v67, v65, v16
	v_lshlrev_b32_e32 v65, 23, v65
	v_lshrrev_b32_e32 v67, 4, v67
	v_add_u32_e32 v66, 0x1000000, v16
	v_sub_u32_e32 v65, v67, v65
	v_ashrrev_i32_e32 v66, 8, v66
	v_add_u32_e32 v65, 0x3c000000, v65
	v_and_or_b32 v65, v66, vcc_lo, v65
	v_cmp_ne_u32_e32 vcc, 0, v16
	v_cndmask_b32_e32 v16, 0, v65, vcc
	s_brev_b32 vcc_lo, 1
	v_and_or_b32 v65, v15, vcc_lo, v16
.LBB166_3405:                           ;   in Loop: Header=BB166_17 Depth=1
	s_or_b64 exec, exec, s[54:55]
                                        ; implicit-def: $vgpr15_vgpr16
.LBB166_3406:                           ;   in Loop: Header=BB166_17 Depth=1
	s_andn2_saveexec_b64 s[54:55], s[80:81]
	s_cbranch_execz .LBB166_3408
; %bb.3407:                             ;   in Loop: Header=BB166_17 Depth=1
	flat_load_ubyte v15, v[15:16]
	s_movk_i32 vcc_lo, 0x7f00
	s_waitcnt vmcnt(0) lgkmcnt(0)
	v_lshlrev_b16_e32 v16, 8, v15
	v_lshlrev_b32_e32 v15, 25, v15
	v_lshrrev_b32_e32 v65, 4, v15
	v_and_or_b32 v66, v16, vcc_lo, 0.5
	v_or_b32_e32 v65, 0x70000000, v65
	s_brev_b32 vcc_lo, 16
	v_add_f32_e32 v66, -0.5, v66
	v_mul_f32_e32 v65, 0x7800000, v65
	v_cmp_gt_u32_e32 vcc, vcc_lo, v15
	v_cndmask_b32_e32 v15, v65, v66, vcc
	v_bfe_i32 v16, v16, 0, 16
	s_brev_b32 vcc_lo, 1
	v_and_or_b32 v65, v16, vcc_lo, v15
.LBB166_3408:                           ;   in Loop: Header=BB166_17 Depth=1
	s_or_b64 exec, exec, s[54:55]
	s_or_b64 s[80:81], s[68:69], exec
                                        ; implicit-def: $vgpr15_vgpr16
.LBB166_3409:                           ;   in Loop: Header=BB166_17 Depth=1
	s_andn2_saveexec_b64 s[54:55], s[70:71]
	s_cbranch_execz .LBB166_3419
; %bb.3410:                             ;   in Loop: Header=BB166_17 Depth=1
	s_mov_b64 s[70:71], s[50:51]
	v_cmp_gt_i16_sdwa vcc, v10, v36 src0_sel:BYTE_0 src1_sel:DWORD
	s_mov_b64 s[64:65], s[80:81]
                                        ; implicit-def: $vgpr65
	s_and_saveexec_b64 s[48:49], vcc
	s_xor_b64 vcc, exec, s[48:49]
	s_cbranch_execz .LBB166_3414
; %bb.3411:                             ;   in Loop: Header=BB166_17 Depth=1
	v_cmp_eq_u16_sdwa s[50:51], v10, v37 src0_sel:BYTE_0 src1_sel:DWORD
	s_mov_b64 s[64:65], s[80:81]
                                        ; implicit-def: $vgpr65
	s_and_saveexec_b64 s[48:49], s[50:51]
	s_cbranch_execz .LBB166_3413
; %bb.3412:                             ;   in Loop: Header=BB166_17 Depth=1
	flat_load_ushort v15, v[15:16]
	s_or_b64 s[64:65], s[80:81], exec
	s_waitcnt vmcnt(0) lgkmcnt(0)
	v_lshlrev_b32_e32 v65, 16, v15
.LBB166_3413:                           ;   in Loop: Header=BB166_17 Depth=1
	s_or_b64 exec, exec, s[48:49]
	s_andn2_b64 s[48:49], s[80:81], exec
	s_and_b64 s[50:51], s[64:65], exec
	s_or_b64 s[64:65], s[48:49], s[50:51]
                                        ; implicit-def: $vgpr15_vgpr16
.LBB166_3414:                           ;   in Loop: Header=BB166_17 Depth=1
	s_andn2_saveexec_b64 s[66:67], vcc
	s_cbranch_execz .LBB166_3418
; %bb.3415:                             ;   in Loop: Header=BB166_17 Depth=1
	v_cmp_eq_u16_sdwa s[50:51], v10, v38 src0_sel:BYTE_0 src1_sel:DWORD
	s_mov_b64 vcc, s[64:65]
                                        ; implicit-def: $vgpr65
	s_and_saveexec_b64 s[48:49], s[50:51]
	s_cbranch_execz .LBB166_3417
; %bb.3416:                             ;   in Loop: Header=BB166_17 Depth=1
	flat_load_ubyte v15, v[15:16]
	s_waitcnt vmcnt(0) lgkmcnt(0)
	v_cmp_ne_u16_e32 vcc, 0, v15
	v_cndmask_b32_e64 v65, 0, 1.0, vcc
	s_or_b64 vcc, s[64:65], exec
.LBB166_3417:                           ;   in Loop: Header=BB166_17 Depth=1
	s_or_b64 exec, exec, s[48:49]
	s_andn2_b64 s[48:49], s[64:65], exec
	s_and_b64 vcc, vcc, exec
	s_or_b64 s[64:65], s[48:49], vcc
.LBB166_3418:                           ;   in Loop: Header=BB166_17 Depth=1
	s_or_b64 exec, exec, s[66:67]
	s_andn2_b64 vcc, s[80:81], exec
	s_and_b64 s[48:49], s[64:65], exec
	s_or_b64 s[80:81], vcc, s[48:49]
	s_mov_b64 s[50:51], s[70:71]
.LBB166_3419:                           ;   in Loop: Header=BB166_17 Depth=1
	s_or_b64 exec, exec, s[54:55]
	s_andn2_b64 vcc, s[68:69], exec
	s_and_b64 s[48:49], s[80:81], exec
	s_or_b64 s[68:69], vcc, s[48:49]
.LBB166_3420:                           ;   in Loop: Header=BB166_17 Depth=1
	s_or_b64 exec, exec, s[84:85]
	s_and_b64 vcc, s[68:69], exec
                                        ; implicit-def: $vgpr15_vgpr16
	s_andn2_saveexec_b64 s[68:69], s[50:51]
	s_cbranch_execz .LBB166_1677
.LBB166_3421:                           ;   in Loop: Header=BB166_17 Depth=1
	v_cmp_gt_i16_sdwa s[48:49], v10, v39 src0_sel:BYTE_0 src1_sel:DWORD
                                        ; implicit-def: $vgpr65
	s_and_saveexec_b64 s[50:51], s[48:49]
	s_xor_b64 s[70:71], exec, s[50:51]
	s_cbranch_execz .LBB166_3443
; %bb.3422:                             ;   in Loop: Header=BB166_17 Depth=1
	v_cmp_gt_i16_sdwa s[48:49], v10, v48 src0_sel:BYTE_0 src1_sel:DWORD
                                        ; implicit-def: $vgpr65
	s_and_saveexec_b64 s[50:51], s[48:49]
	s_xor_b64 s[54:55], exec, s[50:51]
	s_cbranch_execz .LBB166_3432
; %bb.3423:                             ;   in Loop: Header=BB166_17 Depth=1
	s_mov_b64 s[66:67], s[52:53]
	v_cmp_gt_i16_sdwa s[48:49], v10, v49 src0_sel:BYTE_0 src1_sel:DWORD
                                        ; implicit-def: $vgpr65
	s_and_saveexec_b64 s[50:51], s[48:49]
	s_xor_b64 s[64:65], exec, s[50:51]
	s_cbranch_execz .LBB166_3429
; %bb.3424:                             ;   in Loop: Header=BB166_17 Depth=1
	v_cmp_gt_i16_sdwa s[48:49], v10, v50 src0_sel:BYTE_0 src1_sel:DWORD
                                        ; implicit-def: $vgpr65
	s_and_saveexec_b64 s[50:51], s[48:49]
	s_xor_b64 s[48:49], exec, s[50:51]
	s_cbranch_execz .LBB166_3426
; %bb.3425:                             ;   in Loop: Header=BB166_17 Depth=1
	flat_load_dwordx2 v[15:16], v[15:16]
	s_waitcnt vmcnt(0) lgkmcnt(0)
	v_cvt_f32_f64_e32 v65, v[15:16]
                                        ; implicit-def: $vgpr15_vgpr16
.LBB166_3426:                           ;   in Loop: Header=BB166_17 Depth=1
	s_andn2_saveexec_b64 s[48:49], s[48:49]
	s_cbranch_execz .LBB166_3428
; %bb.3427:                             ;   in Loop: Header=BB166_17 Depth=1
	flat_load_dword v65, v[15:16]
.LBB166_3428:                           ;   in Loop: Header=BB166_17 Depth=1
	s_or_b64 exec, exec, s[48:49]
                                        ; implicit-def: $vgpr15_vgpr16
.LBB166_3429:                           ;   in Loop: Header=BB166_17 Depth=1
	s_andn2_saveexec_b64 s[48:49], s[64:65]
	s_cbranch_execz .LBB166_3431
; %bb.3430:                             ;   in Loop: Header=BB166_17 Depth=1
	flat_load_dword v15, v[15:16]
	s_waitcnt vmcnt(0) lgkmcnt(0)
	v_cvt_f32_f16_e32 v65, v15
.LBB166_3431:                           ;   in Loop: Header=BB166_17 Depth=1
	s_or_b64 exec, exec, s[48:49]
	s_mov_b64 s[52:53], s[66:67]
                                        ; implicit-def: $vgpr15_vgpr16
.LBB166_3432:                           ;   in Loop: Header=BB166_17 Depth=1
	s_andn2_saveexec_b64 s[54:55], s[54:55]
	s_cbranch_execz .LBB166_3442
; %bb.3433:                             ;   in Loop: Header=BB166_17 Depth=1
	s_mov_b64 s[66:67], s[52:53]
	v_cmp_gt_i16_sdwa s[48:49], v10, v51 src0_sel:BYTE_0 src1_sel:DWORD
                                        ; implicit-def: $vgpr65
	s_and_saveexec_b64 s[50:51], s[48:49]
	s_xor_b64 s[64:65], exec, s[50:51]
	s_cbranch_execz .LBB166_3439
; %bb.3434:                             ;   in Loop: Header=BB166_17 Depth=1
	v_cmp_gt_i16_sdwa s[48:49], v10, v52 src0_sel:BYTE_0 src1_sel:DWORD
                                        ; implicit-def: $vgpr65
	s_and_saveexec_b64 s[50:51], s[48:49]
	s_xor_b64 s[48:49], exec, s[50:51]
	s_cbranch_execz .LBB166_3436
; %bb.3435:                             ;   in Loop: Header=BB166_17 Depth=1
	flat_load_dwordx2 v[15:16], v[15:16]
	s_waitcnt vmcnt(0) lgkmcnt(0)
	v_cvt_f32_f64_e32 v65, v[15:16]
                                        ; implicit-def: $vgpr15_vgpr16
.LBB166_3436:                           ;   in Loop: Header=BB166_17 Depth=1
	s_andn2_saveexec_b64 s[48:49], s[48:49]
	s_cbranch_execz .LBB166_3438
; %bb.3437:                             ;   in Loop: Header=BB166_17 Depth=1
	s_waitcnt vmcnt(0) lgkmcnt(0)
	flat_load_dword v65, v[15:16]
.LBB166_3438:                           ;   in Loop: Header=BB166_17 Depth=1
	s_or_b64 exec, exec, s[48:49]
                                        ; implicit-def: $vgpr15_vgpr16
.LBB166_3439:                           ;   in Loop: Header=BB166_17 Depth=1
	s_andn2_saveexec_b64 s[48:49], s[64:65]
	s_cbranch_execz .LBB166_3441
; %bb.3440:                             ;   in Loop: Header=BB166_17 Depth=1
	flat_load_ushort v15, v[15:16]
	s_waitcnt vmcnt(0) lgkmcnt(0)
	v_cvt_f32_f16_e32 v65, v15
.LBB166_3441:                           ;   in Loop: Header=BB166_17 Depth=1
	s_or_b64 exec, exec, s[48:49]
	s_mov_b64 s[52:53], s[66:67]
.LBB166_3442:                           ;   in Loop: Header=BB166_17 Depth=1
	s_or_b64 exec, exec, s[54:55]
                                        ; implicit-def: $vgpr15_vgpr16
.LBB166_3443:                           ;   in Loop: Header=BB166_17 Depth=1
	s_andn2_saveexec_b64 s[70:71], s[70:71]
	s_cbranch_execz .LBB166_3461
; %bb.3444:                             ;   in Loop: Header=BB166_17 Depth=1
	v_cmp_gt_i16_sdwa s[48:49], v10, v53 src0_sel:BYTE_0 src1_sel:DWORD
                                        ; implicit-def: $vgpr65
	s_and_saveexec_b64 s[50:51], s[48:49]
	s_xor_b64 s[54:55], exec, s[50:51]
	s_cbranch_execz .LBB166_3454
; %bb.3445:                             ;   in Loop: Header=BB166_17 Depth=1
	v_cmp_gt_i16_sdwa s[48:49], v10, v54 src0_sel:BYTE_0 src1_sel:DWORD
                                        ; implicit-def: $vgpr65
	s_and_saveexec_b64 s[50:51], s[48:49]
	s_xor_b64 s[64:65], exec, s[50:51]
	;; [unrolled: 6-line block ×3, first 2 shown]
	s_cbranch_execz .LBB166_3448
; %bb.3447:                             ;   in Loop: Header=BB166_17 Depth=1
	flat_load_dwordx2 v[15:16], v[15:16]
	s_waitcnt vmcnt(0) lgkmcnt(0)
	v_xor_b32_e32 v66, v15, v16
	v_ffbh_i32_e32 v65, v16
	v_ashrrev_i32_e32 v66, 31, v66
	v_add_u32_e32 v65, -1, v65
	v_add_u32_e32 v66, 32, v66
	v_min_u32_e32 v65, v65, v66
	v_lshlrev_b64 v[15:16], v65, v[15:16]
	v_min_u32_e32 v15, 1, v15
	v_or_b32_e32 v15, v16, v15
	v_cvt_f32_i32_e32 v15, v15
	v_sub_u32_e32 v16, 32, v65
	v_ldexp_f32 v65, v15, v16
                                        ; implicit-def: $vgpr15_vgpr16
.LBB166_3448:                           ;   in Loop: Header=BB166_17 Depth=1
	s_andn2_saveexec_b64 s[48:49], s[66:67]
	s_cbranch_execz .LBB166_3450
; %bb.3449:                             ;   in Loop: Header=BB166_17 Depth=1
	flat_load_dword v15, v[15:16]
	s_waitcnt vmcnt(0) lgkmcnt(0)
	v_cvt_f32_i32_e32 v65, v15
.LBB166_3450:                           ;   in Loop: Header=BB166_17 Depth=1
	s_or_b64 exec, exec, s[48:49]
                                        ; implicit-def: $vgpr15_vgpr16
.LBB166_3451:                           ;   in Loop: Header=BB166_17 Depth=1
	s_andn2_saveexec_b64 s[48:49], s[64:65]
	s_cbranch_execz .LBB166_3453
; %bb.3452:                             ;   in Loop: Header=BB166_17 Depth=1
	flat_load_sshort v15, v[15:16]
	s_waitcnt vmcnt(0) lgkmcnt(0)
	v_cvt_f32_i32_e32 v65, v15
.LBB166_3453:                           ;   in Loop: Header=BB166_17 Depth=1
	s_or_b64 exec, exec, s[48:49]
                                        ; implicit-def: $vgpr15_vgpr16
.LBB166_3454:                           ;   in Loop: Header=BB166_17 Depth=1
	s_andn2_saveexec_b64 s[54:55], s[54:55]
	s_cbranch_execz .LBB166_3460
; %bb.3455:                             ;   in Loop: Header=BB166_17 Depth=1
	s_mov_b64 s[64:65], s[52:53]
	v_cmp_gt_i16_sdwa s[48:49], v10, v18 src0_sel:BYTE_0 src1_sel:DWORD
                                        ; implicit-def: $vgpr65
	s_and_saveexec_b64 s[50:51], s[48:49]
	s_xor_b64 s[48:49], exec, s[50:51]
	s_cbranch_execz .LBB166_3457
; %bb.3456:                             ;   in Loop: Header=BB166_17 Depth=1
	flat_load_sbyte v15, v[15:16]
	s_waitcnt vmcnt(0) lgkmcnt(0)
	v_cvt_f32_i32_e32 v65, v15
                                        ; implicit-def: $vgpr15_vgpr16
.LBB166_3457:                           ;   in Loop: Header=BB166_17 Depth=1
	s_andn2_saveexec_b64 s[48:49], s[48:49]
	s_cbranch_execz .LBB166_3459
; %bb.3458:                             ;   in Loop: Header=BB166_17 Depth=1
	flat_load_ubyte v15, v[15:16]
	s_waitcnt vmcnt(0) lgkmcnt(0)
	v_cvt_f32_ubyte0_e32 v65, v15
.LBB166_3459:                           ;   in Loop: Header=BB166_17 Depth=1
	s_or_b64 exec, exec, s[48:49]
	s_mov_b64 s[52:53], s[64:65]
.LBB166_3460:                           ;   in Loop: Header=BB166_17 Depth=1
	s_or_b64 exec, exec, s[54:55]
.LBB166_3461:                           ;   in Loop: Header=BB166_17 Depth=1
	s_or_b64 exec, exec, s[70:71]
	s_or_b64 vcc, vcc, exec
	s_or_b64 exec, exec, s[68:69]
	s_mov_b64 s[54:55], 0
	s_and_saveexec_b64 s[64:65], vcc
	s_cbranch_execnz .LBB166_1678
	s_branch .LBB166_1679
.LBB166_3462:                           ;   in Loop: Header=BB166_17 Depth=1
	s_movk_i32 vcc_lo, 0x80
	v_cmp_eq_u16_e32 vcc, vcc_lo, v15
	s_mov_b64 s[68:69], -1
	s_and_saveexec_b64 s[80:81], vcc
; %bb.3463:                             ;   in Loop: Header=BB166_17 Depth=1
	s_xor_b64 s[68:69], exec, -1
; %bb.3464:                             ;   in Loop: Header=BB166_17 Depth=1
	s_or_b64 exec, exec, s[80:81]
	s_and_b64 s[68:69], s[68:69], exec
	s_or_saveexec_b64 s[70:71], s[70:71]
	v_mov_b32_e32 v65, 0x7f800001
	s_xor_b64 exec, exec, s[70:71]
	s_cbranch_execz .LBB166_2820
.LBB166_3465:                           ;   in Loop: Header=BB166_17 Depth=1
	v_cmp_ne_u16_e32 vcc, 0, v15
	s_andn2_b64 s[68:69], s[68:69], exec
	s_and_b64 vcc, vcc, exec
	v_mov_b32_e32 v65, 0
	s_or_b64 s[68:69], s[68:69], vcc
	s_or_b64 exec, exec, s[70:71]
	s_and_saveexec_b64 s[70:71], s[68:69]
	s_cbranch_execnz .LBB166_2821
	s_branch .LBB166_2822
.LBB166_3466:                           ;   in Loop: Header=BB166_17 Depth=1
	s_movk_i32 vcc_lo, 0x80
	v_cmp_eq_u16_e32 vcc, vcc_lo, v15
	s_mov_b64 s[80:81], -1
	s_and_saveexec_b64 s[84:85], vcc
; %bb.3467:                             ;   in Loop: Header=BB166_17 Depth=1
	s_xor_b64 s[80:81], exec, -1
; %bb.3468:                             ;   in Loop: Header=BB166_17 Depth=1
	s_or_b64 exec, exec, s[84:85]
	s_and_b64 s[80:81], s[80:81], exec
	s_or_saveexec_b64 s[82:83], s[82:83]
	v_mov_b32_e32 v65, 0x7f800001
	s_xor_b64 exec, exec, s[82:83]
	s_cbranch_execz .LBB166_2925
.LBB166_3469:                           ;   in Loop: Header=BB166_17 Depth=1
	v_cmp_ne_u16_e32 vcc, 0, v15
	s_andn2_b64 s[80:81], s[80:81], exec
	s_and_b64 vcc, vcc, exec
	v_mov_b32_e32 v65, 0
	s_or_b64 s[80:81], s[80:81], vcc
	s_or_b64 exec, exec, s[82:83]
	s_and_saveexec_b64 s[82:83], s[80:81]
	s_cbranch_execnz .LBB166_2926
	s_branch .LBB166_2927
.LBB166_3470:                           ;   in Loop: Header=BB166_17 Depth=1
	s_movk_i32 vcc_lo, 0x80
	v_cmp_eq_u16_e32 vcc, vcc_lo, v15
	s_mov_b64 s[48:49], -1
	s_and_saveexec_b64 s[86:87], vcc
; %bb.3471:                             ;   in Loop: Header=BB166_17 Depth=1
	s_xor_b64 s[48:49], exec, -1
; %bb.3472:                             ;   in Loop: Header=BB166_17 Depth=1
	s_or_b64 exec, exec, s[86:87]
	s_and_b64 s[86:87], s[48:49], exec
	s_or_saveexec_b64 s[96:97], s[96:97]
	v_mov_b32_e32 v66, 0x7f800001
	s_xor_b64 exec, exec, s[96:97]
	s_cbranch_execz .LBB166_1278
.LBB166_3473:                           ;   in Loop: Header=BB166_17 Depth=1
	v_cmp_ne_u16_e32 vcc, 0, v15
	s_andn2_b64 s[48:49], s[86:87], exec
	s_and_b64 vcc, vcc, exec
	v_mov_b32_e32 v66, 0
	s_or_b64 s[86:87], s[48:49], vcc
	s_or_b64 exec, exec, s[96:97]
	s_and_saveexec_b64 s[96:97], s[86:87]
	s_cbranch_execnz .LBB166_1279
	s_branch .LBB166_1280
.LBB166_3474:                           ;   in Loop: Header=BB166_17 Depth=1
	s_movk_i32 vcc_lo, 0x80
	v_cmp_eq_u16_e32 vcc, vcc_lo, v15
	s_mov_b64 s[48:49], -1
	s_and_saveexec_b64 s[54:55], vcc
; %bb.3475:                             ;   in Loop: Header=BB166_17 Depth=1
	s_xor_b64 s[48:49], exec, -1
; %bb.3476:                             ;   in Loop: Header=BB166_17 Depth=1
	s_or_b64 exec, exec, s[54:55]
	s_and_b64 s[54:55], s[48:49], exec
	s_or_saveexec_b64 s[64:65], s[64:65]
	v_mov_b32_e32 v66, 0x7f800001
	s_xor_b64 exec, exec, s[64:65]
	s_cbranch_execz .LBB166_1378
.LBB166_3477:                           ;   in Loop: Header=BB166_17 Depth=1
	v_cmp_ne_u16_e32 vcc, 0, v15
	s_andn2_b64 s[48:49], s[54:55], exec
	s_and_b64 vcc, vcc, exec
	v_mov_b32_e32 v66, 0
	s_or_b64 s[54:55], s[48:49], vcc
	s_or_b64 exec, exec, s[64:65]
	s_and_saveexec_b64 s[64:65], s[54:55]
	s_cbranch_execnz .LBB166_1379
	s_branch .LBB166_1380
.LBB166_3478:                           ;   in Loop: Header=BB166_17 Depth=1
	v_cmp_gt_i16_sdwa vcc, v10, v20 src0_sel:BYTE_0 src1_sel:DWORD
                                        ; implicit-def: $vgpr65
	s_and_saveexec_b64 s[48:49], vcc
	s_xor_b64 s[84:85], exec, s[48:49]
	v_writelane_b32 v41, s50, 34
	v_writelane_b32 v41, s51, 35
	s_cbranch_execz .LBB166_3510
; %bb.3479:                             ;   in Loop: Header=BB166_17 Depth=1
	s_mov_b64 s[80:81], s[52:53]
	v_cmp_gt_i16_sdwa vcc, v10, v21 src0_sel:BYTE_0 src1_sel:DWORD
                                        ; implicit-def: $vgpr65
	s_and_saveexec_b64 s[48:49], vcc
	s_xor_b64 s[70:71], exec, s[48:49]
	s_cbranch_execz .LBB166_3495
; %bb.3480:                             ;   in Loop: Header=BB166_17 Depth=1
	v_cmp_gt_i16_sdwa s[48:49], v10, v22 src0_sel:BYTE_0 src1_sel:DWORD
	s_mov_b64 vcc, 0
                                        ; implicit-def: $vgpr65
	s_and_saveexec_b64 s[50:51], s[48:49]
	s_xor_b64 s[68:69], exec, s[50:51]
	s_cbranch_execz .LBB166_3490
; %bb.3481:                             ;   in Loop: Header=BB166_17 Depth=1
	v_cmp_gt_i16_sdwa vcc, v10, v23 src0_sel:BYTE_0 src1_sel:DWORD
	s_mov_b64 s[54:55], 0
                                        ; implicit-def: $vgpr65
	s_and_saveexec_b64 s[48:49], vcc
	s_xor_b64 vcc, exec, s[48:49]
	s_cbranch_execz .LBB166_3485
; %bb.3482:                             ;   in Loop: Header=BB166_17 Depth=1
	v_cmp_eq_u16_sdwa s[50:51], v10, v24 src0_sel:BYTE_0 src1_sel:DWORD
                                        ; implicit-def: $vgpr65
	s_and_saveexec_b64 s[48:49], s[50:51]
	s_cbranch_execz .LBB166_3484
; %bb.3483:                             ;   in Loop: Header=BB166_17 Depth=1
	flat_load_dword v15, v[15:16]
	s_mov_b64 s[54:55], exec
	s_waitcnt vmcnt(0) lgkmcnt(0)
	v_lshlrev_b32_e32 v65, 16, v15
.LBB166_3484:                           ;   in Loop: Header=BB166_17 Depth=1
	s_or_b64 exec, exec, s[48:49]
	s_and_b64 s[54:55], s[54:55], exec
                                        ; implicit-def: $vgpr15_vgpr16
.LBB166_3485:                           ;   in Loop: Header=BB166_17 Depth=1
	s_andn2_saveexec_b64 s[64:65], vcc
	s_cbranch_execz .LBB166_3489
; %bb.3486:                             ;   in Loop: Header=BB166_17 Depth=1
	v_cmp_eq_u16_sdwa s[48:49], v10, v25 src0_sel:BYTE_0 src1_sel:DWORD
	s_mov_b64 vcc, s[54:55]
                                        ; implicit-def: $vgpr65
	s_and_saveexec_b64 s[66:67], s[48:49]
	s_cbranch_execz .LBB166_3488
; %bb.3487:                             ;   in Loop: Header=BB166_17 Depth=1
	flat_load_ubyte v15, v[15:16]
	s_movk_i32 vcc_lo, 0xff
	s_waitcnt vmcnt(0) lgkmcnt(0)
	v_lshlrev_b32_e32 v16, 23, v15
	v_cmp_ne_u32_e32 vcc, vcc_lo, v15
	v_cndmask_b32_e32 v16, v26, v16, vcc
	v_cmp_ne_u32_e32 vcc, 0, v15
	v_cndmask_b32_e32 v65, v27, v16, vcc
	s_or_b64 vcc, s[54:55], exec
.LBB166_3488:                           ;   in Loop: Header=BB166_17 Depth=1
	s_or_b64 exec, exec, s[66:67]
	s_andn2_b64 s[48:49], s[54:55], exec
	s_and_b64 vcc, vcc, exec
	s_or_b64 s[54:55], s[48:49], vcc
.LBB166_3489:                           ;   in Loop: Header=BB166_17 Depth=1
	s_or_b64 exec, exec, s[64:65]
	s_and_b64 vcc, s[54:55], exec
                                        ; implicit-def: $vgpr15_vgpr16
.LBB166_3490:                           ;   in Loop: Header=BB166_17 Depth=1
	s_andn2_saveexec_b64 s[54:55], s[68:69]
	s_cbranch_execz .LBB166_3494
; %bb.3491:                             ;   in Loop: Header=BB166_17 Depth=1
	v_cmp_eq_u16_sdwa s[48:49], v10, v28 src0_sel:BYTE_0 src1_sel:DWORD
	s_mov_b64 s[66:67], vcc
                                        ; implicit-def: $vgpr65
	s_and_saveexec_b64 s[64:65], s[48:49]
	s_cbranch_execz .LBB166_3493
; %bb.3492:                             ;   in Loop: Header=BB166_17 Depth=1
	flat_load_dwordx2 v[15:16], v[15:16]
	s_or_b64 s[66:67], vcc, exec
	s_waitcnt vmcnt(0) lgkmcnt(0)
	v_ffbh_u32_e32 v65, v16
	v_min_u32_e32 v65, 32, v65
	v_lshlrev_b64 v[15:16], v65, v[15:16]
	v_min_u32_e32 v15, 1, v15
	v_or_b32_e32 v15, v16, v15
	v_cvt_f32_u32_e32 v15, v15
	v_sub_u32_e32 v16, 32, v65
	v_ldexp_f32 v65, v15, v16
.LBB166_3493:                           ;   in Loop: Header=BB166_17 Depth=1
	s_or_b64 exec, exec, s[64:65]
	s_andn2_b64 vcc, vcc, exec
	s_and_b64 s[48:49], s[66:67], exec
	s_or_b64 vcc, vcc, s[48:49]
.LBB166_3494:                           ;   in Loop: Header=BB166_17 Depth=1
	s_or_b64 exec, exec, s[54:55]
	s_and_b64 s[68:69], vcc, exec
                                        ; implicit-def: $vgpr15_vgpr16
.LBB166_3495:                           ;   in Loop: Header=BB166_17 Depth=1
	s_andn2_saveexec_b64 s[70:71], s[70:71]
	s_cbranch_execz .LBB166_3509
; %bb.3496:                             ;   in Loop: Header=BB166_17 Depth=1
	v_cmp_gt_i16_sdwa vcc, v10, v29 src0_sel:BYTE_0 src1_sel:DWORD
                                        ; implicit-def: $vgpr65
	s_and_saveexec_b64 s[48:49], vcc
	s_xor_b64 vcc, exec, s[48:49]
	s_cbranch_execz .LBB166_3502
; %bb.3497:                             ;   in Loop: Header=BB166_17 Depth=1
	v_cmp_gt_i16_sdwa s[48:49], v10, v30 src0_sel:BYTE_0 src1_sel:DWORD
                                        ; implicit-def: $vgpr65
	s_and_saveexec_b64 s[50:51], s[48:49]
	s_xor_b64 s[48:49], exec, s[50:51]
	s_cbranch_execz .LBB166_3499
; %bb.3498:                             ;   in Loop: Header=BB166_17 Depth=1
	flat_load_dword v15, v[15:16]
	s_waitcnt vmcnt(0) lgkmcnt(0)
	v_cvt_f32_u32_e32 v65, v15
                                        ; implicit-def: $vgpr15_vgpr16
.LBB166_3499:                           ;   in Loop: Header=BB166_17 Depth=1
	s_andn2_saveexec_b64 s[48:49], s[48:49]
	s_cbranch_execz .LBB166_3501
; %bb.3500:                             ;   in Loop: Header=BB166_17 Depth=1
	flat_load_ushort v15, v[15:16]
	s_waitcnt vmcnt(0) lgkmcnt(0)
	v_cvt_f32_u32_e32 v65, v15
.LBB166_3501:                           ;   in Loop: Header=BB166_17 Depth=1
	s_or_b64 exec, exec, s[48:49]
                                        ; implicit-def: $vgpr15_vgpr16
.LBB166_3502:                           ;   in Loop: Header=BB166_17 Depth=1
	s_andn2_saveexec_b64 s[54:55], vcc
	s_cbranch_execz .LBB166_3508
; %bb.3503:                             ;   in Loop: Header=BB166_17 Depth=1
	flat_load_ubyte v15, v[15:16]
	s_movk_i32 vcc_lo, 0x7f
	s_mov_b64 s[64:65], 0
	s_waitcnt vmcnt(0) lgkmcnt(0)
	v_cmp_lt_i16_e32 vcc, vcc_lo, v15
	s_and_saveexec_b64 s[48:49], vcc
	s_xor_b64 s[66:67], exec, s[48:49]
	s_cbranch_execnz .LBB166_3642
; %bb.3504:                             ;   in Loop: Header=BB166_17 Depth=1
	s_or_saveexec_b64 s[66:67], s[66:67]
	v_mov_b32_e32 v65, 0x7f800001
	s_xor_b64 exec, exec, s[66:67]
	s_cbranch_execnz .LBB166_3645
.LBB166_3505:                           ;   in Loop: Header=BB166_17 Depth=1
	s_or_b64 exec, exec, s[66:67]
	s_and_saveexec_b64 s[66:67], s[64:65]
	s_cbranch_execz .LBB166_3507
.LBB166_3506:                           ;   in Loop: Header=BB166_17 Depth=1
	v_lshlrev_b32_e32 v16, 24, v15
	v_and_b32_e32 v15, 0xffff, v15
	v_and_b32_e32 v65, 7, v15
	v_ffbh_u32_e32 v67, v65
	v_min_u32_e32 v67, 32, v67
	v_subrev_u32_e32 v68, 28, v67
	v_bfe_u32 v66, v15, 3, 4
	v_lshlrev_b32_e32 v15, v68, v15
	v_sub_u32_e32 v67, 29, v67
	v_and_b32_e32 v15, 7, v15
	v_cmp_eq_u32_e32 vcc, 0, v66
	v_cndmask_b32_e32 v66, v66, v67, vcc
	v_cndmask_b32_e32 v15, v65, v15, vcc
	v_lshlrev_b32_e32 v15, 20, v15
	v_and_b32_e32 v16, 0x80000000, v16
	v_lshl_add_u32 v65, v66, 23, v31
	v_or3_b32 v65, v16, v65, v15
.LBB166_3507:                           ;   in Loop: Header=BB166_17 Depth=1
	s_or_b64 exec, exec, s[66:67]
.LBB166_3508:                           ;   in Loop: Header=BB166_17 Depth=1
	s_or_b64 exec, exec, s[54:55]
	s_or_b64 s[68:69], s[68:69], exec
.LBB166_3509:                           ;   in Loop: Header=BB166_17 Depth=1
	s_or_b64 exec, exec, s[70:71]
	v_readlane_b32 s50, v41, 34
	s_and_b64 s[68:69], s[68:69], exec
	s_mov_b64 s[52:53], s[80:81]
	v_readlane_b32 s51, v41, 35
                                        ; implicit-def: $vgpr15_vgpr16
.LBB166_3510:                           ;   in Loop: Header=BB166_17 Depth=1
	s_andn2_saveexec_b64 s[84:85], s[84:85]
	s_cbranch_execz .LBB166_3536
; %bb.3511:                             ;   in Loop: Header=BB166_17 Depth=1
	v_cmp_gt_i16_sdwa vcc, v10, v32 src0_sel:BYTE_0 src1_sel:DWORD
	s_mov_b64 s[80:81], s[68:69]
                                        ; implicit-def: $vgpr65
	s_and_saveexec_b64 s[48:49], vcc
	s_xor_b64 s[70:71], exec, s[48:49]
	s_cbranch_execz .LBB166_3525
; %bb.3512:                             ;   in Loop: Header=BB166_17 Depth=1
	v_cmp_gt_i16_sdwa vcc, v10, v33 src0_sel:BYTE_0 src1_sel:DWORD
                                        ; implicit-def: $vgpr65
	s_and_saveexec_b64 s[48:49], vcc
	s_xor_b64 s[50:51], exec, s[48:49]
	s_cbranch_execz .LBB166_3522
; %bb.3513:                             ;   in Loop: Header=BB166_17 Depth=1
	v_cmp_gt_i16_sdwa vcc, v10, v34 src0_sel:BYTE_0 src1_sel:DWORD
                                        ; implicit-def: $vgpr65
	s_and_saveexec_b64 s[48:49], vcc
	s_xor_b64 s[54:55], exec, s[48:49]
	s_cbranch_execz .LBB166_3519
; %bb.3514:                             ;   in Loop: Header=BB166_17 Depth=1
	flat_load_ubyte v15, v[15:16]
	s_movk_i32 vcc_lo, 0x7f
	s_mov_b64 s[64:65], 0
	s_waitcnt vmcnt(0) lgkmcnt(0)
	v_cmp_lt_i16_e32 vcc, vcc_lo, v15
	s_and_saveexec_b64 s[48:49], vcc
	s_xor_b64 s[66:67], exec, s[48:49]
	s_cbranch_execnz .LBB166_3646
; %bb.3515:                             ;   in Loop: Header=BB166_17 Depth=1
	s_or_saveexec_b64 s[66:67], s[66:67]
	v_mov_b32_e32 v65, 0x7f800001
	s_xor_b64 exec, exec, s[66:67]
	s_cbranch_execnz .LBB166_3649
.LBB166_3516:                           ;   in Loop: Header=BB166_17 Depth=1
	s_or_b64 exec, exec, s[66:67]
	s_and_saveexec_b64 s[66:67], s[64:65]
	s_cbranch_execz .LBB166_3518
.LBB166_3517:                           ;   in Loop: Header=BB166_17 Depth=1
	v_lshlrev_b32_e32 v16, 24, v15
	v_and_b32_e32 v15, 0xffff, v15
	v_and_b32_e32 v65, 3, v15
	v_ffbh_u32_e32 v67, v65
	v_min_u32_e32 v67, 32, v67
	v_subrev_u32_e32 v68, 29, v67
	v_bfe_u32 v66, v15, 2, 5
	v_lshlrev_b32_e32 v15, v68, v15
	v_sub_u32_e32 v67, 30, v67
	v_and_b32_e32 v15, 3, v15
	v_cmp_eq_u32_e32 vcc, 0, v66
	v_cndmask_b32_e32 v66, v66, v67, vcc
	v_cndmask_b32_e32 v15, v65, v15, vcc
	v_lshlrev_b32_e32 v15, 21, v15
	v_and_b32_e32 v16, 0x80000000, v16
	v_lshl_add_u32 v65, v66, 23, v35
	v_or3_b32 v65, v16, v65, v15
.LBB166_3518:                           ;   in Loop: Header=BB166_17 Depth=1
	s_or_b64 exec, exec, s[66:67]
                                        ; implicit-def: $vgpr15_vgpr16
.LBB166_3519:                           ;   in Loop: Header=BB166_17 Depth=1
	s_andn2_saveexec_b64 s[54:55], s[54:55]
	s_cbranch_execz .LBB166_3521
; %bb.3520:                             ;   in Loop: Header=BB166_17 Depth=1
	flat_load_ubyte v15, v[15:16]
	s_mov_b32 vcc_lo, 0x7f800000
	s_waitcnt vmcnt(0) lgkmcnt(0)
	v_lshlrev_b32_e32 v15, 24, v15
	v_and_b32_e32 v16, 0x7f000000, v15
	v_ffbh_u32_e32 v65, v16
	v_min_u32_e32 v65, 32, v65
	v_sub_u32_e64 v65, v65, 4 clamp
	v_lshlrev_b32_e32 v67, v65, v16
	v_lshlrev_b32_e32 v65, 23, v65
	v_lshrrev_b32_e32 v67, 4, v67
	v_add_u32_e32 v66, 0x1000000, v16
	v_sub_u32_e32 v65, v67, v65
	v_ashrrev_i32_e32 v66, 8, v66
	v_add_u32_e32 v65, 0x3c000000, v65
	v_and_or_b32 v65, v66, vcc_lo, v65
	v_cmp_ne_u32_e32 vcc, 0, v16
	v_cndmask_b32_e32 v16, 0, v65, vcc
	s_brev_b32 vcc_lo, 1
	v_and_or_b32 v65, v15, vcc_lo, v16
.LBB166_3521:                           ;   in Loop: Header=BB166_17 Depth=1
	s_or_b64 exec, exec, s[54:55]
                                        ; implicit-def: $vgpr15_vgpr16
.LBB166_3522:                           ;   in Loop: Header=BB166_17 Depth=1
	s_andn2_saveexec_b64 s[54:55], s[50:51]
	s_cbranch_execz .LBB166_3524
; %bb.3523:                             ;   in Loop: Header=BB166_17 Depth=1
	flat_load_ubyte v15, v[15:16]
	s_movk_i32 vcc_lo, 0x7f00
	s_waitcnt vmcnt(0) lgkmcnt(0)
	v_lshlrev_b16_e32 v16, 8, v15
	v_lshlrev_b32_e32 v15, 25, v15
	v_lshrrev_b32_e32 v65, 4, v15
	v_and_or_b32 v66, v16, vcc_lo, 0.5
	v_or_b32_e32 v65, 0x70000000, v65
	s_brev_b32 vcc_lo, 16
	v_add_f32_e32 v66, -0.5, v66
	v_mul_f32_e32 v65, 0x7800000, v65
	v_cmp_gt_u32_e32 vcc, vcc_lo, v15
	v_cndmask_b32_e32 v15, v65, v66, vcc
	v_bfe_i32 v16, v16, 0, 16
	s_brev_b32 vcc_lo, 1
	v_and_or_b32 v65, v16, vcc_lo, v15
.LBB166_3524:                           ;   in Loop: Header=BB166_17 Depth=1
	s_or_b64 exec, exec, s[54:55]
	s_or_b64 s[80:81], s[68:69], exec
                                        ; implicit-def: $vgpr15_vgpr16
.LBB166_3525:                           ;   in Loop: Header=BB166_17 Depth=1
	s_andn2_saveexec_b64 s[54:55], s[70:71]
	s_cbranch_execz .LBB166_3535
; %bb.3526:                             ;   in Loop: Header=BB166_17 Depth=1
	v_cmp_gt_i16_sdwa vcc, v10, v36 src0_sel:BYTE_0 src1_sel:DWORD
	s_mov_b64 s[64:65], s[80:81]
                                        ; implicit-def: $vgpr65
	s_and_saveexec_b64 s[48:49], vcc
	s_xor_b64 vcc, exec, s[48:49]
	s_cbranch_execz .LBB166_3530
; %bb.3527:                             ;   in Loop: Header=BB166_17 Depth=1
	v_cmp_eq_u16_sdwa s[50:51], v10, v37 src0_sel:BYTE_0 src1_sel:DWORD
	s_mov_b64 s[64:65], s[80:81]
                                        ; implicit-def: $vgpr65
	s_and_saveexec_b64 s[48:49], s[50:51]
	s_cbranch_execz .LBB166_3529
; %bb.3528:                             ;   in Loop: Header=BB166_17 Depth=1
	flat_load_ushort v15, v[15:16]
	s_or_b64 s[64:65], s[80:81], exec
	s_waitcnt vmcnt(0) lgkmcnt(0)
	v_lshlrev_b32_e32 v65, 16, v15
.LBB166_3529:                           ;   in Loop: Header=BB166_17 Depth=1
	s_or_b64 exec, exec, s[48:49]
	s_andn2_b64 s[48:49], s[80:81], exec
	s_and_b64 s[50:51], s[64:65], exec
	s_or_b64 s[64:65], s[48:49], s[50:51]
                                        ; implicit-def: $vgpr15_vgpr16
.LBB166_3530:                           ;   in Loop: Header=BB166_17 Depth=1
	s_andn2_saveexec_b64 s[66:67], vcc
	s_cbranch_execz .LBB166_3534
; %bb.3531:                             ;   in Loop: Header=BB166_17 Depth=1
	v_cmp_eq_u16_sdwa s[50:51], v10, v38 src0_sel:BYTE_0 src1_sel:DWORD
	s_mov_b64 vcc, s[64:65]
                                        ; implicit-def: $vgpr65
	s_and_saveexec_b64 s[48:49], s[50:51]
	s_cbranch_execz .LBB166_3533
; %bb.3532:                             ;   in Loop: Header=BB166_17 Depth=1
	flat_load_ubyte v15, v[15:16]
	s_waitcnt vmcnt(0) lgkmcnt(0)
	v_cmp_ne_u16_e32 vcc, 0, v15
	v_cndmask_b32_e64 v65, 0, 1.0, vcc
	s_or_b64 vcc, s[64:65], exec
.LBB166_3533:                           ;   in Loop: Header=BB166_17 Depth=1
	s_or_b64 exec, exec, s[48:49]
	s_andn2_b64 s[48:49], s[64:65], exec
	s_and_b64 vcc, vcc, exec
	s_or_b64 s[64:65], s[48:49], vcc
.LBB166_3534:                           ;   in Loop: Header=BB166_17 Depth=1
	s_or_b64 exec, exec, s[66:67]
	s_andn2_b64 vcc, s[80:81], exec
	s_and_b64 s[48:49], s[64:65], exec
	s_or_b64 s[80:81], vcc, s[48:49]
.LBB166_3535:                           ;   in Loop: Header=BB166_17 Depth=1
	s_or_b64 exec, exec, s[54:55]
	s_andn2_b64 vcc, s[68:69], exec
	s_and_b64 s[48:49], s[80:81], exec
	v_readlane_b32 s50, v41, 34
	s_or_b64 s[68:69], vcc, s[48:49]
	v_readlane_b32 s51, v41, 35
.LBB166_3536:                           ;   in Loop: Header=BB166_17 Depth=1
	s_or_b64 exec, exec, s[84:85]
	s_and_b64 vcc, s[68:69], exec
                                        ; implicit-def: $vgpr15_vgpr16
	s_andn2_saveexec_b64 s[68:69], s[50:51]
	s_cbranch_execz .LBB166_1788
.LBB166_3537:                           ;   in Loop: Header=BB166_17 Depth=1
	v_cmp_gt_i16_sdwa s[48:49], v10, v39 src0_sel:BYTE_0 src1_sel:DWORD
                                        ; implicit-def: $vgpr65
	s_and_saveexec_b64 s[50:51], s[48:49]
	s_xor_b64 s[70:71], exec, s[50:51]
	s_cbranch_execz .LBB166_3559
; %bb.3538:                             ;   in Loop: Header=BB166_17 Depth=1
	s_mov_b64 s[66:67], s[52:53]
	v_cmp_gt_i16_sdwa s[48:49], v10, v48 src0_sel:BYTE_0 src1_sel:DWORD
                                        ; implicit-def: $vgpr65
	s_and_saveexec_b64 s[50:51], s[48:49]
	s_xor_b64 s[54:55], exec, s[50:51]
	s_cbranch_execz .LBB166_3548
; %bb.3539:                             ;   in Loop: Header=BB166_17 Depth=1
	v_cmp_gt_i16_sdwa s[48:49], v10, v49 src0_sel:BYTE_0 src1_sel:DWORD
                                        ; implicit-def: $vgpr65
	s_and_saveexec_b64 s[50:51], s[48:49]
	s_xor_b64 s[64:65], exec, s[50:51]
	s_cbranch_execz .LBB166_3545
; %bb.3540:                             ;   in Loop: Header=BB166_17 Depth=1
	;; [unrolled: 6-line block ×3, first 2 shown]
	flat_load_dwordx2 v[15:16], v[15:16]
	s_waitcnt vmcnt(0) lgkmcnt(0)
	v_cvt_f32_f64_e32 v65, v[15:16]
                                        ; implicit-def: $vgpr15_vgpr16
.LBB166_3542:                           ;   in Loop: Header=BB166_17 Depth=1
	s_andn2_saveexec_b64 s[48:49], s[48:49]
	s_cbranch_execz .LBB166_3544
; %bb.3543:                             ;   in Loop: Header=BB166_17 Depth=1
	flat_load_dword v65, v[15:16]
.LBB166_3544:                           ;   in Loop: Header=BB166_17 Depth=1
	s_or_b64 exec, exec, s[48:49]
                                        ; implicit-def: $vgpr15_vgpr16
.LBB166_3545:                           ;   in Loop: Header=BB166_17 Depth=1
	s_andn2_saveexec_b64 s[48:49], s[64:65]
	s_cbranch_execz .LBB166_3547
; %bb.3546:                             ;   in Loop: Header=BB166_17 Depth=1
	flat_load_dword v15, v[15:16]
	s_waitcnt vmcnt(0) lgkmcnt(0)
	v_cvt_f32_f16_e32 v65, v15
.LBB166_3547:                           ;   in Loop: Header=BB166_17 Depth=1
	s_or_b64 exec, exec, s[48:49]
                                        ; implicit-def: $vgpr15_vgpr16
.LBB166_3548:                           ;   in Loop: Header=BB166_17 Depth=1
	s_andn2_saveexec_b64 s[54:55], s[54:55]
	s_cbranch_execz .LBB166_3558
; %bb.3549:                             ;   in Loop: Header=BB166_17 Depth=1
	v_cmp_gt_i16_sdwa s[48:49], v10, v51 src0_sel:BYTE_0 src1_sel:DWORD
                                        ; implicit-def: $vgpr65
	s_and_saveexec_b64 s[50:51], s[48:49]
	s_xor_b64 s[64:65], exec, s[50:51]
	s_cbranch_execz .LBB166_3555
; %bb.3550:                             ;   in Loop: Header=BB166_17 Depth=1
	v_cmp_gt_i16_sdwa s[48:49], v10, v52 src0_sel:BYTE_0 src1_sel:DWORD
                                        ; implicit-def: $vgpr65
	s_and_saveexec_b64 s[50:51], s[48:49]
	s_xor_b64 s[48:49], exec, s[50:51]
	s_cbranch_execz .LBB166_3552
; %bb.3551:                             ;   in Loop: Header=BB166_17 Depth=1
	flat_load_dwordx2 v[15:16], v[15:16]
	s_waitcnt vmcnt(0) lgkmcnt(0)
	v_cvt_f32_f64_e32 v65, v[15:16]
                                        ; implicit-def: $vgpr15_vgpr16
.LBB166_3552:                           ;   in Loop: Header=BB166_17 Depth=1
	s_andn2_saveexec_b64 s[48:49], s[48:49]
	s_cbranch_execz .LBB166_3554
; %bb.3553:                             ;   in Loop: Header=BB166_17 Depth=1
	s_waitcnt vmcnt(0) lgkmcnt(0)
	flat_load_dword v65, v[15:16]
.LBB166_3554:                           ;   in Loop: Header=BB166_17 Depth=1
	s_or_b64 exec, exec, s[48:49]
                                        ; implicit-def: $vgpr15_vgpr16
.LBB166_3555:                           ;   in Loop: Header=BB166_17 Depth=1
	s_andn2_saveexec_b64 s[48:49], s[64:65]
	s_cbranch_execz .LBB166_3557
; %bb.3556:                             ;   in Loop: Header=BB166_17 Depth=1
	flat_load_ushort v15, v[15:16]
	s_waitcnt vmcnt(0) lgkmcnt(0)
	v_cvt_f32_f16_e32 v65, v15
.LBB166_3557:                           ;   in Loop: Header=BB166_17 Depth=1
	s_or_b64 exec, exec, s[48:49]
.LBB166_3558:                           ;   in Loop: Header=BB166_17 Depth=1
	s_or_b64 exec, exec, s[54:55]
	s_mov_b64 s[52:53], s[66:67]
                                        ; implicit-def: $vgpr15_vgpr16
.LBB166_3559:                           ;   in Loop: Header=BB166_17 Depth=1
	s_andn2_saveexec_b64 s[70:71], s[70:71]
	s_cbranch_execz .LBB166_3577
; %bb.3560:                             ;   in Loop: Header=BB166_17 Depth=1
	s_mov_b64 s[80:81], s[52:53]
	v_cmp_gt_i16_sdwa s[48:49], v10, v53 src0_sel:BYTE_0 src1_sel:DWORD
                                        ; implicit-def: $vgpr65
	s_and_saveexec_b64 s[50:51], s[48:49]
	s_xor_b64 s[54:55], exec, s[50:51]
	s_cbranch_execz .LBB166_3570
; %bb.3561:                             ;   in Loop: Header=BB166_17 Depth=1
	v_cmp_gt_i16_sdwa s[48:49], v10, v54 src0_sel:BYTE_0 src1_sel:DWORD
                                        ; implicit-def: $vgpr65
	s_and_saveexec_b64 s[50:51], s[48:49]
	s_xor_b64 s[64:65], exec, s[50:51]
	s_cbranch_execz .LBB166_3567
; %bb.3562:                             ;   in Loop: Header=BB166_17 Depth=1
	;; [unrolled: 6-line block ×3, first 2 shown]
	flat_load_dwordx2 v[15:16], v[15:16]
	s_waitcnt vmcnt(0) lgkmcnt(0)
	v_xor_b32_e32 v66, v15, v16
	v_ffbh_i32_e32 v65, v16
	v_ashrrev_i32_e32 v66, 31, v66
	v_add_u32_e32 v65, -1, v65
	v_add_u32_e32 v66, 32, v66
	v_min_u32_e32 v65, v65, v66
	v_lshlrev_b64 v[15:16], v65, v[15:16]
	v_min_u32_e32 v15, 1, v15
	v_or_b32_e32 v15, v16, v15
	v_cvt_f32_i32_e32 v15, v15
	v_sub_u32_e32 v16, 32, v65
	v_ldexp_f32 v65, v15, v16
                                        ; implicit-def: $vgpr15_vgpr16
.LBB166_3564:                           ;   in Loop: Header=BB166_17 Depth=1
	s_andn2_saveexec_b64 s[48:49], s[66:67]
	s_cbranch_execz .LBB166_3566
; %bb.3565:                             ;   in Loop: Header=BB166_17 Depth=1
	flat_load_dword v15, v[15:16]
	s_waitcnt vmcnt(0) lgkmcnt(0)
	v_cvt_f32_i32_e32 v65, v15
.LBB166_3566:                           ;   in Loop: Header=BB166_17 Depth=1
	s_or_b64 exec, exec, s[48:49]
                                        ; implicit-def: $vgpr15_vgpr16
.LBB166_3567:                           ;   in Loop: Header=BB166_17 Depth=1
	s_andn2_saveexec_b64 s[48:49], s[64:65]
	s_cbranch_execz .LBB166_3569
; %bb.3568:                             ;   in Loop: Header=BB166_17 Depth=1
	flat_load_sshort v15, v[15:16]
	s_waitcnt vmcnt(0) lgkmcnt(0)
	v_cvt_f32_i32_e32 v65, v15
.LBB166_3569:                           ;   in Loop: Header=BB166_17 Depth=1
	s_or_b64 exec, exec, s[48:49]
                                        ; implicit-def: $vgpr15_vgpr16
.LBB166_3570:                           ;   in Loop: Header=BB166_17 Depth=1
	s_andn2_saveexec_b64 s[54:55], s[54:55]
	s_cbranch_execz .LBB166_3576
; %bb.3571:                             ;   in Loop: Header=BB166_17 Depth=1
	v_cmp_gt_i16_sdwa s[48:49], v10, v18 src0_sel:BYTE_0 src1_sel:DWORD
                                        ; implicit-def: $vgpr65
	s_and_saveexec_b64 s[50:51], s[48:49]
	s_xor_b64 s[48:49], exec, s[50:51]
	s_cbranch_execz .LBB166_3573
; %bb.3572:                             ;   in Loop: Header=BB166_17 Depth=1
	flat_load_sbyte v15, v[15:16]
	s_waitcnt vmcnt(0) lgkmcnt(0)
	v_cvt_f32_i32_e32 v65, v15
                                        ; implicit-def: $vgpr15_vgpr16
.LBB166_3573:                           ;   in Loop: Header=BB166_17 Depth=1
	s_andn2_saveexec_b64 s[48:49], s[48:49]
	s_cbranch_execz .LBB166_3575
; %bb.3574:                             ;   in Loop: Header=BB166_17 Depth=1
	flat_load_ubyte v15, v[15:16]
	s_waitcnt vmcnt(0) lgkmcnt(0)
	v_cvt_f32_ubyte0_e32 v65, v15
.LBB166_3575:                           ;   in Loop: Header=BB166_17 Depth=1
	s_or_b64 exec, exec, s[48:49]
.LBB166_3576:                           ;   in Loop: Header=BB166_17 Depth=1
	s_or_b64 exec, exec, s[54:55]
	s_mov_b64 s[52:53], s[80:81]
.LBB166_3577:                           ;   in Loop: Header=BB166_17 Depth=1
	s_or_b64 exec, exec, s[70:71]
	s_or_b64 vcc, vcc, exec
	s_or_b64 exec, exec, s[68:69]
	s_mov_b64 s[64:65], 0
	s_and_saveexec_b64 s[54:55], vcc
	s_cbranch_execnz .LBB166_1789
	s_branch .LBB166_1790
.LBB166_3578:                           ;   in Loop: Header=BB166_17 Depth=1
	s_movk_i32 vcc_lo, 0x80
	v_cmp_eq_u16_e32 vcc, vcc_lo, v15
	s_mov_b64 s[82:83], -1
	s_and_saveexec_b64 s[86:87], vcc
; %bb.3579:                             ;   in Loop: Header=BB166_17 Depth=1
	s_xor_b64 s[82:83], exec, -1
; %bb.3580:                             ;   in Loop: Header=BB166_17 Depth=1
	s_or_b64 exec, exec, s[86:87]
	s_and_b64 s[82:83], s[82:83], exec
	s_or_saveexec_b64 s[84:85], s[84:85]
	v_mov_b32_e32 v65, 0x7f800001
	s_xor_b64 exec, exec, s[84:85]
	s_cbranch_execz .LBB166_2936
.LBB166_3581:                           ;   in Loop: Header=BB166_17 Depth=1
	v_cmp_ne_u16_e32 vcc, 0, v15
	s_andn2_b64 s[82:83], s[82:83], exec
	s_and_b64 vcc, vcc, exec
	v_mov_b32_e32 v65, 0
	s_or_b64 s[82:83], s[82:83], vcc
	s_or_b64 exec, exec, s[84:85]
	s_and_saveexec_b64 s[84:85], s[82:83]
	s_cbranch_execnz .LBB166_2937
	s_branch .LBB166_2938
.LBB166_3582:                           ;   in Loop: Header=BB166_17 Depth=1
	s_movk_i32 vcc_lo, 0x80
	v_cmp_eq_u16_e32 vcc, vcc_lo, v15
	s_mov_b64 s[48:49], -1
	s_and_saveexec_b64 s[86:87], vcc
; %bb.3583:                             ;   in Loop: Header=BB166_17 Depth=1
	s_xor_b64 s[48:49], exec, -1
; %bb.3584:                             ;   in Loop: Header=BB166_17 Depth=1
	s_or_b64 exec, exec, s[86:87]
	s_and_b64 s[86:87], s[48:49], exec
	s_or_saveexec_b64 s[96:97], s[96:97]
	v_mov_b32_e32 v65, 0x7f800001
	s_xor_b64 exec, exec, s[96:97]
	s_cbranch_execz .LBB166_3041
.LBB166_3585:                           ;   in Loop: Header=BB166_17 Depth=1
	v_cmp_ne_u16_e32 vcc, 0, v15
	s_andn2_b64 s[48:49], s[86:87], exec
	s_and_b64 vcc, vcc, exec
	v_mov_b32_e32 v65, 0
	s_or_b64 s[86:87], s[48:49], vcc
	s_or_b64 exec, exec, s[96:97]
	s_and_saveexec_b64 s[96:97], s[86:87]
	s_cbranch_execnz .LBB166_3042
	s_branch .LBB166_3043
.LBB166_3586:                           ;   in Loop: Header=BB166_17 Depth=1
	s_movk_i32 vcc_lo, 0x80
	v_cmp_eq_u16_e32 vcc, vcc_lo, v15
	s_mov_b64 s[48:49], -1
	s_and_saveexec_b64 s[64:65], vcc
; %bb.3587:                             ;   in Loop: Header=BB166_17 Depth=1
	s_xor_b64 s[48:49], exec, -1
; %bb.3588:                             ;   in Loop: Header=BB166_17 Depth=1
	s_or_b64 exec, exec, s[64:65]
	s_and_b64 s[64:65], s[48:49], exec
	s_or_saveexec_b64 s[66:67], s[66:67]
	v_mov_b32_e32 v66, 0x7f800001
	s_xor_b64 exec, exec, s[66:67]
	s_cbranch_execz .LBB166_1389
.LBB166_3589:                           ;   in Loop: Header=BB166_17 Depth=1
	v_cmp_ne_u16_e32 vcc, 0, v15
	s_andn2_b64 s[48:49], s[64:65], exec
	s_and_b64 vcc, vcc, exec
	v_mov_b32_e32 v66, 0
	s_or_b64 s[64:65], s[48:49], vcc
	s_or_b64 exec, exec, s[66:67]
	s_and_saveexec_b64 s[66:67], s[64:65]
	s_cbranch_execnz .LBB166_1390
	s_branch .LBB166_1391
.LBB166_3590:                           ;   in Loop: Header=BB166_17 Depth=1
	s_movk_i32 vcc_lo, 0x80
	v_cmp_eq_u16_e32 vcc, vcc_lo, v15
	s_mov_b64 s[48:49], -1
	s_and_saveexec_b64 s[64:65], vcc
; %bb.3591:                             ;   in Loop: Header=BB166_17 Depth=1
	s_xor_b64 s[48:49], exec, -1
; %bb.3592:                             ;   in Loop: Header=BB166_17 Depth=1
	s_or_b64 exec, exec, s[64:65]
	s_and_b64 s[64:65], s[48:49], exec
	s_or_saveexec_b64 s[66:67], s[66:67]
	v_mov_b32_e32 v66, 0x7f800001
	s_xor_b64 exec, exec, s[66:67]
	s_cbranch_execz .LBB166_1489
.LBB166_3593:                           ;   in Loop: Header=BB166_17 Depth=1
	v_cmp_ne_u16_e32 vcc, 0, v15
	s_andn2_b64 s[48:49], s[64:65], exec
	s_and_b64 vcc, vcc, exec
	v_mov_b32_e32 v66, 0
	s_or_b64 s[64:65], s[48:49], vcc
	s_or_b64 exec, exec, s[66:67]
	s_and_saveexec_b64 s[66:67], s[64:65]
	s_cbranch_execnz .LBB166_1490
	s_branch .LBB166_1491
.LBB166_3594:                           ;   in Loop: Header=BB166_17 Depth=1
	s_movk_i32 vcc_lo, 0x80
	v_cmp_eq_u16_e32 vcc, vcc_lo, v15
	s_mov_b64 s[48:49], -1
	s_and_saveexec_b64 s[96:97], vcc
; %bb.3595:                             ;   in Loop: Header=BB166_17 Depth=1
	s_xor_b64 s[48:49], exec, -1
; %bb.3596:                             ;   in Loop: Header=BB166_17 Depth=1
	s_or_b64 exec, exec, s[96:97]
	s_and_b64 s[96:97], s[48:49], exec
	s_or_saveexec_b64 s[86:87], s[86:87]
	v_mov_b32_e32 v65, 0x7f800001
	s_xor_b64 exec, exec, s[86:87]
	s_cbranch_execz .LBB166_3052
.LBB166_3597:                           ;   in Loop: Header=BB166_17 Depth=1
	v_cmp_ne_u16_e32 vcc, 0, v15
	s_andn2_b64 s[48:49], s[96:97], exec
	s_and_b64 vcc, vcc, exec
	v_mov_b32_e32 v65, 0
	s_or_b64 s[96:97], s[48:49], vcc
	s_or_b64 exec, exec, s[86:87]
	s_and_saveexec_b64 s[86:87], s[96:97]
	s_cbranch_execnz .LBB166_3053
	s_branch .LBB166_3054
.LBB166_3598:                           ;   in Loop: Header=BB166_17 Depth=1
	s_movk_i32 vcc_lo, 0x80
	v_cmp_eq_u16_e32 vcc, vcc_lo, v15
	s_mov_b64 s[48:49], -1
	s_and_saveexec_b64 s[64:65], vcc
; %bb.3599:                             ;   in Loop: Header=BB166_17 Depth=1
	s_xor_b64 s[48:49], exec, -1
; %bb.3600:                             ;   in Loop: Header=BB166_17 Depth=1
	s_or_b64 exec, exec, s[64:65]
	s_and_b64 s[64:65], s[48:49], exec
	s_or_saveexec_b64 s[66:67], s[66:67]
	v_mov_b32_e32 v65, 0x7f800001
	s_xor_b64 exec, exec, s[66:67]
	s_cbranch_execz .LBB166_3157
.LBB166_3601:                           ;   in Loop: Header=BB166_17 Depth=1
	v_cmp_ne_u16_e32 vcc, 0, v15
	s_andn2_b64 s[48:49], s[64:65], exec
	s_and_b64 vcc, vcc, exec
	v_mov_b32_e32 v65, 0
	s_or_b64 s[64:65], s[48:49], vcc
	s_or_b64 exec, exec, s[66:67]
	s_and_saveexec_b64 s[66:67], s[64:65]
	s_cbranch_execnz .LBB166_3158
	s_branch .LBB166_3159
.LBB166_3602:                           ;   in Loop: Header=BB166_17 Depth=1
	s_movk_i32 vcc_lo, 0x80
	v_cmp_eq_u16_e32 vcc, vcc_lo, v15
	s_mov_b64 s[48:49], -1
	s_and_saveexec_b64 s[64:65], vcc
; %bb.3603:                             ;   in Loop: Header=BB166_17 Depth=1
	s_xor_b64 s[48:49], exec, -1
; %bb.3604:                             ;   in Loop: Header=BB166_17 Depth=1
	s_or_b64 exec, exec, s[64:65]
	s_and_b64 s[64:65], s[48:49], exec
	s_or_saveexec_b64 s[66:67], s[66:67]
	v_mov_b32_e32 v66, 0x7f800001
	s_xor_b64 exec, exec, s[66:67]
	s_cbranch_execz .LBB166_1500
.LBB166_3605:                           ;   in Loop: Header=BB166_17 Depth=1
	v_cmp_ne_u16_e32 vcc, 0, v15
	s_andn2_b64 s[48:49], s[64:65], exec
	s_and_b64 vcc, vcc, exec
	v_mov_b32_e32 v66, 0
	s_or_b64 s[64:65], s[48:49], vcc
	s_or_b64 exec, exec, s[66:67]
	s_and_saveexec_b64 s[66:67], s[64:65]
	s_cbranch_execnz .LBB166_1501
	s_branch .LBB166_1502
.LBB166_3606:                           ;   in Loop: Header=BB166_17 Depth=1
	s_movk_i32 vcc_lo, 0x80
	v_cmp_eq_u16_e32 vcc, vcc_lo, v15
	s_mov_b64 s[48:49], -1
	s_and_saveexec_b64 s[64:65], vcc
; %bb.3607:                             ;   in Loop: Header=BB166_17 Depth=1
	s_xor_b64 s[48:49], exec, -1
; %bb.3608:                             ;   in Loop: Header=BB166_17 Depth=1
	s_or_b64 exec, exec, s[64:65]
	s_and_b64 s[64:65], s[48:49], exec
	s_or_saveexec_b64 s[66:67], s[66:67]
	v_mov_b32_e32 v66, 0x7f800001
	s_xor_b64 exec, exec, s[66:67]
	s_cbranch_execz .LBB166_1600
.LBB166_3609:                           ;   in Loop: Header=BB166_17 Depth=1
	v_cmp_ne_u16_e32 vcc, 0, v15
	s_andn2_b64 s[48:49], s[64:65], exec
	s_and_b64 vcc, vcc, exec
	v_mov_b32_e32 v66, 0
	s_or_b64 s[64:65], s[48:49], vcc
	s_or_b64 exec, exec, s[66:67]
	s_and_saveexec_b64 s[66:67], s[64:65]
	s_cbranch_execnz .LBB166_1601
	s_branch .LBB166_1602
.LBB166_3610:                           ;   in Loop: Header=BB166_17 Depth=1
	s_movk_i32 vcc_lo, 0x80
	v_cmp_eq_u16_e32 vcc, vcc_lo, v15
	s_mov_b64 s[48:49], -1
	s_and_saveexec_b64 s[64:65], vcc
; %bb.3611:                             ;   in Loop: Header=BB166_17 Depth=1
	s_xor_b64 s[48:49], exec, -1
; %bb.3612:                             ;   in Loop: Header=BB166_17 Depth=1
	s_or_b64 exec, exec, s[64:65]
	s_and_b64 s[64:65], s[48:49], exec
	s_or_saveexec_b64 s[66:67], s[66:67]
	v_mov_b32_e32 v65, 0x7f800001
	s_xor_b64 exec, exec, s[66:67]
	s_cbranch_execz .LBB166_3168
.LBB166_3613:                           ;   in Loop: Header=BB166_17 Depth=1
	v_cmp_ne_u16_e32 vcc, 0, v15
	s_andn2_b64 s[48:49], s[64:65], exec
	s_and_b64 vcc, vcc, exec
	v_mov_b32_e32 v65, 0
	s_or_b64 s[64:65], s[48:49], vcc
	s_or_b64 exec, exec, s[66:67]
	s_and_saveexec_b64 s[66:67], s[64:65]
	s_cbranch_execnz .LBB166_3169
	s_branch .LBB166_3170
.LBB166_3614:                           ;   in Loop: Header=BB166_17 Depth=1
	s_movk_i32 vcc_lo, 0x80
	v_cmp_eq_u16_e32 vcc, vcc_lo, v15
	s_mov_b64 s[48:49], -1
	s_and_saveexec_b64 s[64:65], vcc
; %bb.3615:                             ;   in Loop: Header=BB166_17 Depth=1
	s_xor_b64 s[48:49], exec, -1
; %bb.3616:                             ;   in Loop: Header=BB166_17 Depth=1
	s_or_b64 exec, exec, s[64:65]
	s_and_b64 s[64:65], s[48:49], exec
	s_or_saveexec_b64 s[66:67], s[66:67]
	v_mov_b32_e32 v65, 0x7f800001
	s_xor_b64 exec, exec, s[66:67]
	s_cbranch_execz .LBB166_3273
.LBB166_3617:                           ;   in Loop: Header=BB166_17 Depth=1
	v_cmp_ne_u16_e32 vcc, 0, v15
	s_andn2_b64 s[48:49], s[64:65], exec
	s_and_b64 vcc, vcc, exec
	v_mov_b32_e32 v65, 0
	s_or_b64 s[64:65], s[48:49], vcc
	s_or_b64 exec, exec, s[66:67]
	s_and_saveexec_b64 s[66:67], s[64:65]
	s_cbranch_execnz .LBB166_3274
	s_branch .LBB166_3275
.LBB166_3618:                           ;   in Loop: Header=BB166_17 Depth=1
	s_movk_i32 vcc_lo, 0x80
	v_cmp_eq_u16_e32 vcc, vcc_lo, v15
	s_mov_b64 s[48:49], -1
	s_and_saveexec_b64 s[64:65], vcc
; %bb.3619:                             ;   in Loop: Header=BB166_17 Depth=1
	s_xor_b64 s[48:49], exec, -1
; %bb.3620:                             ;   in Loop: Header=BB166_17 Depth=1
	s_or_b64 exec, exec, s[64:65]
	s_and_b64 s[64:65], s[48:49], exec
	s_or_saveexec_b64 s[66:67], s[66:67]
	v_mov_b32_e32 v66, 0x7f800001
	s_xor_b64 exec, exec, s[66:67]
	s_cbranch_execz .LBB166_1611
.LBB166_3621:                           ;   in Loop: Header=BB166_17 Depth=1
	v_cmp_ne_u16_e32 vcc, 0, v15
	s_andn2_b64 s[48:49], s[64:65], exec
	s_and_b64 vcc, vcc, exec
	v_mov_b32_e32 v66, 0
	s_or_b64 s[64:65], s[48:49], vcc
	s_or_b64 exec, exec, s[66:67]
	s_and_saveexec_b64 s[66:67], s[64:65]
	s_cbranch_execnz .LBB166_1612
	s_branch .LBB166_1613
.LBB166_3622:                           ;   in Loop: Header=BB166_17 Depth=1
	s_movk_i32 vcc_lo, 0x80
	v_cmp_eq_u16_e32 vcc, vcc_lo, v15
	s_mov_b64 s[48:49], -1
	s_and_saveexec_b64 s[64:65], vcc
; %bb.3623:                             ;   in Loop: Header=BB166_17 Depth=1
	s_xor_b64 s[48:49], exec, -1
; %bb.3624:                             ;   in Loop: Header=BB166_17 Depth=1
	s_or_b64 exec, exec, s[64:65]
	s_and_b64 s[64:65], s[48:49], exec
	s_or_saveexec_b64 s[66:67], s[66:67]
	v_mov_b32_e32 v66, 0x7f800001
	s_xor_b64 exec, exec, s[66:67]
	s_cbranch_execz .LBB166_1711
.LBB166_3625:                           ;   in Loop: Header=BB166_17 Depth=1
	v_cmp_ne_u16_e32 vcc, 0, v15
	s_andn2_b64 s[48:49], s[64:65], exec
	s_and_b64 vcc, vcc, exec
	v_mov_b32_e32 v66, 0
	s_or_b64 s[64:65], s[48:49], vcc
	s_or_b64 exec, exec, s[66:67]
	s_and_saveexec_b64 s[66:67], s[64:65]
	s_cbranch_execnz .LBB166_1712
	s_branch .LBB166_1713
.LBB166_3626:                           ;   in Loop: Header=BB166_17 Depth=1
	s_movk_i32 vcc_lo, 0x80
	v_cmp_eq_u16_e32 vcc, vcc_lo, v15
	s_mov_b64 s[48:49], -1
	s_and_saveexec_b64 s[64:65], vcc
; %bb.3627:                             ;   in Loop: Header=BB166_17 Depth=1
	s_xor_b64 s[48:49], exec, -1
; %bb.3628:                             ;   in Loop: Header=BB166_17 Depth=1
	s_or_b64 exec, exec, s[64:65]
	s_and_b64 s[64:65], s[48:49], exec
	s_or_saveexec_b64 s[66:67], s[66:67]
	v_mov_b32_e32 v65, 0x7f800001
	s_xor_b64 exec, exec, s[66:67]
	s_cbranch_execz .LBB166_3284
.LBB166_3629:                           ;   in Loop: Header=BB166_17 Depth=1
	v_cmp_ne_u16_e32 vcc, 0, v15
	s_andn2_b64 s[48:49], s[64:65], exec
	s_and_b64 vcc, vcc, exec
	v_mov_b32_e32 v65, 0
	s_or_b64 s[64:65], s[48:49], vcc
	s_or_b64 exec, exec, s[66:67]
	s_and_saveexec_b64 s[66:67], s[64:65]
	s_cbranch_execnz .LBB166_3285
	s_branch .LBB166_3286
.LBB166_3630:                           ;   in Loop: Header=BB166_17 Depth=1
	s_movk_i32 vcc_lo, 0x80
	v_cmp_eq_u16_e32 vcc, vcc_lo, v15
	s_mov_b64 s[48:49], -1
	s_and_saveexec_b64 s[64:65], vcc
; %bb.3631:                             ;   in Loop: Header=BB166_17 Depth=1
	s_xor_b64 s[48:49], exec, -1
; %bb.3632:                             ;   in Loop: Header=BB166_17 Depth=1
	s_or_b64 exec, exec, s[64:65]
	s_and_b64 s[64:65], s[48:49], exec
	s_or_saveexec_b64 s[66:67], s[66:67]
	v_mov_b32_e32 v65, 0x7f800001
	s_xor_b64 exec, exec, s[66:67]
	s_cbranch_execz .LBB166_3389
.LBB166_3633:                           ;   in Loop: Header=BB166_17 Depth=1
	v_cmp_ne_u16_e32 vcc, 0, v15
	s_andn2_b64 s[48:49], s[64:65], exec
	s_and_b64 vcc, vcc, exec
	v_mov_b32_e32 v65, 0
	s_or_b64 s[64:65], s[48:49], vcc
	s_or_b64 exec, exec, s[66:67]
	s_and_saveexec_b64 s[66:67], s[64:65]
	s_cbranch_execnz .LBB166_3390
	s_branch .LBB166_3391
.LBB166_3634:                           ;   in Loop: Header=BB166_17 Depth=1
	s_movk_i32 vcc_lo, 0x80
	v_cmp_eq_u16_e32 vcc, vcc_lo, v15
	s_mov_b64 s[48:49], -1
	s_and_saveexec_b64 s[64:65], vcc
; %bb.3635:                             ;   in Loop: Header=BB166_17 Depth=1
	s_xor_b64 s[48:49], exec, -1
; %bb.3636:                             ;   in Loop: Header=BB166_17 Depth=1
	s_or_b64 exec, exec, s[64:65]
	s_and_b64 s[64:65], s[48:49], exec
	s_or_saveexec_b64 s[66:67], s[66:67]
	v_mov_b32_e32 v66, 0x7f800001
	s_xor_b64 exec, exec, s[66:67]
	s_cbranch_execz .LBB166_1722
.LBB166_3637:                           ;   in Loop: Header=BB166_17 Depth=1
	v_cmp_ne_u16_e32 vcc, 0, v15
	s_andn2_b64 s[48:49], s[64:65], exec
	s_and_b64 vcc, vcc, exec
	v_mov_b32_e32 v66, 0
	s_or_b64 s[64:65], s[48:49], vcc
	s_or_b64 exec, exec, s[66:67]
	s_and_saveexec_b64 s[66:67], s[64:65]
	s_cbranch_execnz .LBB166_1723
	s_branch .LBB166_1724
.LBB166_3638:                           ;   in Loop: Header=BB166_17 Depth=1
	s_movk_i32 vcc_lo, 0x80
	v_cmp_eq_u16_e32 vcc, vcc_lo, v15
	s_mov_b64 s[48:49], -1
	s_and_saveexec_b64 s[64:65], vcc
; %bb.3639:                             ;   in Loop: Header=BB166_17 Depth=1
	s_xor_b64 s[48:49], exec, -1
; %bb.3640:                             ;   in Loop: Header=BB166_17 Depth=1
	s_or_b64 exec, exec, s[64:65]
	s_and_b64 s[64:65], s[48:49], exec
	s_or_saveexec_b64 s[66:67], s[66:67]
	v_mov_b32_e32 v65, 0x7f800001
	s_xor_b64 exec, exec, s[66:67]
	s_cbranch_execz .LBB166_3400
.LBB166_3641:                           ;   in Loop: Header=BB166_17 Depth=1
	v_cmp_ne_u16_e32 vcc, 0, v15
	s_andn2_b64 s[48:49], s[64:65], exec
	s_and_b64 vcc, vcc, exec
	v_mov_b32_e32 v65, 0
	s_or_b64 s[64:65], s[48:49], vcc
	s_or_b64 exec, exec, s[66:67]
	s_and_saveexec_b64 s[66:67], s[64:65]
	s_cbranch_execnz .LBB166_3401
	s_branch .LBB166_3402
.LBB166_3642:                           ;   in Loop: Header=BB166_17 Depth=1
	s_movk_i32 vcc_lo, 0x80
	v_cmp_eq_u16_e32 vcc, vcc_lo, v15
	s_mov_b64 s[48:49], -1
	s_and_saveexec_b64 s[64:65], vcc
; %bb.3643:                             ;   in Loop: Header=BB166_17 Depth=1
	s_xor_b64 s[48:49], exec, -1
; %bb.3644:                             ;   in Loop: Header=BB166_17 Depth=1
	s_or_b64 exec, exec, s[64:65]
	s_and_b64 s[64:65], s[48:49], exec
	s_or_saveexec_b64 s[66:67], s[66:67]
	v_mov_b32_e32 v65, 0x7f800001
	s_xor_b64 exec, exec, s[66:67]
	s_cbranch_execz .LBB166_3505
.LBB166_3645:                           ;   in Loop: Header=BB166_17 Depth=1
	v_cmp_ne_u16_e32 vcc, 0, v15
	s_andn2_b64 s[48:49], s[64:65], exec
	s_and_b64 vcc, vcc, exec
	v_mov_b32_e32 v65, 0
	s_or_b64 s[64:65], s[48:49], vcc
	s_or_b64 exec, exec, s[66:67]
	s_and_saveexec_b64 s[66:67], s[64:65]
	s_cbranch_execnz .LBB166_3506
	s_branch .LBB166_3507
.LBB166_3646:                           ;   in Loop: Header=BB166_17 Depth=1
	s_movk_i32 vcc_lo, 0x80
	v_cmp_eq_u16_e32 vcc, vcc_lo, v15
	s_mov_b64 s[48:49], -1
	s_and_saveexec_b64 s[64:65], vcc
; %bb.3647:                             ;   in Loop: Header=BB166_17 Depth=1
	s_xor_b64 s[48:49], exec, -1
; %bb.3648:                             ;   in Loop: Header=BB166_17 Depth=1
	s_or_b64 exec, exec, s[64:65]
	s_and_b64 s[64:65], s[48:49], exec
	s_or_saveexec_b64 s[66:67], s[66:67]
	v_mov_b32_e32 v65, 0x7f800001
	s_xor_b64 exec, exec, s[66:67]
	s_cbranch_execz .LBB166_3516
.LBB166_3649:                           ;   in Loop: Header=BB166_17 Depth=1
	v_cmp_ne_u16_e32 vcc, 0, v15
	s_andn2_b64 s[48:49], s[64:65], exec
	s_and_b64 vcc, vcc, exec
	v_mov_b32_e32 v65, 0
	s_or_b64 s[64:65], s[48:49], vcc
	s_or_b64 exec, exec, s[66:67]
	s_and_saveexec_b64 s[66:67], s[64:65]
	s_cbranch_execnz .LBB166_3517
	s_branch .LBB166_3518
.LBB166_3650:
	s_or_b64 exec, exec, s[4:5]
	s_xor_b64 s[10:11], s[8:9], -1
	s_xor_b64 s[6:7], s[6:7], -1
	s_mov_b64 s[4:5], 0
	s_and_saveexec_b64 s[8:9], s[6:7]
	s_xor_b64 s[8:9], exec, s[8:9]
	s_cbranch_execnz .LBB166_3655
; %bb.3651:
	s_andn2_saveexec_b64 s[6:7], s[8:9]
	s_cbranch_execnz .LBB166_7813
.LBB166_3652:
	s_or_b64 exec, exec, s[6:7]
	s_and_saveexec_b64 s[6:7], s[4:5]
.LBB166_3653:
	; divergent unreachable
.LBB166_3654:
	s_or_b64 exec, exec, s[6:7]
	v_readlane_b32 s30, v40, 32
	v_readlane_b32 s31, v40, 33
	;; [unrolled: 1-line block ×34, first 2 shown]
	s_or_saveexec_b64 s[4:5], -1
	buffer_load_dword v40, off, s[0:3], s32 offset:256 ; 4-byte Folded Reload
	buffer_load_dword v41, off, s[0:3], s32 offset:260 ; 4-byte Folded Reload
	s_mov_b64 exec, s[4:5]
	s_waitcnt vmcnt(0) lgkmcnt(0)
	s_setpc_b64 s[30:31]
.LBB166_3655:
	s_and_saveexec_b64 s[6:7], s[10:11]
	s_xor_b64 s[10:11], exec, s[6:7]
	s_cbranch_execz .LBB166_7811
; %bb.3656:
	buffer_load_dword v113, off, s[0:3], s32 offset:8
	buffer_load_dword v114, off, s[0:3], s32 offset:12
	;; [unrolled: 1-line block ×22, first 2 shown]
	s_waitcnt lgkmcnt(0)
	buffer_load_dword v66, off, s[0:3], s32 offset:96
	buffer_load_dword v67, off, s[0:3], s32 offset:100
	;; [unrolled: 1-line block ×40, first 2 shown]
	v_cmp_lt_i32_e32 vcc, v17, v8
	s_mov_b64 s[14:15], -1
	s_mov_b64 s[16:17], 0
	s_mov_b64 s[6:7], 0
	;; [unrolled: 1-line block ×3, first 2 shown]
	s_and_saveexec_b64 s[12:13], vcc
	s_cbranch_execz .LBB166_3782
; %bb.3657:
	buffer_load_dword v6, off, s[0:3], s32 offset:4
	buffer_load_dword v7, off, s[0:3], s32
	v_readlane_b32 s6, v41, 2
	v_or_b32_e32 v4, s6, v17
	v_mul_lo_u32 v4, v4, v14
	v_mov_b32_e32 v5, 10
	v_cmp_gt_i16_sdwa s[6:7], v13, v5 src0_sel:BYTE_0 src1_sel:DWORD
	v_add_u32_e32 v112, 0x200, v17
	v_add_co_u32_e32 v4, vcc, v2, v4
	v_addc_co_u32_e32 v5, vcc, 0, v3, vcc
	v_cmp_lt_i32_e64 s[4:5], v112, v8
	s_mov_b64 s[18:19], 0
	s_mov_b64 s[20:21], 0
	s_waitcnt vmcnt(0)
	v_cmp_nle_f32_e32 vcc, v6, v0
	v_cndmask_b32_e32 v6, v1, v7, vcc
	s_and_saveexec_b64 s[14:15], s[6:7]
	s_xor_b64 s[14:15], exec, s[14:15]
	s_cbranch_execz .LBB166_3739
; %bb.3658:
	v_mov_b32_e32 v7, 25
	v_cmp_gt_i16_sdwa s[22:23], v13, v7 src0_sel:BYTE_0 src1_sel:DWORD
	s_mov_b64 s[6:7], 0
	s_and_saveexec_b64 s[24:25], s[22:23]
	s_xor_b64 s[22:23], exec, s[24:25]
	s_cbranch_execz .LBB166_3694
; %bb.3659:
	v_mov_b32_e32 v7, 28
	v_cmp_gt_i16_sdwa s[18:19], v13, v7 src0_sel:BYTE_0 src1_sel:DWORD
	s_mov_b64 s[24:25], 0
	;; [unrolled: 7-line block ×3, first 2 shown]
	s_mov_b64 s[28:29], 0
	s_and_saveexec_b64 s[24:25], s[20:21]
	s_xor_b64 s[20:21], exec, s[24:25]
	s_cbranch_execz .LBB166_3672
; %bb.3661:
	v_mov_b32_e32 v7, 45
	v_cmp_gt_i16_sdwa s[6:7], v13, v7 src0_sel:BYTE_0 src1_sel:DWORD
	s_mov_b64 s[24:25], 0
	s_and_saveexec_b64 s[40:41], s[6:7]
	s_xor_b64 s[6:7], exec, s[40:41]
	s_cbranch_execz .LBB166_3665
; %bb.3662:
	v_mov_b32_e32 v7, 46
	v_cmp_eq_u16_sdwa s[42:43], v13, v7 src0_sel:BYTE_0 src1_sel:DWORD
	s_mov_b64 s[40:41], -1
	s_and_saveexec_b64 s[26:27], s[42:43]
	s_cbranch_execz .LBB166_3664
; %bb.3663:
	v_bfe_u32 v7, v6, 16, 1
	s_movk_i32 s28, 0x7fff
	v_add3_u32 v7, v6, v7, s28
	v_cmp_o_f32_e32 vcc, v6, v6
	v_mov_b32_e32 v6, 0x7fc0
	v_cndmask_b32_sdwa v6, v6, v7, vcc dst_sel:DWORD dst_unused:UNUSED_PAD src0_sel:DWORD src1_sel:WORD_1
	s_mov_b64 s[24:25], exec
	flat_store_dword v[4:5], v6
	s_and_b64 s[28:29], s[4:5], exec
	s_xor_b64 s[40:41], exec, -1
.LBB166_3664:
	s_or_b64 exec, exec, s[26:27]
	s_and_b64 s[28:29], s[28:29], exec
	s_and_b64 s[26:27], s[40:41], exec
	s_and_b64 s[24:25], s[24:25], exec
                                        ; implicit-def: $vgpr4_vgpr5
                                        ; implicit-def: $vgpr6
.LBB166_3665:
	s_andn2_saveexec_b64 s[40:41], s[6:7]
	s_cbranch_execz .LBB166_3671
; %bb.3666:
	v_mov_b32_e32 v7, 44
	v_cmp_eq_u16_sdwa s[56:57], v13, v7 src0_sel:BYTE_0 src1_sel:DWORD
	s_mov_b64 s[44:45], -1
	s_mov_b64 s[6:7], s[24:25]
	s_mov_b64 s[46:47], s[28:29]
	s_and_saveexec_b64 s[42:43], s[56:57]
	s_cbranch_execz .LBB166_3670
; %bb.3667:
	v_bfe_u32 v7, v6, 23, 8
	s_movk_i32 s6, 0xff
	v_cmp_ne_u32_e32 vcc, s6, v7
	v_mov_b32_e32 v17, 0xff
	s_and_saveexec_b64 s[44:45], vcc
; %bb.3668:
	s_mov_b32 s6, 0x3fffff
	v_lshrrev_b32_e32 v17, 23, v6
	v_and_b32_e32 v115, 0x400000, v6
	v_and_or_b32 v6, v6, s6, v7
	v_cmp_ne_u32_e32 vcc, 0, v115
	v_cmp_ne_u32_e64 s[6:7], 0, v6
	s_and_b64 s[6:7], vcc, s[6:7]
	v_cndmask_b32_e64 v6, 0, 1, s[6:7]
	v_add_u32_e32 v17, v17, v6
; %bb.3669:
	s_or_b64 exec, exec, s[44:45]
	s_andn2_b64 s[6:7], s[28:29], exec
	s_and_b64 s[44:45], s[4:5], exec
	s_or_b64 s[46:47], s[6:7], s[44:45]
	s_xor_b64 s[44:45], exec, -1
	s_or_b64 s[6:7], s[24:25], exec
	flat_store_byte v[4:5], v17
.LBB166_3670:
	s_or_b64 exec, exec, s[42:43]
	s_andn2_b64 s[28:29], s[28:29], exec
	s_and_b64 s[42:43], s[46:47], exec
	s_or_b64 s[28:29], s[28:29], s[42:43]
	s_andn2_b64 s[26:27], s[26:27], exec
	s_and_b64 s[42:43], s[44:45], exec
	s_andn2_b64 s[24:25], s[24:25], exec
	s_and_b64 s[6:7], s[6:7], exec
	s_or_b64 s[26:27], s[26:27], s[42:43]
	s_or_b64 s[24:25], s[24:25], s[6:7]
.LBB166_3671:
	s_or_b64 exec, exec, s[40:41]
	s_and_b64 s[28:29], s[28:29], exec
	s_and_b64 s[26:27], s[26:27], exec
	;; [unrolled: 1-line block ×3, first 2 shown]
                                        ; implicit-def: $vgpr6
                                        ; implicit-def: $vgpr4_vgpr5
.LBB166_3672:
	s_andn2_saveexec_b64 s[20:21], s[20:21]
	s_cbranch_execz .LBB166_3676
; %bb.3673:
	v_mov_b32_e32 v7, 29
	v_cmp_eq_u16_sdwa s[46:47], v13, v7 src0_sel:BYTE_0 src1_sel:DWORD
	s_mov_b64 s[42:43], -1
	s_mov_b64 s[40:41], s[6:7]
	s_mov_b64 s[44:45], s[28:29]
	s_and_saveexec_b64 s[24:25], s[46:47]
	s_cbranch_execz .LBB166_3675
; %bb.3674:
	v_trunc_f32_e32 v6, v6
	v_mul_f32_e32 v7, 0x2f800000, v6
	v_floor_f32_e32 v17, v7
	v_fmac_f32_e32 v6, 0xcf800000, v17
	v_cvt_u32_f32_e32 v7, v17
	v_cvt_u32_f32_e32 v6, v6
	s_andn2_b64 s[40:41], s[28:29], exec
	s_and_b64 s[42:43], s[4:5], exec
	s_or_b64 s[44:45], s[40:41], s[42:43]
	flat_store_dwordx2 v[4:5], v[6:7]
	s_xor_b64 s[42:43], exec, -1
	s_or_b64 s[40:41], s[6:7], exec
.LBB166_3675:
	s_or_b64 exec, exec, s[24:25]
	s_andn2_b64 s[24:25], s[28:29], exec
	s_and_b64 s[28:29], s[44:45], exec
	s_or_b64 s[28:29], s[24:25], s[28:29]
	s_andn2_b64 s[24:25], s[26:27], exec
	s_and_b64 s[26:27], s[42:43], exec
	s_or_b64 s[26:27], s[24:25], s[26:27]
	;; [unrolled: 3-line block ×3, first 2 shown]
.LBB166_3676:
	s_or_b64 exec, exec, s[20:21]
	s_and_b64 s[20:21], s[28:29], exec
	s_and_b64 s[24:25], s[26:27], exec
	;; [unrolled: 1-line block ×3, first 2 shown]
                                        ; implicit-def: $vgpr4_vgpr5
                                        ; implicit-def: $vgpr6
.LBB166_3677:
	s_andn2_saveexec_b64 s[18:19], s[18:19]
	s_cbranch_execz .LBB166_3693
; %bb.3678:
	v_mov_b32_e32 v7, 26
	v_cmp_gt_i16_sdwa s[26:27], v13, v7 src0_sel:BYTE_0 src1_sel:DWORD
	s_and_saveexec_b64 s[28:29], s[26:27]
	s_xor_b64 s[26:27], exec, s[28:29]
	s_cbranch_execz .LBB166_3684
; %bb.3679:
	v_cvt_u32_f32_e32 v6, v6
	v_mov_b32_e32 v7, 27
	v_cmp_gt_i16_sdwa s[28:29], v13, v7 src0_sel:BYTE_0 src1_sel:DWORD
	s_and_saveexec_b64 s[40:41], s[28:29]
	s_xor_b64 s[28:29], exec, s[40:41]
	s_cbranch_execz .LBB166_3681
; %bb.3680:
	flat_store_dword v[4:5], v6
                                        ; implicit-def: $vgpr4_vgpr5
                                        ; implicit-def: $vgpr6
.LBB166_3681:
	s_andn2_saveexec_b64 s[28:29], s[28:29]
	s_cbranch_execz .LBB166_3683
; %bb.3682:
	flat_store_short v[4:5], v6
.LBB166_3683:
	s_or_b64 exec, exec, s[28:29]
                                        ; implicit-def: $vgpr4_vgpr5
                                        ; implicit-def: $vgpr6
.LBB166_3684:
	s_andn2_saveexec_b64 s[26:27], s[26:27]
	s_cbranch_execz .LBB166_3692
; %bb.3685:
	v_and_b32_e32 v7, 0x7fffffff, v6
	s_mov_b32 s28, 0x43800000
	v_cmp_gt_u32_e32 vcc, s28, v7
	v_mov_b32_e32 v17, 0x80
	s_and_saveexec_b64 s[28:29], vcc
	s_cbranch_execz .LBB166_3691
; %bb.3686:
	s_mov_b32 s40, 0x3bffffff
	v_cmp_lt_u32_e32 vcc, s40, v7
	s_mov_b64 s[40:41], 0
                                        ; implicit-def: $vgpr7
	s_and_saveexec_b64 s[42:43], vcc
	s_xor_b64 s[42:43], exec, s[42:43]
	s_cbranch_execnz .LBB166_7815
; %bb.3687:
	s_andn2_saveexec_b64 s[42:43], s[42:43]
	s_cbranch_execnz .LBB166_7816
.LBB166_3688:
	s_or_b64 exec, exec, s[42:43]
	v_mov_b32_e32 v17, 0
	s_and_saveexec_b64 s[42:43], s[40:41]
.LBB166_3689:
	v_lshrrev_b32_e32 v6, 24, v6
	s_movk_i32 s40, 0x80
	v_and_or_b32 v17, v6, s40, v7
.LBB166_3690:
	s_or_b64 exec, exec, s[42:43]
.LBB166_3691:
	s_or_b64 exec, exec, s[28:29]
	flat_store_byte v[4:5], v17
.LBB166_3692:
	s_or_b64 exec, exec, s[26:27]
	s_andn2_b64 s[20:21], s[20:21], exec
	s_and_b64 s[26:27], s[4:5], exec
	s_or_b64 s[20:21], s[20:21], s[26:27]
	s_or_b64 s[6:7], s[6:7], exec
.LBB166_3693:
	s_or_b64 exec, exec, s[18:19]
	s_and_b64 s[20:21], s[20:21], exec
	s_and_b64 s[18:19], s[24:25], exec
	s_and_b64 s[6:7], s[6:7], exec
                                        ; implicit-def: $vgpr6
                                        ; implicit-def: $vgpr4_vgpr5
.LBB166_3694:
	s_andn2_saveexec_b64 s[22:23], s[22:23]
	s_cbranch_execz .LBB166_3738
; %bb.3695:
	v_mov_b32_e32 v7, 22
	v_cmp_gt_i16_sdwa s[24:25], v13, v7 src0_sel:BYTE_0 src1_sel:DWORD
	s_mov_b64 s[26:27], s[6:7]
	s_mov_b64 s[28:29], s[20:21]
	s_and_saveexec_b64 s[40:41], s[24:25]
	s_xor_b64 s[24:25], exec, s[40:41]
	s_cbranch_execz .LBB166_3727
; %bb.3696:
	v_mov_b32_e32 v7, 23
	v_cmp_gt_i16_sdwa s[26:27], v13, v7 src0_sel:BYTE_0 src1_sel:DWORD
	s_and_saveexec_b64 s[28:29], s[26:27]
	s_xor_b64 s[26:27], exec, s[28:29]
	s_cbranch_execz .LBB166_3716
; %bb.3697:
	v_mov_b32_e32 v7, 24
	v_cmp_gt_i16_sdwa s[28:29], v13, v7 src0_sel:BYTE_0 src1_sel:DWORD
	s_and_saveexec_b64 s[40:41], s[28:29]
	s_xor_b64 s[28:29], exec, s[40:41]
	s_cbranch_execz .LBB166_3705
; %bb.3698:
	v_and_b32_e32 v7, 0x7fffffff, v6
	s_mov_b32 s40, 0x47800000
	v_cmp_gt_u32_e32 vcc, s40, v7
	v_mov_b32_e32 v17, 0x80
	s_and_saveexec_b64 s[40:41], vcc
	s_cbranch_execz .LBB166_3704
; %bb.3699:
	s_mov_b32 s42, 0x37ffffff
	v_cmp_lt_u32_e32 vcc, s42, v7
	s_mov_b64 s[42:43], 0
                                        ; implicit-def: $vgpr7
	s_and_saveexec_b64 s[44:45], vcc
	s_xor_b64 s[44:45], exec, s[44:45]
	s_cbranch_execnz .LBB166_7817
; %bb.3700:
	s_andn2_saveexec_b64 s[44:45], s[44:45]
	s_cbranch_execnz .LBB166_7818
.LBB166_3701:
	s_or_b64 exec, exec, s[44:45]
	v_mov_b32_e32 v17, 0
	s_and_saveexec_b64 s[44:45], s[42:43]
.LBB166_3702:
	v_lshrrev_b32_e32 v6, 24, v6
	s_movk_i32 s42, 0x80
	v_and_or_b32 v17, v6, s42, v7
.LBB166_3703:
	s_or_b64 exec, exec, s[44:45]
.LBB166_3704:
	s_or_b64 exec, exec, s[40:41]
	flat_store_byte v[4:5], v17
                                        ; implicit-def: $vgpr6
                                        ; implicit-def: $vgpr4_vgpr5
.LBB166_3705:
	s_andn2_saveexec_b64 s[28:29], s[28:29]
	s_cbranch_execz .LBB166_3715
; %bb.3706:
	v_and_b32_e32 v17, 0x7fffffff, v6
	s_mov_b32 s40, 0x43f00000
	v_cmp_gt_u32_e32 vcc, s40, v17
                                        ; implicit-def: $vgpr7
	s_and_saveexec_b64 s[40:41], vcc
	s_xor_b64 s[40:41], exec, s[40:41]
	s_cbranch_execz .LBB166_3712
; %bb.3707:
	s_mov_b32 s42, 0x3c7fffff
	v_cmp_lt_u32_e32 vcc, s42, v17
                                        ; implicit-def: $vgpr7
	s_and_saveexec_b64 s[42:43], vcc
	s_xor_b64 s[42:43], exec, s[42:43]
; %bb.3708:
	v_bfe_u32 v7, v6, 20, 1
	s_mov_b32 s44, 0x407ffff
	v_add3_u32 v7, v6, v7, s44
	v_lshrrev_b32_e32 v17, 20, v7
	v_and_b32_e32 v7, 0xff00000, v7
	s_mov_b32 s44, 0x7f00000
	v_mov_b32_e32 v115, 0x7e
	v_cmp_ne_u32_e32 vcc, s44, v7
	v_cndmask_b32_e32 v7, v115, v17, vcc
; %bb.3709:
	s_andn2_saveexec_b64 s[42:43], s[42:43]
; %bb.3710:
	s_mov_b32 s44, 0x46800000
	v_add_f32_e64 v7, |v6|, s44
; %bb.3711:
	s_or_b64 exec, exec, s[42:43]
                                        ; implicit-def: $vgpr17
.LBB166_3712:
	s_andn2_saveexec_b64 s[40:41], s[40:41]
; %bb.3713:
	s_mov_b32 s42, 0x7f800000
	v_mov_b32_e32 v7, 0x7e
	v_mov_b32_e32 v115, 0x7f
	v_cmp_lt_u32_e32 vcc, s42, v17
	v_cndmask_b32_e32 v7, v7, v115, vcc
; %bb.3714:
	s_or_b64 exec, exec, s[40:41]
	v_lshrrev_b32_e32 v6, 24, v6
	s_movk_i32 s40, 0x80
	v_and_or_b32 v6, v6, s40, v7
	flat_store_byte v[4:5], v6
.LBB166_3715:
	s_or_b64 exec, exec, s[28:29]
                                        ; implicit-def: $vgpr6
                                        ; implicit-def: $vgpr4_vgpr5
.LBB166_3716:
	s_andn2_saveexec_b64 s[26:27], s[26:27]
	s_cbranch_execz .LBB166_3726
; %bb.3717:
	v_and_b32_e32 v17, 0x7fffffff, v6
	s_mov_b32 s28, 0x47800000
	v_cmp_gt_u32_e32 vcc, s28, v17
                                        ; implicit-def: $vgpr7
	s_and_saveexec_b64 s[28:29], vcc
	s_xor_b64 s[28:29], exec, s[28:29]
	s_cbranch_execz .LBB166_3723
; %bb.3718:
	s_mov_b32 s40, 0x387fffff
	v_cmp_lt_u32_e32 vcc, s40, v17
                                        ; implicit-def: $vgpr7
	s_and_saveexec_b64 s[40:41], vcc
	s_xor_b64 s[40:41], exec, s[40:41]
; %bb.3719:
	v_bfe_u32 v7, v6, 21, 1
	s_mov_b32 s42, 0x80fffff
	v_add3_u32 v7, v6, v7, s42
	v_lshrrev_b32_e32 v7, 21, v7
; %bb.3720:
	s_andn2_saveexec_b64 s[40:41], s[40:41]
; %bb.3721:
	s_mov_b32 s42, 0x43000000
	v_add_f32_e64 v7, |v6|, s42
; %bb.3722:
	s_or_b64 exec, exec, s[40:41]
                                        ; implicit-def: $vgpr17
.LBB166_3723:
	s_andn2_saveexec_b64 s[28:29], s[28:29]
; %bb.3724:
	s_mov_b32 s40, 0x7f800000
	v_mov_b32_e32 v7, 0x7c
	v_mov_b32_e32 v115, 0x7f
	v_cmp_lt_u32_e32 vcc, s40, v17
	v_cndmask_b32_e32 v7, v7, v115, vcc
; %bb.3725:
	s_or_b64 exec, exec, s[28:29]
	v_lshrrev_b32_e32 v6, 24, v6
	s_movk_i32 s28, 0x80
	v_and_or_b32 v6, v6, s28, v7
	flat_store_byte v[4:5], v6
.LBB166_3726:
	s_or_b64 exec, exec, s[26:27]
	s_andn2_b64 s[26:27], s[20:21], exec
	s_and_b64 s[28:29], s[4:5], exec
	s_or_b64 s[28:29], s[26:27], s[28:29]
	s_or_b64 s[26:27], s[6:7], exec
                                        ; implicit-def: $vgpr6
                                        ; implicit-def: $vgpr4_vgpr5
.LBB166_3727:
	s_or_saveexec_b64 s[24:25], s[24:25]
	s_mov_b64 s[42:43], s[18:19]
	s_xor_b64 exec, exec, s[24:25]
	s_cbranch_execz .LBB166_3737
; %bb.3728:
	v_mov_b32_e32 v7, 14
	v_cmp_gt_i16_sdwa s[46:47], v13, v7 src0_sel:BYTE_0 src1_sel:DWORD
	s_mov_b64 s[40:41], s[26:27]
	s_mov_b64 s[42:43], s[18:19]
	s_mov_b64 s[44:45], s[28:29]
	s_and_saveexec_b64 s[56:57], s[46:47]
	s_xor_b64 s[46:47], exec, s[56:57]
	s_cbranch_execz .LBB166_3732
; %bb.3729:
	v_mov_b32_e32 v7, 15
	v_cmp_eq_u16_sdwa s[58:59], v13, v7 src0_sel:BYTE_0 src1_sel:DWORD
	s_mov_b64 s[56:57], -1
	s_mov_b64 s[40:41], s[26:27]
	s_mov_b64 s[44:45], s[28:29]
	s_and_saveexec_b64 s[42:43], s[58:59]
	s_cbranch_execz .LBB166_3731
; %bb.3730:
	v_bfe_u32 v7, v6, 16, 1
	s_movk_i32 s40, 0x7fff
	v_add3_u32 v7, v6, v7, s40
	v_cmp_o_f32_e32 vcc, v6, v6
	v_mov_b32_e32 v6, 0x7fc0
	v_cndmask_b32_sdwa v6, v6, v7, vcc dst_sel:DWORD dst_unused:UNUSED_PAD src0_sel:DWORD src1_sel:WORD_1
	s_andn2_b64 s[40:41], s[28:29], exec
	s_and_b64 s[44:45], s[4:5], exec
	flat_store_short v[4:5], v6
	s_or_b64 s[44:45], s[40:41], s[44:45]
	s_xor_b64 s[56:57], exec, -1
	s_or_b64 s[40:41], s[26:27], exec
.LBB166_3731:
	s_or_b64 exec, exec, s[42:43]
	s_andn2_b64 s[42:43], s[28:29], exec
	s_and_b64 s[44:45], s[44:45], exec
	s_or_b64 s[44:45], s[42:43], s[44:45]
	s_andn2_b64 s[42:43], s[18:19], exec
	s_and_b64 s[56:57], s[56:57], exec
	s_or_b64 s[42:43], s[42:43], s[56:57]
	s_andn2_b64 s[56:57], s[26:27], exec
	s_and_b64 s[40:41], s[40:41], exec
	s_or_b64 s[40:41], s[56:57], s[40:41]
                                        ; implicit-def: $vgpr6
                                        ; implicit-def: $vgpr4_vgpr5
.LBB166_3732:
	s_andn2_saveexec_b64 s[46:47], s[46:47]
	s_cbranch_execz .LBB166_3736
; %bb.3733:
	v_mov_b32_e32 v7, 11
	v_cmp_eq_u16_sdwa s[72:73], v13, v7 src0_sel:BYTE_0 src1_sel:DWORD
	s_mov_b64 s[58:59], -1
	s_mov_b64 s[56:57], s[40:41]
	s_mov_b64 s[62:63], s[44:45]
	s_and_saveexec_b64 s[60:61], s[72:73]
	s_cbranch_execz .LBB166_3735
; %bb.3734:
	v_cmp_neq_f32_e32 vcc, 0, v6
	v_cndmask_b32_e64 v6, 0, 1, vcc
	s_andn2_b64 s[56:57], s[44:45], exec
	s_and_b64 s[58:59], s[4:5], exec
	flat_store_byte v[4:5], v6
	s_or_b64 s[62:63], s[56:57], s[58:59]
	s_xor_b64 s[58:59], exec, -1
	s_or_b64 s[56:57], s[40:41], exec
.LBB166_3735:
	s_or_b64 exec, exec, s[60:61]
	s_andn2_b64 s[44:45], s[44:45], exec
	s_and_b64 s[60:61], s[62:63], exec
	s_andn2_b64 s[42:43], s[42:43], exec
	s_and_b64 s[58:59], s[58:59], exec
	;; [unrolled: 2-line block ×3, first 2 shown]
	s_or_b64 s[44:45], s[44:45], s[60:61]
	s_or_b64 s[42:43], s[42:43], s[58:59]
	;; [unrolled: 1-line block ×3, first 2 shown]
.LBB166_3736:
	s_or_b64 exec, exec, s[46:47]
	s_andn2_b64 s[28:29], s[28:29], exec
	s_and_b64 s[44:45], s[44:45], exec
	s_or_b64 s[28:29], s[28:29], s[44:45]
	s_andn2_b64 s[44:45], s[18:19], exec
	s_and_b64 s[42:43], s[42:43], exec
	s_andn2_b64 s[26:27], s[26:27], exec
	s_and_b64 s[40:41], s[40:41], exec
	s_or_b64 s[42:43], s[44:45], s[42:43]
	s_or_b64 s[26:27], s[26:27], s[40:41]
.LBB166_3737:
	s_or_b64 exec, exec, s[24:25]
	s_andn2_b64 s[20:21], s[20:21], exec
	s_and_b64 s[24:25], s[28:29], exec
	s_or_b64 s[20:21], s[20:21], s[24:25]
	s_andn2_b64 s[18:19], s[18:19], exec
	s_and_b64 s[24:25], s[42:43], exec
	s_or_b64 s[18:19], s[18:19], s[24:25]
	;; [unrolled: 3-line block ×3, first 2 shown]
.LBB166_3738:
	s_or_b64 exec, exec, s[22:23]
	s_and_b64 s[22:23], s[20:21], exec
	s_and_b64 s[20:21], s[18:19], exec
	;; [unrolled: 1-line block ×3, first 2 shown]
                                        ; implicit-def: $vgpr6
                                        ; implicit-def: $vgpr4_vgpr5
.LBB166_3739:
	s_andn2_saveexec_b64 s[6:7], s[14:15]
	s_cbranch_execz .LBB166_3781
; %bb.3740:
	v_mov_b32_e32 v7, 4
	v_cmp_gt_i16_sdwa s[14:15], v13, v7 src0_sel:BYTE_0 src1_sel:DWORD
	s_and_saveexec_b64 s[24:25], s[14:15]
	s_xor_b64 s[14:15], exec, s[24:25]
	s_cbranch_execz .LBB166_3762
; %bb.3741:
	v_mov_b32_e32 v7, 7
	v_cmp_gt_i16_sdwa s[24:25], v13, v7 src0_sel:BYTE_0 src1_sel:DWORD
	s_and_saveexec_b64 s[26:27], s[24:25]
	s_xor_b64 s[24:25], exec, s[26:27]
	;; [unrolled: 6-line block ×4, first 2 shown]
	s_cbranch_execz .LBB166_3745
; %bb.3744:
	v_cvt_f64_f32_e32 v[115:116], v6
	v_mov_b32_e32 v117, 0
	v_mov_b32_e32 v118, v117
                                        ; implicit-def: $vgpr6
	flat_store_dwordx4 v[4:5], v[115:118]
                                        ; implicit-def: $vgpr4_vgpr5
.LBB166_3745:
	s_andn2_saveexec_b64 s[28:29], s[28:29]
	s_cbranch_execz .LBB166_3747
; %bb.3746:
	v_mov_b32_e32 v7, 0
	flat_store_dwordx2 v[4:5], v[6:7]
.LBB166_3747:
	s_or_b64 exec, exec, s[28:29]
                                        ; implicit-def: $vgpr6
                                        ; implicit-def: $vgpr4_vgpr5
.LBB166_3748:
	s_andn2_saveexec_b64 s[26:27], s[26:27]
	s_cbranch_execz .LBB166_3750
; %bb.3749:
	v_cvt_f16_f32_e32 v6, v6
	flat_store_dword v[4:5], v6
.LBB166_3750:
	s_or_b64 exec, exec, s[26:27]
                                        ; implicit-def: $vgpr6
                                        ; implicit-def: $vgpr4_vgpr5
.LBB166_3751:
	s_andn2_saveexec_b64 s[24:25], s[24:25]
	s_cbranch_execz .LBB166_3761
; %bb.3752:
	v_mov_b32_e32 v7, 5
	v_cmp_gt_i16_sdwa s[26:27], v13, v7 src0_sel:BYTE_0 src1_sel:DWORD
	s_and_saveexec_b64 s[28:29], s[26:27]
	s_xor_b64 s[26:27], exec, s[28:29]
	s_cbranch_execz .LBB166_3758
; %bb.3753:
	v_mov_b32_e32 v7, 6
	v_cmp_gt_i16_sdwa s[28:29], v13, v7 src0_sel:BYTE_0 src1_sel:DWORD
	s_and_saveexec_b64 s[40:41], s[28:29]
	s_xor_b64 s[28:29], exec, s[40:41]
	s_cbranch_execz .LBB166_3755
; %bb.3754:
	v_cvt_f64_f32_e32 v[6:7], v6
	flat_store_dwordx2 v[4:5], v[6:7]
                                        ; implicit-def: $vgpr4_vgpr5
                                        ; implicit-def: $vgpr6
.LBB166_3755:
	s_andn2_saveexec_b64 s[28:29], s[28:29]
	s_cbranch_execz .LBB166_3757
; %bb.3756:
	flat_store_dword v[4:5], v6
.LBB166_3757:
	s_or_b64 exec, exec, s[28:29]
                                        ; implicit-def: $vgpr6
                                        ; implicit-def: $vgpr4_vgpr5
.LBB166_3758:
	s_andn2_saveexec_b64 s[26:27], s[26:27]
	s_cbranch_execz .LBB166_3760
; %bb.3759:
	v_cvt_f16_f32_e32 v6, v6
	flat_store_short v[4:5], v6
.LBB166_3760:
	s_or_b64 exec, exec, s[26:27]
.LBB166_3761:
	s_or_b64 exec, exec, s[24:25]
                                        ; implicit-def: $vgpr6
                                        ; implicit-def: $vgpr4_vgpr5
.LBB166_3762:
	s_andn2_saveexec_b64 s[14:15], s[14:15]
	s_cbranch_execz .LBB166_3780
; %bb.3763:
	v_mov_b32_e32 v7, 1
	v_cmp_gt_i16_sdwa s[24:25], v13, v7 src0_sel:BYTE_0 src1_sel:DWORD
	s_and_saveexec_b64 s[26:27], s[24:25]
	s_xor_b64 s[24:25], exec, s[26:27]
	s_cbranch_execz .LBB166_3773
; %bb.3764:
	v_mov_b32_e32 v7, 2
	v_cmp_gt_i16_sdwa s[26:27], v13, v7 src0_sel:BYTE_0 src1_sel:DWORD
	s_and_saveexec_b64 s[28:29], s[26:27]
	s_xor_b64 s[26:27], exec, s[28:29]
	;; [unrolled: 6-line block ×3, first 2 shown]
	s_cbranch_execz .LBB166_3767
; %bb.3766:
	v_trunc_f32_e32 v6, v6
	s_mov_b32 s40, 0x2f800000
	v_mul_f32_e64 v7, |v6|, s40
	v_floor_f32_e32 v7, v7
	s_mov_b32 s40, 0xcf800000
	v_cvt_u32_f32_e32 v17, v7
	v_fma_f32 v7, v7, s40, |v6|
	v_cvt_u32_f32_e32 v7, v7
	v_ashrrev_i32_e32 v115, 31, v6
	v_xor_b32_e32 v17, v17, v115
	v_xor_b32_e32 v6, v7, v115
	v_sub_co_u32_e32 v6, vcc, v6, v115
	v_subb_co_u32_e32 v7, vcc, v17, v115, vcc
	flat_store_dwordx2 v[4:5], v[6:7]
                                        ; implicit-def: $vgpr6
                                        ; implicit-def: $vgpr4_vgpr5
.LBB166_3767:
	s_andn2_saveexec_b64 s[28:29], s[28:29]
	s_cbranch_execz .LBB166_3769
; %bb.3768:
	v_cvt_i32_f32_e32 v6, v6
	flat_store_dword v[4:5], v6
.LBB166_3769:
	s_or_b64 exec, exec, s[28:29]
                                        ; implicit-def: $vgpr6
                                        ; implicit-def: $vgpr4_vgpr5
.LBB166_3770:
	s_andn2_saveexec_b64 s[26:27], s[26:27]
	s_cbranch_execz .LBB166_3772
; %bb.3771:
	v_cvt_i32_f32_e32 v6, v6
	flat_store_short v[4:5], v6
.LBB166_3772:
	s_or_b64 exec, exec, s[26:27]
                                        ; implicit-def: $vgpr6
                                        ; implicit-def: $vgpr4_vgpr5
.LBB166_3773:
	s_andn2_saveexec_b64 s[24:25], s[24:25]
	s_cbranch_execz .LBB166_3779
; %bb.3774:
	v_mov_b32_e32 v7, 0
	v_cmp_gt_i16_sdwa s[26:27], v13, v7 src0_sel:BYTE_0 src1_sel:DWORD
	s_and_saveexec_b64 s[28:29], s[26:27]
	s_xor_b64 s[26:27], exec, s[28:29]
	s_cbranch_execz .LBB166_3776
; %bb.3775:
	v_cvt_i32_f32_e32 v6, v6
	flat_store_byte v[4:5], v6
                                        ; implicit-def: $vgpr6
                                        ; implicit-def: $vgpr4_vgpr5
.LBB166_3776:
	s_andn2_saveexec_b64 s[26:27], s[26:27]
	s_cbranch_execz .LBB166_3778
; %bb.3777:
	v_trunc_f32_e32 v6, v6
	s_mov_b32 s28, 0x2f800000
	v_mul_f32_e64 v7, |v6|, s28
	v_floor_f32_e32 v7, v7
	s_mov_b32 s28, 0xcf800000
	v_fma_f32 v7, v7, s28, |v6|
	v_cvt_u32_f32_e32 v7, v7
	v_ashrrev_i32_e32 v6, 31, v6
	v_xor_b32_e32 v7, v7, v6
	v_sub_u32_e32 v6, v7, v6
	flat_store_byte v[4:5], v6
.LBB166_3778:
	s_or_b64 exec, exec, s[26:27]
.LBB166_3779:
	s_or_b64 exec, exec, s[24:25]
.LBB166_3780:
	s_or_b64 exec, exec, s[14:15]
	s_andn2_b64 s[14:15], s[22:23], exec
	s_and_b64 s[4:5], s[4:5], exec
	s_or_b64 s[22:23], s[14:15], s[4:5]
	s_or_b64 s[18:19], s[18:19], exec
.LBB166_3781:
	s_or_b64 exec, exec, s[6:7]
	s_and_b64 s[22:23], s[22:23], exec
	s_and_b64 s[6:7], s[20:21], exec
	s_orn2_b64 s[14:15], s[18:19], exec
	v_mov_b32_e32 v17, v112
.LBB166_3782:
	s_or_b64 exec, exec, s[12:13]
	s_mov_b64 s[18:19], 0
	s_mov_b64 s[4:5], 0
                                        ; implicit-def: $vgpr4
                                        ; implicit-def: $vgpr112
                                        ; implicit-def: $vgpr6_vgpr7
	s_and_saveexec_b64 s[12:13], s[14:15]
	s_cbranch_execnz .LBB166_3786
; %bb.3783:
	s_or_b64 exec, exec, s[12:13]
	s_mov_b64 s[12:13], 0
	s_and_saveexec_b64 s[14:15], s[6:7]
	s_cbranch_execnz .LBB166_7767
.LBB166_3784:
	s_or_b64 exec, exec, s[14:15]
	s_and_saveexec_b64 s[6:7], s[16:17]
	s_xor_b64 s[6:7], exec, s[6:7]
	s_cbranch_execnz .LBB166_7768
.LBB166_3785:
	s_or_b64 exec, exec, s[6:7]
	s_and_saveexec_b64 s[6:7], s[18:19]
	s_cbranch_execnz .LBB166_7769
	s_branch .LBB166_7810
.LBB166_3786:
	s_mov_b64 s[18:19], -1
	s_mov_b64 s[20:21], 0
	s_mov_b64 s[14:15], s[6:7]
	s_and_saveexec_b64 s[16:17], s[22:23]
	s_cbranch_execz .LBB166_3914
; %bb.3787:
	v_readlane_b32 s4, v41, 2
	v_add_u32_e32 v4, s4, v17
	v_mul_lo_u32 v4, v4, v14
	v_mov_b32_e32 v7, 10
	v_cmp_gt_i16_sdwa s[14:15], v13, v7 src0_sel:BYTE_0 src1_sel:DWORD
	s_mov_b64 s[4:5], 0
	v_add_co_u32_e32 v4, vcc, v2, v4
	v_addc_co_u32_e32 v5, vcc, 0, v3, vcc
	s_waitcnt vmcnt(0)
	v_cmp_nle_f32_e32 vcc, v114, v0
	v_cndmask_b32_e32 v6, v1, v113, vcc
	s_mov_b64 s[18:19], s[6:7]
	s_and_saveexec_b64 s[22:23], s[14:15]
	s_xor_b64 s[14:15], exec, s[22:23]
	s_cbranch_execz .LBB166_3869
; %bb.3788:
	v_mov_b32_e32 v7, 25
	v_cmp_gt_i16_sdwa s[22:23], v13, v7 src0_sel:BYTE_0 src1_sel:DWORD
	s_mov_b64 s[18:19], s[6:7]
	s_and_saveexec_b64 s[24:25], s[22:23]
	s_xor_b64 s[22:23], exec, s[24:25]
	s_cbranch_execz .LBB166_3824
; %bb.3789:
	v_mov_b32_e32 v7, 28
	v_cmp_gt_i16_sdwa s[18:19], v13, v7 src0_sel:BYTE_0 src1_sel:DWORD
	s_mov_b64 s[24:25], s[6:7]
	s_and_saveexec_b64 s[26:27], s[18:19]
	s_xor_b64 s[18:19], exec, s[26:27]
	s_cbranch_execz .LBB166_3807
; %bb.3790:
	v_mov_b32_e32 v7, 43
	v_cmp_gt_i16_sdwa s[24:25], v13, v7 src0_sel:BYTE_0 src1_sel:DWORD
	s_mov_b64 s[28:29], s[6:7]
	s_and_saveexec_b64 s[26:27], s[24:25]
	s_xor_b64 s[24:25], exec, s[26:27]
	s_cbranch_execz .LBB166_3802
; %bb.3791:
	v_mov_b32_e32 v7, 45
	v_cmp_gt_i16_sdwa s[4:5], v13, v7 src0_sel:BYTE_0 src1_sel:DWORD
	s_mov_b64 s[26:27], 0
	s_mov_b64 s[28:29], s[6:7]
	s_and_saveexec_b64 s[40:41], s[4:5]
	s_xor_b64 s[4:5], exec, s[40:41]
	s_cbranch_execz .LBB166_3795
; %bb.3792:
	v_mov_b32_e32 v7, 46
	v_cmp_eq_u16_sdwa s[42:43], v13, v7 src0_sel:BYTE_0 src1_sel:DWORD
	s_mov_b64 s[40:41], -1
	s_and_saveexec_b64 s[28:29], s[42:43]
	s_cbranch_execz .LBB166_3794
; %bb.3793:
	v_bfe_u32 v7, v6, 16, 1
	s_movk_i32 s40, 0x7fff
	v_add3_u32 v7, v6, v7, s40
	v_cmp_o_f32_e32 vcc, v6, v6
	v_mov_b32_e32 v6, 0x7fc0
	v_cndmask_b32_sdwa v6, v6, v7, vcc dst_sel:DWORD dst_unused:UNUSED_PAD src0_sel:DWORD src1_sel:WORD_1
	s_mov_b64 s[26:27], exec
	flat_store_dword v[4:5], v6
	s_xor_b64 s[40:41], exec, -1
.LBB166_3794:
	s_or_b64 exec, exec, s[28:29]
	s_andn2_b64 s[28:29], s[6:7], exec
	s_and_b64 s[40:41], s[40:41], exec
	s_or_b64 s[28:29], s[28:29], s[40:41]
	s_and_b64 s[26:27], s[26:27], exec
                                        ; implicit-def: $vgpr4_vgpr5
                                        ; implicit-def: $vgpr6
.LBB166_3795:
	s_andn2_saveexec_b64 s[40:41], s[4:5]
	s_cbranch_execz .LBB166_3801
; %bb.3796:
	v_mov_b32_e32 v7, 44
	v_cmp_eq_u16_sdwa s[46:47], v13, v7 src0_sel:BYTE_0 src1_sel:DWORD
	s_mov_b64 s[44:45], -1
	s_mov_b64 s[4:5], s[26:27]
	s_and_saveexec_b64 s[42:43], s[46:47]
	s_cbranch_execz .LBB166_3800
; %bb.3797:
	v_bfe_u32 v7, v6, 23, 8
	s_movk_i32 s4, 0xff
	v_cmp_ne_u32_e32 vcc, s4, v7
	v_mov_b32_e32 v112, 0xff
	s_and_saveexec_b64 s[44:45], vcc
; %bb.3798:
	s_mov_b32 s4, 0x3fffff
	v_lshrrev_b32_e32 v112, 23, v6
	v_and_b32_e32 v113, 0x400000, v6
	v_and_or_b32 v6, v6, s4, v7
	v_cmp_ne_u32_e32 vcc, 0, v113
	v_cmp_ne_u32_e64 s[4:5], 0, v6
	s_and_b64 s[4:5], vcc, s[4:5]
	v_cndmask_b32_e64 v6, 0, 1, s[4:5]
	v_add_u32_e32 v112, v112, v6
; %bb.3799:
	s_or_b64 exec, exec, s[44:45]
	s_xor_b64 s[44:45], exec, -1
	s_or_b64 s[4:5], s[26:27], exec
	flat_store_byte v[4:5], v112
.LBB166_3800:
	s_or_b64 exec, exec, s[42:43]
	s_andn2_b64 s[28:29], s[28:29], exec
	s_and_b64 s[42:43], s[44:45], exec
	s_andn2_b64 s[26:27], s[26:27], exec
	s_and_b64 s[4:5], s[4:5], exec
	s_or_b64 s[28:29], s[28:29], s[42:43]
	s_or_b64 s[26:27], s[26:27], s[4:5]
.LBB166_3801:
	s_or_b64 exec, exec, s[40:41]
	s_andn2_b64 s[4:5], s[6:7], exec
	s_and_b64 s[28:29], s[28:29], exec
	s_or_b64 s[28:29], s[4:5], s[28:29]
	s_and_b64 s[4:5], s[26:27], exec
                                        ; implicit-def: $vgpr6
                                        ; implicit-def: $vgpr4_vgpr5
.LBB166_3802:
	s_andn2_saveexec_b64 s[24:25], s[24:25]
	s_cbranch_execz .LBB166_3806
; %bb.3803:
	v_mov_b32_e32 v7, 29
	v_cmp_eq_u16_sdwa s[44:45], v13, v7 src0_sel:BYTE_0 src1_sel:DWORD
	s_mov_b64 s[42:43], -1
	s_mov_b64 s[40:41], s[4:5]
	s_and_saveexec_b64 s[26:27], s[44:45]
	s_cbranch_execz .LBB166_3805
; %bb.3804:
	v_trunc_f32_e32 v6, v6
	v_mul_f32_e32 v7, 0x2f800000, v6
	v_floor_f32_e32 v112, v7
	v_fmac_f32_e32 v6, 0xcf800000, v112
	v_cvt_u32_f32_e32 v7, v112
	v_cvt_u32_f32_e32 v6, v6
	s_xor_b64 s[42:43], exec, -1
	s_or_b64 s[40:41], s[4:5], exec
	flat_store_dwordx2 v[4:5], v[6:7]
.LBB166_3805:
	s_or_b64 exec, exec, s[26:27]
	s_andn2_b64 s[26:27], s[28:29], exec
	s_and_b64 s[28:29], s[42:43], exec
	s_or_b64 s[28:29], s[26:27], s[28:29]
	s_andn2_b64 s[4:5], s[4:5], exec
	s_and_b64 s[26:27], s[40:41], exec
	s_or_b64 s[4:5], s[4:5], s[26:27]
.LBB166_3806:
	s_or_b64 exec, exec, s[24:25]
	s_andn2_b64 s[24:25], s[6:7], exec
	s_and_b64 s[26:27], s[28:29], exec
	s_or_b64 s[24:25], s[24:25], s[26:27]
	s_and_b64 s[4:5], s[4:5], exec
                                        ; implicit-def: $vgpr4_vgpr5
                                        ; implicit-def: $vgpr6
.LBB166_3807:
	s_andn2_saveexec_b64 s[18:19], s[18:19]
	s_cbranch_execz .LBB166_3823
; %bb.3808:
	v_mov_b32_e32 v7, 26
	v_cmp_gt_i16_sdwa s[26:27], v13, v7 src0_sel:BYTE_0 src1_sel:DWORD
	s_and_saveexec_b64 s[28:29], s[26:27]
	s_xor_b64 s[26:27], exec, s[28:29]
	s_cbranch_execz .LBB166_3814
; %bb.3809:
	v_cvt_u32_f32_e32 v6, v6
	v_mov_b32_e32 v7, 27
	v_cmp_gt_i16_sdwa s[28:29], v13, v7 src0_sel:BYTE_0 src1_sel:DWORD
	s_and_saveexec_b64 s[40:41], s[28:29]
	s_xor_b64 s[28:29], exec, s[40:41]
	s_cbranch_execz .LBB166_3811
; %bb.3810:
	flat_store_dword v[4:5], v6
                                        ; implicit-def: $vgpr4_vgpr5
                                        ; implicit-def: $vgpr6
.LBB166_3811:
	s_andn2_saveexec_b64 s[28:29], s[28:29]
	s_cbranch_execz .LBB166_3813
; %bb.3812:
	flat_store_short v[4:5], v6
.LBB166_3813:
	s_or_b64 exec, exec, s[28:29]
                                        ; implicit-def: $vgpr4_vgpr5
                                        ; implicit-def: $vgpr6
.LBB166_3814:
	s_andn2_saveexec_b64 s[26:27], s[26:27]
	s_cbranch_execz .LBB166_3822
; %bb.3815:
	v_and_b32_e32 v7, 0x7fffffff, v6
	s_mov_b32 s28, 0x43800000
	v_cmp_gt_u32_e32 vcc, s28, v7
	v_mov_b32_e32 v112, 0x80
	s_and_saveexec_b64 s[28:29], vcc
	s_cbranch_execz .LBB166_3821
; %bb.3816:
	s_mov_b32 s40, 0x3bffffff
	v_cmp_lt_u32_e32 vcc, s40, v7
	s_mov_b64 s[40:41], 0
                                        ; implicit-def: $vgpr7
	s_and_saveexec_b64 s[42:43], vcc
	s_xor_b64 s[42:43], exec, s[42:43]
	s_cbranch_execnz .LBB166_7819
; %bb.3817:
	s_andn2_saveexec_b64 s[42:43], s[42:43]
	s_cbranch_execnz .LBB166_7820
.LBB166_3818:
	s_or_b64 exec, exec, s[42:43]
	v_mov_b32_e32 v112, 0
	s_and_saveexec_b64 s[42:43], s[40:41]
.LBB166_3819:
	v_lshrrev_b32_e32 v6, 24, v6
	s_movk_i32 s40, 0x80
	v_and_or_b32 v112, v6, s40, v7
.LBB166_3820:
	s_or_b64 exec, exec, s[42:43]
.LBB166_3821:
	s_or_b64 exec, exec, s[28:29]
	flat_store_byte v[4:5], v112
.LBB166_3822:
	s_or_b64 exec, exec, s[26:27]
	s_or_b64 s[4:5], s[4:5], exec
.LBB166_3823:
	s_or_b64 exec, exec, s[18:19]
	s_andn2_b64 s[18:19], s[6:7], exec
	s_and_b64 s[24:25], s[24:25], exec
	s_or_b64 s[18:19], s[18:19], s[24:25]
	s_and_b64 s[4:5], s[4:5], exec
                                        ; implicit-def: $vgpr6
                                        ; implicit-def: $vgpr4_vgpr5
.LBB166_3824:
	s_andn2_saveexec_b64 s[22:23], s[22:23]
	s_cbranch_execz .LBB166_3868
; %bb.3825:
	v_mov_b32_e32 v7, 22
	v_cmp_gt_i16_sdwa s[24:25], v13, v7 src0_sel:BYTE_0 src1_sel:DWORD
	s_mov_b64 s[26:27], s[4:5]
	s_and_saveexec_b64 s[28:29], s[24:25]
	s_xor_b64 s[24:25], exec, s[28:29]
	s_cbranch_execz .LBB166_3857
; %bb.3826:
	v_mov_b32_e32 v7, 23
	v_cmp_gt_i16_sdwa s[26:27], v13, v7 src0_sel:BYTE_0 src1_sel:DWORD
	s_and_saveexec_b64 s[28:29], s[26:27]
	s_xor_b64 s[26:27], exec, s[28:29]
	s_cbranch_execz .LBB166_3846
; %bb.3827:
	v_mov_b32_e32 v7, 24
	v_cmp_gt_i16_sdwa s[28:29], v13, v7 src0_sel:BYTE_0 src1_sel:DWORD
	s_and_saveexec_b64 s[40:41], s[28:29]
	s_xor_b64 s[28:29], exec, s[40:41]
	s_cbranch_execz .LBB166_3835
; %bb.3828:
	v_and_b32_e32 v7, 0x7fffffff, v6
	s_mov_b32 s40, 0x47800000
	v_cmp_gt_u32_e32 vcc, s40, v7
	v_mov_b32_e32 v112, 0x80
	s_and_saveexec_b64 s[40:41], vcc
	s_cbranch_execz .LBB166_3834
; %bb.3829:
	s_mov_b32 s42, 0x37ffffff
	v_cmp_lt_u32_e32 vcc, s42, v7
	s_mov_b64 s[42:43], 0
                                        ; implicit-def: $vgpr7
	s_and_saveexec_b64 s[44:45], vcc
	s_xor_b64 s[44:45], exec, s[44:45]
	s_cbranch_execnz .LBB166_7821
; %bb.3830:
	s_andn2_saveexec_b64 s[44:45], s[44:45]
	s_cbranch_execnz .LBB166_7822
.LBB166_3831:
	s_or_b64 exec, exec, s[44:45]
	v_mov_b32_e32 v112, 0
	s_and_saveexec_b64 s[44:45], s[42:43]
.LBB166_3832:
	v_lshrrev_b32_e32 v6, 24, v6
	s_movk_i32 s42, 0x80
	v_and_or_b32 v112, v6, s42, v7
.LBB166_3833:
	s_or_b64 exec, exec, s[44:45]
.LBB166_3834:
	s_or_b64 exec, exec, s[40:41]
	flat_store_byte v[4:5], v112
                                        ; implicit-def: $vgpr6
                                        ; implicit-def: $vgpr4_vgpr5
.LBB166_3835:
	s_andn2_saveexec_b64 s[28:29], s[28:29]
	s_cbranch_execz .LBB166_3845
; %bb.3836:
	v_and_b32_e32 v112, 0x7fffffff, v6
	s_mov_b32 s40, 0x43f00000
	v_cmp_gt_u32_e32 vcc, s40, v112
                                        ; implicit-def: $vgpr7
	s_and_saveexec_b64 s[40:41], vcc
	s_xor_b64 s[40:41], exec, s[40:41]
	s_cbranch_execz .LBB166_3842
; %bb.3837:
	s_mov_b32 s42, 0x3c7fffff
	v_cmp_lt_u32_e32 vcc, s42, v112
                                        ; implicit-def: $vgpr7
	s_and_saveexec_b64 s[42:43], vcc
	s_xor_b64 s[42:43], exec, s[42:43]
; %bb.3838:
	v_bfe_u32 v7, v6, 20, 1
	s_mov_b32 s44, 0x407ffff
	v_add3_u32 v7, v6, v7, s44
	v_lshrrev_b32_e32 v112, 20, v7
	v_and_b32_e32 v7, 0xff00000, v7
	s_mov_b32 s44, 0x7f00000
	v_mov_b32_e32 v113, 0x7e
	v_cmp_ne_u32_e32 vcc, s44, v7
	v_cndmask_b32_e32 v7, v113, v112, vcc
; %bb.3839:
	s_andn2_saveexec_b64 s[42:43], s[42:43]
; %bb.3840:
	s_mov_b32 s44, 0x46800000
	v_add_f32_e64 v7, |v6|, s44
; %bb.3841:
	s_or_b64 exec, exec, s[42:43]
                                        ; implicit-def: $vgpr112
.LBB166_3842:
	s_andn2_saveexec_b64 s[40:41], s[40:41]
; %bb.3843:
	s_mov_b32 s42, 0x7f800000
	v_mov_b32_e32 v7, 0x7e
	v_mov_b32_e32 v113, 0x7f
	v_cmp_lt_u32_e32 vcc, s42, v112
	v_cndmask_b32_e32 v7, v7, v113, vcc
; %bb.3844:
	s_or_b64 exec, exec, s[40:41]
	v_lshrrev_b32_e32 v6, 24, v6
	s_movk_i32 s40, 0x80
	v_and_or_b32 v6, v6, s40, v7
	flat_store_byte v[4:5], v6
.LBB166_3845:
	s_or_b64 exec, exec, s[28:29]
                                        ; implicit-def: $vgpr6
                                        ; implicit-def: $vgpr4_vgpr5
.LBB166_3846:
	s_andn2_saveexec_b64 s[26:27], s[26:27]
	s_cbranch_execz .LBB166_3856
; %bb.3847:
	v_and_b32_e32 v112, 0x7fffffff, v6
	s_mov_b32 s28, 0x47800000
	v_cmp_gt_u32_e32 vcc, s28, v112
                                        ; implicit-def: $vgpr7
	s_and_saveexec_b64 s[28:29], vcc
	s_xor_b64 s[28:29], exec, s[28:29]
	s_cbranch_execz .LBB166_3853
; %bb.3848:
	s_mov_b32 s40, 0x387fffff
	v_cmp_lt_u32_e32 vcc, s40, v112
                                        ; implicit-def: $vgpr7
	s_and_saveexec_b64 s[40:41], vcc
	s_xor_b64 s[40:41], exec, s[40:41]
; %bb.3849:
	v_bfe_u32 v7, v6, 21, 1
	s_mov_b32 s42, 0x80fffff
	v_add3_u32 v7, v6, v7, s42
	v_lshrrev_b32_e32 v7, 21, v7
; %bb.3850:
	s_andn2_saveexec_b64 s[40:41], s[40:41]
; %bb.3851:
	s_mov_b32 s42, 0x43000000
	v_add_f32_e64 v7, |v6|, s42
; %bb.3852:
	s_or_b64 exec, exec, s[40:41]
                                        ; implicit-def: $vgpr112
.LBB166_3853:
	s_andn2_saveexec_b64 s[28:29], s[28:29]
; %bb.3854:
	s_mov_b32 s40, 0x7f800000
	v_mov_b32_e32 v7, 0x7c
	v_mov_b32_e32 v113, 0x7f
	v_cmp_lt_u32_e32 vcc, s40, v112
	v_cndmask_b32_e32 v7, v7, v113, vcc
; %bb.3855:
	s_or_b64 exec, exec, s[28:29]
	v_lshrrev_b32_e32 v6, 24, v6
	s_movk_i32 s28, 0x80
	v_and_or_b32 v6, v6, s28, v7
	flat_store_byte v[4:5], v6
.LBB166_3856:
	s_or_b64 exec, exec, s[26:27]
	s_or_b64 s[26:27], s[4:5], exec
                                        ; implicit-def: $vgpr6
                                        ; implicit-def: $vgpr4_vgpr5
.LBB166_3857:
	s_or_saveexec_b64 s[24:25], s[24:25]
	s_mov_b64 s[40:41], s[18:19]
	s_xor_b64 exec, exec, s[24:25]
	s_cbranch_execz .LBB166_3867
; %bb.3858:
	v_mov_b32_e32 v7, 14
	v_cmp_gt_i16_sdwa s[42:43], v13, v7 src0_sel:BYTE_0 src1_sel:DWORD
	s_mov_b64 s[28:29], s[26:27]
	s_mov_b64 s[40:41], s[18:19]
	s_and_saveexec_b64 s[44:45], s[42:43]
	s_xor_b64 s[42:43], exec, s[44:45]
	s_cbranch_execz .LBB166_3862
; %bb.3859:
	v_mov_b32_e32 v7, 15
	v_cmp_eq_u16_sdwa s[46:47], v13, v7 src0_sel:BYTE_0 src1_sel:DWORD
	s_mov_b64 s[40:41], -1
	s_mov_b64 s[44:45], s[26:27]
	s_and_saveexec_b64 s[28:29], s[46:47]
	s_cbranch_execz .LBB166_3861
; %bb.3860:
	v_bfe_u32 v7, v6, 16, 1
	s_movk_i32 s40, 0x7fff
	v_add3_u32 v7, v6, v7, s40
	v_cmp_o_f32_e32 vcc, v6, v6
	v_mov_b32_e32 v6, 0x7fc0
	v_cndmask_b32_sdwa v6, v6, v7, vcc dst_sel:DWORD dst_unused:UNUSED_PAD src0_sel:DWORD src1_sel:WORD_1
	flat_store_short v[4:5], v6
	s_xor_b64 s[40:41], exec, -1
	s_or_b64 s[44:45], s[26:27], exec
.LBB166_3861:
	s_or_b64 exec, exec, s[28:29]
	s_andn2_b64 s[28:29], s[18:19], exec
	s_and_b64 s[40:41], s[40:41], exec
	s_or_b64 s[40:41], s[28:29], s[40:41]
	s_andn2_b64 s[28:29], s[26:27], exec
	s_and_b64 s[44:45], s[44:45], exec
	s_or_b64 s[28:29], s[28:29], s[44:45]
                                        ; implicit-def: $vgpr6
                                        ; implicit-def: $vgpr4_vgpr5
.LBB166_3862:
	s_andn2_saveexec_b64 s[42:43], s[42:43]
	s_cbranch_execz .LBB166_3866
; %bb.3863:
	v_mov_b32_e32 v7, 11
	v_cmp_eq_u16_sdwa s[58:59], v13, v7 src0_sel:BYTE_0 src1_sel:DWORD
	s_mov_b64 s[46:47], -1
	s_mov_b64 s[44:45], s[28:29]
	s_and_saveexec_b64 s[56:57], s[58:59]
	s_cbranch_execz .LBB166_3865
; %bb.3864:
	v_cmp_neq_f32_e32 vcc, 0, v6
	v_cndmask_b32_e64 v6, 0, 1, vcc
	flat_store_byte v[4:5], v6
	s_xor_b64 s[46:47], exec, -1
	s_or_b64 s[44:45], s[28:29], exec
.LBB166_3865:
	s_or_b64 exec, exec, s[56:57]
	s_andn2_b64 s[40:41], s[40:41], exec
	s_and_b64 s[46:47], s[46:47], exec
	s_andn2_b64 s[28:29], s[28:29], exec
	s_and_b64 s[44:45], s[44:45], exec
	s_or_b64 s[40:41], s[40:41], s[46:47]
	s_or_b64 s[28:29], s[28:29], s[44:45]
.LBB166_3866:
	s_or_b64 exec, exec, s[42:43]
	s_andn2_b64 s[42:43], s[18:19], exec
	s_and_b64 s[40:41], s[40:41], exec
	s_andn2_b64 s[26:27], s[26:27], exec
	s_and_b64 s[28:29], s[28:29], exec
	s_or_b64 s[40:41], s[42:43], s[40:41]
	s_or_b64 s[26:27], s[26:27], s[28:29]
.LBB166_3867:
	s_or_b64 exec, exec, s[24:25]
	s_andn2_b64 s[18:19], s[18:19], exec
	s_and_b64 s[24:25], s[40:41], exec
	s_or_b64 s[18:19], s[18:19], s[24:25]
	s_andn2_b64 s[4:5], s[4:5], exec
	s_and_b64 s[24:25], s[26:27], exec
	s_or_b64 s[4:5], s[4:5], s[24:25]
.LBB166_3868:
	s_or_b64 exec, exec, s[22:23]
	s_andn2_b64 s[22:23], s[6:7], exec
	s_and_b64 s[18:19], s[18:19], exec
	s_or_b64 s[18:19], s[22:23], s[18:19]
	s_and_b64 s[4:5], s[4:5], exec
                                        ; implicit-def: $vgpr6
                                        ; implicit-def: $vgpr4_vgpr5
.LBB166_3869:
	s_andn2_saveexec_b64 s[14:15], s[14:15]
	s_cbranch_execz .LBB166_3911
; %bb.3870:
	v_mov_b32_e32 v7, 4
	v_cmp_gt_i16_sdwa s[22:23], v13, v7 src0_sel:BYTE_0 src1_sel:DWORD
	s_and_saveexec_b64 s[24:25], s[22:23]
	s_xor_b64 s[22:23], exec, s[24:25]
	s_cbranch_execz .LBB166_3892
; %bb.3871:
	v_mov_b32_e32 v7, 7
	v_cmp_gt_i16_sdwa s[24:25], v13, v7 src0_sel:BYTE_0 src1_sel:DWORD
	s_and_saveexec_b64 s[26:27], s[24:25]
	s_xor_b64 s[24:25], exec, s[26:27]
	;; [unrolled: 6-line block ×4, first 2 shown]
	s_cbranch_execz .LBB166_3875
; %bb.3874:
	v_cvt_f64_f32_e32 v[112:113], v6
	v_mov_b32_e32 v114, 0
	v_mov_b32_e32 v115, v114
                                        ; implicit-def: $vgpr6
	flat_store_dwordx4 v[4:5], v[112:115]
                                        ; implicit-def: $vgpr4_vgpr5
.LBB166_3875:
	s_andn2_saveexec_b64 s[28:29], s[28:29]
	s_cbranch_execz .LBB166_3877
; %bb.3876:
	v_mov_b32_e32 v7, 0
	flat_store_dwordx2 v[4:5], v[6:7]
.LBB166_3877:
	s_or_b64 exec, exec, s[28:29]
                                        ; implicit-def: $vgpr6
                                        ; implicit-def: $vgpr4_vgpr5
.LBB166_3878:
	s_andn2_saveexec_b64 s[26:27], s[26:27]
	s_cbranch_execz .LBB166_3880
; %bb.3879:
	v_cvt_f16_f32_e32 v6, v6
	flat_store_dword v[4:5], v6
.LBB166_3880:
	s_or_b64 exec, exec, s[26:27]
                                        ; implicit-def: $vgpr6
                                        ; implicit-def: $vgpr4_vgpr5
.LBB166_3881:
	s_andn2_saveexec_b64 s[24:25], s[24:25]
	s_cbranch_execz .LBB166_3891
; %bb.3882:
	v_mov_b32_e32 v7, 5
	v_cmp_gt_i16_sdwa s[26:27], v13, v7 src0_sel:BYTE_0 src1_sel:DWORD
	s_and_saveexec_b64 s[28:29], s[26:27]
	s_xor_b64 s[26:27], exec, s[28:29]
	s_cbranch_execz .LBB166_3888
; %bb.3883:
	v_mov_b32_e32 v7, 6
	v_cmp_gt_i16_sdwa s[28:29], v13, v7 src0_sel:BYTE_0 src1_sel:DWORD
	s_and_saveexec_b64 s[40:41], s[28:29]
	s_xor_b64 s[28:29], exec, s[40:41]
	s_cbranch_execz .LBB166_3885
; %bb.3884:
	v_cvt_f64_f32_e32 v[6:7], v6
	flat_store_dwordx2 v[4:5], v[6:7]
                                        ; implicit-def: $vgpr4_vgpr5
                                        ; implicit-def: $vgpr6
.LBB166_3885:
	s_andn2_saveexec_b64 s[28:29], s[28:29]
	s_cbranch_execz .LBB166_3887
; %bb.3886:
	flat_store_dword v[4:5], v6
.LBB166_3887:
	s_or_b64 exec, exec, s[28:29]
                                        ; implicit-def: $vgpr6
                                        ; implicit-def: $vgpr4_vgpr5
.LBB166_3888:
	s_andn2_saveexec_b64 s[26:27], s[26:27]
	s_cbranch_execz .LBB166_3890
; %bb.3889:
	v_cvt_f16_f32_e32 v6, v6
	flat_store_short v[4:5], v6
.LBB166_3890:
	s_or_b64 exec, exec, s[26:27]
.LBB166_3891:
	s_or_b64 exec, exec, s[24:25]
                                        ; implicit-def: $vgpr6
                                        ; implicit-def: $vgpr4_vgpr5
.LBB166_3892:
	s_andn2_saveexec_b64 s[22:23], s[22:23]
	s_cbranch_execz .LBB166_3910
; %bb.3893:
	v_mov_b32_e32 v7, 1
	v_cmp_gt_i16_sdwa s[24:25], v13, v7 src0_sel:BYTE_0 src1_sel:DWORD
	s_and_saveexec_b64 s[26:27], s[24:25]
	s_xor_b64 s[24:25], exec, s[26:27]
	s_cbranch_execz .LBB166_3903
; %bb.3894:
	v_mov_b32_e32 v7, 2
	v_cmp_gt_i16_sdwa s[26:27], v13, v7 src0_sel:BYTE_0 src1_sel:DWORD
	s_and_saveexec_b64 s[28:29], s[26:27]
	s_xor_b64 s[26:27], exec, s[28:29]
	;; [unrolled: 6-line block ×3, first 2 shown]
	s_cbranch_execz .LBB166_3897
; %bb.3896:
	v_trunc_f32_e32 v6, v6
	s_mov_b32 s40, 0x2f800000
	v_mul_f32_e64 v7, |v6|, s40
	v_floor_f32_e32 v7, v7
	s_mov_b32 s40, 0xcf800000
	v_cvt_u32_f32_e32 v112, v7
	v_fma_f32 v7, v7, s40, |v6|
	v_cvt_u32_f32_e32 v7, v7
	v_ashrrev_i32_e32 v113, 31, v6
	v_xor_b32_e32 v112, v112, v113
	v_xor_b32_e32 v6, v7, v113
	v_sub_co_u32_e32 v6, vcc, v6, v113
	v_subb_co_u32_e32 v7, vcc, v112, v113, vcc
	flat_store_dwordx2 v[4:5], v[6:7]
                                        ; implicit-def: $vgpr6
                                        ; implicit-def: $vgpr4_vgpr5
.LBB166_3897:
	s_andn2_saveexec_b64 s[28:29], s[28:29]
	s_cbranch_execz .LBB166_3899
; %bb.3898:
	v_cvt_i32_f32_e32 v6, v6
	flat_store_dword v[4:5], v6
.LBB166_3899:
	s_or_b64 exec, exec, s[28:29]
                                        ; implicit-def: $vgpr6
                                        ; implicit-def: $vgpr4_vgpr5
.LBB166_3900:
	s_andn2_saveexec_b64 s[26:27], s[26:27]
	s_cbranch_execz .LBB166_3902
; %bb.3901:
	v_cvt_i32_f32_e32 v6, v6
	flat_store_short v[4:5], v6
.LBB166_3902:
	s_or_b64 exec, exec, s[26:27]
                                        ; implicit-def: $vgpr6
                                        ; implicit-def: $vgpr4_vgpr5
.LBB166_3903:
	s_andn2_saveexec_b64 s[24:25], s[24:25]
	s_cbranch_execz .LBB166_3909
; %bb.3904:
	v_mov_b32_e32 v7, 0
	v_cmp_gt_i16_sdwa s[26:27], v13, v7 src0_sel:BYTE_0 src1_sel:DWORD
	s_and_saveexec_b64 s[28:29], s[26:27]
	s_xor_b64 s[26:27], exec, s[28:29]
	s_cbranch_execz .LBB166_3906
; %bb.3905:
	v_cvt_i32_f32_e32 v6, v6
	flat_store_byte v[4:5], v6
                                        ; implicit-def: $vgpr6
                                        ; implicit-def: $vgpr4_vgpr5
.LBB166_3906:
	s_andn2_saveexec_b64 s[26:27], s[26:27]
	s_cbranch_execz .LBB166_3908
; %bb.3907:
	v_trunc_f32_e32 v6, v6
	s_mov_b32 s28, 0x2f800000
	v_mul_f32_e64 v7, |v6|, s28
	v_floor_f32_e32 v7, v7
	s_mov_b32 s28, 0xcf800000
	v_fma_f32 v7, v7, s28, |v6|
	v_cvt_u32_f32_e32 v7, v7
	v_ashrrev_i32_e32 v6, 31, v6
	v_xor_b32_e32 v7, v7, v6
	v_sub_u32_e32 v6, v7, v6
	flat_store_byte v[4:5], v6
.LBB166_3908:
	s_or_b64 exec, exec, s[26:27]
.LBB166_3909:
	s_or_b64 exec, exec, s[24:25]
.LBB166_3910:
	s_or_b64 exec, exec, s[22:23]
	s_or_b64 s[4:5], s[4:5], exec
.LBB166_3911:
	s_or_b64 exec, exec, s[14:15]
	s_mov_b64 s[22:23], 0
	s_mov_b64 s[14:15], 0
	s_and_saveexec_b64 s[24:25], s[4:5]
; %bb.3912:
	v_add_u32_e32 v17, 0x200, v17
	v_cmp_lt_i32_e32 vcc, v17, v8
	s_mov_b64 s[22:23], exec
	s_and_b64 s[14:15], vcc, exec
; %bb.3913:
	s_or_b64 exec, exec, s[24:25]
	s_and_b64 s[4:5], s[14:15], exec
	s_andn2_b64 s[14:15], s[6:7], exec
	s_and_b64 s[18:19], s[18:19], exec
	s_or_b64 s[14:15], s[14:15], s[18:19]
	s_orn2_b64 s[18:19], s[22:23], exec
.LBB166_3914:
	s_or_b64 exec, exec, s[16:17]
	s_mov_b64 s[22:23], 0
	s_mov_b64 s[26:27], 0
                                        ; implicit-def: $vgpr4
                                        ; implicit-def: $vgpr112
                                        ; implicit-def: $vgpr6_vgpr7
	s_and_saveexec_b64 s[16:17], s[18:19]
	s_cbranch_execz .LBB166_7766
; %bb.3915:
	s_mov_b64 s[22:23], -1
	s_mov_b64 s[24:25], 0
	s_mov_b64 s[18:19], s[14:15]
	s_and_saveexec_b64 s[20:21], s[4:5]
	s_cbranch_execz .LBB166_4043
; %bb.3916:
	v_readlane_b32 s4, v41, 2
	v_add_u32_e32 v4, s4, v17
	v_mul_lo_u32 v4, v4, v14
	v_mov_b32_e32 v7, 10
	v_cmp_gt_i16_sdwa s[18:19], v13, v7 src0_sel:BYTE_0 src1_sel:DWORD
	s_mov_b64 s[4:5], 0
	v_add_co_u32_e32 v4, vcc, v2, v4
	v_addc_co_u32_e32 v5, vcc, 0, v3, vcc
	s_waitcnt vmcnt(0)
	v_cmp_nle_f32_e32 vcc, v103, v0
	v_cndmask_b32_e32 v6, v1, v102, vcc
	s_mov_b64 s[22:23], s[14:15]
	s_and_saveexec_b64 s[26:27], s[18:19]
	s_xor_b64 s[18:19], exec, s[26:27]
	s_cbranch_execz .LBB166_3998
; %bb.3917:
	v_mov_b32_e32 v7, 25
	v_cmp_gt_i16_sdwa s[26:27], v13, v7 src0_sel:BYTE_0 src1_sel:DWORD
	s_mov_b64 s[22:23], s[14:15]
	s_and_saveexec_b64 s[28:29], s[26:27]
	s_xor_b64 s[26:27], exec, s[28:29]
	s_cbranch_execz .LBB166_3953
; %bb.3918:
	v_mov_b32_e32 v7, 28
	v_cmp_gt_i16_sdwa s[22:23], v13, v7 src0_sel:BYTE_0 src1_sel:DWORD
	;; [unrolled: 7-line block ×4, first 2 shown]
	s_mov_b64 s[40:41], 0
	s_mov_b64 s[42:43], s[14:15]
	s_and_saveexec_b64 s[44:45], s[4:5]
	s_xor_b64 s[4:5], exec, s[44:45]
	s_cbranch_execz .LBB166_3924
; %bb.3921:
	v_mov_b32_e32 v7, 46
	v_cmp_eq_u16_sdwa s[46:47], v13, v7 src0_sel:BYTE_0 src1_sel:DWORD
	s_mov_b64 s[44:45], -1
	s_and_saveexec_b64 s[42:43], s[46:47]
	s_cbranch_execz .LBB166_3923
; %bb.3922:
	v_bfe_u32 v7, v6, 16, 1
	s_movk_i32 s44, 0x7fff
	v_add3_u32 v7, v6, v7, s44
	v_cmp_o_f32_e32 vcc, v6, v6
	v_mov_b32_e32 v6, 0x7fc0
	v_cndmask_b32_sdwa v6, v6, v7, vcc dst_sel:DWORD dst_unused:UNUSED_PAD src0_sel:DWORD src1_sel:WORD_1
	s_mov_b64 s[40:41], exec
	flat_store_dword v[4:5], v6
	s_xor_b64 s[44:45], exec, -1
.LBB166_3923:
	s_or_b64 exec, exec, s[42:43]
	s_andn2_b64 s[42:43], s[14:15], exec
	s_and_b64 s[44:45], s[44:45], exec
	s_or_b64 s[42:43], s[42:43], s[44:45]
	s_and_b64 s[40:41], s[40:41], exec
                                        ; implicit-def: $vgpr4_vgpr5
                                        ; implicit-def: $vgpr6
.LBB166_3924:
	s_andn2_saveexec_b64 s[44:45], s[4:5]
	s_cbranch_execz .LBB166_3930
; %bb.3925:
	v_mov_b32_e32 v7, 44
	v_cmp_eq_u16_sdwa s[58:59], v13, v7 src0_sel:BYTE_0 src1_sel:DWORD
	s_mov_b64 s[56:57], -1
	s_mov_b64 s[4:5], s[40:41]
	s_and_saveexec_b64 s[46:47], s[58:59]
	s_cbranch_execz .LBB166_3929
; %bb.3926:
	v_bfe_u32 v7, v6, 23, 8
	s_movk_i32 s4, 0xff
	v_cmp_ne_u32_e32 vcc, s4, v7
	v_mov_b32_e32 v102, 0xff
	s_and_saveexec_b64 s[56:57], vcc
; %bb.3927:
	s_mov_b32 s4, 0x3fffff
	v_lshrrev_b32_e32 v102, 23, v6
	v_and_b32_e32 v103, 0x400000, v6
	v_and_or_b32 v6, v6, s4, v7
	v_cmp_ne_u32_e32 vcc, 0, v103
	v_cmp_ne_u32_e64 s[4:5], 0, v6
	s_and_b64 s[4:5], vcc, s[4:5]
	v_cndmask_b32_e64 v6, 0, 1, s[4:5]
	v_add_u32_e32 v102, v102, v6
; %bb.3928:
	s_or_b64 exec, exec, s[56:57]
	s_xor_b64 s[56:57], exec, -1
	s_or_b64 s[4:5], s[40:41], exec
	flat_store_byte v[4:5], v102
.LBB166_3929:
	s_or_b64 exec, exec, s[46:47]
	s_andn2_b64 s[42:43], s[42:43], exec
	s_and_b64 s[46:47], s[56:57], exec
	s_andn2_b64 s[40:41], s[40:41], exec
	s_and_b64 s[4:5], s[4:5], exec
	s_or_b64 s[42:43], s[42:43], s[46:47]
	s_or_b64 s[40:41], s[40:41], s[4:5]
.LBB166_3930:
	s_or_b64 exec, exec, s[44:45]
	s_andn2_b64 s[4:5], s[14:15], exec
	s_and_b64 s[42:43], s[42:43], exec
	s_or_b64 s[42:43], s[4:5], s[42:43]
	s_and_b64 s[4:5], s[40:41], exec
                                        ; implicit-def: $vgpr6
                                        ; implicit-def: $vgpr4_vgpr5
.LBB166_3931:
	s_andn2_saveexec_b64 s[28:29], s[28:29]
	s_cbranch_execz .LBB166_3935
; %bb.3932:
	v_mov_b32_e32 v7, 29
	v_cmp_eq_u16_sdwa s[56:57], v13, v7 src0_sel:BYTE_0 src1_sel:DWORD
	s_mov_b64 s[46:47], -1
	s_mov_b64 s[44:45], s[4:5]
	s_and_saveexec_b64 s[40:41], s[56:57]
	s_cbranch_execz .LBB166_3934
; %bb.3933:
	v_trunc_f32_e32 v6, v6
	v_mul_f32_e32 v7, 0x2f800000, v6
	v_floor_f32_e32 v102, v7
	v_fmac_f32_e32 v6, 0xcf800000, v102
	v_cvt_u32_f32_e32 v7, v102
	v_cvt_u32_f32_e32 v6, v6
	s_xor_b64 s[46:47], exec, -1
	s_or_b64 s[44:45], s[4:5], exec
	flat_store_dwordx2 v[4:5], v[6:7]
.LBB166_3934:
	s_or_b64 exec, exec, s[40:41]
	s_andn2_b64 s[40:41], s[42:43], exec
	s_and_b64 s[42:43], s[46:47], exec
	s_or_b64 s[42:43], s[40:41], s[42:43]
	s_andn2_b64 s[4:5], s[4:5], exec
	s_and_b64 s[40:41], s[44:45], exec
	s_or_b64 s[4:5], s[4:5], s[40:41]
.LBB166_3935:
	s_or_b64 exec, exec, s[28:29]
	s_andn2_b64 s[28:29], s[14:15], exec
	s_and_b64 s[40:41], s[42:43], exec
	s_or_b64 s[28:29], s[28:29], s[40:41]
	s_and_b64 s[4:5], s[4:5], exec
                                        ; implicit-def: $vgpr4_vgpr5
                                        ; implicit-def: $vgpr6
.LBB166_3936:
	s_andn2_saveexec_b64 s[22:23], s[22:23]
	s_cbranch_execz .LBB166_3952
; %bb.3937:
	v_mov_b32_e32 v7, 26
	v_cmp_gt_i16_sdwa s[40:41], v13, v7 src0_sel:BYTE_0 src1_sel:DWORD
	s_and_saveexec_b64 s[42:43], s[40:41]
	s_xor_b64 s[40:41], exec, s[42:43]
	s_cbranch_execz .LBB166_3943
; %bb.3938:
	v_cvt_u32_f32_e32 v6, v6
	v_mov_b32_e32 v7, 27
	v_cmp_gt_i16_sdwa s[42:43], v13, v7 src0_sel:BYTE_0 src1_sel:DWORD
	s_and_saveexec_b64 s[44:45], s[42:43]
	s_xor_b64 s[42:43], exec, s[44:45]
	s_cbranch_execz .LBB166_3940
; %bb.3939:
	flat_store_dword v[4:5], v6
                                        ; implicit-def: $vgpr4_vgpr5
                                        ; implicit-def: $vgpr6
.LBB166_3940:
	s_andn2_saveexec_b64 s[42:43], s[42:43]
	s_cbranch_execz .LBB166_3942
; %bb.3941:
	flat_store_short v[4:5], v6
.LBB166_3942:
	s_or_b64 exec, exec, s[42:43]
                                        ; implicit-def: $vgpr4_vgpr5
                                        ; implicit-def: $vgpr6
.LBB166_3943:
	s_andn2_saveexec_b64 s[40:41], s[40:41]
	s_cbranch_execz .LBB166_3951
; %bb.3944:
	v_and_b32_e32 v7, 0x7fffffff, v6
	s_mov_b32 s42, 0x43800000
	v_cmp_gt_u32_e32 vcc, s42, v7
	v_mov_b32_e32 v102, 0x80
	s_and_saveexec_b64 s[42:43], vcc
	s_cbranch_execz .LBB166_3950
; %bb.3945:
	s_mov_b32 s44, 0x3bffffff
	v_cmp_lt_u32_e32 vcc, s44, v7
	s_mov_b64 s[44:45], 0
                                        ; implicit-def: $vgpr7
	s_and_saveexec_b64 s[46:47], vcc
	s_xor_b64 s[46:47], exec, s[46:47]
	s_cbranch_execnz .LBB166_7823
; %bb.3946:
	s_andn2_saveexec_b64 s[46:47], s[46:47]
	s_cbranch_execnz .LBB166_7824
.LBB166_3947:
	s_or_b64 exec, exec, s[46:47]
	v_mov_b32_e32 v102, 0
	s_and_saveexec_b64 s[46:47], s[44:45]
.LBB166_3948:
	v_lshrrev_b32_e32 v6, 24, v6
	s_movk_i32 s44, 0x80
	v_and_or_b32 v102, v6, s44, v7
.LBB166_3949:
	s_or_b64 exec, exec, s[46:47]
.LBB166_3950:
	s_or_b64 exec, exec, s[42:43]
	flat_store_byte v[4:5], v102
.LBB166_3951:
	s_or_b64 exec, exec, s[40:41]
	s_or_b64 s[4:5], s[4:5], exec
.LBB166_3952:
	s_or_b64 exec, exec, s[22:23]
	s_andn2_b64 s[22:23], s[14:15], exec
	s_and_b64 s[28:29], s[28:29], exec
	s_or_b64 s[22:23], s[22:23], s[28:29]
	s_and_b64 s[4:5], s[4:5], exec
                                        ; implicit-def: $vgpr6
                                        ; implicit-def: $vgpr4_vgpr5
.LBB166_3953:
	s_andn2_saveexec_b64 s[26:27], s[26:27]
	s_cbranch_execz .LBB166_3997
; %bb.3954:
	v_mov_b32_e32 v7, 22
	v_cmp_gt_i16_sdwa s[28:29], v13, v7 src0_sel:BYTE_0 src1_sel:DWORD
	s_mov_b64 s[40:41], s[4:5]
	s_and_saveexec_b64 s[42:43], s[28:29]
	s_xor_b64 s[28:29], exec, s[42:43]
	s_cbranch_execz .LBB166_3986
; %bb.3955:
	v_mov_b32_e32 v7, 23
	v_cmp_gt_i16_sdwa s[40:41], v13, v7 src0_sel:BYTE_0 src1_sel:DWORD
	s_and_saveexec_b64 s[42:43], s[40:41]
	s_xor_b64 s[40:41], exec, s[42:43]
	s_cbranch_execz .LBB166_3975
; %bb.3956:
	v_mov_b32_e32 v7, 24
	v_cmp_gt_i16_sdwa s[42:43], v13, v7 src0_sel:BYTE_0 src1_sel:DWORD
	s_and_saveexec_b64 s[44:45], s[42:43]
	s_xor_b64 s[42:43], exec, s[44:45]
	s_cbranch_execz .LBB166_3964
; %bb.3957:
	v_and_b32_e32 v7, 0x7fffffff, v6
	s_mov_b32 s44, 0x47800000
	v_cmp_gt_u32_e32 vcc, s44, v7
	v_mov_b32_e32 v102, 0x80
	s_and_saveexec_b64 s[44:45], vcc
	s_cbranch_execz .LBB166_3963
; %bb.3958:
	s_mov_b32 s46, 0x37ffffff
	v_cmp_lt_u32_e32 vcc, s46, v7
	s_mov_b64 s[46:47], 0
                                        ; implicit-def: $vgpr7
	s_and_saveexec_b64 s[56:57], vcc
	s_xor_b64 s[56:57], exec, s[56:57]
	s_cbranch_execnz .LBB166_7825
; %bb.3959:
	s_andn2_saveexec_b64 s[56:57], s[56:57]
	s_cbranch_execnz .LBB166_7826
.LBB166_3960:
	s_or_b64 exec, exec, s[56:57]
	v_mov_b32_e32 v102, 0
	s_and_saveexec_b64 s[56:57], s[46:47]
.LBB166_3961:
	v_lshrrev_b32_e32 v6, 24, v6
	s_movk_i32 s46, 0x80
	v_and_or_b32 v102, v6, s46, v7
.LBB166_3962:
	s_or_b64 exec, exec, s[56:57]
.LBB166_3963:
	s_or_b64 exec, exec, s[44:45]
	flat_store_byte v[4:5], v102
                                        ; implicit-def: $vgpr6
                                        ; implicit-def: $vgpr4_vgpr5
.LBB166_3964:
	s_andn2_saveexec_b64 s[42:43], s[42:43]
	s_cbranch_execz .LBB166_3974
; %bb.3965:
	v_and_b32_e32 v102, 0x7fffffff, v6
	s_mov_b32 s44, 0x43f00000
	v_cmp_gt_u32_e32 vcc, s44, v102
                                        ; implicit-def: $vgpr7
	s_and_saveexec_b64 s[44:45], vcc
	s_xor_b64 s[44:45], exec, s[44:45]
	s_cbranch_execz .LBB166_3971
; %bb.3966:
	s_mov_b32 s46, 0x3c7fffff
	v_cmp_lt_u32_e32 vcc, s46, v102
                                        ; implicit-def: $vgpr7
	s_and_saveexec_b64 s[46:47], vcc
	s_xor_b64 s[46:47], exec, s[46:47]
; %bb.3967:
	v_bfe_u32 v7, v6, 20, 1
	s_mov_b32 s56, 0x407ffff
	v_add3_u32 v7, v6, v7, s56
	v_lshrrev_b32_e32 v102, 20, v7
	v_and_b32_e32 v7, 0xff00000, v7
	s_mov_b32 s56, 0x7f00000
	v_mov_b32_e32 v103, 0x7e
	v_cmp_ne_u32_e32 vcc, s56, v7
	v_cndmask_b32_e32 v7, v103, v102, vcc
; %bb.3968:
	s_andn2_saveexec_b64 s[46:47], s[46:47]
; %bb.3969:
	s_mov_b32 s56, 0x46800000
	v_add_f32_e64 v7, |v6|, s56
; %bb.3970:
	s_or_b64 exec, exec, s[46:47]
                                        ; implicit-def: $vgpr102
.LBB166_3971:
	s_andn2_saveexec_b64 s[44:45], s[44:45]
; %bb.3972:
	s_mov_b32 s46, 0x7f800000
	v_mov_b32_e32 v7, 0x7e
	v_mov_b32_e32 v103, 0x7f
	v_cmp_lt_u32_e32 vcc, s46, v102
	v_cndmask_b32_e32 v7, v7, v103, vcc
; %bb.3973:
	s_or_b64 exec, exec, s[44:45]
	v_lshrrev_b32_e32 v6, 24, v6
	s_movk_i32 s44, 0x80
	v_and_or_b32 v6, v6, s44, v7
	flat_store_byte v[4:5], v6
.LBB166_3974:
	s_or_b64 exec, exec, s[42:43]
                                        ; implicit-def: $vgpr6
                                        ; implicit-def: $vgpr4_vgpr5
.LBB166_3975:
	s_andn2_saveexec_b64 s[40:41], s[40:41]
	s_cbranch_execz .LBB166_3985
; %bb.3976:
	v_and_b32_e32 v102, 0x7fffffff, v6
	s_mov_b32 s42, 0x47800000
	v_cmp_gt_u32_e32 vcc, s42, v102
                                        ; implicit-def: $vgpr7
	s_and_saveexec_b64 s[42:43], vcc
	s_xor_b64 s[42:43], exec, s[42:43]
	s_cbranch_execz .LBB166_3982
; %bb.3977:
	s_mov_b32 s44, 0x387fffff
	v_cmp_lt_u32_e32 vcc, s44, v102
                                        ; implicit-def: $vgpr7
	s_and_saveexec_b64 s[44:45], vcc
	s_xor_b64 s[44:45], exec, s[44:45]
; %bb.3978:
	v_bfe_u32 v7, v6, 21, 1
	s_mov_b32 s46, 0x80fffff
	v_add3_u32 v7, v6, v7, s46
	v_lshrrev_b32_e32 v7, 21, v7
; %bb.3979:
	s_andn2_saveexec_b64 s[44:45], s[44:45]
; %bb.3980:
	s_mov_b32 s46, 0x43000000
	v_add_f32_e64 v7, |v6|, s46
; %bb.3981:
	s_or_b64 exec, exec, s[44:45]
                                        ; implicit-def: $vgpr102
.LBB166_3982:
	s_andn2_saveexec_b64 s[42:43], s[42:43]
; %bb.3983:
	s_mov_b32 s44, 0x7f800000
	v_mov_b32_e32 v7, 0x7c
	v_mov_b32_e32 v103, 0x7f
	v_cmp_lt_u32_e32 vcc, s44, v102
	v_cndmask_b32_e32 v7, v7, v103, vcc
; %bb.3984:
	s_or_b64 exec, exec, s[42:43]
	v_lshrrev_b32_e32 v6, 24, v6
	s_movk_i32 s42, 0x80
	v_and_or_b32 v6, v6, s42, v7
	flat_store_byte v[4:5], v6
.LBB166_3985:
	s_or_b64 exec, exec, s[40:41]
	s_or_b64 s[40:41], s[4:5], exec
                                        ; implicit-def: $vgpr6
                                        ; implicit-def: $vgpr4_vgpr5
.LBB166_3986:
	s_or_saveexec_b64 s[28:29], s[28:29]
	s_mov_b64 s[44:45], s[22:23]
	s_xor_b64 exec, exec, s[28:29]
	s_cbranch_execz .LBB166_3996
; %bb.3987:
	v_mov_b32_e32 v7, 14
	v_cmp_gt_i16_sdwa s[46:47], v13, v7 src0_sel:BYTE_0 src1_sel:DWORD
	s_mov_b64 s[42:43], s[40:41]
	s_mov_b64 s[44:45], s[22:23]
	s_and_saveexec_b64 s[56:57], s[46:47]
	s_xor_b64 s[46:47], exec, s[56:57]
	s_cbranch_execz .LBB166_3991
; %bb.3988:
	v_mov_b32_e32 v7, 15
	v_cmp_eq_u16_sdwa s[58:59], v13, v7 src0_sel:BYTE_0 src1_sel:DWORD
	s_mov_b64 s[44:45], -1
	s_mov_b64 s[56:57], s[40:41]
	s_and_saveexec_b64 s[42:43], s[58:59]
	s_cbranch_execz .LBB166_3990
; %bb.3989:
	v_bfe_u32 v7, v6, 16, 1
	s_movk_i32 s44, 0x7fff
	v_add3_u32 v7, v6, v7, s44
	v_cmp_o_f32_e32 vcc, v6, v6
	v_mov_b32_e32 v6, 0x7fc0
	v_cndmask_b32_sdwa v6, v6, v7, vcc dst_sel:DWORD dst_unused:UNUSED_PAD src0_sel:DWORD src1_sel:WORD_1
	flat_store_short v[4:5], v6
	s_xor_b64 s[44:45], exec, -1
	s_or_b64 s[56:57], s[40:41], exec
.LBB166_3990:
	s_or_b64 exec, exec, s[42:43]
	s_andn2_b64 s[42:43], s[22:23], exec
	s_and_b64 s[44:45], s[44:45], exec
	s_or_b64 s[44:45], s[42:43], s[44:45]
	s_andn2_b64 s[42:43], s[40:41], exec
	s_and_b64 s[56:57], s[56:57], exec
	s_or_b64 s[42:43], s[42:43], s[56:57]
                                        ; implicit-def: $vgpr6
                                        ; implicit-def: $vgpr4_vgpr5
.LBB166_3991:
	s_andn2_saveexec_b64 s[46:47], s[46:47]
	s_cbranch_execz .LBB166_3995
; %bb.3992:
	v_mov_b32_e32 v7, 11
	v_cmp_eq_u16_sdwa s[62:63], v13, v7 src0_sel:BYTE_0 src1_sel:DWORD
	s_mov_b64 s[58:59], -1
	s_mov_b64 s[56:57], s[42:43]
	s_and_saveexec_b64 s[60:61], s[62:63]
	s_cbranch_execz .LBB166_3994
; %bb.3993:
	v_cmp_neq_f32_e32 vcc, 0, v6
	v_cndmask_b32_e64 v6, 0, 1, vcc
	flat_store_byte v[4:5], v6
	s_xor_b64 s[58:59], exec, -1
	s_or_b64 s[56:57], s[42:43], exec
.LBB166_3994:
	s_or_b64 exec, exec, s[60:61]
	s_andn2_b64 s[44:45], s[44:45], exec
	s_and_b64 s[58:59], s[58:59], exec
	s_andn2_b64 s[42:43], s[42:43], exec
	s_and_b64 s[56:57], s[56:57], exec
	s_or_b64 s[44:45], s[44:45], s[58:59]
	s_or_b64 s[42:43], s[42:43], s[56:57]
.LBB166_3995:
	s_or_b64 exec, exec, s[46:47]
	s_andn2_b64 s[46:47], s[22:23], exec
	s_and_b64 s[44:45], s[44:45], exec
	s_andn2_b64 s[40:41], s[40:41], exec
	s_and_b64 s[42:43], s[42:43], exec
	s_or_b64 s[44:45], s[46:47], s[44:45]
	s_or_b64 s[40:41], s[40:41], s[42:43]
.LBB166_3996:
	s_or_b64 exec, exec, s[28:29]
	s_andn2_b64 s[22:23], s[22:23], exec
	s_and_b64 s[28:29], s[44:45], exec
	s_or_b64 s[22:23], s[22:23], s[28:29]
	s_andn2_b64 s[4:5], s[4:5], exec
	s_and_b64 s[28:29], s[40:41], exec
	s_or_b64 s[4:5], s[4:5], s[28:29]
.LBB166_3997:
	s_or_b64 exec, exec, s[26:27]
	s_andn2_b64 s[26:27], s[14:15], exec
	s_and_b64 s[22:23], s[22:23], exec
	s_or_b64 s[22:23], s[26:27], s[22:23]
	s_and_b64 s[4:5], s[4:5], exec
                                        ; implicit-def: $vgpr6
                                        ; implicit-def: $vgpr4_vgpr5
.LBB166_3998:
	s_andn2_saveexec_b64 s[18:19], s[18:19]
	s_cbranch_execz .LBB166_4040
; %bb.3999:
	v_mov_b32_e32 v7, 4
	v_cmp_gt_i16_sdwa s[26:27], v13, v7 src0_sel:BYTE_0 src1_sel:DWORD
	s_and_saveexec_b64 s[28:29], s[26:27]
	s_xor_b64 s[26:27], exec, s[28:29]
	s_cbranch_execz .LBB166_4021
; %bb.4000:
	v_mov_b32_e32 v7, 7
	v_cmp_gt_i16_sdwa s[28:29], v13, v7 src0_sel:BYTE_0 src1_sel:DWORD
	s_and_saveexec_b64 s[40:41], s[28:29]
	s_xor_b64 s[28:29], exec, s[40:41]
	;; [unrolled: 6-line block ×4, first 2 shown]
	s_cbranch_execz .LBB166_4004
; %bb.4003:
	v_cvt_f64_f32_e32 v[112:113], v6
	v_mov_b32_e32 v114, 0
	v_mov_b32_e32 v115, v114
                                        ; implicit-def: $vgpr6
	flat_store_dwordx4 v[4:5], v[112:115]
                                        ; implicit-def: $vgpr4_vgpr5
.LBB166_4004:
	s_andn2_saveexec_b64 s[42:43], s[42:43]
	s_cbranch_execz .LBB166_4006
; %bb.4005:
	v_mov_b32_e32 v7, 0
	flat_store_dwordx2 v[4:5], v[6:7]
.LBB166_4006:
	s_or_b64 exec, exec, s[42:43]
                                        ; implicit-def: $vgpr6
                                        ; implicit-def: $vgpr4_vgpr5
.LBB166_4007:
	s_andn2_saveexec_b64 s[40:41], s[40:41]
	s_cbranch_execz .LBB166_4009
; %bb.4008:
	v_cvt_f16_f32_e32 v6, v6
	flat_store_dword v[4:5], v6
.LBB166_4009:
	s_or_b64 exec, exec, s[40:41]
                                        ; implicit-def: $vgpr6
                                        ; implicit-def: $vgpr4_vgpr5
.LBB166_4010:
	s_andn2_saveexec_b64 s[28:29], s[28:29]
	s_cbranch_execz .LBB166_4020
; %bb.4011:
	v_mov_b32_e32 v7, 5
	v_cmp_gt_i16_sdwa s[40:41], v13, v7 src0_sel:BYTE_0 src1_sel:DWORD
	s_and_saveexec_b64 s[42:43], s[40:41]
	s_xor_b64 s[40:41], exec, s[42:43]
	s_cbranch_execz .LBB166_4017
; %bb.4012:
	v_mov_b32_e32 v7, 6
	v_cmp_gt_i16_sdwa s[42:43], v13, v7 src0_sel:BYTE_0 src1_sel:DWORD
	s_and_saveexec_b64 s[44:45], s[42:43]
	s_xor_b64 s[42:43], exec, s[44:45]
	s_cbranch_execz .LBB166_4014
; %bb.4013:
	v_cvt_f64_f32_e32 v[6:7], v6
	flat_store_dwordx2 v[4:5], v[6:7]
                                        ; implicit-def: $vgpr4_vgpr5
                                        ; implicit-def: $vgpr6
.LBB166_4014:
	s_andn2_saveexec_b64 s[42:43], s[42:43]
	s_cbranch_execz .LBB166_4016
; %bb.4015:
	flat_store_dword v[4:5], v6
.LBB166_4016:
	s_or_b64 exec, exec, s[42:43]
                                        ; implicit-def: $vgpr6
                                        ; implicit-def: $vgpr4_vgpr5
.LBB166_4017:
	s_andn2_saveexec_b64 s[40:41], s[40:41]
	s_cbranch_execz .LBB166_4019
; %bb.4018:
	v_cvt_f16_f32_e32 v6, v6
	flat_store_short v[4:5], v6
.LBB166_4019:
	s_or_b64 exec, exec, s[40:41]
.LBB166_4020:
	s_or_b64 exec, exec, s[28:29]
                                        ; implicit-def: $vgpr6
                                        ; implicit-def: $vgpr4_vgpr5
.LBB166_4021:
	s_andn2_saveexec_b64 s[26:27], s[26:27]
	s_cbranch_execz .LBB166_4039
; %bb.4022:
	v_mov_b32_e32 v7, 1
	v_cmp_gt_i16_sdwa s[28:29], v13, v7 src0_sel:BYTE_0 src1_sel:DWORD
	s_and_saveexec_b64 s[40:41], s[28:29]
	s_xor_b64 s[28:29], exec, s[40:41]
	s_cbranch_execz .LBB166_4032
; %bb.4023:
	v_mov_b32_e32 v7, 2
	v_cmp_gt_i16_sdwa s[40:41], v13, v7 src0_sel:BYTE_0 src1_sel:DWORD
	s_and_saveexec_b64 s[42:43], s[40:41]
	s_xor_b64 s[40:41], exec, s[42:43]
	;; [unrolled: 6-line block ×3, first 2 shown]
	s_cbranch_execz .LBB166_4026
; %bb.4025:
	v_trunc_f32_e32 v6, v6
	s_mov_b32 s44, 0x2f800000
	v_mul_f32_e64 v7, |v6|, s44
	v_floor_f32_e32 v7, v7
	s_mov_b32 s44, 0xcf800000
	v_cvt_u32_f32_e32 v102, v7
	v_fma_f32 v7, v7, s44, |v6|
	v_cvt_u32_f32_e32 v7, v7
	v_ashrrev_i32_e32 v103, 31, v6
	v_xor_b32_e32 v102, v102, v103
	v_xor_b32_e32 v6, v7, v103
	v_sub_co_u32_e32 v6, vcc, v6, v103
	v_subb_co_u32_e32 v7, vcc, v102, v103, vcc
	flat_store_dwordx2 v[4:5], v[6:7]
                                        ; implicit-def: $vgpr6
                                        ; implicit-def: $vgpr4_vgpr5
.LBB166_4026:
	s_andn2_saveexec_b64 s[42:43], s[42:43]
	s_cbranch_execz .LBB166_4028
; %bb.4027:
	v_cvt_i32_f32_e32 v6, v6
	flat_store_dword v[4:5], v6
.LBB166_4028:
	s_or_b64 exec, exec, s[42:43]
                                        ; implicit-def: $vgpr6
                                        ; implicit-def: $vgpr4_vgpr5
.LBB166_4029:
	s_andn2_saveexec_b64 s[40:41], s[40:41]
	s_cbranch_execz .LBB166_4031
; %bb.4030:
	v_cvt_i32_f32_e32 v6, v6
	flat_store_short v[4:5], v6
.LBB166_4031:
	s_or_b64 exec, exec, s[40:41]
                                        ; implicit-def: $vgpr6
                                        ; implicit-def: $vgpr4_vgpr5
.LBB166_4032:
	s_andn2_saveexec_b64 s[28:29], s[28:29]
	s_cbranch_execz .LBB166_4038
; %bb.4033:
	v_mov_b32_e32 v7, 0
	v_cmp_gt_i16_sdwa s[40:41], v13, v7 src0_sel:BYTE_0 src1_sel:DWORD
	s_and_saveexec_b64 s[42:43], s[40:41]
	s_xor_b64 s[40:41], exec, s[42:43]
	s_cbranch_execz .LBB166_4035
; %bb.4034:
	v_cvt_i32_f32_e32 v6, v6
	flat_store_byte v[4:5], v6
                                        ; implicit-def: $vgpr6
                                        ; implicit-def: $vgpr4_vgpr5
.LBB166_4035:
	s_andn2_saveexec_b64 s[40:41], s[40:41]
	s_cbranch_execz .LBB166_4037
; %bb.4036:
	v_trunc_f32_e32 v6, v6
	s_mov_b32 s42, 0x2f800000
	v_mul_f32_e64 v7, |v6|, s42
	v_floor_f32_e32 v7, v7
	s_mov_b32 s42, 0xcf800000
	v_fma_f32 v7, v7, s42, |v6|
	v_cvt_u32_f32_e32 v7, v7
	v_ashrrev_i32_e32 v6, 31, v6
	v_xor_b32_e32 v7, v7, v6
	v_sub_u32_e32 v6, v7, v6
	flat_store_byte v[4:5], v6
.LBB166_4037:
	s_or_b64 exec, exec, s[40:41]
.LBB166_4038:
	s_or_b64 exec, exec, s[28:29]
.LBB166_4039:
	s_or_b64 exec, exec, s[26:27]
	s_or_b64 s[4:5], s[4:5], exec
.LBB166_4040:
	s_or_b64 exec, exec, s[18:19]
	s_mov_b64 s[28:29], 0
	s_mov_b64 s[18:19], 0
	s_and_saveexec_b64 s[26:27], s[4:5]
; %bb.4041:
	v_add_u32_e32 v17, 0x200, v17
	v_cmp_lt_i32_e32 vcc, v17, v8
	s_mov_b64 s[28:29], exec
	s_and_b64 s[18:19], vcc, exec
; %bb.4042:
	s_or_b64 exec, exec, s[26:27]
	s_and_b64 s[26:27], s[18:19], exec
	s_andn2_b64 s[4:5], s[14:15], exec
	s_and_b64 s[18:19], s[22:23], exec
	s_or_b64 s[18:19], s[4:5], s[18:19]
	s_orn2_b64 s[22:23], s[28:29], exec
.LBB166_4043:
	s_or_b64 exec, exec, s[20:21]
	s_mov_b64 s[4:5], 0
	s_mov_b64 s[42:43], 0
                                        ; implicit-def: $vgpr4
                                        ; implicit-def: $vgpr112
                                        ; implicit-def: $vgpr6_vgpr7
	s_and_saveexec_b64 s[20:21], s[22:23]
	s_cbranch_execz .LBB166_7765
; %bb.4044:
	s_mov_b64 s[42:43], -1
	s_mov_b64 s[28:29], 0
	s_mov_b64 s[22:23], s[18:19]
	s_and_saveexec_b64 s[24:25], s[26:27]
	s_cbranch_execz .LBB166_4172
; %bb.4045:
	v_readlane_b32 s4, v41, 2
	v_add_u32_e32 v4, s4, v17
	v_mul_lo_u32 v4, v4, v14
	v_mov_b32_e32 v7, 10
	v_cmp_gt_i16_sdwa s[22:23], v13, v7 src0_sel:BYTE_0 src1_sel:DWORD
	s_mov_b64 s[4:5], 0
	v_add_co_u32_e32 v4, vcc, v2, v4
	v_addc_co_u32_e32 v5, vcc, 0, v3, vcc
	s_waitcnt vmcnt(0)
	v_cmp_nle_f32_e32 vcc, v101, v0
	v_cndmask_b32_e32 v6, v1, v100, vcc
	s_mov_b64 s[26:27], s[18:19]
	s_and_saveexec_b64 s[40:41], s[22:23]
	s_xor_b64 s[22:23], exec, s[40:41]
	s_cbranch_execz .LBB166_4127
; %bb.4046:
	v_mov_b32_e32 v7, 25
	v_cmp_gt_i16_sdwa s[40:41], v13, v7 src0_sel:BYTE_0 src1_sel:DWORD
	s_mov_b64 s[26:27], s[18:19]
	s_and_saveexec_b64 s[42:43], s[40:41]
	s_xor_b64 s[40:41], exec, s[42:43]
	s_cbranch_execz .LBB166_4082
; %bb.4047:
	v_mov_b32_e32 v7, 28
	v_cmp_gt_i16_sdwa s[26:27], v13, v7 src0_sel:BYTE_0 src1_sel:DWORD
	;; [unrolled: 7-line block ×4, first 2 shown]
	s_mov_b64 s[44:45], 0
	s_mov_b64 s[46:47], s[18:19]
	s_and_saveexec_b64 s[56:57], s[4:5]
	s_xor_b64 s[4:5], exec, s[56:57]
	s_cbranch_execz .LBB166_4053
; %bb.4050:
	v_mov_b32_e32 v7, 46
	v_cmp_eq_u16_sdwa s[58:59], v13, v7 src0_sel:BYTE_0 src1_sel:DWORD
	s_mov_b64 s[56:57], -1
	s_and_saveexec_b64 s[46:47], s[58:59]
	s_cbranch_execz .LBB166_4052
; %bb.4051:
	v_bfe_u32 v7, v6, 16, 1
	s_movk_i32 s56, 0x7fff
	v_add3_u32 v7, v6, v7, s56
	v_cmp_o_f32_e32 vcc, v6, v6
	v_mov_b32_e32 v6, 0x7fc0
	v_cndmask_b32_sdwa v6, v6, v7, vcc dst_sel:DWORD dst_unused:UNUSED_PAD src0_sel:DWORD src1_sel:WORD_1
	s_mov_b64 s[44:45], exec
	flat_store_dword v[4:5], v6
	s_xor_b64 s[56:57], exec, -1
.LBB166_4052:
	s_or_b64 exec, exec, s[46:47]
	s_andn2_b64 s[46:47], s[18:19], exec
	s_and_b64 s[56:57], s[56:57], exec
	s_or_b64 s[46:47], s[46:47], s[56:57]
	s_and_b64 s[44:45], s[44:45], exec
                                        ; implicit-def: $vgpr4_vgpr5
                                        ; implicit-def: $vgpr6
.LBB166_4053:
	s_andn2_saveexec_b64 s[56:57], s[4:5]
	s_cbranch_execz .LBB166_4059
; %bb.4054:
	v_mov_b32_e32 v7, 44
	v_cmp_eq_u16_sdwa s[62:63], v13, v7 src0_sel:BYTE_0 src1_sel:DWORD
	s_mov_b64 s[60:61], -1
	s_mov_b64 s[4:5], s[44:45]
	s_and_saveexec_b64 s[58:59], s[62:63]
	s_cbranch_execz .LBB166_4058
; %bb.4055:
	v_bfe_u32 v7, v6, 23, 8
	s_movk_i32 s4, 0xff
	v_cmp_ne_u32_e32 vcc, s4, v7
	v_mov_b32_e32 v100, 0xff
	s_and_saveexec_b64 s[60:61], vcc
; %bb.4056:
	s_mov_b32 s4, 0x3fffff
	v_lshrrev_b32_e32 v100, 23, v6
	v_and_b32_e32 v101, 0x400000, v6
	v_and_or_b32 v6, v6, s4, v7
	v_cmp_ne_u32_e32 vcc, 0, v101
	v_cmp_ne_u32_e64 s[4:5], 0, v6
	s_and_b64 s[4:5], vcc, s[4:5]
	v_cndmask_b32_e64 v6, 0, 1, s[4:5]
	v_add_u32_e32 v100, v100, v6
; %bb.4057:
	s_or_b64 exec, exec, s[60:61]
	s_xor_b64 s[60:61], exec, -1
	s_or_b64 s[4:5], s[44:45], exec
	flat_store_byte v[4:5], v100
.LBB166_4058:
	s_or_b64 exec, exec, s[58:59]
	s_andn2_b64 s[46:47], s[46:47], exec
	s_and_b64 s[58:59], s[60:61], exec
	s_andn2_b64 s[44:45], s[44:45], exec
	s_and_b64 s[4:5], s[4:5], exec
	s_or_b64 s[46:47], s[46:47], s[58:59]
	s_or_b64 s[44:45], s[44:45], s[4:5]
.LBB166_4059:
	s_or_b64 exec, exec, s[56:57]
	s_andn2_b64 s[4:5], s[18:19], exec
	s_and_b64 s[46:47], s[46:47], exec
	s_or_b64 s[46:47], s[4:5], s[46:47]
	s_and_b64 s[4:5], s[44:45], exec
                                        ; implicit-def: $vgpr6
                                        ; implicit-def: $vgpr4_vgpr5
.LBB166_4060:
	s_andn2_saveexec_b64 s[42:43], s[42:43]
	s_cbranch_execz .LBB166_4064
; %bb.4061:
	v_mov_b32_e32 v7, 29
	v_cmp_eq_u16_sdwa s[60:61], v13, v7 src0_sel:BYTE_0 src1_sel:DWORD
	s_mov_b64 s[58:59], -1
	s_mov_b64 s[56:57], s[4:5]
	s_and_saveexec_b64 s[44:45], s[60:61]
	s_cbranch_execz .LBB166_4063
; %bb.4062:
	v_trunc_f32_e32 v6, v6
	v_mul_f32_e32 v7, 0x2f800000, v6
	v_floor_f32_e32 v100, v7
	v_fmac_f32_e32 v6, 0xcf800000, v100
	v_cvt_u32_f32_e32 v7, v100
	v_cvt_u32_f32_e32 v6, v6
	s_xor_b64 s[58:59], exec, -1
	s_or_b64 s[56:57], s[4:5], exec
	flat_store_dwordx2 v[4:5], v[6:7]
.LBB166_4063:
	s_or_b64 exec, exec, s[44:45]
	s_andn2_b64 s[44:45], s[46:47], exec
	s_and_b64 s[46:47], s[58:59], exec
	s_or_b64 s[46:47], s[44:45], s[46:47]
	s_andn2_b64 s[4:5], s[4:5], exec
	s_and_b64 s[44:45], s[56:57], exec
	s_or_b64 s[4:5], s[4:5], s[44:45]
.LBB166_4064:
	s_or_b64 exec, exec, s[42:43]
	s_andn2_b64 s[42:43], s[18:19], exec
	s_and_b64 s[44:45], s[46:47], exec
	s_or_b64 s[42:43], s[42:43], s[44:45]
	s_and_b64 s[4:5], s[4:5], exec
                                        ; implicit-def: $vgpr4_vgpr5
                                        ; implicit-def: $vgpr6
.LBB166_4065:
	s_andn2_saveexec_b64 s[26:27], s[26:27]
	s_cbranch_execz .LBB166_4081
; %bb.4066:
	v_mov_b32_e32 v7, 26
	v_cmp_gt_i16_sdwa s[44:45], v13, v7 src0_sel:BYTE_0 src1_sel:DWORD
	s_and_saveexec_b64 s[46:47], s[44:45]
	s_xor_b64 s[44:45], exec, s[46:47]
	s_cbranch_execz .LBB166_4072
; %bb.4067:
	v_cvt_u32_f32_e32 v6, v6
	v_mov_b32_e32 v7, 27
	v_cmp_gt_i16_sdwa s[46:47], v13, v7 src0_sel:BYTE_0 src1_sel:DWORD
	s_and_saveexec_b64 s[56:57], s[46:47]
	s_xor_b64 s[46:47], exec, s[56:57]
	s_cbranch_execz .LBB166_4069
; %bb.4068:
	flat_store_dword v[4:5], v6
                                        ; implicit-def: $vgpr4_vgpr5
                                        ; implicit-def: $vgpr6
.LBB166_4069:
	s_andn2_saveexec_b64 s[46:47], s[46:47]
	s_cbranch_execz .LBB166_4071
; %bb.4070:
	flat_store_short v[4:5], v6
.LBB166_4071:
	s_or_b64 exec, exec, s[46:47]
                                        ; implicit-def: $vgpr4_vgpr5
                                        ; implicit-def: $vgpr6
.LBB166_4072:
	s_andn2_saveexec_b64 s[44:45], s[44:45]
	s_cbranch_execz .LBB166_4080
; %bb.4073:
	v_and_b32_e32 v7, 0x7fffffff, v6
	s_mov_b32 s46, 0x43800000
	v_cmp_gt_u32_e32 vcc, s46, v7
	v_mov_b32_e32 v100, 0x80
	s_and_saveexec_b64 s[46:47], vcc
	s_cbranch_execz .LBB166_4079
; %bb.4074:
	s_mov_b32 s56, 0x3bffffff
	v_cmp_lt_u32_e32 vcc, s56, v7
	s_mov_b64 s[56:57], 0
                                        ; implicit-def: $vgpr7
	s_and_saveexec_b64 s[58:59], vcc
	s_xor_b64 s[58:59], exec, s[58:59]
	s_cbranch_execnz .LBB166_7827
; %bb.4075:
	s_andn2_saveexec_b64 s[58:59], s[58:59]
	s_cbranch_execnz .LBB166_7828
.LBB166_4076:
	s_or_b64 exec, exec, s[58:59]
	v_mov_b32_e32 v100, 0
	s_and_saveexec_b64 s[58:59], s[56:57]
.LBB166_4077:
	v_lshrrev_b32_e32 v6, 24, v6
	s_movk_i32 s56, 0x80
	v_and_or_b32 v100, v6, s56, v7
.LBB166_4078:
	s_or_b64 exec, exec, s[58:59]
.LBB166_4079:
	s_or_b64 exec, exec, s[46:47]
	flat_store_byte v[4:5], v100
.LBB166_4080:
	s_or_b64 exec, exec, s[44:45]
	s_or_b64 s[4:5], s[4:5], exec
.LBB166_4081:
	s_or_b64 exec, exec, s[26:27]
	s_andn2_b64 s[26:27], s[18:19], exec
	s_and_b64 s[42:43], s[42:43], exec
	s_or_b64 s[26:27], s[26:27], s[42:43]
	s_and_b64 s[4:5], s[4:5], exec
                                        ; implicit-def: $vgpr6
                                        ; implicit-def: $vgpr4_vgpr5
.LBB166_4082:
	s_andn2_saveexec_b64 s[40:41], s[40:41]
	s_cbranch_execz .LBB166_4126
; %bb.4083:
	v_mov_b32_e32 v7, 22
	v_cmp_gt_i16_sdwa s[42:43], v13, v7 src0_sel:BYTE_0 src1_sel:DWORD
	s_mov_b64 s[44:45], s[4:5]
	s_and_saveexec_b64 s[46:47], s[42:43]
	s_xor_b64 s[42:43], exec, s[46:47]
	s_cbranch_execz .LBB166_4115
; %bb.4084:
	v_mov_b32_e32 v7, 23
	v_cmp_gt_i16_sdwa s[44:45], v13, v7 src0_sel:BYTE_0 src1_sel:DWORD
	s_and_saveexec_b64 s[46:47], s[44:45]
	s_xor_b64 s[44:45], exec, s[46:47]
	s_cbranch_execz .LBB166_4104
; %bb.4085:
	v_mov_b32_e32 v7, 24
	v_cmp_gt_i16_sdwa s[46:47], v13, v7 src0_sel:BYTE_0 src1_sel:DWORD
	s_and_saveexec_b64 s[56:57], s[46:47]
	s_xor_b64 s[46:47], exec, s[56:57]
	s_cbranch_execz .LBB166_4093
; %bb.4086:
	v_and_b32_e32 v7, 0x7fffffff, v6
	s_mov_b32 s56, 0x47800000
	v_cmp_gt_u32_e32 vcc, s56, v7
	v_mov_b32_e32 v100, 0x80
	s_and_saveexec_b64 s[56:57], vcc
	s_cbranch_execz .LBB166_4092
; %bb.4087:
	s_mov_b32 s58, 0x37ffffff
	v_cmp_lt_u32_e32 vcc, s58, v7
	s_mov_b64 s[58:59], 0
                                        ; implicit-def: $vgpr7
	s_and_saveexec_b64 s[60:61], vcc
	s_xor_b64 s[60:61], exec, s[60:61]
	s_cbranch_execnz .LBB166_7829
; %bb.4088:
	s_andn2_saveexec_b64 s[60:61], s[60:61]
	s_cbranch_execnz .LBB166_7830
.LBB166_4089:
	s_or_b64 exec, exec, s[60:61]
	v_mov_b32_e32 v100, 0
	s_and_saveexec_b64 s[60:61], s[58:59]
.LBB166_4090:
	v_lshrrev_b32_e32 v6, 24, v6
	s_movk_i32 s58, 0x80
	v_and_or_b32 v100, v6, s58, v7
.LBB166_4091:
	s_or_b64 exec, exec, s[60:61]
.LBB166_4092:
	s_or_b64 exec, exec, s[56:57]
	flat_store_byte v[4:5], v100
                                        ; implicit-def: $vgpr6
                                        ; implicit-def: $vgpr4_vgpr5
.LBB166_4093:
	s_andn2_saveexec_b64 s[46:47], s[46:47]
	s_cbranch_execz .LBB166_4103
; %bb.4094:
	v_and_b32_e32 v100, 0x7fffffff, v6
	s_mov_b32 s56, 0x43f00000
	v_cmp_gt_u32_e32 vcc, s56, v100
                                        ; implicit-def: $vgpr7
	s_and_saveexec_b64 s[56:57], vcc
	s_xor_b64 s[56:57], exec, s[56:57]
	s_cbranch_execz .LBB166_4100
; %bb.4095:
	s_mov_b32 s58, 0x3c7fffff
	v_cmp_lt_u32_e32 vcc, s58, v100
                                        ; implicit-def: $vgpr7
	s_and_saveexec_b64 s[58:59], vcc
	s_xor_b64 s[58:59], exec, s[58:59]
; %bb.4096:
	v_bfe_u32 v7, v6, 20, 1
	s_mov_b32 s60, 0x407ffff
	v_add3_u32 v7, v6, v7, s60
	v_lshrrev_b32_e32 v100, 20, v7
	v_and_b32_e32 v7, 0xff00000, v7
	s_mov_b32 s60, 0x7f00000
	v_mov_b32_e32 v101, 0x7e
	v_cmp_ne_u32_e32 vcc, s60, v7
	v_cndmask_b32_e32 v7, v101, v100, vcc
; %bb.4097:
	s_andn2_saveexec_b64 s[58:59], s[58:59]
; %bb.4098:
	s_mov_b32 s60, 0x46800000
	v_add_f32_e64 v7, |v6|, s60
; %bb.4099:
	s_or_b64 exec, exec, s[58:59]
                                        ; implicit-def: $vgpr100
.LBB166_4100:
	s_andn2_saveexec_b64 s[56:57], s[56:57]
; %bb.4101:
	s_mov_b32 s58, 0x7f800000
	v_mov_b32_e32 v7, 0x7e
	v_mov_b32_e32 v101, 0x7f
	v_cmp_lt_u32_e32 vcc, s58, v100
	v_cndmask_b32_e32 v7, v7, v101, vcc
; %bb.4102:
	s_or_b64 exec, exec, s[56:57]
	v_lshrrev_b32_e32 v6, 24, v6
	s_movk_i32 s56, 0x80
	v_and_or_b32 v6, v6, s56, v7
	flat_store_byte v[4:5], v6
.LBB166_4103:
	s_or_b64 exec, exec, s[46:47]
                                        ; implicit-def: $vgpr6
                                        ; implicit-def: $vgpr4_vgpr5
.LBB166_4104:
	s_andn2_saveexec_b64 s[44:45], s[44:45]
	s_cbranch_execz .LBB166_4114
; %bb.4105:
	v_and_b32_e32 v100, 0x7fffffff, v6
	s_mov_b32 s46, 0x47800000
	v_cmp_gt_u32_e32 vcc, s46, v100
                                        ; implicit-def: $vgpr7
	s_and_saveexec_b64 s[46:47], vcc
	s_xor_b64 s[46:47], exec, s[46:47]
	s_cbranch_execz .LBB166_4111
; %bb.4106:
	s_mov_b32 s56, 0x387fffff
	v_cmp_lt_u32_e32 vcc, s56, v100
                                        ; implicit-def: $vgpr7
	s_and_saveexec_b64 s[56:57], vcc
	s_xor_b64 s[56:57], exec, s[56:57]
; %bb.4107:
	v_bfe_u32 v7, v6, 21, 1
	s_mov_b32 s58, 0x80fffff
	v_add3_u32 v7, v6, v7, s58
	v_lshrrev_b32_e32 v7, 21, v7
; %bb.4108:
	s_andn2_saveexec_b64 s[56:57], s[56:57]
; %bb.4109:
	s_mov_b32 s58, 0x43000000
	v_add_f32_e64 v7, |v6|, s58
; %bb.4110:
	s_or_b64 exec, exec, s[56:57]
                                        ; implicit-def: $vgpr100
.LBB166_4111:
	s_andn2_saveexec_b64 s[46:47], s[46:47]
; %bb.4112:
	s_mov_b32 s56, 0x7f800000
	v_mov_b32_e32 v7, 0x7c
	v_mov_b32_e32 v101, 0x7f
	v_cmp_lt_u32_e32 vcc, s56, v100
	v_cndmask_b32_e32 v7, v7, v101, vcc
; %bb.4113:
	s_or_b64 exec, exec, s[46:47]
	v_lshrrev_b32_e32 v6, 24, v6
	s_movk_i32 s46, 0x80
	v_and_or_b32 v6, v6, s46, v7
	flat_store_byte v[4:5], v6
.LBB166_4114:
	s_or_b64 exec, exec, s[44:45]
	s_or_b64 s[44:45], s[4:5], exec
                                        ; implicit-def: $vgpr6
                                        ; implicit-def: $vgpr4_vgpr5
.LBB166_4115:
	s_or_saveexec_b64 s[42:43], s[42:43]
	s_mov_b64 s[56:57], s[26:27]
	s_xor_b64 exec, exec, s[42:43]
	s_cbranch_execz .LBB166_4125
; %bb.4116:
	v_mov_b32_e32 v7, 14
	v_cmp_gt_i16_sdwa s[58:59], v13, v7 src0_sel:BYTE_0 src1_sel:DWORD
	s_mov_b64 s[46:47], s[44:45]
	s_mov_b64 s[56:57], s[26:27]
	s_and_saveexec_b64 s[60:61], s[58:59]
	s_xor_b64 s[58:59], exec, s[60:61]
	s_cbranch_execz .LBB166_4120
; %bb.4117:
	v_mov_b32_e32 v7, 15
	v_cmp_eq_u16_sdwa s[62:63], v13, v7 src0_sel:BYTE_0 src1_sel:DWORD
	s_mov_b64 s[56:57], -1
	s_mov_b64 s[60:61], s[44:45]
	s_and_saveexec_b64 s[46:47], s[62:63]
	s_cbranch_execz .LBB166_4119
; %bb.4118:
	v_bfe_u32 v7, v6, 16, 1
	s_movk_i32 s56, 0x7fff
	v_add3_u32 v7, v6, v7, s56
	v_cmp_o_f32_e32 vcc, v6, v6
	v_mov_b32_e32 v6, 0x7fc0
	v_cndmask_b32_sdwa v6, v6, v7, vcc dst_sel:DWORD dst_unused:UNUSED_PAD src0_sel:DWORD src1_sel:WORD_1
	flat_store_short v[4:5], v6
	s_xor_b64 s[56:57], exec, -1
	s_or_b64 s[60:61], s[44:45], exec
.LBB166_4119:
	s_or_b64 exec, exec, s[46:47]
	s_andn2_b64 s[46:47], s[26:27], exec
	s_and_b64 s[56:57], s[56:57], exec
	s_or_b64 s[56:57], s[46:47], s[56:57]
	s_andn2_b64 s[46:47], s[44:45], exec
	s_and_b64 s[60:61], s[60:61], exec
	s_or_b64 s[46:47], s[46:47], s[60:61]
                                        ; implicit-def: $vgpr6
                                        ; implicit-def: $vgpr4_vgpr5
.LBB166_4120:
	s_andn2_saveexec_b64 s[58:59], s[58:59]
	s_cbranch_execz .LBB166_4124
; %bb.4121:
	v_mov_b32_e32 v7, 11
	v_cmp_eq_u16_sdwa s[74:75], v13, v7 src0_sel:BYTE_0 src1_sel:DWORD
	s_mov_b64 s[62:63], -1
	s_mov_b64 s[60:61], s[46:47]
	s_and_saveexec_b64 s[72:73], s[74:75]
	s_cbranch_execz .LBB166_4123
; %bb.4122:
	v_cmp_neq_f32_e32 vcc, 0, v6
	v_cndmask_b32_e64 v6, 0, 1, vcc
	flat_store_byte v[4:5], v6
	s_xor_b64 s[62:63], exec, -1
	s_or_b64 s[60:61], s[46:47], exec
.LBB166_4123:
	s_or_b64 exec, exec, s[72:73]
	s_andn2_b64 s[56:57], s[56:57], exec
	s_and_b64 s[62:63], s[62:63], exec
	s_andn2_b64 s[46:47], s[46:47], exec
	s_and_b64 s[60:61], s[60:61], exec
	s_or_b64 s[56:57], s[56:57], s[62:63]
	s_or_b64 s[46:47], s[46:47], s[60:61]
.LBB166_4124:
	s_or_b64 exec, exec, s[58:59]
	s_andn2_b64 s[58:59], s[26:27], exec
	s_and_b64 s[56:57], s[56:57], exec
	s_andn2_b64 s[44:45], s[44:45], exec
	s_and_b64 s[46:47], s[46:47], exec
	s_or_b64 s[56:57], s[58:59], s[56:57]
	s_or_b64 s[44:45], s[44:45], s[46:47]
.LBB166_4125:
	s_or_b64 exec, exec, s[42:43]
	s_andn2_b64 s[26:27], s[26:27], exec
	s_and_b64 s[42:43], s[56:57], exec
	s_or_b64 s[26:27], s[26:27], s[42:43]
	s_andn2_b64 s[4:5], s[4:5], exec
	s_and_b64 s[42:43], s[44:45], exec
	s_or_b64 s[4:5], s[4:5], s[42:43]
.LBB166_4126:
	s_or_b64 exec, exec, s[40:41]
	s_andn2_b64 s[40:41], s[18:19], exec
	s_and_b64 s[26:27], s[26:27], exec
	s_or_b64 s[26:27], s[40:41], s[26:27]
	s_and_b64 s[4:5], s[4:5], exec
                                        ; implicit-def: $vgpr6
                                        ; implicit-def: $vgpr4_vgpr5
.LBB166_4127:
	s_andn2_saveexec_b64 s[22:23], s[22:23]
	s_cbranch_execz .LBB166_4169
; %bb.4128:
	v_mov_b32_e32 v7, 4
	v_cmp_gt_i16_sdwa s[40:41], v13, v7 src0_sel:BYTE_0 src1_sel:DWORD
	s_and_saveexec_b64 s[42:43], s[40:41]
	s_xor_b64 s[40:41], exec, s[42:43]
	s_cbranch_execz .LBB166_4150
; %bb.4129:
	v_mov_b32_e32 v7, 7
	v_cmp_gt_i16_sdwa s[42:43], v13, v7 src0_sel:BYTE_0 src1_sel:DWORD
	s_and_saveexec_b64 s[44:45], s[42:43]
	s_xor_b64 s[42:43], exec, s[44:45]
	s_cbranch_execz .LBB166_4139
; %bb.4130:
	v_mov_b32_e32 v7, 8
	v_cmp_gt_i16_sdwa s[44:45], v13, v7 src0_sel:BYTE_0 src1_sel:DWORD
	s_and_saveexec_b64 s[46:47], s[44:45]
	s_xor_b64 s[44:45], exec, s[46:47]
	s_cbranch_execz .LBB166_4136
; %bb.4131:
	v_mov_b32_e32 v7, 9
	v_cmp_gt_i16_sdwa s[46:47], v13, v7 src0_sel:BYTE_0 src1_sel:DWORD
	s_and_saveexec_b64 s[56:57], s[46:47]
	s_xor_b64 s[46:47], exec, s[56:57]
	s_cbranch_execz .LBB166_4133
; %bb.4132:
	v_cvt_f64_f32_e32 v[100:101], v6
	v_mov_b32_e32 v102, 0
	v_mov_b32_e32 v103, v102
                                        ; implicit-def: $vgpr6
	flat_store_dwordx4 v[4:5], v[100:103]
                                        ; implicit-def: $vgpr4_vgpr5
.LBB166_4133:
	s_andn2_saveexec_b64 s[46:47], s[46:47]
	s_cbranch_execz .LBB166_4135
; %bb.4134:
	v_mov_b32_e32 v7, 0
	flat_store_dwordx2 v[4:5], v[6:7]
.LBB166_4135:
	s_or_b64 exec, exec, s[46:47]
                                        ; implicit-def: $vgpr6
                                        ; implicit-def: $vgpr4_vgpr5
.LBB166_4136:
	s_andn2_saveexec_b64 s[44:45], s[44:45]
	s_cbranch_execz .LBB166_4138
; %bb.4137:
	v_cvt_f16_f32_e32 v6, v6
	flat_store_dword v[4:5], v6
.LBB166_4138:
	s_or_b64 exec, exec, s[44:45]
                                        ; implicit-def: $vgpr6
                                        ; implicit-def: $vgpr4_vgpr5
.LBB166_4139:
	s_andn2_saveexec_b64 s[42:43], s[42:43]
	s_cbranch_execz .LBB166_4149
; %bb.4140:
	v_mov_b32_e32 v7, 5
	v_cmp_gt_i16_sdwa s[44:45], v13, v7 src0_sel:BYTE_0 src1_sel:DWORD
	s_and_saveexec_b64 s[46:47], s[44:45]
	s_xor_b64 s[44:45], exec, s[46:47]
	s_cbranch_execz .LBB166_4146
; %bb.4141:
	v_mov_b32_e32 v7, 6
	v_cmp_gt_i16_sdwa s[46:47], v13, v7 src0_sel:BYTE_0 src1_sel:DWORD
	s_and_saveexec_b64 s[56:57], s[46:47]
	s_xor_b64 s[46:47], exec, s[56:57]
	s_cbranch_execz .LBB166_4143
; %bb.4142:
	v_cvt_f64_f32_e32 v[6:7], v6
	flat_store_dwordx2 v[4:5], v[6:7]
                                        ; implicit-def: $vgpr4_vgpr5
                                        ; implicit-def: $vgpr6
.LBB166_4143:
	s_andn2_saveexec_b64 s[46:47], s[46:47]
	s_cbranch_execz .LBB166_4145
; %bb.4144:
	flat_store_dword v[4:5], v6
.LBB166_4145:
	s_or_b64 exec, exec, s[46:47]
                                        ; implicit-def: $vgpr6
                                        ; implicit-def: $vgpr4_vgpr5
.LBB166_4146:
	s_andn2_saveexec_b64 s[44:45], s[44:45]
	s_cbranch_execz .LBB166_4148
; %bb.4147:
	v_cvt_f16_f32_e32 v6, v6
	flat_store_short v[4:5], v6
.LBB166_4148:
	s_or_b64 exec, exec, s[44:45]
.LBB166_4149:
	s_or_b64 exec, exec, s[42:43]
                                        ; implicit-def: $vgpr6
                                        ; implicit-def: $vgpr4_vgpr5
.LBB166_4150:
	s_andn2_saveexec_b64 s[40:41], s[40:41]
	s_cbranch_execz .LBB166_4168
; %bb.4151:
	v_mov_b32_e32 v7, 1
	v_cmp_gt_i16_sdwa s[42:43], v13, v7 src0_sel:BYTE_0 src1_sel:DWORD
	s_and_saveexec_b64 s[44:45], s[42:43]
	s_xor_b64 s[42:43], exec, s[44:45]
	s_cbranch_execz .LBB166_4161
; %bb.4152:
	v_mov_b32_e32 v7, 2
	v_cmp_gt_i16_sdwa s[44:45], v13, v7 src0_sel:BYTE_0 src1_sel:DWORD
	s_and_saveexec_b64 s[46:47], s[44:45]
	s_xor_b64 s[44:45], exec, s[46:47]
	;; [unrolled: 6-line block ×3, first 2 shown]
	s_cbranch_execz .LBB166_4155
; %bb.4154:
	v_trunc_f32_e32 v6, v6
	s_mov_b32 s56, 0x2f800000
	v_mul_f32_e64 v7, |v6|, s56
	v_floor_f32_e32 v7, v7
	s_mov_b32 s56, 0xcf800000
	v_cvt_u32_f32_e32 v100, v7
	v_fma_f32 v7, v7, s56, |v6|
	v_cvt_u32_f32_e32 v7, v7
	v_ashrrev_i32_e32 v101, 31, v6
	v_xor_b32_e32 v100, v100, v101
	v_xor_b32_e32 v6, v7, v101
	v_sub_co_u32_e32 v6, vcc, v6, v101
	v_subb_co_u32_e32 v7, vcc, v100, v101, vcc
	flat_store_dwordx2 v[4:5], v[6:7]
                                        ; implicit-def: $vgpr6
                                        ; implicit-def: $vgpr4_vgpr5
.LBB166_4155:
	s_andn2_saveexec_b64 s[46:47], s[46:47]
	s_cbranch_execz .LBB166_4157
; %bb.4156:
	v_cvt_i32_f32_e32 v6, v6
	flat_store_dword v[4:5], v6
.LBB166_4157:
	s_or_b64 exec, exec, s[46:47]
                                        ; implicit-def: $vgpr6
                                        ; implicit-def: $vgpr4_vgpr5
.LBB166_4158:
	s_andn2_saveexec_b64 s[44:45], s[44:45]
	s_cbranch_execz .LBB166_4160
; %bb.4159:
	v_cvt_i32_f32_e32 v6, v6
	flat_store_short v[4:5], v6
.LBB166_4160:
	s_or_b64 exec, exec, s[44:45]
                                        ; implicit-def: $vgpr6
                                        ; implicit-def: $vgpr4_vgpr5
.LBB166_4161:
	s_andn2_saveexec_b64 s[42:43], s[42:43]
	s_cbranch_execz .LBB166_4167
; %bb.4162:
	v_mov_b32_e32 v7, 0
	v_cmp_gt_i16_sdwa s[44:45], v13, v7 src0_sel:BYTE_0 src1_sel:DWORD
	s_and_saveexec_b64 s[46:47], s[44:45]
	s_xor_b64 s[44:45], exec, s[46:47]
	s_cbranch_execz .LBB166_4164
; %bb.4163:
	v_cvt_i32_f32_e32 v6, v6
	flat_store_byte v[4:5], v6
                                        ; implicit-def: $vgpr6
                                        ; implicit-def: $vgpr4_vgpr5
.LBB166_4164:
	s_andn2_saveexec_b64 s[44:45], s[44:45]
	s_cbranch_execz .LBB166_4166
; %bb.4165:
	v_trunc_f32_e32 v6, v6
	s_mov_b32 s46, 0x2f800000
	v_mul_f32_e64 v7, |v6|, s46
	v_floor_f32_e32 v7, v7
	s_mov_b32 s46, 0xcf800000
	v_fma_f32 v7, v7, s46, |v6|
	v_cvt_u32_f32_e32 v7, v7
	v_ashrrev_i32_e32 v6, 31, v6
	v_xor_b32_e32 v7, v7, v6
	v_sub_u32_e32 v6, v7, v6
	flat_store_byte v[4:5], v6
.LBB166_4166:
	s_or_b64 exec, exec, s[44:45]
.LBB166_4167:
	s_or_b64 exec, exec, s[42:43]
.LBB166_4168:
	s_or_b64 exec, exec, s[40:41]
	s_or_b64 s[4:5], s[4:5], exec
.LBB166_4169:
	s_or_b64 exec, exec, s[22:23]
	s_mov_b64 s[40:41], 0
	s_mov_b64 s[22:23], 0
	s_and_saveexec_b64 s[42:43], s[4:5]
; %bb.4170:
	v_add_u32_e32 v17, 0x200, v17
	v_cmp_lt_i32_e32 vcc, v17, v8
	s_mov_b64 s[40:41], exec
	s_and_b64 s[22:23], vcc, exec
; %bb.4171:
	s_or_b64 exec, exec, s[42:43]
	s_and_b64 s[4:5], s[22:23], exec
	s_andn2_b64 s[22:23], s[18:19], exec
	s_and_b64 s[26:27], s[26:27], exec
	s_or_b64 s[22:23], s[22:23], s[26:27]
	s_orn2_b64 s[42:43], s[40:41], exec
.LBB166_4172:
	s_or_b64 exec, exec, s[24:25]
	s_mov_b64 s[40:41], 0
	s_mov_b64 s[44:45], 0
                                        ; implicit-def: $vgpr4
                                        ; implicit-def: $vgpr112
                                        ; implicit-def: $vgpr6_vgpr7
	s_and_saveexec_b64 s[24:25], s[42:43]
	s_cbranch_execz .LBB166_7764
; %bb.4173:
	s_mov_b64 s[40:41], -1
	s_mov_b64 s[42:43], 0
	s_mov_b64 s[26:27], s[22:23]
	s_and_saveexec_b64 s[28:29], s[4:5]
	s_cbranch_execz .LBB166_4301
; %bb.4174:
	v_readlane_b32 s4, v41, 2
	v_add_u32_e32 v4, s4, v17
	v_mul_lo_u32 v4, v4, v14
	v_mov_b32_e32 v7, 10
	v_cmp_gt_i16_sdwa s[26:27], v13, v7 src0_sel:BYTE_0 src1_sel:DWORD
	s_mov_b64 s[4:5], 0
	v_add_co_u32_e32 v4, vcc, v2, v4
	v_addc_co_u32_e32 v5, vcc, 0, v3, vcc
	s_waitcnt vmcnt(0)
	v_cmp_nle_f32_e32 vcc, v99, v0
	v_cndmask_b32_e32 v6, v1, v98, vcc
	s_mov_b64 s[40:41], s[22:23]
	s_and_saveexec_b64 s[44:45], s[26:27]
	s_xor_b64 s[26:27], exec, s[44:45]
	s_cbranch_execz .LBB166_4256
; %bb.4175:
	v_mov_b32_e32 v7, 25
	v_cmp_gt_i16_sdwa s[44:45], v13, v7 src0_sel:BYTE_0 src1_sel:DWORD
	s_mov_b64 s[40:41], s[22:23]
	s_and_saveexec_b64 s[46:47], s[44:45]
	s_xor_b64 s[44:45], exec, s[46:47]
	s_cbranch_execz .LBB166_4211
; %bb.4176:
	v_mov_b32_e32 v7, 28
	v_cmp_gt_i16_sdwa s[40:41], v13, v7 src0_sel:BYTE_0 src1_sel:DWORD
	s_mov_b64 s[46:47], s[22:23]
	s_and_saveexec_b64 s[56:57], s[40:41]
	s_xor_b64 s[40:41], exec, s[56:57]
	s_cbranch_execz .LBB166_4194
; %bb.4177:
	v_mov_b32_e32 v7, 43
	v_cmp_gt_i16_sdwa s[46:47], v13, v7 src0_sel:BYTE_0 src1_sel:DWORD
	s_mov_b64 s[58:59], s[22:23]
	s_and_saveexec_b64 s[56:57], s[46:47]
	s_xor_b64 s[46:47], exec, s[56:57]
	s_cbranch_execz .LBB166_4189
; %bb.4178:
	v_mov_b32_e32 v7, 45
	v_cmp_gt_i16_sdwa s[4:5], v13, v7 src0_sel:BYTE_0 src1_sel:DWORD
	s_mov_b64 s[56:57], 0
	s_mov_b64 s[58:59], s[22:23]
	s_and_saveexec_b64 s[60:61], s[4:5]
	s_xor_b64 s[4:5], exec, s[60:61]
	s_cbranch_execz .LBB166_4182
; %bb.4179:
	v_mov_b32_e32 v7, 46
	v_cmp_eq_u16_sdwa s[62:63], v13, v7 src0_sel:BYTE_0 src1_sel:DWORD
	s_mov_b64 s[60:61], -1
	s_and_saveexec_b64 s[58:59], s[62:63]
	s_cbranch_execz .LBB166_4181
; %bb.4180:
	v_bfe_u32 v7, v6, 16, 1
	s_movk_i32 s60, 0x7fff
	v_add3_u32 v7, v6, v7, s60
	v_cmp_o_f32_e32 vcc, v6, v6
	v_mov_b32_e32 v6, 0x7fc0
	v_cndmask_b32_sdwa v6, v6, v7, vcc dst_sel:DWORD dst_unused:UNUSED_PAD src0_sel:DWORD src1_sel:WORD_1
	s_mov_b64 s[56:57], exec
	flat_store_dword v[4:5], v6
	s_xor_b64 s[60:61], exec, -1
.LBB166_4181:
	s_or_b64 exec, exec, s[58:59]
	s_andn2_b64 s[58:59], s[22:23], exec
	s_and_b64 s[60:61], s[60:61], exec
	s_or_b64 s[58:59], s[58:59], s[60:61]
	s_and_b64 s[56:57], s[56:57], exec
                                        ; implicit-def: $vgpr4_vgpr5
                                        ; implicit-def: $vgpr6
.LBB166_4182:
	s_andn2_saveexec_b64 s[60:61], s[4:5]
	s_cbranch_execz .LBB166_4188
; %bb.4183:
	v_mov_b32_e32 v7, 44
	v_cmp_eq_u16_sdwa s[74:75], v13, v7 src0_sel:BYTE_0 src1_sel:DWORD
	s_mov_b64 s[72:73], -1
	s_mov_b64 s[4:5], s[56:57]
	s_and_saveexec_b64 s[62:63], s[74:75]
	s_cbranch_execz .LBB166_4187
; %bb.4184:
	v_bfe_u32 v7, v6, 23, 8
	s_movk_i32 s4, 0xff
	v_cmp_ne_u32_e32 vcc, s4, v7
	v_mov_b32_e32 v98, 0xff
	s_and_saveexec_b64 s[72:73], vcc
; %bb.4185:
	s_mov_b32 s4, 0x3fffff
	v_lshrrev_b32_e32 v98, 23, v6
	v_and_b32_e32 v99, 0x400000, v6
	v_and_or_b32 v6, v6, s4, v7
	v_cmp_ne_u32_e32 vcc, 0, v99
	v_cmp_ne_u32_e64 s[4:5], 0, v6
	s_and_b64 s[4:5], vcc, s[4:5]
	v_cndmask_b32_e64 v6, 0, 1, s[4:5]
	v_add_u32_e32 v98, v98, v6
; %bb.4186:
	s_or_b64 exec, exec, s[72:73]
	s_xor_b64 s[72:73], exec, -1
	s_or_b64 s[4:5], s[56:57], exec
	flat_store_byte v[4:5], v98
.LBB166_4187:
	s_or_b64 exec, exec, s[62:63]
	s_andn2_b64 s[58:59], s[58:59], exec
	s_and_b64 s[62:63], s[72:73], exec
	s_andn2_b64 s[56:57], s[56:57], exec
	s_and_b64 s[4:5], s[4:5], exec
	s_or_b64 s[58:59], s[58:59], s[62:63]
	s_or_b64 s[56:57], s[56:57], s[4:5]
.LBB166_4188:
	s_or_b64 exec, exec, s[60:61]
	s_andn2_b64 s[4:5], s[22:23], exec
	s_and_b64 s[58:59], s[58:59], exec
	s_or_b64 s[58:59], s[4:5], s[58:59]
	s_and_b64 s[4:5], s[56:57], exec
                                        ; implicit-def: $vgpr6
                                        ; implicit-def: $vgpr4_vgpr5
.LBB166_4189:
	s_andn2_saveexec_b64 s[46:47], s[46:47]
	s_cbranch_execz .LBB166_4193
; %bb.4190:
	v_mov_b32_e32 v7, 29
	v_cmp_eq_u16_sdwa s[72:73], v13, v7 src0_sel:BYTE_0 src1_sel:DWORD
	s_mov_b64 s[62:63], -1
	s_mov_b64 s[60:61], s[4:5]
	s_and_saveexec_b64 s[56:57], s[72:73]
	s_cbranch_execz .LBB166_4192
; %bb.4191:
	v_trunc_f32_e32 v6, v6
	v_mul_f32_e32 v7, 0x2f800000, v6
	v_floor_f32_e32 v98, v7
	v_fmac_f32_e32 v6, 0xcf800000, v98
	v_cvt_u32_f32_e32 v7, v98
	v_cvt_u32_f32_e32 v6, v6
	s_xor_b64 s[62:63], exec, -1
	s_or_b64 s[60:61], s[4:5], exec
	flat_store_dwordx2 v[4:5], v[6:7]
.LBB166_4192:
	s_or_b64 exec, exec, s[56:57]
	s_andn2_b64 s[56:57], s[58:59], exec
	s_and_b64 s[58:59], s[62:63], exec
	s_or_b64 s[58:59], s[56:57], s[58:59]
	s_andn2_b64 s[4:5], s[4:5], exec
	s_and_b64 s[56:57], s[60:61], exec
	s_or_b64 s[4:5], s[4:5], s[56:57]
.LBB166_4193:
	s_or_b64 exec, exec, s[46:47]
	s_andn2_b64 s[46:47], s[22:23], exec
	s_and_b64 s[56:57], s[58:59], exec
	s_or_b64 s[46:47], s[46:47], s[56:57]
	s_and_b64 s[4:5], s[4:5], exec
                                        ; implicit-def: $vgpr4_vgpr5
                                        ; implicit-def: $vgpr6
.LBB166_4194:
	s_andn2_saveexec_b64 s[40:41], s[40:41]
	s_cbranch_execz .LBB166_4210
; %bb.4195:
	v_mov_b32_e32 v7, 26
	v_cmp_gt_i16_sdwa s[56:57], v13, v7 src0_sel:BYTE_0 src1_sel:DWORD
	s_and_saveexec_b64 s[58:59], s[56:57]
	s_xor_b64 s[56:57], exec, s[58:59]
	s_cbranch_execz .LBB166_4201
; %bb.4196:
	v_cvt_u32_f32_e32 v6, v6
	v_mov_b32_e32 v7, 27
	v_cmp_gt_i16_sdwa s[58:59], v13, v7 src0_sel:BYTE_0 src1_sel:DWORD
	s_and_saveexec_b64 s[60:61], s[58:59]
	s_xor_b64 s[58:59], exec, s[60:61]
	s_cbranch_execz .LBB166_4198
; %bb.4197:
	flat_store_dword v[4:5], v6
                                        ; implicit-def: $vgpr4_vgpr5
                                        ; implicit-def: $vgpr6
.LBB166_4198:
	s_andn2_saveexec_b64 s[58:59], s[58:59]
	s_cbranch_execz .LBB166_4200
; %bb.4199:
	flat_store_short v[4:5], v6
.LBB166_4200:
	s_or_b64 exec, exec, s[58:59]
                                        ; implicit-def: $vgpr4_vgpr5
                                        ; implicit-def: $vgpr6
.LBB166_4201:
	s_andn2_saveexec_b64 s[56:57], s[56:57]
	s_cbranch_execz .LBB166_4209
; %bb.4202:
	v_and_b32_e32 v7, 0x7fffffff, v6
	s_mov_b32 s58, 0x43800000
	v_cmp_gt_u32_e32 vcc, s58, v7
	v_mov_b32_e32 v98, 0x80
	s_and_saveexec_b64 s[58:59], vcc
	s_cbranch_execz .LBB166_4208
; %bb.4203:
	s_mov_b32 s60, 0x3bffffff
	v_cmp_lt_u32_e32 vcc, s60, v7
	s_mov_b64 s[60:61], 0
                                        ; implicit-def: $vgpr7
	s_and_saveexec_b64 s[62:63], vcc
	s_xor_b64 s[62:63], exec, s[62:63]
	s_cbranch_execnz .LBB166_7831
; %bb.4204:
	s_andn2_saveexec_b64 s[62:63], s[62:63]
	s_cbranch_execnz .LBB166_7832
.LBB166_4205:
	s_or_b64 exec, exec, s[62:63]
	v_mov_b32_e32 v98, 0
	s_and_saveexec_b64 s[62:63], s[60:61]
.LBB166_4206:
	v_lshrrev_b32_e32 v6, 24, v6
	s_movk_i32 s60, 0x80
	v_and_or_b32 v98, v6, s60, v7
.LBB166_4207:
	s_or_b64 exec, exec, s[62:63]
.LBB166_4208:
	s_or_b64 exec, exec, s[58:59]
	flat_store_byte v[4:5], v98
.LBB166_4209:
	s_or_b64 exec, exec, s[56:57]
	s_or_b64 s[4:5], s[4:5], exec
.LBB166_4210:
	s_or_b64 exec, exec, s[40:41]
	s_andn2_b64 s[40:41], s[22:23], exec
	s_and_b64 s[46:47], s[46:47], exec
	s_or_b64 s[40:41], s[40:41], s[46:47]
	s_and_b64 s[4:5], s[4:5], exec
                                        ; implicit-def: $vgpr6
                                        ; implicit-def: $vgpr4_vgpr5
.LBB166_4211:
	s_andn2_saveexec_b64 s[44:45], s[44:45]
	s_cbranch_execz .LBB166_4255
; %bb.4212:
	v_mov_b32_e32 v7, 22
	v_cmp_gt_i16_sdwa s[46:47], v13, v7 src0_sel:BYTE_0 src1_sel:DWORD
	s_mov_b64 s[56:57], s[4:5]
	s_and_saveexec_b64 s[58:59], s[46:47]
	s_xor_b64 s[46:47], exec, s[58:59]
	s_cbranch_execz .LBB166_4244
; %bb.4213:
	v_mov_b32_e32 v7, 23
	v_cmp_gt_i16_sdwa s[56:57], v13, v7 src0_sel:BYTE_0 src1_sel:DWORD
	s_and_saveexec_b64 s[58:59], s[56:57]
	s_xor_b64 s[56:57], exec, s[58:59]
	s_cbranch_execz .LBB166_4233
; %bb.4214:
	v_mov_b32_e32 v7, 24
	v_cmp_gt_i16_sdwa s[58:59], v13, v7 src0_sel:BYTE_0 src1_sel:DWORD
	s_and_saveexec_b64 s[60:61], s[58:59]
	s_xor_b64 s[58:59], exec, s[60:61]
	s_cbranch_execz .LBB166_4222
; %bb.4215:
	v_and_b32_e32 v7, 0x7fffffff, v6
	s_mov_b32 s60, 0x47800000
	v_cmp_gt_u32_e32 vcc, s60, v7
	v_mov_b32_e32 v98, 0x80
	s_and_saveexec_b64 s[60:61], vcc
	s_cbranch_execz .LBB166_4221
; %bb.4216:
	s_mov_b32 s62, 0x37ffffff
	v_cmp_lt_u32_e32 vcc, s62, v7
	s_mov_b64 s[62:63], 0
                                        ; implicit-def: $vgpr7
	s_and_saveexec_b64 s[72:73], vcc
	s_xor_b64 s[72:73], exec, s[72:73]
	s_cbranch_execnz .LBB166_7833
; %bb.4217:
	s_andn2_saveexec_b64 s[72:73], s[72:73]
	s_cbranch_execnz .LBB166_7834
.LBB166_4218:
	s_or_b64 exec, exec, s[72:73]
	v_mov_b32_e32 v98, 0
	s_and_saveexec_b64 s[72:73], s[62:63]
.LBB166_4219:
	v_lshrrev_b32_e32 v6, 24, v6
	s_movk_i32 s62, 0x80
	v_and_or_b32 v98, v6, s62, v7
.LBB166_4220:
	s_or_b64 exec, exec, s[72:73]
.LBB166_4221:
	s_or_b64 exec, exec, s[60:61]
	flat_store_byte v[4:5], v98
                                        ; implicit-def: $vgpr6
                                        ; implicit-def: $vgpr4_vgpr5
.LBB166_4222:
	s_andn2_saveexec_b64 s[58:59], s[58:59]
	s_cbranch_execz .LBB166_4232
; %bb.4223:
	v_and_b32_e32 v98, 0x7fffffff, v6
	s_mov_b32 s60, 0x43f00000
	v_cmp_gt_u32_e32 vcc, s60, v98
                                        ; implicit-def: $vgpr7
	s_and_saveexec_b64 s[60:61], vcc
	s_xor_b64 s[60:61], exec, s[60:61]
	s_cbranch_execz .LBB166_4229
; %bb.4224:
	s_mov_b32 s62, 0x3c7fffff
	v_cmp_lt_u32_e32 vcc, s62, v98
                                        ; implicit-def: $vgpr7
	s_and_saveexec_b64 s[62:63], vcc
	s_xor_b64 s[62:63], exec, s[62:63]
; %bb.4225:
	v_bfe_u32 v7, v6, 20, 1
	s_mov_b32 s72, 0x407ffff
	v_add3_u32 v7, v6, v7, s72
	v_lshrrev_b32_e32 v98, 20, v7
	v_and_b32_e32 v7, 0xff00000, v7
	s_mov_b32 s72, 0x7f00000
	v_mov_b32_e32 v99, 0x7e
	v_cmp_ne_u32_e32 vcc, s72, v7
	v_cndmask_b32_e32 v7, v99, v98, vcc
; %bb.4226:
	s_andn2_saveexec_b64 s[62:63], s[62:63]
; %bb.4227:
	s_mov_b32 s72, 0x46800000
	v_add_f32_e64 v7, |v6|, s72
; %bb.4228:
	s_or_b64 exec, exec, s[62:63]
                                        ; implicit-def: $vgpr98
.LBB166_4229:
	s_andn2_saveexec_b64 s[60:61], s[60:61]
; %bb.4230:
	s_mov_b32 s62, 0x7f800000
	v_mov_b32_e32 v7, 0x7e
	v_mov_b32_e32 v99, 0x7f
	v_cmp_lt_u32_e32 vcc, s62, v98
	v_cndmask_b32_e32 v7, v7, v99, vcc
; %bb.4231:
	s_or_b64 exec, exec, s[60:61]
	v_lshrrev_b32_e32 v6, 24, v6
	s_movk_i32 s60, 0x80
	v_and_or_b32 v6, v6, s60, v7
	flat_store_byte v[4:5], v6
.LBB166_4232:
	s_or_b64 exec, exec, s[58:59]
                                        ; implicit-def: $vgpr6
                                        ; implicit-def: $vgpr4_vgpr5
.LBB166_4233:
	s_andn2_saveexec_b64 s[56:57], s[56:57]
	s_cbranch_execz .LBB166_4243
; %bb.4234:
	v_and_b32_e32 v98, 0x7fffffff, v6
	s_mov_b32 s58, 0x47800000
	v_cmp_gt_u32_e32 vcc, s58, v98
                                        ; implicit-def: $vgpr7
	s_and_saveexec_b64 s[58:59], vcc
	s_xor_b64 s[58:59], exec, s[58:59]
	s_cbranch_execz .LBB166_4240
; %bb.4235:
	s_mov_b32 s60, 0x387fffff
	v_cmp_lt_u32_e32 vcc, s60, v98
                                        ; implicit-def: $vgpr7
	s_and_saveexec_b64 s[60:61], vcc
	s_xor_b64 s[60:61], exec, s[60:61]
; %bb.4236:
	v_bfe_u32 v7, v6, 21, 1
	s_mov_b32 s62, 0x80fffff
	v_add3_u32 v7, v6, v7, s62
	v_lshrrev_b32_e32 v7, 21, v7
; %bb.4237:
	s_andn2_saveexec_b64 s[60:61], s[60:61]
; %bb.4238:
	s_mov_b32 s62, 0x43000000
	v_add_f32_e64 v7, |v6|, s62
; %bb.4239:
	s_or_b64 exec, exec, s[60:61]
                                        ; implicit-def: $vgpr98
.LBB166_4240:
	s_andn2_saveexec_b64 s[58:59], s[58:59]
; %bb.4241:
	s_mov_b32 s60, 0x7f800000
	v_mov_b32_e32 v7, 0x7c
	v_mov_b32_e32 v99, 0x7f
	v_cmp_lt_u32_e32 vcc, s60, v98
	v_cndmask_b32_e32 v7, v7, v99, vcc
; %bb.4242:
	s_or_b64 exec, exec, s[58:59]
	v_lshrrev_b32_e32 v6, 24, v6
	s_movk_i32 s58, 0x80
	v_and_or_b32 v6, v6, s58, v7
	flat_store_byte v[4:5], v6
.LBB166_4243:
	s_or_b64 exec, exec, s[56:57]
	s_or_b64 s[56:57], s[4:5], exec
                                        ; implicit-def: $vgpr6
                                        ; implicit-def: $vgpr4_vgpr5
.LBB166_4244:
	s_or_saveexec_b64 s[46:47], s[46:47]
	s_mov_b64 s[60:61], s[40:41]
	s_xor_b64 exec, exec, s[46:47]
	s_cbranch_execz .LBB166_4254
; %bb.4245:
	v_mov_b32_e32 v7, 14
	v_cmp_gt_i16_sdwa s[62:63], v13, v7 src0_sel:BYTE_0 src1_sel:DWORD
	s_mov_b64 s[58:59], s[56:57]
	s_mov_b64 s[60:61], s[40:41]
	s_and_saveexec_b64 s[72:73], s[62:63]
	s_xor_b64 s[62:63], exec, s[72:73]
	s_cbranch_execz .LBB166_4249
; %bb.4246:
	v_mov_b32_e32 v7, 15
	v_cmp_eq_u16_sdwa s[74:75], v13, v7 src0_sel:BYTE_0 src1_sel:DWORD
	s_mov_b64 s[60:61], -1
	s_mov_b64 s[72:73], s[56:57]
	s_and_saveexec_b64 s[58:59], s[74:75]
	s_cbranch_execz .LBB166_4248
; %bb.4247:
	v_bfe_u32 v7, v6, 16, 1
	s_movk_i32 s60, 0x7fff
	v_add3_u32 v7, v6, v7, s60
	v_cmp_o_f32_e32 vcc, v6, v6
	v_mov_b32_e32 v6, 0x7fc0
	v_cndmask_b32_sdwa v6, v6, v7, vcc dst_sel:DWORD dst_unused:UNUSED_PAD src0_sel:DWORD src1_sel:WORD_1
	flat_store_short v[4:5], v6
	s_xor_b64 s[60:61], exec, -1
	s_or_b64 s[72:73], s[56:57], exec
.LBB166_4248:
	s_or_b64 exec, exec, s[58:59]
	s_andn2_b64 s[58:59], s[40:41], exec
	s_and_b64 s[60:61], s[60:61], exec
	s_or_b64 s[60:61], s[58:59], s[60:61]
	s_andn2_b64 s[58:59], s[56:57], exec
	s_and_b64 s[72:73], s[72:73], exec
	s_or_b64 s[58:59], s[58:59], s[72:73]
                                        ; implicit-def: $vgpr6
                                        ; implicit-def: $vgpr4_vgpr5
.LBB166_4249:
	s_andn2_saveexec_b64 s[62:63], s[62:63]
	s_cbranch_execz .LBB166_4253
; %bb.4250:
	v_mov_b32_e32 v7, 11
	v_cmp_eq_u16_sdwa s[78:79], v13, v7 src0_sel:BYTE_0 src1_sel:DWORD
	s_mov_b64 s[74:75], -1
	s_mov_b64 s[72:73], s[58:59]
	s_and_saveexec_b64 s[76:77], s[78:79]
	s_cbranch_execz .LBB166_4252
; %bb.4251:
	v_cmp_neq_f32_e32 vcc, 0, v6
	v_cndmask_b32_e64 v6, 0, 1, vcc
	flat_store_byte v[4:5], v6
	s_xor_b64 s[74:75], exec, -1
	s_or_b64 s[72:73], s[58:59], exec
.LBB166_4252:
	s_or_b64 exec, exec, s[76:77]
	s_andn2_b64 s[60:61], s[60:61], exec
	s_and_b64 s[74:75], s[74:75], exec
	s_andn2_b64 s[58:59], s[58:59], exec
	s_and_b64 s[72:73], s[72:73], exec
	s_or_b64 s[60:61], s[60:61], s[74:75]
	s_or_b64 s[58:59], s[58:59], s[72:73]
.LBB166_4253:
	s_or_b64 exec, exec, s[62:63]
	s_andn2_b64 s[62:63], s[40:41], exec
	s_and_b64 s[60:61], s[60:61], exec
	s_andn2_b64 s[56:57], s[56:57], exec
	s_and_b64 s[58:59], s[58:59], exec
	s_or_b64 s[60:61], s[62:63], s[60:61]
	s_or_b64 s[56:57], s[56:57], s[58:59]
.LBB166_4254:
	s_or_b64 exec, exec, s[46:47]
	s_andn2_b64 s[40:41], s[40:41], exec
	s_and_b64 s[46:47], s[60:61], exec
	s_or_b64 s[40:41], s[40:41], s[46:47]
	s_andn2_b64 s[4:5], s[4:5], exec
	s_and_b64 s[46:47], s[56:57], exec
	s_or_b64 s[4:5], s[4:5], s[46:47]
.LBB166_4255:
	s_or_b64 exec, exec, s[44:45]
	s_andn2_b64 s[44:45], s[22:23], exec
	s_and_b64 s[40:41], s[40:41], exec
	s_or_b64 s[40:41], s[44:45], s[40:41]
	s_and_b64 s[4:5], s[4:5], exec
                                        ; implicit-def: $vgpr6
                                        ; implicit-def: $vgpr4_vgpr5
.LBB166_4256:
	s_andn2_saveexec_b64 s[26:27], s[26:27]
	s_cbranch_execz .LBB166_4298
; %bb.4257:
	v_mov_b32_e32 v7, 4
	v_cmp_gt_i16_sdwa s[44:45], v13, v7 src0_sel:BYTE_0 src1_sel:DWORD
	s_and_saveexec_b64 s[46:47], s[44:45]
	s_xor_b64 s[44:45], exec, s[46:47]
	s_cbranch_execz .LBB166_4279
; %bb.4258:
	v_mov_b32_e32 v7, 7
	v_cmp_gt_i16_sdwa s[46:47], v13, v7 src0_sel:BYTE_0 src1_sel:DWORD
	s_and_saveexec_b64 s[56:57], s[46:47]
	s_xor_b64 s[46:47], exec, s[56:57]
	;; [unrolled: 6-line block ×4, first 2 shown]
	s_cbranch_execz .LBB166_4262
; %bb.4261:
	v_cvt_f64_f32_e32 v[98:99], v6
	v_mov_b32_e32 v100, 0
	v_mov_b32_e32 v101, v100
                                        ; implicit-def: $vgpr6
	flat_store_dwordx4 v[4:5], v[98:101]
                                        ; implicit-def: $vgpr4_vgpr5
.LBB166_4262:
	s_andn2_saveexec_b64 s[58:59], s[58:59]
	s_cbranch_execz .LBB166_4264
; %bb.4263:
	v_mov_b32_e32 v7, 0
	flat_store_dwordx2 v[4:5], v[6:7]
.LBB166_4264:
	s_or_b64 exec, exec, s[58:59]
                                        ; implicit-def: $vgpr6
                                        ; implicit-def: $vgpr4_vgpr5
.LBB166_4265:
	s_andn2_saveexec_b64 s[56:57], s[56:57]
	s_cbranch_execz .LBB166_4267
; %bb.4266:
	v_cvt_f16_f32_e32 v6, v6
	flat_store_dword v[4:5], v6
.LBB166_4267:
	s_or_b64 exec, exec, s[56:57]
                                        ; implicit-def: $vgpr6
                                        ; implicit-def: $vgpr4_vgpr5
.LBB166_4268:
	s_andn2_saveexec_b64 s[46:47], s[46:47]
	s_cbranch_execz .LBB166_4278
; %bb.4269:
	v_mov_b32_e32 v7, 5
	v_cmp_gt_i16_sdwa s[56:57], v13, v7 src0_sel:BYTE_0 src1_sel:DWORD
	s_and_saveexec_b64 s[58:59], s[56:57]
	s_xor_b64 s[56:57], exec, s[58:59]
	s_cbranch_execz .LBB166_4275
; %bb.4270:
	v_mov_b32_e32 v7, 6
	v_cmp_gt_i16_sdwa s[58:59], v13, v7 src0_sel:BYTE_0 src1_sel:DWORD
	s_and_saveexec_b64 s[60:61], s[58:59]
	s_xor_b64 s[58:59], exec, s[60:61]
	s_cbranch_execz .LBB166_4272
; %bb.4271:
	v_cvt_f64_f32_e32 v[6:7], v6
	flat_store_dwordx2 v[4:5], v[6:7]
                                        ; implicit-def: $vgpr4_vgpr5
                                        ; implicit-def: $vgpr6
.LBB166_4272:
	s_andn2_saveexec_b64 s[58:59], s[58:59]
	s_cbranch_execz .LBB166_4274
; %bb.4273:
	flat_store_dword v[4:5], v6
.LBB166_4274:
	s_or_b64 exec, exec, s[58:59]
                                        ; implicit-def: $vgpr6
                                        ; implicit-def: $vgpr4_vgpr5
.LBB166_4275:
	s_andn2_saveexec_b64 s[56:57], s[56:57]
	s_cbranch_execz .LBB166_4277
; %bb.4276:
	v_cvt_f16_f32_e32 v6, v6
	flat_store_short v[4:5], v6
.LBB166_4277:
	s_or_b64 exec, exec, s[56:57]
.LBB166_4278:
	s_or_b64 exec, exec, s[46:47]
                                        ; implicit-def: $vgpr6
                                        ; implicit-def: $vgpr4_vgpr5
.LBB166_4279:
	s_andn2_saveexec_b64 s[44:45], s[44:45]
	s_cbranch_execz .LBB166_4297
; %bb.4280:
	v_mov_b32_e32 v7, 1
	v_cmp_gt_i16_sdwa s[46:47], v13, v7 src0_sel:BYTE_0 src1_sel:DWORD
	s_and_saveexec_b64 s[56:57], s[46:47]
	s_xor_b64 s[46:47], exec, s[56:57]
	s_cbranch_execz .LBB166_4290
; %bb.4281:
	v_mov_b32_e32 v7, 2
	v_cmp_gt_i16_sdwa s[56:57], v13, v7 src0_sel:BYTE_0 src1_sel:DWORD
	s_and_saveexec_b64 s[58:59], s[56:57]
	s_xor_b64 s[56:57], exec, s[58:59]
	;; [unrolled: 6-line block ×3, first 2 shown]
	s_cbranch_execz .LBB166_4284
; %bb.4283:
	v_trunc_f32_e32 v6, v6
	s_mov_b32 s60, 0x2f800000
	v_mul_f32_e64 v7, |v6|, s60
	v_floor_f32_e32 v7, v7
	s_mov_b32 s60, 0xcf800000
	v_cvt_u32_f32_e32 v98, v7
	v_fma_f32 v7, v7, s60, |v6|
	v_cvt_u32_f32_e32 v7, v7
	v_ashrrev_i32_e32 v99, 31, v6
	v_xor_b32_e32 v98, v98, v99
	v_xor_b32_e32 v6, v7, v99
	v_sub_co_u32_e32 v6, vcc, v6, v99
	v_subb_co_u32_e32 v7, vcc, v98, v99, vcc
	flat_store_dwordx2 v[4:5], v[6:7]
                                        ; implicit-def: $vgpr6
                                        ; implicit-def: $vgpr4_vgpr5
.LBB166_4284:
	s_andn2_saveexec_b64 s[58:59], s[58:59]
	s_cbranch_execz .LBB166_4286
; %bb.4285:
	v_cvt_i32_f32_e32 v6, v6
	flat_store_dword v[4:5], v6
.LBB166_4286:
	s_or_b64 exec, exec, s[58:59]
                                        ; implicit-def: $vgpr6
                                        ; implicit-def: $vgpr4_vgpr5
.LBB166_4287:
	s_andn2_saveexec_b64 s[56:57], s[56:57]
	s_cbranch_execz .LBB166_4289
; %bb.4288:
	v_cvt_i32_f32_e32 v6, v6
	flat_store_short v[4:5], v6
.LBB166_4289:
	s_or_b64 exec, exec, s[56:57]
                                        ; implicit-def: $vgpr6
                                        ; implicit-def: $vgpr4_vgpr5
.LBB166_4290:
	s_andn2_saveexec_b64 s[46:47], s[46:47]
	s_cbranch_execz .LBB166_4296
; %bb.4291:
	v_mov_b32_e32 v7, 0
	v_cmp_gt_i16_sdwa s[56:57], v13, v7 src0_sel:BYTE_0 src1_sel:DWORD
	s_and_saveexec_b64 s[58:59], s[56:57]
	s_xor_b64 s[56:57], exec, s[58:59]
	s_cbranch_execz .LBB166_4293
; %bb.4292:
	v_cvt_i32_f32_e32 v6, v6
	flat_store_byte v[4:5], v6
                                        ; implicit-def: $vgpr6
                                        ; implicit-def: $vgpr4_vgpr5
.LBB166_4293:
	s_andn2_saveexec_b64 s[56:57], s[56:57]
	s_cbranch_execz .LBB166_4295
; %bb.4294:
	v_trunc_f32_e32 v6, v6
	s_mov_b32 s58, 0x2f800000
	v_mul_f32_e64 v7, |v6|, s58
	v_floor_f32_e32 v7, v7
	s_mov_b32 s58, 0xcf800000
	v_fma_f32 v7, v7, s58, |v6|
	v_cvt_u32_f32_e32 v7, v7
	v_ashrrev_i32_e32 v6, 31, v6
	v_xor_b32_e32 v7, v7, v6
	v_sub_u32_e32 v6, v7, v6
	flat_store_byte v[4:5], v6
.LBB166_4295:
	s_or_b64 exec, exec, s[56:57]
.LBB166_4296:
	s_or_b64 exec, exec, s[46:47]
.LBB166_4297:
	s_or_b64 exec, exec, s[44:45]
	s_or_b64 s[4:5], s[4:5], exec
.LBB166_4298:
	s_or_b64 exec, exec, s[26:27]
	s_mov_b64 s[46:47], 0
	s_mov_b64 s[26:27], 0
	s_and_saveexec_b64 s[44:45], s[4:5]
; %bb.4299:
	v_add_u32_e32 v17, 0x200, v17
	v_cmp_lt_i32_e32 vcc, v17, v8
	s_mov_b64 s[46:47], exec
	s_and_b64 s[26:27], vcc, exec
; %bb.4300:
	s_or_b64 exec, exec, s[44:45]
	s_and_b64 s[44:45], s[26:27], exec
	s_andn2_b64 s[4:5], s[22:23], exec
	s_and_b64 s[26:27], s[40:41], exec
	s_or_b64 s[26:27], s[4:5], s[26:27]
	s_orn2_b64 s[40:41], s[46:47], exec
.LBB166_4301:
	s_or_b64 exec, exec, s[28:29]
	s_mov_b64 s[4:5], 0
	s_mov_b64 s[58:59], 0
                                        ; implicit-def: $vgpr4
                                        ; implicit-def: $vgpr112
                                        ; implicit-def: $vgpr6_vgpr7
	s_and_saveexec_b64 s[28:29], s[40:41]
	s_cbranch_execz .LBB166_7763
; %bb.4302:
	s_mov_b64 s[58:59], -1
	s_mov_b64 s[46:47], 0
	s_mov_b64 s[40:41], s[26:27]
	s_and_saveexec_b64 s[42:43], s[44:45]
	s_cbranch_execz .LBB166_4430
; %bb.4303:
	v_readlane_b32 s4, v41, 2
	v_add_u32_e32 v4, s4, v17
	v_mul_lo_u32 v4, v4, v14
	v_mov_b32_e32 v7, 10
	v_cmp_gt_i16_sdwa s[40:41], v13, v7 src0_sel:BYTE_0 src1_sel:DWORD
	s_mov_b64 s[4:5], 0
	v_add_co_u32_e32 v4, vcc, v2, v4
	v_addc_co_u32_e32 v5, vcc, 0, v3, vcc
	s_waitcnt vmcnt(0)
	v_cmp_nle_f32_e32 vcc, v97, v0
	v_cndmask_b32_e32 v6, v1, v96, vcc
	s_mov_b64 s[44:45], s[26:27]
	s_and_saveexec_b64 s[56:57], s[40:41]
	s_xor_b64 s[40:41], exec, s[56:57]
	s_cbranch_execz .LBB166_4385
; %bb.4304:
	v_mov_b32_e32 v7, 25
	v_cmp_gt_i16_sdwa s[56:57], v13, v7 src0_sel:BYTE_0 src1_sel:DWORD
	s_mov_b64 s[44:45], s[26:27]
	s_and_saveexec_b64 s[58:59], s[56:57]
	s_xor_b64 s[56:57], exec, s[58:59]
	s_cbranch_execz .LBB166_4340
; %bb.4305:
	v_mov_b32_e32 v7, 28
	v_cmp_gt_i16_sdwa s[44:45], v13, v7 src0_sel:BYTE_0 src1_sel:DWORD
	;; [unrolled: 7-line block ×4, first 2 shown]
	s_mov_b64 s[60:61], 0
	s_mov_b64 s[62:63], s[26:27]
	s_and_saveexec_b64 s[72:73], s[4:5]
	s_xor_b64 s[4:5], exec, s[72:73]
	s_cbranch_execz .LBB166_4311
; %bb.4308:
	v_mov_b32_e32 v7, 46
	v_cmp_eq_u16_sdwa s[74:75], v13, v7 src0_sel:BYTE_0 src1_sel:DWORD
	s_mov_b64 s[72:73], -1
	s_and_saveexec_b64 s[62:63], s[74:75]
	s_cbranch_execz .LBB166_4310
; %bb.4309:
	v_bfe_u32 v7, v6, 16, 1
	s_movk_i32 s72, 0x7fff
	v_add3_u32 v7, v6, v7, s72
	v_cmp_o_f32_e32 vcc, v6, v6
	v_mov_b32_e32 v6, 0x7fc0
	v_cndmask_b32_sdwa v6, v6, v7, vcc dst_sel:DWORD dst_unused:UNUSED_PAD src0_sel:DWORD src1_sel:WORD_1
	s_mov_b64 s[60:61], exec
	flat_store_dword v[4:5], v6
	s_xor_b64 s[72:73], exec, -1
.LBB166_4310:
	s_or_b64 exec, exec, s[62:63]
	s_andn2_b64 s[62:63], s[26:27], exec
	s_and_b64 s[72:73], s[72:73], exec
	s_or_b64 s[62:63], s[62:63], s[72:73]
	s_and_b64 s[60:61], s[60:61], exec
                                        ; implicit-def: $vgpr4_vgpr5
                                        ; implicit-def: $vgpr6
.LBB166_4311:
	s_andn2_saveexec_b64 s[72:73], s[4:5]
	s_cbranch_execz .LBB166_4317
; %bb.4312:
	v_mov_b32_e32 v7, 44
	v_cmp_eq_u16_sdwa s[78:79], v13, v7 src0_sel:BYTE_0 src1_sel:DWORD
	s_mov_b64 s[76:77], -1
	s_mov_b64 s[4:5], s[60:61]
	s_and_saveexec_b64 s[74:75], s[78:79]
	s_cbranch_execz .LBB166_4316
; %bb.4313:
	v_bfe_u32 v7, v6, 23, 8
	s_movk_i32 s4, 0xff
	v_cmp_ne_u32_e32 vcc, s4, v7
	v_mov_b32_e32 v96, 0xff
	s_and_saveexec_b64 s[76:77], vcc
; %bb.4314:
	s_mov_b32 s4, 0x3fffff
	v_lshrrev_b32_e32 v96, 23, v6
	v_and_b32_e32 v97, 0x400000, v6
	v_and_or_b32 v6, v6, s4, v7
	v_cmp_ne_u32_e32 vcc, 0, v97
	v_cmp_ne_u32_e64 s[4:5], 0, v6
	s_and_b64 s[4:5], vcc, s[4:5]
	v_cndmask_b32_e64 v6, 0, 1, s[4:5]
	v_add_u32_e32 v96, v96, v6
; %bb.4315:
	s_or_b64 exec, exec, s[76:77]
	s_xor_b64 s[76:77], exec, -1
	s_or_b64 s[4:5], s[60:61], exec
	flat_store_byte v[4:5], v96
.LBB166_4316:
	s_or_b64 exec, exec, s[74:75]
	s_andn2_b64 s[62:63], s[62:63], exec
	s_and_b64 s[74:75], s[76:77], exec
	s_andn2_b64 s[60:61], s[60:61], exec
	s_and_b64 s[4:5], s[4:5], exec
	s_or_b64 s[62:63], s[62:63], s[74:75]
	s_or_b64 s[60:61], s[60:61], s[4:5]
.LBB166_4317:
	s_or_b64 exec, exec, s[72:73]
	s_andn2_b64 s[4:5], s[26:27], exec
	s_and_b64 s[62:63], s[62:63], exec
	s_or_b64 s[62:63], s[4:5], s[62:63]
	s_and_b64 s[4:5], s[60:61], exec
                                        ; implicit-def: $vgpr6
                                        ; implicit-def: $vgpr4_vgpr5
.LBB166_4318:
	s_andn2_saveexec_b64 s[58:59], s[58:59]
	s_cbranch_execz .LBB166_4322
; %bb.4319:
	v_mov_b32_e32 v7, 29
	v_cmp_eq_u16_sdwa s[76:77], v13, v7 src0_sel:BYTE_0 src1_sel:DWORD
	s_mov_b64 s[74:75], -1
	s_mov_b64 s[72:73], s[4:5]
	s_and_saveexec_b64 s[60:61], s[76:77]
	s_cbranch_execz .LBB166_4321
; %bb.4320:
	v_trunc_f32_e32 v6, v6
	v_mul_f32_e32 v7, 0x2f800000, v6
	v_floor_f32_e32 v96, v7
	v_fmac_f32_e32 v6, 0xcf800000, v96
	v_cvt_u32_f32_e32 v7, v96
	v_cvt_u32_f32_e32 v6, v6
	s_xor_b64 s[74:75], exec, -1
	s_or_b64 s[72:73], s[4:5], exec
	flat_store_dwordx2 v[4:5], v[6:7]
.LBB166_4321:
	s_or_b64 exec, exec, s[60:61]
	s_andn2_b64 s[60:61], s[62:63], exec
	s_and_b64 s[62:63], s[74:75], exec
	s_or_b64 s[62:63], s[60:61], s[62:63]
	s_andn2_b64 s[4:5], s[4:5], exec
	s_and_b64 s[60:61], s[72:73], exec
	s_or_b64 s[4:5], s[4:5], s[60:61]
.LBB166_4322:
	s_or_b64 exec, exec, s[58:59]
	s_andn2_b64 s[58:59], s[26:27], exec
	s_and_b64 s[60:61], s[62:63], exec
	s_or_b64 s[58:59], s[58:59], s[60:61]
	s_and_b64 s[4:5], s[4:5], exec
                                        ; implicit-def: $vgpr4_vgpr5
                                        ; implicit-def: $vgpr6
.LBB166_4323:
	s_andn2_saveexec_b64 s[44:45], s[44:45]
	s_cbranch_execz .LBB166_4339
; %bb.4324:
	v_mov_b32_e32 v7, 26
	v_cmp_gt_i16_sdwa s[60:61], v13, v7 src0_sel:BYTE_0 src1_sel:DWORD
	s_and_saveexec_b64 s[62:63], s[60:61]
	s_xor_b64 s[60:61], exec, s[62:63]
	s_cbranch_execz .LBB166_4330
; %bb.4325:
	v_cvt_u32_f32_e32 v6, v6
	v_mov_b32_e32 v7, 27
	v_cmp_gt_i16_sdwa s[62:63], v13, v7 src0_sel:BYTE_0 src1_sel:DWORD
	s_and_saveexec_b64 s[72:73], s[62:63]
	s_xor_b64 s[62:63], exec, s[72:73]
	s_cbranch_execz .LBB166_4327
; %bb.4326:
	flat_store_dword v[4:5], v6
                                        ; implicit-def: $vgpr4_vgpr5
                                        ; implicit-def: $vgpr6
.LBB166_4327:
	s_andn2_saveexec_b64 s[62:63], s[62:63]
	s_cbranch_execz .LBB166_4329
; %bb.4328:
	flat_store_short v[4:5], v6
.LBB166_4329:
	s_or_b64 exec, exec, s[62:63]
                                        ; implicit-def: $vgpr4_vgpr5
                                        ; implicit-def: $vgpr6
.LBB166_4330:
	s_andn2_saveexec_b64 s[60:61], s[60:61]
	s_cbranch_execz .LBB166_4338
; %bb.4331:
	v_and_b32_e32 v7, 0x7fffffff, v6
	s_mov_b32 s62, 0x43800000
	v_cmp_gt_u32_e32 vcc, s62, v7
	v_mov_b32_e32 v96, 0x80
	s_and_saveexec_b64 s[62:63], vcc
	s_cbranch_execz .LBB166_4337
; %bb.4332:
	s_mov_b32 s72, 0x3bffffff
	v_cmp_lt_u32_e32 vcc, s72, v7
	s_mov_b64 s[72:73], 0
                                        ; implicit-def: $vgpr7
	s_and_saveexec_b64 s[74:75], vcc
	s_xor_b64 s[74:75], exec, s[74:75]
	s_cbranch_execnz .LBB166_7835
; %bb.4333:
	s_andn2_saveexec_b64 s[74:75], s[74:75]
	s_cbranch_execnz .LBB166_7836
.LBB166_4334:
	s_or_b64 exec, exec, s[74:75]
	v_mov_b32_e32 v96, 0
	s_and_saveexec_b64 s[74:75], s[72:73]
.LBB166_4335:
	v_lshrrev_b32_e32 v6, 24, v6
	s_movk_i32 s72, 0x80
	v_and_or_b32 v96, v6, s72, v7
.LBB166_4336:
	s_or_b64 exec, exec, s[74:75]
.LBB166_4337:
	s_or_b64 exec, exec, s[62:63]
	flat_store_byte v[4:5], v96
.LBB166_4338:
	s_or_b64 exec, exec, s[60:61]
	s_or_b64 s[4:5], s[4:5], exec
.LBB166_4339:
	s_or_b64 exec, exec, s[44:45]
	s_andn2_b64 s[44:45], s[26:27], exec
	s_and_b64 s[58:59], s[58:59], exec
	s_or_b64 s[44:45], s[44:45], s[58:59]
	s_and_b64 s[4:5], s[4:5], exec
                                        ; implicit-def: $vgpr6
                                        ; implicit-def: $vgpr4_vgpr5
.LBB166_4340:
	s_andn2_saveexec_b64 s[56:57], s[56:57]
	s_cbranch_execz .LBB166_4384
; %bb.4341:
	v_mov_b32_e32 v7, 22
	v_cmp_gt_i16_sdwa s[58:59], v13, v7 src0_sel:BYTE_0 src1_sel:DWORD
	s_mov_b64 s[60:61], s[4:5]
	s_and_saveexec_b64 s[62:63], s[58:59]
	s_xor_b64 s[58:59], exec, s[62:63]
	s_cbranch_execz .LBB166_4373
; %bb.4342:
	v_mov_b32_e32 v7, 23
	v_cmp_gt_i16_sdwa s[60:61], v13, v7 src0_sel:BYTE_0 src1_sel:DWORD
	s_and_saveexec_b64 s[62:63], s[60:61]
	s_xor_b64 s[60:61], exec, s[62:63]
	s_cbranch_execz .LBB166_4362
; %bb.4343:
	v_mov_b32_e32 v7, 24
	v_cmp_gt_i16_sdwa s[62:63], v13, v7 src0_sel:BYTE_0 src1_sel:DWORD
	s_and_saveexec_b64 s[72:73], s[62:63]
	s_xor_b64 s[62:63], exec, s[72:73]
	s_cbranch_execz .LBB166_4351
; %bb.4344:
	v_and_b32_e32 v7, 0x7fffffff, v6
	s_mov_b32 s72, 0x47800000
	v_cmp_gt_u32_e32 vcc, s72, v7
	v_mov_b32_e32 v96, 0x80
	s_and_saveexec_b64 s[72:73], vcc
	s_cbranch_execz .LBB166_4350
; %bb.4345:
	s_mov_b32 s74, 0x37ffffff
	v_cmp_lt_u32_e32 vcc, s74, v7
	s_mov_b64 s[74:75], 0
                                        ; implicit-def: $vgpr7
	s_and_saveexec_b64 s[76:77], vcc
	s_xor_b64 s[76:77], exec, s[76:77]
	s_cbranch_execnz .LBB166_7837
; %bb.4346:
	s_andn2_saveexec_b64 s[76:77], s[76:77]
	s_cbranch_execnz .LBB166_7838
.LBB166_4347:
	s_or_b64 exec, exec, s[76:77]
	v_mov_b32_e32 v96, 0
	s_and_saveexec_b64 s[76:77], s[74:75]
.LBB166_4348:
	v_lshrrev_b32_e32 v6, 24, v6
	s_movk_i32 s74, 0x80
	v_and_or_b32 v96, v6, s74, v7
.LBB166_4349:
	s_or_b64 exec, exec, s[76:77]
.LBB166_4350:
	s_or_b64 exec, exec, s[72:73]
	flat_store_byte v[4:5], v96
                                        ; implicit-def: $vgpr6
                                        ; implicit-def: $vgpr4_vgpr5
.LBB166_4351:
	s_andn2_saveexec_b64 s[62:63], s[62:63]
	s_cbranch_execz .LBB166_4361
; %bb.4352:
	v_and_b32_e32 v96, 0x7fffffff, v6
	s_mov_b32 s72, 0x43f00000
	v_cmp_gt_u32_e32 vcc, s72, v96
                                        ; implicit-def: $vgpr7
	s_and_saveexec_b64 s[72:73], vcc
	s_xor_b64 s[72:73], exec, s[72:73]
	s_cbranch_execz .LBB166_4358
; %bb.4353:
	s_mov_b32 s74, 0x3c7fffff
	v_cmp_lt_u32_e32 vcc, s74, v96
                                        ; implicit-def: $vgpr7
	s_and_saveexec_b64 s[74:75], vcc
	s_xor_b64 s[74:75], exec, s[74:75]
; %bb.4354:
	v_bfe_u32 v7, v6, 20, 1
	s_mov_b32 s76, 0x407ffff
	v_add3_u32 v7, v6, v7, s76
	v_lshrrev_b32_e32 v96, 20, v7
	v_and_b32_e32 v7, 0xff00000, v7
	s_mov_b32 s76, 0x7f00000
	v_mov_b32_e32 v97, 0x7e
	v_cmp_ne_u32_e32 vcc, s76, v7
	v_cndmask_b32_e32 v7, v97, v96, vcc
; %bb.4355:
	s_andn2_saveexec_b64 s[74:75], s[74:75]
; %bb.4356:
	s_mov_b32 s76, 0x46800000
	v_add_f32_e64 v7, |v6|, s76
; %bb.4357:
	s_or_b64 exec, exec, s[74:75]
                                        ; implicit-def: $vgpr96
.LBB166_4358:
	s_andn2_saveexec_b64 s[72:73], s[72:73]
; %bb.4359:
	s_mov_b32 s74, 0x7f800000
	v_mov_b32_e32 v7, 0x7e
	v_mov_b32_e32 v97, 0x7f
	v_cmp_lt_u32_e32 vcc, s74, v96
	v_cndmask_b32_e32 v7, v7, v97, vcc
; %bb.4360:
	s_or_b64 exec, exec, s[72:73]
	v_lshrrev_b32_e32 v6, 24, v6
	s_movk_i32 s72, 0x80
	v_and_or_b32 v6, v6, s72, v7
	flat_store_byte v[4:5], v6
.LBB166_4361:
	s_or_b64 exec, exec, s[62:63]
                                        ; implicit-def: $vgpr6
                                        ; implicit-def: $vgpr4_vgpr5
.LBB166_4362:
	s_andn2_saveexec_b64 s[60:61], s[60:61]
	s_cbranch_execz .LBB166_4372
; %bb.4363:
	v_and_b32_e32 v96, 0x7fffffff, v6
	s_mov_b32 s62, 0x47800000
	v_cmp_gt_u32_e32 vcc, s62, v96
                                        ; implicit-def: $vgpr7
	s_and_saveexec_b64 s[62:63], vcc
	s_xor_b64 s[62:63], exec, s[62:63]
	s_cbranch_execz .LBB166_4369
; %bb.4364:
	s_mov_b32 s72, 0x387fffff
	v_cmp_lt_u32_e32 vcc, s72, v96
                                        ; implicit-def: $vgpr7
	s_and_saveexec_b64 s[72:73], vcc
	s_xor_b64 s[72:73], exec, s[72:73]
; %bb.4365:
	v_bfe_u32 v7, v6, 21, 1
	s_mov_b32 s74, 0x80fffff
	v_add3_u32 v7, v6, v7, s74
	v_lshrrev_b32_e32 v7, 21, v7
; %bb.4366:
	s_andn2_saveexec_b64 s[72:73], s[72:73]
; %bb.4367:
	s_mov_b32 s74, 0x43000000
	v_add_f32_e64 v7, |v6|, s74
; %bb.4368:
	s_or_b64 exec, exec, s[72:73]
                                        ; implicit-def: $vgpr96
.LBB166_4369:
	s_andn2_saveexec_b64 s[62:63], s[62:63]
; %bb.4370:
	s_mov_b32 s72, 0x7f800000
	v_mov_b32_e32 v7, 0x7c
	v_mov_b32_e32 v97, 0x7f
	v_cmp_lt_u32_e32 vcc, s72, v96
	v_cndmask_b32_e32 v7, v7, v97, vcc
; %bb.4371:
	s_or_b64 exec, exec, s[62:63]
	v_lshrrev_b32_e32 v6, 24, v6
	s_movk_i32 s62, 0x80
	v_and_or_b32 v6, v6, s62, v7
	flat_store_byte v[4:5], v6
.LBB166_4372:
	s_or_b64 exec, exec, s[60:61]
	s_or_b64 s[60:61], s[4:5], exec
                                        ; implicit-def: $vgpr6
                                        ; implicit-def: $vgpr4_vgpr5
.LBB166_4373:
	s_or_saveexec_b64 s[58:59], s[58:59]
	s_mov_b64 s[72:73], s[44:45]
	s_xor_b64 exec, exec, s[58:59]
	s_cbranch_execz .LBB166_4383
; %bb.4374:
	v_mov_b32_e32 v7, 14
	v_cmp_gt_i16_sdwa s[74:75], v13, v7 src0_sel:BYTE_0 src1_sel:DWORD
	s_mov_b64 s[62:63], s[60:61]
	s_mov_b64 s[72:73], s[44:45]
	s_and_saveexec_b64 s[76:77], s[74:75]
	s_xor_b64 s[74:75], exec, s[76:77]
	s_cbranch_execz .LBB166_4378
; %bb.4375:
	v_mov_b32_e32 v7, 15
	v_cmp_eq_u16_sdwa s[78:79], v13, v7 src0_sel:BYTE_0 src1_sel:DWORD
	s_mov_b64 s[72:73], -1
	s_mov_b64 s[76:77], s[60:61]
	s_and_saveexec_b64 s[62:63], s[78:79]
	s_cbranch_execz .LBB166_4377
; %bb.4376:
	v_bfe_u32 v7, v6, 16, 1
	s_movk_i32 s72, 0x7fff
	v_add3_u32 v7, v6, v7, s72
	v_cmp_o_f32_e32 vcc, v6, v6
	v_mov_b32_e32 v6, 0x7fc0
	v_cndmask_b32_sdwa v6, v6, v7, vcc dst_sel:DWORD dst_unused:UNUSED_PAD src0_sel:DWORD src1_sel:WORD_1
	flat_store_short v[4:5], v6
	s_xor_b64 s[72:73], exec, -1
	s_or_b64 s[76:77], s[60:61], exec
.LBB166_4377:
	s_or_b64 exec, exec, s[62:63]
	s_andn2_b64 s[62:63], s[44:45], exec
	s_and_b64 s[72:73], s[72:73], exec
	s_or_b64 s[72:73], s[62:63], s[72:73]
	s_andn2_b64 s[62:63], s[60:61], exec
	s_and_b64 s[76:77], s[76:77], exec
	s_or_b64 s[62:63], s[62:63], s[76:77]
                                        ; implicit-def: $vgpr6
                                        ; implicit-def: $vgpr4_vgpr5
.LBB166_4378:
	s_andn2_saveexec_b64 s[74:75], s[74:75]
	s_cbranch_execz .LBB166_4382
; %bb.4379:
	v_mov_b32_e32 v7, 11
	v_cmp_eq_u16_sdwa s[90:91], v13, v7 src0_sel:BYTE_0 src1_sel:DWORD
	s_mov_b64 s[78:79], -1
	s_mov_b64 s[76:77], s[62:63]
	s_and_saveexec_b64 s[88:89], s[90:91]
	s_cbranch_execz .LBB166_4381
; %bb.4380:
	v_cmp_neq_f32_e32 vcc, 0, v6
	v_cndmask_b32_e64 v6, 0, 1, vcc
	flat_store_byte v[4:5], v6
	s_xor_b64 s[78:79], exec, -1
	s_or_b64 s[76:77], s[62:63], exec
.LBB166_4381:
	s_or_b64 exec, exec, s[88:89]
	s_andn2_b64 s[72:73], s[72:73], exec
	s_and_b64 s[78:79], s[78:79], exec
	s_andn2_b64 s[62:63], s[62:63], exec
	s_and_b64 s[76:77], s[76:77], exec
	s_or_b64 s[72:73], s[72:73], s[78:79]
	s_or_b64 s[62:63], s[62:63], s[76:77]
.LBB166_4382:
	s_or_b64 exec, exec, s[74:75]
	s_andn2_b64 s[74:75], s[44:45], exec
	s_and_b64 s[72:73], s[72:73], exec
	s_andn2_b64 s[60:61], s[60:61], exec
	s_and_b64 s[62:63], s[62:63], exec
	s_or_b64 s[72:73], s[74:75], s[72:73]
	s_or_b64 s[60:61], s[60:61], s[62:63]
.LBB166_4383:
	s_or_b64 exec, exec, s[58:59]
	s_andn2_b64 s[44:45], s[44:45], exec
	s_and_b64 s[58:59], s[72:73], exec
	s_or_b64 s[44:45], s[44:45], s[58:59]
	s_andn2_b64 s[4:5], s[4:5], exec
	s_and_b64 s[58:59], s[60:61], exec
	s_or_b64 s[4:5], s[4:5], s[58:59]
.LBB166_4384:
	s_or_b64 exec, exec, s[56:57]
	s_andn2_b64 s[56:57], s[26:27], exec
	s_and_b64 s[44:45], s[44:45], exec
	s_or_b64 s[44:45], s[56:57], s[44:45]
	s_and_b64 s[4:5], s[4:5], exec
                                        ; implicit-def: $vgpr6
                                        ; implicit-def: $vgpr4_vgpr5
.LBB166_4385:
	s_andn2_saveexec_b64 s[40:41], s[40:41]
	s_cbranch_execz .LBB166_4427
; %bb.4386:
	v_mov_b32_e32 v7, 4
	v_cmp_gt_i16_sdwa s[56:57], v13, v7 src0_sel:BYTE_0 src1_sel:DWORD
	s_and_saveexec_b64 s[58:59], s[56:57]
	s_xor_b64 s[56:57], exec, s[58:59]
	s_cbranch_execz .LBB166_4408
; %bb.4387:
	v_mov_b32_e32 v7, 7
	v_cmp_gt_i16_sdwa s[58:59], v13, v7 src0_sel:BYTE_0 src1_sel:DWORD
	s_and_saveexec_b64 s[60:61], s[58:59]
	s_xor_b64 s[58:59], exec, s[60:61]
	;; [unrolled: 6-line block ×4, first 2 shown]
	s_cbranch_execz .LBB166_4391
; %bb.4390:
	v_cvt_f64_f32_e32 v[96:97], v6
	v_mov_b32_e32 v98, 0
	v_mov_b32_e32 v99, v98
                                        ; implicit-def: $vgpr6
	flat_store_dwordx4 v[4:5], v[96:99]
                                        ; implicit-def: $vgpr4_vgpr5
.LBB166_4391:
	s_andn2_saveexec_b64 s[62:63], s[62:63]
	s_cbranch_execz .LBB166_4393
; %bb.4392:
	v_mov_b32_e32 v7, 0
	flat_store_dwordx2 v[4:5], v[6:7]
.LBB166_4393:
	s_or_b64 exec, exec, s[62:63]
                                        ; implicit-def: $vgpr6
                                        ; implicit-def: $vgpr4_vgpr5
.LBB166_4394:
	s_andn2_saveexec_b64 s[60:61], s[60:61]
	s_cbranch_execz .LBB166_4396
; %bb.4395:
	v_cvt_f16_f32_e32 v6, v6
	flat_store_dword v[4:5], v6
.LBB166_4396:
	s_or_b64 exec, exec, s[60:61]
                                        ; implicit-def: $vgpr6
                                        ; implicit-def: $vgpr4_vgpr5
.LBB166_4397:
	s_andn2_saveexec_b64 s[58:59], s[58:59]
	s_cbranch_execz .LBB166_4407
; %bb.4398:
	v_mov_b32_e32 v7, 5
	v_cmp_gt_i16_sdwa s[60:61], v13, v7 src0_sel:BYTE_0 src1_sel:DWORD
	s_and_saveexec_b64 s[62:63], s[60:61]
	s_xor_b64 s[60:61], exec, s[62:63]
	s_cbranch_execz .LBB166_4404
; %bb.4399:
	v_mov_b32_e32 v7, 6
	v_cmp_gt_i16_sdwa s[62:63], v13, v7 src0_sel:BYTE_0 src1_sel:DWORD
	s_and_saveexec_b64 s[72:73], s[62:63]
	s_xor_b64 s[62:63], exec, s[72:73]
	s_cbranch_execz .LBB166_4401
; %bb.4400:
	v_cvt_f64_f32_e32 v[6:7], v6
	flat_store_dwordx2 v[4:5], v[6:7]
                                        ; implicit-def: $vgpr4_vgpr5
                                        ; implicit-def: $vgpr6
.LBB166_4401:
	s_andn2_saveexec_b64 s[62:63], s[62:63]
	s_cbranch_execz .LBB166_4403
; %bb.4402:
	flat_store_dword v[4:5], v6
.LBB166_4403:
	s_or_b64 exec, exec, s[62:63]
                                        ; implicit-def: $vgpr6
                                        ; implicit-def: $vgpr4_vgpr5
.LBB166_4404:
	s_andn2_saveexec_b64 s[60:61], s[60:61]
	s_cbranch_execz .LBB166_4406
; %bb.4405:
	v_cvt_f16_f32_e32 v6, v6
	flat_store_short v[4:5], v6
.LBB166_4406:
	s_or_b64 exec, exec, s[60:61]
.LBB166_4407:
	s_or_b64 exec, exec, s[58:59]
                                        ; implicit-def: $vgpr6
                                        ; implicit-def: $vgpr4_vgpr5
.LBB166_4408:
	s_andn2_saveexec_b64 s[56:57], s[56:57]
	s_cbranch_execz .LBB166_4426
; %bb.4409:
	v_mov_b32_e32 v7, 1
	v_cmp_gt_i16_sdwa s[58:59], v13, v7 src0_sel:BYTE_0 src1_sel:DWORD
	s_and_saveexec_b64 s[60:61], s[58:59]
	s_xor_b64 s[58:59], exec, s[60:61]
	s_cbranch_execz .LBB166_4419
; %bb.4410:
	v_mov_b32_e32 v7, 2
	v_cmp_gt_i16_sdwa s[60:61], v13, v7 src0_sel:BYTE_0 src1_sel:DWORD
	s_and_saveexec_b64 s[62:63], s[60:61]
	s_xor_b64 s[60:61], exec, s[62:63]
	;; [unrolled: 6-line block ×3, first 2 shown]
	s_cbranch_execz .LBB166_4413
; %bb.4412:
	v_trunc_f32_e32 v6, v6
	s_mov_b32 s72, 0x2f800000
	v_mul_f32_e64 v7, |v6|, s72
	v_floor_f32_e32 v7, v7
	s_mov_b32 s72, 0xcf800000
	v_cvt_u32_f32_e32 v96, v7
	v_fma_f32 v7, v7, s72, |v6|
	v_cvt_u32_f32_e32 v7, v7
	v_ashrrev_i32_e32 v97, 31, v6
	v_xor_b32_e32 v96, v96, v97
	v_xor_b32_e32 v6, v7, v97
	v_sub_co_u32_e32 v6, vcc, v6, v97
	v_subb_co_u32_e32 v7, vcc, v96, v97, vcc
	flat_store_dwordx2 v[4:5], v[6:7]
                                        ; implicit-def: $vgpr6
                                        ; implicit-def: $vgpr4_vgpr5
.LBB166_4413:
	s_andn2_saveexec_b64 s[62:63], s[62:63]
	s_cbranch_execz .LBB166_4415
; %bb.4414:
	v_cvt_i32_f32_e32 v6, v6
	flat_store_dword v[4:5], v6
.LBB166_4415:
	s_or_b64 exec, exec, s[62:63]
                                        ; implicit-def: $vgpr6
                                        ; implicit-def: $vgpr4_vgpr5
.LBB166_4416:
	s_andn2_saveexec_b64 s[60:61], s[60:61]
	s_cbranch_execz .LBB166_4418
; %bb.4417:
	v_cvt_i32_f32_e32 v6, v6
	flat_store_short v[4:5], v6
.LBB166_4418:
	s_or_b64 exec, exec, s[60:61]
                                        ; implicit-def: $vgpr6
                                        ; implicit-def: $vgpr4_vgpr5
.LBB166_4419:
	s_andn2_saveexec_b64 s[58:59], s[58:59]
	s_cbranch_execz .LBB166_4425
; %bb.4420:
	v_mov_b32_e32 v7, 0
	v_cmp_gt_i16_sdwa s[60:61], v13, v7 src0_sel:BYTE_0 src1_sel:DWORD
	s_and_saveexec_b64 s[62:63], s[60:61]
	s_xor_b64 s[60:61], exec, s[62:63]
	s_cbranch_execz .LBB166_4422
; %bb.4421:
	v_cvt_i32_f32_e32 v6, v6
	flat_store_byte v[4:5], v6
                                        ; implicit-def: $vgpr6
                                        ; implicit-def: $vgpr4_vgpr5
.LBB166_4422:
	s_andn2_saveexec_b64 s[60:61], s[60:61]
	s_cbranch_execz .LBB166_4424
; %bb.4423:
	v_trunc_f32_e32 v6, v6
	s_mov_b32 s62, 0x2f800000
	v_mul_f32_e64 v7, |v6|, s62
	v_floor_f32_e32 v7, v7
	s_mov_b32 s62, 0xcf800000
	v_fma_f32 v7, v7, s62, |v6|
	v_cvt_u32_f32_e32 v7, v7
	v_ashrrev_i32_e32 v6, 31, v6
	v_xor_b32_e32 v7, v7, v6
	v_sub_u32_e32 v6, v7, v6
	flat_store_byte v[4:5], v6
.LBB166_4424:
	s_or_b64 exec, exec, s[60:61]
.LBB166_4425:
	s_or_b64 exec, exec, s[58:59]
.LBB166_4426:
	s_or_b64 exec, exec, s[56:57]
	s_or_b64 s[4:5], s[4:5], exec
.LBB166_4427:
	s_or_b64 exec, exec, s[40:41]
	s_mov_b64 s[56:57], 0
	s_mov_b64 s[40:41], 0
	s_and_saveexec_b64 s[58:59], s[4:5]
; %bb.4428:
	v_add_u32_e32 v17, 0x200, v17
	v_cmp_lt_i32_e32 vcc, v17, v8
	s_mov_b64 s[56:57], exec
	s_and_b64 s[40:41], vcc, exec
; %bb.4429:
	s_or_b64 exec, exec, s[58:59]
	s_and_b64 s[4:5], s[40:41], exec
	s_andn2_b64 s[40:41], s[26:27], exec
	s_and_b64 s[44:45], s[44:45], exec
	s_or_b64 s[40:41], s[40:41], s[44:45]
	s_orn2_b64 s[58:59], s[56:57], exec
.LBB166_4430:
	s_or_b64 exec, exec, s[42:43]
	s_mov_b64 s[56:57], 0
	s_mov_b64 s[60:61], 0
                                        ; implicit-def: $vgpr4
                                        ; implicit-def: $vgpr112
                                        ; implicit-def: $vgpr6_vgpr7
	s_and_saveexec_b64 s[42:43], s[58:59]
	s_cbranch_execz .LBB166_7762
; %bb.4431:
	s_mov_b64 s[56:57], -1
	s_mov_b64 s[58:59], 0
	s_mov_b64 s[44:45], s[40:41]
	s_and_saveexec_b64 s[46:47], s[4:5]
	s_cbranch_execz .LBB166_4559
; %bb.4432:
	v_readlane_b32 s4, v41, 2
	v_add_u32_e32 v4, s4, v17
	v_mul_lo_u32 v4, v4, v14
	v_mov_b32_e32 v7, 10
	v_cmp_gt_i16_sdwa s[44:45], v13, v7 src0_sel:BYTE_0 src1_sel:DWORD
	s_mov_b64 s[4:5], 0
	v_add_co_u32_e32 v4, vcc, v2, v4
	v_addc_co_u32_e32 v5, vcc, 0, v3, vcc
	s_waitcnt vmcnt(0)
	v_cmp_nle_f32_e32 vcc, v87, v0
	v_cndmask_b32_e32 v6, v1, v86, vcc
	s_mov_b64 s[56:57], s[40:41]
	s_and_saveexec_b64 s[60:61], s[44:45]
	s_xor_b64 s[44:45], exec, s[60:61]
	s_cbranch_execz .LBB166_4514
; %bb.4433:
	v_mov_b32_e32 v7, 25
	v_cmp_gt_i16_sdwa s[60:61], v13, v7 src0_sel:BYTE_0 src1_sel:DWORD
	s_mov_b64 s[56:57], s[40:41]
	s_and_saveexec_b64 s[62:63], s[60:61]
	s_xor_b64 s[60:61], exec, s[62:63]
	s_cbranch_execz .LBB166_4469
; %bb.4434:
	v_mov_b32_e32 v7, 28
	v_cmp_gt_i16_sdwa s[56:57], v13, v7 src0_sel:BYTE_0 src1_sel:DWORD
	;; [unrolled: 7-line block ×4, first 2 shown]
	s_mov_b64 s[72:73], 0
	s_mov_b64 s[74:75], s[40:41]
	s_and_saveexec_b64 s[76:77], s[4:5]
	s_xor_b64 s[4:5], exec, s[76:77]
	s_cbranch_execz .LBB166_4440
; %bb.4437:
	v_mov_b32_e32 v7, 46
	v_cmp_eq_u16_sdwa s[78:79], v13, v7 src0_sel:BYTE_0 src1_sel:DWORD
	s_mov_b64 s[76:77], -1
	s_and_saveexec_b64 s[74:75], s[78:79]
	s_cbranch_execz .LBB166_4439
; %bb.4438:
	v_bfe_u32 v7, v6, 16, 1
	s_movk_i32 s76, 0x7fff
	v_add3_u32 v7, v6, v7, s76
	v_cmp_o_f32_e32 vcc, v6, v6
	v_mov_b32_e32 v6, 0x7fc0
	v_cndmask_b32_sdwa v6, v6, v7, vcc dst_sel:DWORD dst_unused:UNUSED_PAD src0_sel:DWORD src1_sel:WORD_1
	s_mov_b64 s[72:73], exec
	flat_store_dword v[4:5], v6
	s_xor_b64 s[76:77], exec, -1
.LBB166_4439:
	s_or_b64 exec, exec, s[74:75]
	s_andn2_b64 s[74:75], s[40:41], exec
	s_and_b64 s[76:77], s[76:77], exec
	s_or_b64 s[74:75], s[74:75], s[76:77]
	s_and_b64 s[72:73], s[72:73], exec
                                        ; implicit-def: $vgpr4_vgpr5
                                        ; implicit-def: $vgpr6
.LBB166_4440:
	s_andn2_saveexec_b64 s[76:77], s[4:5]
	s_cbranch_execz .LBB166_4446
; %bb.4441:
	v_mov_b32_e32 v7, 44
	v_cmp_eq_u16_sdwa s[90:91], v13, v7 src0_sel:BYTE_0 src1_sel:DWORD
	s_mov_b64 s[88:89], -1
	s_mov_b64 s[4:5], s[72:73]
	s_and_saveexec_b64 s[78:79], s[90:91]
	s_cbranch_execz .LBB166_4445
; %bb.4442:
	v_bfe_u32 v7, v6, 23, 8
	s_movk_i32 s4, 0xff
	v_cmp_ne_u32_e32 vcc, s4, v7
	v_mov_b32_e32 v86, 0xff
	s_and_saveexec_b64 s[88:89], vcc
; %bb.4443:
	s_mov_b32 s4, 0x3fffff
	v_lshrrev_b32_e32 v86, 23, v6
	v_and_b32_e32 v87, 0x400000, v6
	v_and_or_b32 v6, v6, s4, v7
	v_cmp_ne_u32_e32 vcc, 0, v87
	v_cmp_ne_u32_e64 s[4:5], 0, v6
	s_and_b64 s[4:5], vcc, s[4:5]
	v_cndmask_b32_e64 v6, 0, 1, s[4:5]
	v_add_u32_e32 v86, v86, v6
; %bb.4444:
	s_or_b64 exec, exec, s[88:89]
	s_xor_b64 s[88:89], exec, -1
	s_or_b64 s[4:5], s[72:73], exec
	flat_store_byte v[4:5], v86
.LBB166_4445:
	s_or_b64 exec, exec, s[78:79]
	s_andn2_b64 s[74:75], s[74:75], exec
	s_and_b64 s[78:79], s[88:89], exec
	s_andn2_b64 s[72:73], s[72:73], exec
	s_and_b64 s[4:5], s[4:5], exec
	s_or_b64 s[74:75], s[74:75], s[78:79]
	s_or_b64 s[72:73], s[72:73], s[4:5]
.LBB166_4446:
	s_or_b64 exec, exec, s[76:77]
	s_andn2_b64 s[4:5], s[40:41], exec
	s_and_b64 s[74:75], s[74:75], exec
	s_or_b64 s[74:75], s[4:5], s[74:75]
	s_and_b64 s[4:5], s[72:73], exec
                                        ; implicit-def: $vgpr6
                                        ; implicit-def: $vgpr4_vgpr5
.LBB166_4447:
	s_andn2_saveexec_b64 s[62:63], s[62:63]
	s_cbranch_execz .LBB166_4451
; %bb.4448:
	v_mov_b32_e32 v7, 29
	v_cmp_eq_u16_sdwa s[88:89], v13, v7 src0_sel:BYTE_0 src1_sel:DWORD
	s_mov_b64 s[78:79], -1
	s_mov_b64 s[76:77], s[4:5]
	s_and_saveexec_b64 s[72:73], s[88:89]
	s_cbranch_execz .LBB166_4450
; %bb.4449:
	v_trunc_f32_e32 v6, v6
	v_mul_f32_e32 v7, 0x2f800000, v6
	v_floor_f32_e32 v86, v7
	v_fmac_f32_e32 v6, 0xcf800000, v86
	v_cvt_u32_f32_e32 v7, v86
	v_cvt_u32_f32_e32 v6, v6
	s_xor_b64 s[78:79], exec, -1
	s_or_b64 s[76:77], s[4:5], exec
	flat_store_dwordx2 v[4:5], v[6:7]
.LBB166_4450:
	s_or_b64 exec, exec, s[72:73]
	s_andn2_b64 s[72:73], s[74:75], exec
	s_and_b64 s[74:75], s[78:79], exec
	s_or_b64 s[74:75], s[72:73], s[74:75]
	s_andn2_b64 s[4:5], s[4:5], exec
	s_and_b64 s[72:73], s[76:77], exec
	s_or_b64 s[4:5], s[4:5], s[72:73]
.LBB166_4451:
	s_or_b64 exec, exec, s[62:63]
	s_andn2_b64 s[62:63], s[40:41], exec
	s_and_b64 s[72:73], s[74:75], exec
	s_or_b64 s[62:63], s[62:63], s[72:73]
	s_and_b64 s[4:5], s[4:5], exec
                                        ; implicit-def: $vgpr4_vgpr5
                                        ; implicit-def: $vgpr6
.LBB166_4452:
	s_andn2_saveexec_b64 s[56:57], s[56:57]
	s_cbranch_execz .LBB166_4468
; %bb.4453:
	v_mov_b32_e32 v7, 26
	v_cmp_gt_i16_sdwa s[72:73], v13, v7 src0_sel:BYTE_0 src1_sel:DWORD
	s_and_saveexec_b64 s[74:75], s[72:73]
	s_xor_b64 s[72:73], exec, s[74:75]
	s_cbranch_execz .LBB166_4459
; %bb.4454:
	v_cvt_u32_f32_e32 v6, v6
	v_mov_b32_e32 v7, 27
	v_cmp_gt_i16_sdwa s[74:75], v13, v7 src0_sel:BYTE_0 src1_sel:DWORD
	s_and_saveexec_b64 s[76:77], s[74:75]
	s_xor_b64 s[74:75], exec, s[76:77]
	s_cbranch_execz .LBB166_4456
; %bb.4455:
	flat_store_dword v[4:5], v6
                                        ; implicit-def: $vgpr4_vgpr5
                                        ; implicit-def: $vgpr6
.LBB166_4456:
	s_andn2_saveexec_b64 s[74:75], s[74:75]
	s_cbranch_execz .LBB166_4458
; %bb.4457:
	flat_store_short v[4:5], v6
.LBB166_4458:
	s_or_b64 exec, exec, s[74:75]
                                        ; implicit-def: $vgpr4_vgpr5
                                        ; implicit-def: $vgpr6
.LBB166_4459:
	s_andn2_saveexec_b64 s[72:73], s[72:73]
	s_cbranch_execz .LBB166_4467
; %bb.4460:
	v_and_b32_e32 v7, 0x7fffffff, v6
	s_mov_b32 s74, 0x43800000
	v_cmp_gt_u32_e32 vcc, s74, v7
	v_mov_b32_e32 v86, 0x80
	s_and_saveexec_b64 s[74:75], vcc
	s_cbranch_execz .LBB166_4466
; %bb.4461:
	s_mov_b32 s76, 0x3bffffff
	v_cmp_lt_u32_e32 vcc, s76, v7
	s_mov_b64 s[76:77], 0
                                        ; implicit-def: $vgpr7
	s_and_saveexec_b64 s[78:79], vcc
	s_xor_b64 s[78:79], exec, s[78:79]
	s_cbranch_execnz .LBB166_7839
; %bb.4462:
	s_andn2_saveexec_b64 s[78:79], s[78:79]
	s_cbranch_execnz .LBB166_7840
.LBB166_4463:
	s_or_b64 exec, exec, s[78:79]
	v_mov_b32_e32 v86, 0
	s_and_saveexec_b64 s[78:79], s[76:77]
.LBB166_4464:
	v_lshrrev_b32_e32 v6, 24, v6
	s_movk_i32 s76, 0x80
	v_and_or_b32 v86, v6, s76, v7
.LBB166_4465:
	s_or_b64 exec, exec, s[78:79]
.LBB166_4466:
	s_or_b64 exec, exec, s[74:75]
	flat_store_byte v[4:5], v86
.LBB166_4467:
	s_or_b64 exec, exec, s[72:73]
	s_or_b64 s[4:5], s[4:5], exec
.LBB166_4468:
	s_or_b64 exec, exec, s[56:57]
	s_andn2_b64 s[56:57], s[40:41], exec
	s_and_b64 s[62:63], s[62:63], exec
	s_or_b64 s[56:57], s[56:57], s[62:63]
	s_and_b64 s[4:5], s[4:5], exec
                                        ; implicit-def: $vgpr6
                                        ; implicit-def: $vgpr4_vgpr5
.LBB166_4469:
	s_andn2_saveexec_b64 s[60:61], s[60:61]
	s_cbranch_execz .LBB166_4513
; %bb.4470:
	v_mov_b32_e32 v7, 22
	v_cmp_gt_i16_sdwa s[62:63], v13, v7 src0_sel:BYTE_0 src1_sel:DWORD
	s_mov_b64 s[72:73], s[4:5]
	s_and_saveexec_b64 s[74:75], s[62:63]
	s_xor_b64 s[62:63], exec, s[74:75]
	s_cbranch_execz .LBB166_4502
; %bb.4471:
	v_mov_b32_e32 v7, 23
	v_cmp_gt_i16_sdwa s[72:73], v13, v7 src0_sel:BYTE_0 src1_sel:DWORD
	s_and_saveexec_b64 s[74:75], s[72:73]
	s_xor_b64 s[72:73], exec, s[74:75]
	s_cbranch_execz .LBB166_4491
; %bb.4472:
	v_mov_b32_e32 v7, 24
	v_cmp_gt_i16_sdwa s[74:75], v13, v7 src0_sel:BYTE_0 src1_sel:DWORD
	s_and_saveexec_b64 s[76:77], s[74:75]
	s_xor_b64 s[74:75], exec, s[76:77]
	s_cbranch_execz .LBB166_4480
; %bb.4473:
	v_and_b32_e32 v7, 0x7fffffff, v6
	s_mov_b32 s76, 0x47800000
	v_cmp_gt_u32_e32 vcc, s76, v7
	v_mov_b32_e32 v86, 0x80
	s_and_saveexec_b64 s[76:77], vcc
	s_cbranch_execz .LBB166_4479
; %bb.4474:
	s_mov_b32 s78, 0x37ffffff
	v_cmp_lt_u32_e32 vcc, s78, v7
	s_mov_b64 s[78:79], 0
                                        ; implicit-def: $vgpr7
	s_and_saveexec_b64 s[88:89], vcc
	s_xor_b64 s[88:89], exec, s[88:89]
	s_cbranch_execnz .LBB166_7841
; %bb.4475:
	s_andn2_saveexec_b64 s[88:89], s[88:89]
	s_cbranch_execnz .LBB166_7842
.LBB166_4476:
	s_or_b64 exec, exec, s[88:89]
	v_mov_b32_e32 v86, 0
	s_and_saveexec_b64 s[88:89], s[78:79]
.LBB166_4477:
	v_lshrrev_b32_e32 v6, 24, v6
	s_movk_i32 s78, 0x80
	v_and_or_b32 v86, v6, s78, v7
.LBB166_4478:
	s_or_b64 exec, exec, s[88:89]
.LBB166_4479:
	s_or_b64 exec, exec, s[76:77]
	flat_store_byte v[4:5], v86
                                        ; implicit-def: $vgpr6
                                        ; implicit-def: $vgpr4_vgpr5
.LBB166_4480:
	s_andn2_saveexec_b64 s[74:75], s[74:75]
	s_cbranch_execz .LBB166_4490
; %bb.4481:
	v_and_b32_e32 v86, 0x7fffffff, v6
	s_mov_b32 s76, 0x43f00000
	v_cmp_gt_u32_e32 vcc, s76, v86
                                        ; implicit-def: $vgpr7
	s_and_saveexec_b64 s[76:77], vcc
	s_xor_b64 s[76:77], exec, s[76:77]
	s_cbranch_execz .LBB166_4487
; %bb.4482:
	s_mov_b32 s78, 0x3c7fffff
	v_cmp_lt_u32_e32 vcc, s78, v86
                                        ; implicit-def: $vgpr7
	s_and_saveexec_b64 s[78:79], vcc
	s_xor_b64 s[78:79], exec, s[78:79]
; %bb.4483:
	v_bfe_u32 v7, v6, 20, 1
	s_mov_b32 s88, 0x407ffff
	v_add3_u32 v7, v6, v7, s88
	v_lshrrev_b32_e32 v86, 20, v7
	v_and_b32_e32 v7, 0xff00000, v7
	s_mov_b32 s88, 0x7f00000
	v_mov_b32_e32 v87, 0x7e
	v_cmp_ne_u32_e32 vcc, s88, v7
	v_cndmask_b32_e32 v7, v87, v86, vcc
; %bb.4484:
	s_andn2_saveexec_b64 s[78:79], s[78:79]
; %bb.4485:
	s_mov_b32 s88, 0x46800000
	v_add_f32_e64 v7, |v6|, s88
; %bb.4486:
	s_or_b64 exec, exec, s[78:79]
                                        ; implicit-def: $vgpr86
.LBB166_4487:
	s_andn2_saveexec_b64 s[76:77], s[76:77]
; %bb.4488:
	s_mov_b32 s78, 0x7f800000
	v_mov_b32_e32 v7, 0x7e
	v_mov_b32_e32 v87, 0x7f
	v_cmp_lt_u32_e32 vcc, s78, v86
	v_cndmask_b32_e32 v7, v7, v87, vcc
; %bb.4489:
	s_or_b64 exec, exec, s[76:77]
	v_lshrrev_b32_e32 v6, 24, v6
	s_movk_i32 s76, 0x80
	v_and_or_b32 v6, v6, s76, v7
	flat_store_byte v[4:5], v6
.LBB166_4490:
	s_or_b64 exec, exec, s[74:75]
                                        ; implicit-def: $vgpr6
                                        ; implicit-def: $vgpr4_vgpr5
.LBB166_4491:
	s_andn2_saveexec_b64 s[72:73], s[72:73]
	s_cbranch_execz .LBB166_4501
; %bb.4492:
	v_and_b32_e32 v86, 0x7fffffff, v6
	s_mov_b32 s74, 0x47800000
	v_cmp_gt_u32_e32 vcc, s74, v86
                                        ; implicit-def: $vgpr7
	s_and_saveexec_b64 s[74:75], vcc
	s_xor_b64 s[74:75], exec, s[74:75]
	s_cbranch_execz .LBB166_4498
; %bb.4493:
	s_mov_b32 s76, 0x387fffff
	v_cmp_lt_u32_e32 vcc, s76, v86
                                        ; implicit-def: $vgpr7
	s_and_saveexec_b64 s[76:77], vcc
	s_xor_b64 s[76:77], exec, s[76:77]
; %bb.4494:
	v_bfe_u32 v7, v6, 21, 1
	s_mov_b32 s78, 0x80fffff
	v_add3_u32 v7, v6, v7, s78
	v_lshrrev_b32_e32 v7, 21, v7
; %bb.4495:
	s_andn2_saveexec_b64 s[76:77], s[76:77]
; %bb.4496:
	s_mov_b32 s78, 0x43000000
	v_add_f32_e64 v7, |v6|, s78
; %bb.4497:
	s_or_b64 exec, exec, s[76:77]
                                        ; implicit-def: $vgpr86
.LBB166_4498:
	s_andn2_saveexec_b64 s[74:75], s[74:75]
; %bb.4499:
	s_mov_b32 s76, 0x7f800000
	v_mov_b32_e32 v7, 0x7c
	v_mov_b32_e32 v87, 0x7f
	v_cmp_lt_u32_e32 vcc, s76, v86
	v_cndmask_b32_e32 v7, v7, v87, vcc
; %bb.4500:
	s_or_b64 exec, exec, s[74:75]
	v_lshrrev_b32_e32 v6, 24, v6
	s_movk_i32 s74, 0x80
	v_and_or_b32 v6, v6, s74, v7
	flat_store_byte v[4:5], v6
.LBB166_4501:
	s_or_b64 exec, exec, s[72:73]
	s_or_b64 s[72:73], s[4:5], exec
                                        ; implicit-def: $vgpr6
                                        ; implicit-def: $vgpr4_vgpr5
.LBB166_4502:
	s_or_saveexec_b64 s[62:63], s[62:63]
	s_mov_b64 s[76:77], s[56:57]
	s_xor_b64 exec, exec, s[62:63]
	s_cbranch_execz .LBB166_4512
; %bb.4503:
	v_mov_b32_e32 v7, 14
	v_cmp_gt_i16_sdwa s[78:79], v13, v7 src0_sel:BYTE_0 src1_sel:DWORD
	s_mov_b64 s[74:75], s[72:73]
	s_mov_b64 s[76:77], s[56:57]
	s_and_saveexec_b64 s[88:89], s[78:79]
	s_xor_b64 s[78:79], exec, s[88:89]
	s_cbranch_execz .LBB166_4507
; %bb.4504:
	v_mov_b32_e32 v7, 15
	v_cmp_eq_u16_sdwa s[90:91], v13, v7 src0_sel:BYTE_0 src1_sel:DWORD
	s_mov_b64 s[76:77], -1
	s_mov_b64 s[88:89], s[72:73]
	s_and_saveexec_b64 s[74:75], s[90:91]
	s_cbranch_execz .LBB166_4506
; %bb.4505:
	v_bfe_u32 v7, v6, 16, 1
	s_movk_i32 s76, 0x7fff
	v_add3_u32 v7, v6, v7, s76
	v_cmp_o_f32_e32 vcc, v6, v6
	v_mov_b32_e32 v6, 0x7fc0
	v_cndmask_b32_sdwa v6, v6, v7, vcc dst_sel:DWORD dst_unused:UNUSED_PAD src0_sel:DWORD src1_sel:WORD_1
	flat_store_short v[4:5], v6
	s_xor_b64 s[76:77], exec, -1
	s_or_b64 s[88:89], s[72:73], exec
.LBB166_4506:
	s_or_b64 exec, exec, s[74:75]
	s_andn2_b64 s[74:75], s[56:57], exec
	s_and_b64 s[76:77], s[76:77], exec
	s_or_b64 s[76:77], s[74:75], s[76:77]
	s_andn2_b64 s[74:75], s[72:73], exec
	s_and_b64 s[88:89], s[88:89], exec
	s_or_b64 s[74:75], s[74:75], s[88:89]
                                        ; implicit-def: $vgpr6
                                        ; implicit-def: $vgpr4_vgpr5
.LBB166_4507:
	s_andn2_saveexec_b64 s[78:79], s[78:79]
	s_cbranch_execz .LBB166_4511
; %bb.4508:
	v_mov_b32_e32 v7, 11
	v_cmp_eq_u16_sdwa s[94:95], v13, v7 src0_sel:BYTE_0 src1_sel:DWORD
	s_mov_b64 s[90:91], -1
	s_mov_b64 s[88:89], s[74:75]
	s_and_saveexec_b64 s[92:93], s[94:95]
	s_cbranch_execz .LBB166_4510
; %bb.4509:
	v_cmp_neq_f32_e32 vcc, 0, v6
	v_cndmask_b32_e64 v6, 0, 1, vcc
	flat_store_byte v[4:5], v6
	s_xor_b64 s[90:91], exec, -1
	s_or_b64 s[88:89], s[74:75], exec
.LBB166_4510:
	s_or_b64 exec, exec, s[92:93]
	s_andn2_b64 s[76:77], s[76:77], exec
	s_and_b64 s[90:91], s[90:91], exec
	s_andn2_b64 s[74:75], s[74:75], exec
	s_and_b64 s[88:89], s[88:89], exec
	s_or_b64 s[76:77], s[76:77], s[90:91]
	s_or_b64 s[74:75], s[74:75], s[88:89]
.LBB166_4511:
	s_or_b64 exec, exec, s[78:79]
	s_andn2_b64 s[78:79], s[56:57], exec
	s_and_b64 s[76:77], s[76:77], exec
	s_andn2_b64 s[72:73], s[72:73], exec
	s_and_b64 s[74:75], s[74:75], exec
	s_or_b64 s[76:77], s[78:79], s[76:77]
	s_or_b64 s[72:73], s[72:73], s[74:75]
.LBB166_4512:
	s_or_b64 exec, exec, s[62:63]
	s_andn2_b64 s[56:57], s[56:57], exec
	s_and_b64 s[62:63], s[76:77], exec
	s_or_b64 s[56:57], s[56:57], s[62:63]
	s_andn2_b64 s[4:5], s[4:5], exec
	s_and_b64 s[62:63], s[72:73], exec
	s_or_b64 s[4:5], s[4:5], s[62:63]
.LBB166_4513:
	s_or_b64 exec, exec, s[60:61]
	s_andn2_b64 s[60:61], s[40:41], exec
	s_and_b64 s[56:57], s[56:57], exec
	s_or_b64 s[56:57], s[60:61], s[56:57]
	s_and_b64 s[4:5], s[4:5], exec
                                        ; implicit-def: $vgpr6
                                        ; implicit-def: $vgpr4_vgpr5
.LBB166_4514:
	s_andn2_saveexec_b64 s[44:45], s[44:45]
	s_cbranch_execz .LBB166_4556
; %bb.4515:
	v_mov_b32_e32 v7, 4
	v_cmp_gt_i16_sdwa s[60:61], v13, v7 src0_sel:BYTE_0 src1_sel:DWORD
	s_and_saveexec_b64 s[62:63], s[60:61]
	s_xor_b64 s[60:61], exec, s[62:63]
	s_cbranch_execz .LBB166_4537
; %bb.4516:
	v_mov_b32_e32 v7, 7
	v_cmp_gt_i16_sdwa s[62:63], v13, v7 src0_sel:BYTE_0 src1_sel:DWORD
	s_and_saveexec_b64 s[72:73], s[62:63]
	s_xor_b64 s[62:63], exec, s[72:73]
	;; [unrolled: 6-line block ×4, first 2 shown]
	s_cbranch_execz .LBB166_4520
; %bb.4519:
	v_cvt_f64_f32_e32 v[96:97], v6
	v_mov_b32_e32 v98, 0
	v_mov_b32_e32 v99, v98
                                        ; implicit-def: $vgpr6
	flat_store_dwordx4 v[4:5], v[96:99]
                                        ; implicit-def: $vgpr4_vgpr5
.LBB166_4520:
	s_andn2_saveexec_b64 s[74:75], s[74:75]
	s_cbranch_execz .LBB166_4522
; %bb.4521:
	v_mov_b32_e32 v7, 0
	flat_store_dwordx2 v[4:5], v[6:7]
.LBB166_4522:
	s_or_b64 exec, exec, s[74:75]
                                        ; implicit-def: $vgpr6
                                        ; implicit-def: $vgpr4_vgpr5
.LBB166_4523:
	s_andn2_saveexec_b64 s[72:73], s[72:73]
	s_cbranch_execz .LBB166_4525
; %bb.4524:
	v_cvt_f16_f32_e32 v6, v6
	flat_store_dword v[4:5], v6
.LBB166_4525:
	s_or_b64 exec, exec, s[72:73]
                                        ; implicit-def: $vgpr6
                                        ; implicit-def: $vgpr4_vgpr5
.LBB166_4526:
	s_andn2_saveexec_b64 s[62:63], s[62:63]
	s_cbranch_execz .LBB166_4536
; %bb.4527:
	v_mov_b32_e32 v7, 5
	v_cmp_gt_i16_sdwa s[72:73], v13, v7 src0_sel:BYTE_0 src1_sel:DWORD
	s_and_saveexec_b64 s[74:75], s[72:73]
	s_xor_b64 s[72:73], exec, s[74:75]
	s_cbranch_execz .LBB166_4533
; %bb.4528:
	v_mov_b32_e32 v7, 6
	v_cmp_gt_i16_sdwa s[74:75], v13, v7 src0_sel:BYTE_0 src1_sel:DWORD
	s_and_saveexec_b64 s[76:77], s[74:75]
	s_xor_b64 s[74:75], exec, s[76:77]
	s_cbranch_execz .LBB166_4530
; %bb.4529:
	v_cvt_f64_f32_e32 v[6:7], v6
	flat_store_dwordx2 v[4:5], v[6:7]
                                        ; implicit-def: $vgpr4_vgpr5
                                        ; implicit-def: $vgpr6
.LBB166_4530:
	s_andn2_saveexec_b64 s[74:75], s[74:75]
	s_cbranch_execz .LBB166_4532
; %bb.4531:
	flat_store_dword v[4:5], v6
.LBB166_4532:
	s_or_b64 exec, exec, s[74:75]
                                        ; implicit-def: $vgpr6
                                        ; implicit-def: $vgpr4_vgpr5
.LBB166_4533:
	s_andn2_saveexec_b64 s[72:73], s[72:73]
	s_cbranch_execz .LBB166_4535
; %bb.4534:
	v_cvt_f16_f32_e32 v6, v6
	flat_store_short v[4:5], v6
.LBB166_4535:
	s_or_b64 exec, exec, s[72:73]
.LBB166_4536:
	s_or_b64 exec, exec, s[62:63]
                                        ; implicit-def: $vgpr6
                                        ; implicit-def: $vgpr4_vgpr5
.LBB166_4537:
	s_andn2_saveexec_b64 s[60:61], s[60:61]
	s_cbranch_execz .LBB166_4555
; %bb.4538:
	v_mov_b32_e32 v7, 1
	v_cmp_gt_i16_sdwa s[62:63], v13, v7 src0_sel:BYTE_0 src1_sel:DWORD
	s_and_saveexec_b64 s[72:73], s[62:63]
	s_xor_b64 s[62:63], exec, s[72:73]
	s_cbranch_execz .LBB166_4548
; %bb.4539:
	v_mov_b32_e32 v7, 2
	v_cmp_gt_i16_sdwa s[72:73], v13, v7 src0_sel:BYTE_0 src1_sel:DWORD
	s_and_saveexec_b64 s[74:75], s[72:73]
	s_xor_b64 s[72:73], exec, s[74:75]
	;; [unrolled: 6-line block ×3, first 2 shown]
	s_cbranch_execz .LBB166_4542
; %bb.4541:
	v_trunc_f32_e32 v6, v6
	s_mov_b32 s76, 0x2f800000
	v_mul_f32_e64 v7, |v6|, s76
	v_floor_f32_e32 v7, v7
	s_mov_b32 s76, 0xcf800000
	v_cvt_u32_f32_e32 v86, v7
	v_fma_f32 v7, v7, s76, |v6|
	v_cvt_u32_f32_e32 v7, v7
	v_ashrrev_i32_e32 v87, 31, v6
	v_xor_b32_e32 v86, v86, v87
	v_xor_b32_e32 v6, v7, v87
	v_sub_co_u32_e32 v6, vcc, v6, v87
	v_subb_co_u32_e32 v7, vcc, v86, v87, vcc
	flat_store_dwordx2 v[4:5], v[6:7]
                                        ; implicit-def: $vgpr6
                                        ; implicit-def: $vgpr4_vgpr5
.LBB166_4542:
	s_andn2_saveexec_b64 s[74:75], s[74:75]
	s_cbranch_execz .LBB166_4544
; %bb.4543:
	v_cvt_i32_f32_e32 v6, v6
	flat_store_dword v[4:5], v6
.LBB166_4544:
	s_or_b64 exec, exec, s[74:75]
                                        ; implicit-def: $vgpr6
                                        ; implicit-def: $vgpr4_vgpr5
.LBB166_4545:
	s_andn2_saveexec_b64 s[72:73], s[72:73]
	s_cbranch_execz .LBB166_4547
; %bb.4546:
	v_cvt_i32_f32_e32 v6, v6
	flat_store_short v[4:5], v6
.LBB166_4547:
	s_or_b64 exec, exec, s[72:73]
                                        ; implicit-def: $vgpr6
                                        ; implicit-def: $vgpr4_vgpr5
.LBB166_4548:
	s_andn2_saveexec_b64 s[62:63], s[62:63]
	s_cbranch_execz .LBB166_4554
; %bb.4549:
	v_mov_b32_e32 v7, 0
	v_cmp_gt_i16_sdwa s[72:73], v13, v7 src0_sel:BYTE_0 src1_sel:DWORD
	s_and_saveexec_b64 s[74:75], s[72:73]
	s_xor_b64 s[72:73], exec, s[74:75]
	s_cbranch_execz .LBB166_4551
; %bb.4550:
	v_cvt_i32_f32_e32 v6, v6
	flat_store_byte v[4:5], v6
                                        ; implicit-def: $vgpr6
                                        ; implicit-def: $vgpr4_vgpr5
.LBB166_4551:
	s_andn2_saveexec_b64 s[72:73], s[72:73]
	s_cbranch_execz .LBB166_4553
; %bb.4552:
	v_trunc_f32_e32 v6, v6
	s_mov_b32 s74, 0x2f800000
	v_mul_f32_e64 v7, |v6|, s74
	v_floor_f32_e32 v7, v7
	s_mov_b32 s74, 0xcf800000
	v_fma_f32 v7, v7, s74, |v6|
	v_cvt_u32_f32_e32 v7, v7
	v_ashrrev_i32_e32 v6, 31, v6
	v_xor_b32_e32 v7, v7, v6
	v_sub_u32_e32 v6, v7, v6
	flat_store_byte v[4:5], v6
.LBB166_4553:
	s_or_b64 exec, exec, s[72:73]
.LBB166_4554:
	s_or_b64 exec, exec, s[62:63]
.LBB166_4555:
	s_or_b64 exec, exec, s[60:61]
	s_or_b64 s[4:5], s[4:5], exec
.LBB166_4556:
	s_or_b64 exec, exec, s[44:45]
	s_mov_b64 s[62:63], 0
	s_mov_b64 s[44:45], 0
	s_and_saveexec_b64 s[60:61], s[4:5]
; %bb.4557:
	v_add_u32_e32 v17, 0x200, v17
	v_cmp_lt_i32_e32 vcc, v17, v8
	s_mov_b64 s[62:63], exec
	s_and_b64 s[44:45], vcc, exec
; %bb.4558:
	s_or_b64 exec, exec, s[60:61]
	s_and_b64 s[60:61], s[44:45], exec
	s_andn2_b64 s[4:5], s[40:41], exec
	s_and_b64 s[44:45], s[56:57], exec
	s_or_b64 s[44:45], s[4:5], s[44:45]
	s_orn2_b64 s[56:57], s[62:63], exec
.LBB166_4559:
	s_or_b64 exec, exec, s[46:47]
	s_mov_b64 s[4:5], 0
	s_mov_b64 s[74:75], 0
                                        ; implicit-def: $vgpr4
                                        ; implicit-def: $vgpr112
                                        ; implicit-def: $vgpr6_vgpr7
	s_and_saveexec_b64 s[46:47], s[56:57]
	s_cbranch_execz .LBB166_7761
; %bb.4560:
	s_mov_b64 s[74:75], -1
	s_mov_b64 s[62:63], 0
	s_mov_b64 s[56:57], s[44:45]
	s_and_saveexec_b64 s[58:59], s[60:61]
	s_cbranch_execz .LBB166_4688
; %bb.4561:
	v_readlane_b32 s4, v41, 2
	v_add_u32_e32 v4, s4, v17
	v_mul_lo_u32 v4, v4, v14
	v_mov_b32_e32 v7, 10
	v_cmp_gt_i16_sdwa s[56:57], v13, v7 src0_sel:BYTE_0 src1_sel:DWORD
	s_mov_b64 s[4:5], 0
	v_add_co_u32_e32 v4, vcc, v2, v4
	v_addc_co_u32_e32 v5, vcc, 0, v3, vcc
	s_waitcnt vmcnt(0)
	v_cmp_nle_f32_e32 vcc, v85, v0
	v_cndmask_b32_e32 v6, v1, v84, vcc
	s_mov_b64 s[60:61], s[44:45]
	s_and_saveexec_b64 s[72:73], s[56:57]
	s_xor_b64 s[56:57], exec, s[72:73]
	s_cbranch_execz .LBB166_4643
; %bb.4562:
	v_mov_b32_e32 v7, 25
	v_cmp_gt_i16_sdwa s[72:73], v13, v7 src0_sel:BYTE_0 src1_sel:DWORD
	s_mov_b64 s[60:61], s[44:45]
	s_and_saveexec_b64 s[74:75], s[72:73]
	s_xor_b64 s[72:73], exec, s[74:75]
	s_cbranch_execz .LBB166_4598
; %bb.4563:
	v_mov_b32_e32 v7, 28
	v_cmp_gt_i16_sdwa s[60:61], v13, v7 src0_sel:BYTE_0 src1_sel:DWORD
	;; [unrolled: 7-line block ×4, first 2 shown]
	s_mov_b64 s[76:77], 0
	s_mov_b64 s[78:79], s[44:45]
	s_and_saveexec_b64 s[88:89], s[4:5]
	s_xor_b64 s[4:5], exec, s[88:89]
	s_cbranch_execz .LBB166_4569
; %bb.4566:
	v_mov_b32_e32 v7, 46
	v_cmp_eq_u16_sdwa s[90:91], v13, v7 src0_sel:BYTE_0 src1_sel:DWORD
	s_mov_b64 s[88:89], -1
	s_and_saveexec_b64 s[78:79], s[90:91]
	s_cbranch_execz .LBB166_4568
; %bb.4567:
	v_bfe_u32 v7, v6, 16, 1
	s_movk_i32 s88, 0x7fff
	v_add3_u32 v7, v6, v7, s88
	v_cmp_o_f32_e32 vcc, v6, v6
	v_mov_b32_e32 v6, 0x7fc0
	v_cndmask_b32_sdwa v6, v6, v7, vcc dst_sel:DWORD dst_unused:UNUSED_PAD src0_sel:DWORD src1_sel:WORD_1
	s_mov_b64 s[76:77], exec
	flat_store_dword v[4:5], v6
	s_xor_b64 s[88:89], exec, -1
.LBB166_4568:
	s_or_b64 exec, exec, s[78:79]
	s_andn2_b64 s[78:79], s[44:45], exec
	s_and_b64 s[88:89], s[88:89], exec
	s_or_b64 s[78:79], s[78:79], s[88:89]
	s_and_b64 s[76:77], s[76:77], exec
                                        ; implicit-def: $vgpr4_vgpr5
                                        ; implicit-def: $vgpr6
.LBB166_4569:
	s_andn2_saveexec_b64 s[88:89], s[4:5]
	s_cbranch_execz .LBB166_4575
; %bb.4570:
	v_mov_b32_e32 v7, 44
	v_cmp_eq_u16_sdwa s[94:95], v13, v7 src0_sel:BYTE_0 src1_sel:DWORD
	s_mov_b64 s[92:93], -1
	s_mov_b64 s[4:5], s[76:77]
	s_and_saveexec_b64 s[90:91], s[94:95]
	s_cbranch_execz .LBB166_4574
; %bb.4571:
	v_bfe_u32 v7, v6, 23, 8
	s_movk_i32 s4, 0xff
	v_cmp_ne_u32_e32 vcc, s4, v7
	v_mov_b32_e32 v84, 0xff
	s_and_saveexec_b64 s[92:93], vcc
; %bb.4572:
	s_mov_b32 s4, 0x3fffff
	v_lshrrev_b32_e32 v84, 23, v6
	v_and_b32_e32 v85, 0x400000, v6
	v_and_or_b32 v6, v6, s4, v7
	v_cmp_ne_u32_e32 vcc, 0, v85
	v_cmp_ne_u32_e64 s[4:5], 0, v6
	s_and_b64 s[4:5], vcc, s[4:5]
	v_cndmask_b32_e64 v6, 0, 1, s[4:5]
	v_add_u32_e32 v84, v84, v6
; %bb.4573:
	s_or_b64 exec, exec, s[92:93]
	s_xor_b64 s[92:93], exec, -1
	s_or_b64 s[4:5], s[76:77], exec
	flat_store_byte v[4:5], v84
.LBB166_4574:
	s_or_b64 exec, exec, s[90:91]
	s_andn2_b64 s[78:79], s[78:79], exec
	s_and_b64 s[90:91], s[92:93], exec
	s_andn2_b64 s[76:77], s[76:77], exec
	s_and_b64 s[4:5], s[4:5], exec
	s_or_b64 s[78:79], s[78:79], s[90:91]
	s_or_b64 s[76:77], s[76:77], s[4:5]
.LBB166_4575:
	s_or_b64 exec, exec, s[88:89]
	s_andn2_b64 s[4:5], s[44:45], exec
	s_and_b64 s[78:79], s[78:79], exec
	s_or_b64 s[78:79], s[4:5], s[78:79]
	s_and_b64 s[4:5], s[76:77], exec
                                        ; implicit-def: $vgpr6
                                        ; implicit-def: $vgpr4_vgpr5
.LBB166_4576:
	s_andn2_saveexec_b64 s[74:75], s[74:75]
	s_cbranch_execz .LBB166_4580
; %bb.4577:
	v_mov_b32_e32 v7, 29
	v_cmp_eq_u16_sdwa s[92:93], v13, v7 src0_sel:BYTE_0 src1_sel:DWORD
	s_mov_b64 s[90:91], -1
	s_mov_b64 s[88:89], s[4:5]
	s_and_saveexec_b64 s[76:77], s[92:93]
	s_cbranch_execz .LBB166_4579
; %bb.4578:
	v_trunc_f32_e32 v6, v6
	v_mul_f32_e32 v7, 0x2f800000, v6
	v_floor_f32_e32 v84, v7
	v_fmac_f32_e32 v6, 0xcf800000, v84
	v_cvt_u32_f32_e32 v7, v84
	v_cvt_u32_f32_e32 v6, v6
	s_xor_b64 s[90:91], exec, -1
	s_or_b64 s[88:89], s[4:5], exec
	flat_store_dwordx2 v[4:5], v[6:7]
.LBB166_4579:
	s_or_b64 exec, exec, s[76:77]
	s_andn2_b64 s[76:77], s[78:79], exec
	s_and_b64 s[78:79], s[90:91], exec
	s_or_b64 s[78:79], s[76:77], s[78:79]
	s_andn2_b64 s[4:5], s[4:5], exec
	s_and_b64 s[76:77], s[88:89], exec
	s_or_b64 s[4:5], s[4:5], s[76:77]
.LBB166_4580:
	s_or_b64 exec, exec, s[74:75]
	s_andn2_b64 s[74:75], s[44:45], exec
	s_and_b64 s[76:77], s[78:79], exec
	s_or_b64 s[74:75], s[74:75], s[76:77]
	s_and_b64 s[4:5], s[4:5], exec
                                        ; implicit-def: $vgpr4_vgpr5
                                        ; implicit-def: $vgpr6
.LBB166_4581:
	s_andn2_saveexec_b64 s[60:61], s[60:61]
	s_cbranch_execz .LBB166_4597
; %bb.4582:
	v_mov_b32_e32 v7, 26
	v_cmp_gt_i16_sdwa s[76:77], v13, v7 src0_sel:BYTE_0 src1_sel:DWORD
	s_and_saveexec_b64 s[78:79], s[76:77]
	s_xor_b64 s[76:77], exec, s[78:79]
	s_cbranch_execz .LBB166_4588
; %bb.4583:
	v_cvt_u32_f32_e32 v6, v6
	v_mov_b32_e32 v7, 27
	v_cmp_gt_i16_sdwa s[78:79], v13, v7 src0_sel:BYTE_0 src1_sel:DWORD
	s_and_saveexec_b64 s[88:89], s[78:79]
	s_xor_b64 s[78:79], exec, s[88:89]
	s_cbranch_execz .LBB166_4585
; %bb.4584:
	flat_store_dword v[4:5], v6
                                        ; implicit-def: $vgpr4_vgpr5
                                        ; implicit-def: $vgpr6
.LBB166_4585:
	s_andn2_saveexec_b64 s[78:79], s[78:79]
	s_cbranch_execz .LBB166_4587
; %bb.4586:
	flat_store_short v[4:5], v6
.LBB166_4587:
	s_or_b64 exec, exec, s[78:79]
                                        ; implicit-def: $vgpr4_vgpr5
                                        ; implicit-def: $vgpr6
.LBB166_4588:
	s_andn2_saveexec_b64 s[76:77], s[76:77]
	s_cbranch_execz .LBB166_4596
; %bb.4589:
	v_and_b32_e32 v7, 0x7fffffff, v6
	s_mov_b32 s78, 0x43800000
	v_cmp_gt_u32_e32 vcc, s78, v7
	v_mov_b32_e32 v84, 0x80
	s_and_saveexec_b64 s[78:79], vcc
	s_cbranch_execz .LBB166_4595
; %bb.4590:
	s_mov_b32 s88, 0x3bffffff
	v_cmp_lt_u32_e32 vcc, s88, v7
	s_mov_b64 s[88:89], 0
                                        ; implicit-def: $vgpr7
	s_and_saveexec_b64 s[90:91], vcc
	s_xor_b64 s[90:91], exec, s[90:91]
	s_cbranch_execnz .LBB166_7843
; %bb.4591:
	s_andn2_saveexec_b64 s[90:91], s[90:91]
	s_cbranch_execnz .LBB166_7844
.LBB166_4592:
	s_or_b64 exec, exec, s[90:91]
	v_mov_b32_e32 v84, 0
	s_and_saveexec_b64 s[90:91], s[88:89]
.LBB166_4593:
	v_lshrrev_b32_e32 v6, 24, v6
	s_movk_i32 s88, 0x80
	v_and_or_b32 v84, v6, s88, v7
.LBB166_4594:
	s_or_b64 exec, exec, s[90:91]
.LBB166_4595:
	s_or_b64 exec, exec, s[78:79]
	flat_store_byte v[4:5], v84
.LBB166_4596:
	s_or_b64 exec, exec, s[76:77]
	s_or_b64 s[4:5], s[4:5], exec
.LBB166_4597:
	s_or_b64 exec, exec, s[60:61]
	s_andn2_b64 s[60:61], s[44:45], exec
	s_and_b64 s[74:75], s[74:75], exec
	s_or_b64 s[60:61], s[60:61], s[74:75]
	s_and_b64 s[4:5], s[4:5], exec
                                        ; implicit-def: $vgpr6
                                        ; implicit-def: $vgpr4_vgpr5
.LBB166_4598:
	s_andn2_saveexec_b64 s[72:73], s[72:73]
	s_cbranch_execz .LBB166_4642
; %bb.4599:
	v_mov_b32_e32 v7, 22
	v_cmp_gt_i16_sdwa s[74:75], v13, v7 src0_sel:BYTE_0 src1_sel:DWORD
	s_mov_b64 s[76:77], s[4:5]
	s_and_saveexec_b64 s[78:79], s[74:75]
	s_xor_b64 s[74:75], exec, s[78:79]
	s_cbranch_execz .LBB166_4631
; %bb.4600:
	v_mov_b32_e32 v7, 23
	v_cmp_gt_i16_sdwa s[76:77], v13, v7 src0_sel:BYTE_0 src1_sel:DWORD
	s_and_saveexec_b64 s[78:79], s[76:77]
	s_xor_b64 s[76:77], exec, s[78:79]
	s_cbranch_execz .LBB166_4620
; %bb.4601:
	v_mov_b32_e32 v7, 24
	v_cmp_gt_i16_sdwa s[78:79], v13, v7 src0_sel:BYTE_0 src1_sel:DWORD
	s_and_saveexec_b64 s[88:89], s[78:79]
	s_xor_b64 s[78:79], exec, s[88:89]
	s_cbranch_execz .LBB166_4609
; %bb.4602:
	v_and_b32_e32 v7, 0x7fffffff, v6
	s_mov_b32 s88, 0x47800000
	v_cmp_gt_u32_e32 vcc, s88, v7
	v_mov_b32_e32 v84, 0x80
	s_and_saveexec_b64 s[88:89], vcc
	s_cbranch_execz .LBB166_4608
; %bb.4603:
	s_mov_b32 s90, 0x37ffffff
	v_cmp_lt_u32_e32 vcc, s90, v7
	s_mov_b64 s[90:91], 0
                                        ; implicit-def: $vgpr7
	s_and_saveexec_b64 s[92:93], vcc
	s_xor_b64 s[92:93], exec, s[92:93]
	s_cbranch_execnz .LBB166_7845
; %bb.4604:
	s_andn2_saveexec_b64 s[92:93], s[92:93]
	s_cbranch_execnz .LBB166_7846
.LBB166_4605:
	s_or_b64 exec, exec, s[92:93]
	v_mov_b32_e32 v84, 0
	s_and_saveexec_b64 s[92:93], s[90:91]
.LBB166_4606:
	v_lshrrev_b32_e32 v6, 24, v6
	s_movk_i32 s90, 0x80
	v_and_or_b32 v84, v6, s90, v7
.LBB166_4607:
	s_or_b64 exec, exec, s[92:93]
.LBB166_4608:
	s_or_b64 exec, exec, s[88:89]
	flat_store_byte v[4:5], v84
                                        ; implicit-def: $vgpr6
                                        ; implicit-def: $vgpr4_vgpr5
.LBB166_4609:
	s_andn2_saveexec_b64 s[78:79], s[78:79]
	s_cbranch_execz .LBB166_4619
; %bb.4610:
	v_and_b32_e32 v84, 0x7fffffff, v6
	s_mov_b32 s88, 0x43f00000
	v_cmp_gt_u32_e32 vcc, s88, v84
                                        ; implicit-def: $vgpr7
	s_and_saveexec_b64 s[88:89], vcc
	s_xor_b64 s[88:89], exec, s[88:89]
	s_cbranch_execz .LBB166_4616
; %bb.4611:
	s_mov_b32 s90, 0x3c7fffff
	v_cmp_lt_u32_e32 vcc, s90, v84
                                        ; implicit-def: $vgpr7
	s_and_saveexec_b64 s[90:91], vcc
	s_xor_b64 s[90:91], exec, s[90:91]
; %bb.4612:
	v_bfe_u32 v7, v6, 20, 1
	s_mov_b32 s92, 0x407ffff
	v_add3_u32 v7, v6, v7, s92
	v_lshrrev_b32_e32 v84, 20, v7
	v_and_b32_e32 v7, 0xff00000, v7
	s_mov_b32 s92, 0x7f00000
	v_mov_b32_e32 v85, 0x7e
	v_cmp_ne_u32_e32 vcc, s92, v7
	v_cndmask_b32_e32 v7, v85, v84, vcc
; %bb.4613:
	s_andn2_saveexec_b64 s[90:91], s[90:91]
; %bb.4614:
	s_mov_b32 s92, 0x46800000
	v_add_f32_e64 v7, |v6|, s92
; %bb.4615:
	s_or_b64 exec, exec, s[90:91]
                                        ; implicit-def: $vgpr84
.LBB166_4616:
	s_andn2_saveexec_b64 s[88:89], s[88:89]
; %bb.4617:
	s_mov_b32 s90, 0x7f800000
	v_mov_b32_e32 v7, 0x7e
	v_mov_b32_e32 v85, 0x7f
	v_cmp_lt_u32_e32 vcc, s90, v84
	v_cndmask_b32_e32 v7, v7, v85, vcc
; %bb.4618:
	s_or_b64 exec, exec, s[88:89]
	v_lshrrev_b32_e32 v6, 24, v6
	s_movk_i32 s88, 0x80
	v_and_or_b32 v6, v6, s88, v7
	flat_store_byte v[4:5], v6
.LBB166_4619:
	s_or_b64 exec, exec, s[78:79]
                                        ; implicit-def: $vgpr6
                                        ; implicit-def: $vgpr4_vgpr5
.LBB166_4620:
	s_andn2_saveexec_b64 s[76:77], s[76:77]
	s_cbranch_execz .LBB166_4630
; %bb.4621:
	v_and_b32_e32 v84, 0x7fffffff, v6
	s_mov_b32 s78, 0x47800000
	v_cmp_gt_u32_e32 vcc, s78, v84
                                        ; implicit-def: $vgpr7
	s_and_saveexec_b64 s[78:79], vcc
	s_xor_b64 s[78:79], exec, s[78:79]
	s_cbranch_execz .LBB166_4627
; %bb.4622:
	s_mov_b32 s88, 0x387fffff
	v_cmp_lt_u32_e32 vcc, s88, v84
                                        ; implicit-def: $vgpr7
	s_and_saveexec_b64 s[88:89], vcc
	s_xor_b64 s[88:89], exec, s[88:89]
; %bb.4623:
	v_bfe_u32 v7, v6, 21, 1
	s_mov_b32 s90, 0x80fffff
	v_add3_u32 v7, v6, v7, s90
	v_lshrrev_b32_e32 v7, 21, v7
; %bb.4624:
	s_andn2_saveexec_b64 s[88:89], s[88:89]
; %bb.4625:
	s_mov_b32 s90, 0x43000000
	v_add_f32_e64 v7, |v6|, s90
; %bb.4626:
	s_or_b64 exec, exec, s[88:89]
                                        ; implicit-def: $vgpr84
.LBB166_4627:
	s_andn2_saveexec_b64 s[78:79], s[78:79]
; %bb.4628:
	s_mov_b32 s88, 0x7f800000
	v_mov_b32_e32 v7, 0x7c
	v_mov_b32_e32 v85, 0x7f
	v_cmp_lt_u32_e32 vcc, s88, v84
	v_cndmask_b32_e32 v7, v7, v85, vcc
; %bb.4629:
	s_or_b64 exec, exec, s[78:79]
	v_lshrrev_b32_e32 v6, 24, v6
	s_movk_i32 s78, 0x80
	v_and_or_b32 v6, v6, s78, v7
	flat_store_byte v[4:5], v6
.LBB166_4630:
	s_or_b64 exec, exec, s[76:77]
	s_or_b64 s[76:77], s[4:5], exec
                                        ; implicit-def: $vgpr6
                                        ; implicit-def: $vgpr4_vgpr5
.LBB166_4631:
	s_or_saveexec_b64 s[74:75], s[74:75]
	s_mov_b64 s[88:89], s[60:61]
	s_xor_b64 exec, exec, s[74:75]
	s_cbranch_execz .LBB166_4641
; %bb.4632:
	v_mov_b32_e32 v7, 14
	v_cmp_gt_i16_sdwa s[90:91], v13, v7 src0_sel:BYTE_0 src1_sel:DWORD
	s_mov_b64 s[78:79], s[76:77]
	s_mov_b64 s[88:89], s[60:61]
	s_and_saveexec_b64 s[92:93], s[90:91]
	s_xor_b64 s[90:91], exec, s[92:93]
	s_cbranch_execz .LBB166_4636
; %bb.4633:
	v_mov_b32_e32 v7, 15
	v_cmp_eq_u16_sdwa s[94:95], v13, v7 src0_sel:BYTE_0 src1_sel:DWORD
	s_mov_b64 s[88:89], -1
	s_mov_b64 s[92:93], s[76:77]
	s_and_saveexec_b64 s[78:79], s[94:95]
	s_cbranch_execz .LBB166_4635
; %bb.4634:
	v_bfe_u32 v7, v6, 16, 1
	s_movk_i32 s88, 0x7fff
	v_add3_u32 v7, v6, v7, s88
	v_cmp_o_f32_e32 vcc, v6, v6
	v_mov_b32_e32 v6, 0x7fc0
	v_cndmask_b32_sdwa v6, v6, v7, vcc dst_sel:DWORD dst_unused:UNUSED_PAD src0_sel:DWORD src1_sel:WORD_1
	flat_store_short v[4:5], v6
	s_xor_b64 s[88:89], exec, -1
	s_or_b64 s[92:93], s[76:77], exec
.LBB166_4635:
	s_or_b64 exec, exec, s[78:79]
	s_andn2_b64 s[78:79], s[60:61], exec
	s_and_b64 s[88:89], s[88:89], exec
	s_or_b64 s[88:89], s[78:79], s[88:89]
	s_andn2_b64 s[78:79], s[76:77], exec
	s_and_b64 s[92:93], s[92:93], exec
	s_or_b64 s[78:79], s[78:79], s[92:93]
                                        ; implicit-def: $vgpr6
                                        ; implicit-def: $vgpr4_vgpr5
.LBB166_4636:
	s_andn2_saveexec_b64 s[90:91], s[90:91]
	s_cbranch_execz .LBB166_4640
; %bb.4637:
	v_mov_b32_e32 v7, 11
	v_cmp_eq_u16_sdwa vcc, v13, v7 src0_sel:BYTE_0 src1_sel:DWORD
	s_mov_b64 s[94:95], -1
	s_mov_b64 s[92:93], s[78:79]
	s_and_saveexec_b64 s[30:31], vcc
	s_cbranch_execz .LBB166_4639
; %bb.4638:
	v_cmp_neq_f32_e32 vcc, 0, v6
	v_cndmask_b32_e64 v6, 0, 1, vcc
	flat_store_byte v[4:5], v6
	s_xor_b64 s[94:95], exec, -1
	s_or_b64 s[92:93], s[78:79], exec
.LBB166_4639:
	s_or_b64 exec, exec, s[30:31]
	s_andn2_b64 s[88:89], s[88:89], exec
	s_and_b64 s[94:95], s[94:95], exec
	s_andn2_b64 s[78:79], s[78:79], exec
	s_and_b64 s[92:93], s[92:93], exec
	s_or_b64 s[88:89], s[88:89], s[94:95]
	s_or_b64 s[78:79], s[78:79], s[92:93]
.LBB166_4640:
	s_or_b64 exec, exec, s[90:91]
	s_andn2_b64 s[90:91], s[60:61], exec
	s_and_b64 s[88:89], s[88:89], exec
	s_andn2_b64 s[76:77], s[76:77], exec
	s_and_b64 s[78:79], s[78:79], exec
	s_or_b64 s[88:89], s[90:91], s[88:89]
	s_or_b64 s[76:77], s[76:77], s[78:79]
.LBB166_4641:
	s_or_b64 exec, exec, s[74:75]
	s_andn2_b64 s[60:61], s[60:61], exec
	s_and_b64 s[74:75], s[88:89], exec
	s_or_b64 s[60:61], s[60:61], s[74:75]
	s_andn2_b64 s[4:5], s[4:5], exec
	s_and_b64 s[74:75], s[76:77], exec
	s_or_b64 s[4:5], s[4:5], s[74:75]
.LBB166_4642:
	s_or_b64 exec, exec, s[72:73]
	s_andn2_b64 s[72:73], s[44:45], exec
	s_and_b64 s[60:61], s[60:61], exec
	s_or_b64 s[60:61], s[72:73], s[60:61]
	s_and_b64 s[4:5], s[4:5], exec
                                        ; implicit-def: $vgpr6
                                        ; implicit-def: $vgpr4_vgpr5
.LBB166_4643:
	s_andn2_saveexec_b64 s[56:57], s[56:57]
	s_cbranch_execz .LBB166_4685
; %bb.4644:
	v_mov_b32_e32 v7, 4
	v_cmp_gt_i16_sdwa s[72:73], v13, v7 src0_sel:BYTE_0 src1_sel:DWORD
	s_and_saveexec_b64 s[74:75], s[72:73]
	s_xor_b64 s[72:73], exec, s[74:75]
	s_cbranch_execz .LBB166_4666
; %bb.4645:
	v_mov_b32_e32 v7, 7
	v_cmp_gt_i16_sdwa s[74:75], v13, v7 src0_sel:BYTE_0 src1_sel:DWORD
	s_and_saveexec_b64 s[76:77], s[74:75]
	s_xor_b64 s[74:75], exec, s[76:77]
	;; [unrolled: 6-line block ×4, first 2 shown]
	s_cbranch_execz .LBB166_4649
; %bb.4648:
	v_cvt_f64_f32_e32 v[84:85], v6
	v_mov_b32_e32 v86, 0
	v_mov_b32_e32 v87, v86
                                        ; implicit-def: $vgpr6
	flat_store_dwordx4 v[4:5], v[84:87]
                                        ; implicit-def: $vgpr4_vgpr5
.LBB166_4649:
	s_andn2_saveexec_b64 s[78:79], s[78:79]
	s_cbranch_execz .LBB166_4651
; %bb.4650:
	v_mov_b32_e32 v7, 0
	flat_store_dwordx2 v[4:5], v[6:7]
.LBB166_4651:
	s_or_b64 exec, exec, s[78:79]
                                        ; implicit-def: $vgpr6
                                        ; implicit-def: $vgpr4_vgpr5
.LBB166_4652:
	s_andn2_saveexec_b64 s[76:77], s[76:77]
	s_cbranch_execz .LBB166_4654
; %bb.4653:
	v_cvt_f16_f32_e32 v6, v6
	flat_store_dword v[4:5], v6
.LBB166_4654:
	s_or_b64 exec, exec, s[76:77]
                                        ; implicit-def: $vgpr6
                                        ; implicit-def: $vgpr4_vgpr5
.LBB166_4655:
	s_andn2_saveexec_b64 s[74:75], s[74:75]
	s_cbranch_execz .LBB166_4665
; %bb.4656:
	v_mov_b32_e32 v7, 5
	v_cmp_gt_i16_sdwa s[76:77], v13, v7 src0_sel:BYTE_0 src1_sel:DWORD
	s_and_saveexec_b64 s[78:79], s[76:77]
	s_xor_b64 s[76:77], exec, s[78:79]
	s_cbranch_execz .LBB166_4662
; %bb.4657:
	v_mov_b32_e32 v7, 6
	v_cmp_gt_i16_sdwa s[78:79], v13, v7 src0_sel:BYTE_0 src1_sel:DWORD
	s_and_saveexec_b64 s[88:89], s[78:79]
	s_xor_b64 s[78:79], exec, s[88:89]
	s_cbranch_execz .LBB166_4659
; %bb.4658:
	v_cvt_f64_f32_e32 v[6:7], v6
	flat_store_dwordx2 v[4:5], v[6:7]
                                        ; implicit-def: $vgpr4_vgpr5
                                        ; implicit-def: $vgpr6
.LBB166_4659:
	s_andn2_saveexec_b64 s[78:79], s[78:79]
	s_cbranch_execz .LBB166_4661
; %bb.4660:
	flat_store_dword v[4:5], v6
.LBB166_4661:
	s_or_b64 exec, exec, s[78:79]
                                        ; implicit-def: $vgpr6
                                        ; implicit-def: $vgpr4_vgpr5
.LBB166_4662:
	s_andn2_saveexec_b64 s[76:77], s[76:77]
	s_cbranch_execz .LBB166_4664
; %bb.4663:
	v_cvt_f16_f32_e32 v6, v6
	flat_store_short v[4:5], v6
.LBB166_4664:
	s_or_b64 exec, exec, s[76:77]
.LBB166_4665:
	s_or_b64 exec, exec, s[74:75]
                                        ; implicit-def: $vgpr6
                                        ; implicit-def: $vgpr4_vgpr5
.LBB166_4666:
	s_andn2_saveexec_b64 s[72:73], s[72:73]
	s_cbranch_execz .LBB166_4684
; %bb.4667:
	v_mov_b32_e32 v7, 1
	v_cmp_gt_i16_sdwa s[74:75], v13, v7 src0_sel:BYTE_0 src1_sel:DWORD
	s_and_saveexec_b64 s[76:77], s[74:75]
	s_xor_b64 s[74:75], exec, s[76:77]
	s_cbranch_execz .LBB166_4677
; %bb.4668:
	v_mov_b32_e32 v7, 2
	v_cmp_gt_i16_sdwa s[76:77], v13, v7 src0_sel:BYTE_0 src1_sel:DWORD
	s_and_saveexec_b64 s[78:79], s[76:77]
	s_xor_b64 s[76:77], exec, s[78:79]
	;; [unrolled: 6-line block ×3, first 2 shown]
	s_cbranch_execz .LBB166_4671
; %bb.4670:
	v_trunc_f32_e32 v6, v6
	s_mov_b32 s88, 0x2f800000
	v_mul_f32_e64 v7, |v6|, s88
	v_floor_f32_e32 v7, v7
	s_mov_b32 s88, 0xcf800000
	v_cvt_u32_f32_e32 v84, v7
	v_fma_f32 v7, v7, s88, |v6|
	v_cvt_u32_f32_e32 v7, v7
	v_ashrrev_i32_e32 v85, 31, v6
	v_xor_b32_e32 v84, v84, v85
	v_xor_b32_e32 v6, v7, v85
	v_sub_co_u32_e32 v6, vcc, v6, v85
	v_subb_co_u32_e32 v7, vcc, v84, v85, vcc
	flat_store_dwordx2 v[4:5], v[6:7]
                                        ; implicit-def: $vgpr6
                                        ; implicit-def: $vgpr4_vgpr5
.LBB166_4671:
	s_andn2_saveexec_b64 s[78:79], s[78:79]
	s_cbranch_execz .LBB166_4673
; %bb.4672:
	v_cvt_i32_f32_e32 v6, v6
	flat_store_dword v[4:5], v6
.LBB166_4673:
	s_or_b64 exec, exec, s[78:79]
                                        ; implicit-def: $vgpr6
                                        ; implicit-def: $vgpr4_vgpr5
.LBB166_4674:
	s_andn2_saveexec_b64 s[76:77], s[76:77]
	s_cbranch_execz .LBB166_4676
; %bb.4675:
	v_cvt_i32_f32_e32 v6, v6
	flat_store_short v[4:5], v6
.LBB166_4676:
	s_or_b64 exec, exec, s[76:77]
                                        ; implicit-def: $vgpr6
                                        ; implicit-def: $vgpr4_vgpr5
.LBB166_4677:
	s_andn2_saveexec_b64 s[74:75], s[74:75]
	s_cbranch_execz .LBB166_4683
; %bb.4678:
	v_mov_b32_e32 v7, 0
	v_cmp_gt_i16_sdwa s[76:77], v13, v7 src0_sel:BYTE_0 src1_sel:DWORD
	s_and_saveexec_b64 s[78:79], s[76:77]
	s_xor_b64 s[76:77], exec, s[78:79]
	s_cbranch_execz .LBB166_4680
; %bb.4679:
	v_cvt_i32_f32_e32 v6, v6
	flat_store_byte v[4:5], v6
                                        ; implicit-def: $vgpr6
                                        ; implicit-def: $vgpr4_vgpr5
.LBB166_4680:
	s_andn2_saveexec_b64 s[76:77], s[76:77]
	s_cbranch_execz .LBB166_4682
; %bb.4681:
	v_trunc_f32_e32 v6, v6
	s_mov_b32 s78, 0x2f800000
	v_mul_f32_e64 v7, |v6|, s78
	v_floor_f32_e32 v7, v7
	s_mov_b32 s78, 0xcf800000
	v_fma_f32 v7, v7, s78, |v6|
	v_cvt_u32_f32_e32 v7, v7
	v_ashrrev_i32_e32 v6, 31, v6
	v_xor_b32_e32 v7, v7, v6
	v_sub_u32_e32 v6, v7, v6
	flat_store_byte v[4:5], v6
.LBB166_4682:
	s_or_b64 exec, exec, s[76:77]
.LBB166_4683:
	s_or_b64 exec, exec, s[74:75]
.LBB166_4684:
	s_or_b64 exec, exec, s[72:73]
	s_or_b64 s[4:5], s[4:5], exec
.LBB166_4685:
	s_or_b64 exec, exec, s[56:57]
	s_mov_b64 s[72:73], 0
	s_mov_b64 s[56:57], 0
	s_and_saveexec_b64 s[74:75], s[4:5]
; %bb.4686:
	v_add_u32_e32 v17, 0x200, v17
	v_cmp_lt_i32_e32 vcc, v17, v8
	s_mov_b64 s[72:73], exec
	s_and_b64 s[56:57], vcc, exec
; %bb.4687:
	s_or_b64 exec, exec, s[74:75]
	s_and_b64 s[4:5], s[56:57], exec
	s_andn2_b64 s[56:57], s[44:45], exec
	s_and_b64 s[60:61], s[60:61], exec
	s_or_b64 s[56:57], s[56:57], s[60:61]
	s_orn2_b64 s[74:75], s[72:73], exec
.LBB166_4688:
	s_or_b64 exec, exec, s[58:59]
	s_mov_b64 s[72:73], 0
	s_mov_b64 s[76:77], 0
                                        ; implicit-def: $vgpr4
                                        ; implicit-def: $vgpr112
                                        ; implicit-def: $vgpr6_vgpr7
	s_and_saveexec_b64 s[58:59], s[74:75]
	s_cbranch_execz .LBB166_7760
; %bb.4689:
	s_mov_b64 s[72:73], -1
	s_mov_b64 s[74:75], 0
	s_mov_b64 s[60:61], s[56:57]
	s_and_saveexec_b64 s[62:63], s[4:5]
	s_cbranch_execz .LBB166_4817
; %bb.4690:
	v_readlane_b32 s4, v41, 2
	v_add_u32_e32 v4, s4, v17
	v_mul_lo_u32 v4, v4, v14
	v_mov_b32_e32 v7, 10
	v_cmp_gt_i16_sdwa s[60:61], v13, v7 src0_sel:BYTE_0 src1_sel:DWORD
	s_mov_b64 s[4:5], 0
	v_add_co_u32_e32 v4, vcc, v2, v4
	v_addc_co_u32_e32 v5, vcc, 0, v3, vcc
	s_waitcnt vmcnt(0)
	v_cmp_nle_f32_e32 vcc, v83, v0
	v_cndmask_b32_e32 v6, v1, v82, vcc
	s_mov_b64 s[72:73], s[56:57]
	s_and_saveexec_b64 s[76:77], s[60:61]
	s_xor_b64 s[60:61], exec, s[76:77]
	s_cbranch_execz .LBB166_4772
; %bb.4691:
	v_mov_b32_e32 v7, 25
	v_cmp_gt_i16_sdwa s[76:77], v13, v7 src0_sel:BYTE_0 src1_sel:DWORD
	s_mov_b64 s[72:73], s[56:57]
	s_and_saveexec_b64 s[78:79], s[76:77]
	s_xor_b64 s[76:77], exec, s[78:79]
	s_cbranch_execz .LBB166_4727
; %bb.4692:
	v_mov_b32_e32 v7, 28
	v_cmp_gt_i16_sdwa s[72:73], v13, v7 src0_sel:BYTE_0 src1_sel:DWORD
	;; [unrolled: 7-line block ×4, first 2 shown]
	s_mov_b64 s[88:89], 0
	s_mov_b64 s[90:91], s[56:57]
	s_and_saveexec_b64 s[92:93], s[4:5]
	s_xor_b64 s[4:5], exec, s[92:93]
	s_cbranch_execz .LBB166_4698
; %bb.4695:
	v_mov_b32_e32 v7, 46
	v_cmp_eq_u16_sdwa s[94:95], v13, v7 src0_sel:BYTE_0 src1_sel:DWORD
	s_mov_b64 s[92:93], -1
	s_and_saveexec_b64 s[90:91], s[94:95]
	s_cbranch_execz .LBB166_4697
; %bb.4696:
	v_bfe_u32 v7, v6, 16, 1
	s_movk_i32 s92, 0x7fff
	v_add3_u32 v7, v6, v7, s92
	v_cmp_o_f32_e32 vcc, v6, v6
	v_mov_b32_e32 v6, 0x7fc0
	v_cndmask_b32_sdwa v6, v6, v7, vcc dst_sel:DWORD dst_unused:UNUSED_PAD src0_sel:DWORD src1_sel:WORD_1
	s_mov_b64 s[88:89], exec
	flat_store_dword v[4:5], v6
	s_xor_b64 s[92:93], exec, -1
.LBB166_4697:
	s_or_b64 exec, exec, s[90:91]
	s_andn2_b64 s[90:91], s[56:57], exec
	s_and_b64 s[92:93], s[92:93], exec
	s_or_b64 s[90:91], s[90:91], s[92:93]
	s_and_b64 s[88:89], s[88:89], exec
                                        ; implicit-def: $vgpr4_vgpr5
                                        ; implicit-def: $vgpr6
.LBB166_4698:
	s_andn2_saveexec_b64 s[92:93], s[4:5]
	s_cbranch_execz .LBB166_4704
; %bb.4699:
	v_mov_b32_e32 v7, 44
	v_cmp_eq_u16_sdwa s[30:31], v13, v7 src0_sel:BYTE_0 src1_sel:DWORD
	s_mov_b64 vcc, -1
	s_mov_b64 s[4:5], s[88:89]
	s_and_saveexec_b64 s[94:95], s[30:31]
	s_cbranch_execz .LBB166_4703
; %bb.4700:
	v_bfe_u32 v7, v6, 23, 8
	s_movk_i32 s4, 0xff
	v_cmp_ne_u32_e32 vcc, s4, v7
	v_mov_b32_e32 v82, 0xff
	s_and_saveexec_b64 s[30:31], vcc
; %bb.4701:
	s_mov_b32 s4, 0x3fffff
	v_lshrrev_b32_e32 v82, 23, v6
	v_and_b32_e32 v83, 0x400000, v6
	v_and_or_b32 v6, v6, s4, v7
	v_cmp_ne_u32_e32 vcc, 0, v83
	v_cmp_ne_u32_e64 s[4:5], 0, v6
	s_and_b64 s[4:5], vcc, s[4:5]
	v_cndmask_b32_e64 v6, 0, 1, s[4:5]
	v_add_u32_e32 v82, v82, v6
; %bb.4702:
	s_or_b64 exec, exec, s[30:31]
	s_xor_b64 vcc, exec, -1
	s_or_b64 s[4:5], s[88:89], exec
	flat_store_byte v[4:5], v82
.LBB166_4703:
	s_or_b64 exec, exec, s[94:95]
	s_andn2_b64 s[90:91], s[90:91], exec
	s_and_b64 s[94:95], vcc, exec
	s_andn2_b64 s[88:89], s[88:89], exec
	s_and_b64 s[4:5], s[4:5], exec
	s_or_b64 s[90:91], s[90:91], s[94:95]
	s_or_b64 s[88:89], s[88:89], s[4:5]
.LBB166_4704:
	s_or_b64 exec, exec, s[92:93]
	s_andn2_b64 s[4:5], s[56:57], exec
	s_and_b64 s[90:91], s[90:91], exec
	s_or_b64 s[90:91], s[4:5], s[90:91]
	s_and_b64 s[4:5], s[88:89], exec
                                        ; implicit-def: $vgpr6
                                        ; implicit-def: $vgpr4_vgpr5
.LBB166_4705:
	s_andn2_saveexec_b64 s[78:79], s[78:79]
	s_cbranch_execz .LBB166_4709
; %bb.4706:
	v_mov_b32_e32 v7, 29
	v_cmp_eq_u16_sdwa vcc, v13, v7 src0_sel:BYTE_0 src1_sel:DWORD
	s_mov_b64 s[94:95], -1
	s_mov_b64 s[92:93], s[4:5]
	s_and_saveexec_b64 s[88:89], vcc
	s_cbranch_execz .LBB166_4708
; %bb.4707:
	v_trunc_f32_e32 v6, v6
	v_mul_f32_e32 v7, 0x2f800000, v6
	v_floor_f32_e32 v82, v7
	v_fmac_f32_e32 v6, 0xcf800000, v82
	v_cvt_u32_f32_e32 v7, v82
	v_cvt_u32_f32_e32 v6, v6
	s_xor_b64 s[94:95], exec, -1
	s_or_b64 s[92:93], s[4:5], exec
	flat_store_dwordx2 v[4:5], v[6:7]
.LBB166_4708:
	s_or_b64 exec, exec, s[88:89]
	s_andn2_b64 s[88:89], s[90:91], exec
	s_and_b64 s[90:91], s[94:95], exec
	s_or_b64 s[90:91], s[88:89], s[90:91]
	s_andn2_b64 s[4:5], s[4:5], exec
	s_and_b64 s[88:89], s[92:93], exec
	s_or_b64 s[4:5], s[4:5], s[88:89]
.LBB166_4709:
	s_or_b64 exec, exec, s[78:79]
	s_andn2_b64 s[78:79], s[56:57], exec
	s_and_b64 s[88:89], s[90:91], exec
	s_or_b64 s[78:79], s[78:79], s[88:89]
	s_and_b64 s[4:5], s[4:5], exec
                                        ; implicit-def: $vgpr4_vgpr5
                                        ; implicit-def: $vgpr6
.LBB166_4710:
	s_andn2_saveexec_b64 s[72:73], s[72:73]
	s_cbranch_execz .LBB166_4726
; %bb.4711:
	v_mov_b32_e32 v7, 26
	v_cmp_gt_i16_sdwa s[88:89], v13, v7 src0_sel:BYTE_0 src1_sel:DWORD
	s_and_saveexec_b64 s[90:91], s[88:89]
	s_xor_b64 s[88:89], exec, s[90:91]
	s_cbranch_execz .LBB166_4717
; %bb.4712:
	v_cvt_u32_f32_e32 v6, v6
	v_mov_b32_e32 v7, 27
	v_cmp_gt_i16_sdwa s[90:91], v13, v7 src0_sel:BYTE_0 src1_sel:DWORD
	s_and_saveexec_b64 s[92:93], s[90:91]
	s_xor_b64 s[90:91], exec, s[92:93]
	s_cbranch_execz .LBB166_4714
; %bb.4713:
	flat_store_dword v[4:5], v6
                                        ; implicit-def: $vgpr4_vgpr5
                                        ; implicit-def: $vgpr6
.LBB166_4714:
	s_andn2_saveexec_b64 s[90:91], s[90:91]
	s_cbranch_execz .LBB166_4716
; %bb.4715:
	flat_store_short v[4:5], v6
.LBB166_4716:
	s_or_b64 exec, exec, s[90:91]
                                        ; implicit-def: $vgpr4_vgpr5
                                        ; implicit-def: $vgpr6
.LBB166_4717:
	s_andn2_saveexec_b64 s[88:89], s[88:89]
	s_cbranch_execz .LBB166_4725
; %bb.4718:
	v_and_b32_e32 v7, 0x7fffffff, v6
	s_mov_b32 s90, 0x43800000
	v_cmp_gt_u32_e32 vcc, s90, v7
	v_mov_b32_e32 v82, 0x80
	s_and_saveexec_b64 s[90:91], vcc
	s_cbranch_execz .LBB166_4724
; %bb.4719:
	s_mov_b32 s92, 0x3bffffff
	v_cmp_lt_u32_e32 vcc, s92, v7
	s_mov_b64 s[92:93], 0
                                        ; implicit-def: $vgpr7
	s_and_saveexec_b64 s[94:95], vcc
	s_xor_b64 s[94:95], exec, s[94:95]
	s_cbranch_execnz .LBB166_7847
; %bb.4720:
	s_andn2_saveexec_b64 s[94:95], s[94:95]
	s_cbranch_execnz .LBB166_7848
.LBB166_4721:
	s_or_b64 exec, exec, s[94:95]
	v_mov_b32_e32 v82, 0
	s_and_saveexec_b64 s[94:95], s[92:93]
.LBB166_4722:
	v_lshrrev_b32_e32 v6, 24, v6
	s_movk_i32 s92, 0x80
	v_and_or_b32 v82, v6, s92, v7
.LBB166_4723:
	s_or_b64 exec, exec, s[94:95]
.LBB166_4724:
	s_or_b64 exec, exec, s[90:91]
	flat_store_byte v[4:5], v82
.LBB166_4725:
	s_or_b64 exec, exec, s[88:89]
	s_or_b64 s[4:5], s[4:5], exec
.LBB166_4726:
	s_or_b64 exec, exec, s[72:73]
	s_andn2_b64 s[72:73], s[56:57], exec
	s_and_b64 s[78:79], s[78:79], exec
	s_or_b64 s[72:73], s[72:73], s[78:79]
	s_and_b64 s[4:5], s[4:5], exec
                                        ; implicit-def: $vgpr6
                                        ; implicit-def: $vgpr4_vgpr5
.LBB166_4727:
	s_andn2_saveexec_b64 s[76:77], s[76:77]
	s_cbranch_execz .LBB166_4771
; %bb.4728:
	v_mov_b32_e32 v7, 22
	v_cmp_gt_i16_sdwa s[78:79], v13, v7 src0_sel:BYTE_0 src1_sel:DWORD
	s_mov_b64 s[88:89], s[4:5]
	s_and_saveexec_b64 s[90:91], s[78:79]
	s_xor_b64 s[78:79], exec, s[90:91]
	s_cbranch_execz .LBB166_4760
; %bb.4729:
	v_mov_b32_e32 v7, 23
	v_cmp_gt_i16_sdwa s[88:89], v13, v7 src0_sel:BYTE_0 src1_sel:DWORD
	s_and_saveexec_b64 s[90:91], s[88:89]
	s_xor_b64 s[88:89], exec, s[90:91]
	s_cbranch_execz .LBB166_4749
; %bb.4730:
	v_mov_b32_e32 v7, 24
	v_cmp_gt_i16_sdwa s[90:91], v13, v7 src0_sel:BYTE_0 src1_sel:DWORD
	s_and_saveexec_b64 s[92:93], s[90:91]
	s_xor_b64 s[90:91], exec, s[92:93]
	s_cbranch_execz .LBB166_4738
; %bb.4731:
	v_and_b32_e32 v7, 0x7fffffff, v6
	s_mov_b32 s92, 0x47800000
	v_cmp_gt_u32_e32 vcc, s92, v7
	v_mov_b32_e32 v82, 0x80
	s_and_saveexec_b64 s[92:93], vcc
	s_cbranch_execz .LBB166_4737
; %bb.4732:
	s_mov_b32 s94, 0x37ffffff
	v_cmp_lt_u32_e32 vcc, s94, v7
	s_mov_b64 s[94:95], 0
                                        ; implicit-def: $vgpr7
	s_and_saveexec_b64 s[30:31], vcc
	s_xor_b64 vcc, exec, s[30:31]
	s_cbranch_execnz .LBB166_7849
; %bb.4733:
	s_andn2_saveexec_b64 s[30:31], vcc
	s_cbranch_execnz .LBB166_7850
.LBB166_4734:
	s_or_b64 exec, exec, s[30:31]
	v_mov_b32_e32 v82, 0
	s_and_saveexec_b64 vcc, s[94:95]
.LBB166_4735:
	v_lshrrev_b32_e32 v6, 24, v6
	s_movk_i32 s94, 0x80
	v_and_or_b32 v82, v6, s94, v7
.LBB166_4736:
	s_or_b64 exec, exec, vcc
.LBB166_4737:
	s_or_b64 exec, exec, s[92:93]
	flat_store_byte v[4:5], v82
                                        ; implicit-def: $vgpr6
                                        ; implicit-def: $vgpr4_vgpr5
.LBB166_4738:
	s_andn2_saveexec_b64 s[90:91], s[90:91]
	s_cbranch_execz .LBB166_4748
; %bb.4739:
	v_and_b32_e32 v82, 0x7fffffff, v6
	s_mov_b32 s92, 0x43f00000
	v_cmp_gt_u32_e32 vcc, s92, v82
                                        ; implicit-def: $vgpr7
	s_and_saveexec_b64 s[92:93], vcc
	s_xor_b64 s[92:93], exec, s[92:93]
	s_cbranch_execz .LBB166_4745
; %bb.4740:
	s_mov_b32 s94, 0x3c7fffff
	v_cmp_lt_u32_e32 vcc, s94, v82
                                        ; implicit-def: $vgpr7
	s_and_saveexec_b64 s[94:95], vcc
	s_xor_b64 s[94:95], exec, s[94:95]
; %bb.4741:
	v_bfe_u32 v7, v6, 20, 1
	s_mov_b32 vcc_lo, 0x407ffff
	v_add3_u32 v7, v6, v7, vcc_lo
	v_lshrrev_b32_e32 v82, 20, v7
	v_and_b32_e32 v7, 0xff00000, v7
	s_mov_b32 vcc_lo, 0x7f00000
	v_mov_b32_e32 v83, 0x7e
	v_cmp_ne_u32_e32 vcc, vcc_lo, v7
	v_cndmask_b32_e32 v7, v83, v82, vcc
; %bb.4742:
	s_andn2_saveexec_b64 s[94:95], s[94:95]
; %bb.4743:
	s_mov_b32 s30, 0x46800000
	v_add_f32_e64 v7, |v6|, s30
; %bb.4744:
	s_or_b64 exec, exec, s[94:95]
                                        ; implicit-def: $vgpr82
.LBB166_4745:
	s_andn2_saveexec_b64 s[92:93], s[92:93]
; %bb.4746:
	s_mov_b32 s94, 0x7f800000
	v_mov_b32_e32 v7, 0x7e
	v_mov_b32_e32 v83, 0x7f
	v_cmp_lt_u32_e32 vcc, s94, v82
	v_cndmask_b32_e32 v7, v7, v83, vcc
; %bb.4747:
	s_or_b64 exec, exec, s[92:93]
	v_lshrrev_b32_e32 v6, 24, v6
	s_movk_i32 s92, 0x80
	v_and_or_b32 v6, v6, s92, v7
	flat_store_byte v[4:5], v6
.LBB166_4748:
	s_or_b64 exec, exec, s[90:91]
                                        ; implicit-def: $vgpr6
                                        ; implicit-def: $vgpr4_vgpr5
.LBB166_4749:
	s_andn2_saveexec_b64 s[88:89], s[88:89]
	s_cbranch_execz .LBB166_4759
; %bb.4750:
	v_and_b32_e32 v82, 0x7fffffff, v6
	s_mov_b32 s90, 0x47800000
	v_cmp_gt_u32_e32 vcc, s90, v82
                                        ; implicit-def: $vgpr7
	s_and_saveexec_b64 s[90:91], vcc
	s_xor_b64 s[90:91], exec, s[90:91]
	s_cbranch_execz .LBB166_4756
; %bb.4751:
	s_mov_b32 s92, 0x387fffff
	v_cmp_lt_u32_e32 vcc, s92, v82
                                        ; implicit-def: $vgpr7
	s_and_saveexec_b64 s[92:93], vcc
	s_xor_b64 s[92:93], exec, s[92:93]
; %bb.4752:
	v_bfe_u32 v7, v6, 21, 1
	s_mov_b32 s94, 0x80fffff
	v_add3_u32 v7, v6, v7, s94
	v_lshrrev_b32_e32 v7, 21, v7
; %bb.4753:
	s_andn2_saveexec_b64 s[92:93], s[92:93]
; %bb.4754:
	s_mov_b32 s94, 0x43000000
	v_add_f32_e64 v7, |v6|, s94
; %bb.4755:
	s_or_b64 exec, exec, s[92:93]
                                        ; implicit-def: $vgpr82
.LBB166_4756:
	s_andn2_saveexec_b64 s[90:91], s[90:91]
; %bb.4757:
	s_mov_b32 s92, 0x7f800000
	v_mov_b32_e32 v7, 0x7c
	v_mov_b32_e32 v83, 0x7f
	v_cmp_lt_u32_e32 vcc, s92, v82
	v_cndmask_b32_e32 v7, v7, v83, vcc
; %bb.4758:
	s_or_b64 exec, exec, s[90:91]
	v_lshrrev_b32_e32 v6, 24, v6
	s_movk_i32 s90, 0x80
	v_and_or_b32 v6, v6, s90, v7
	flat_store_byte v[4:5], v6
.LBB166_4759:
	s_or_b64 exec, exec, s[88:89]
	s_or_b64 s[88:89], s[4:5], exec
                                        ; implicit-def: $vgpr6
                                        ; implicit-def: $vgpr4_vgpr5
.LBB166_4760:
	s_or_saveexec_b64 s[78:79], s[78:79]
	s_mov_b64 s[92:93], s[72:73]
	s_xor_b64 exec, exec, s[78:79]
	s_cbranch_execz .LBB166_4770
; %bb.4761:
	v_mov_b32_e32 v7, 14
	v_cmp_gt_i16_sdwa s[94:95], v13, v7 src0_sel:BYTE_0 src1_sel:DWORD
	s_mov_b64 s[90:91], s[88:89]
	s_mov_b64 s[92:93], s[72:73]
	s_and_saveexec_b64 vcc, s[94:95]
	s_xor_b64 s[94:95], exec, vcc
	s_cbranch_execz .LBB166_4765
; %bb.4762:
	v_mov_b32_e32 v7, 15
	v_cmp_eq_u16_sdwa s[30:31], v13, v7 src0_sel:BYTE_0 src1_sel:DWORD
	s_mov_b64 s[92:93], -1
	s_mov_b64 vcc, s[88:89]
	s_and_saveexec_b64 s[90:91], s[30:31]
	s_cbranch_execz .LBB166_4764
; %bb.4763:
	v_bfe_u32 v7, v6, 16, 1
	s_movk_i32 s92, 0x7fff
	v_add3_u32 v7, v6, v7, s92
	v_cmp_o_f32_e32 vcc, v6, v6
	v_mov_b32_e32 v6, 0x7fc0
	v_cndmask_b32_sdwa v6, v6, v7, vcc dst_sel:DWORD dst_unused:UNUSED_PAD src0_sel:DWORD src1_sel:WORD_1
	flat_store_short v[4:5], v6
	s_xor_b64 s[92:93], exec, -1
	s_or_b64 vcc, s[88:89], exec
.LBB166_4764:
	s_or_b64 exec, exec, s[90:91]
	s_andn2_b64 s[90:91], s[72:73], exec
	s_and_b64 s[92:93], s[92:93], exec
	s_or_b64 s[92:93], s[90:91], s[92:93]
	s_andn2_b64 s[90:91], s[88:89], exec
	s_and_b64 vcc, vcc, exec
	s_or_b64 s[90:91], s[90:91], vcc
                                        ; implicit-def: $vgpr6
                                        ; implicit-def: $vgpr4_vgpr5
.LBB166_4765:
	s_andn2_saveexec_b64 s[94:95], s[94:95]
	s_cbranch_execz .LBB166_4769
; %bb.4766:
	v_mov_b32_e32 v7, 11
	v_cmp_eq_u16_sdwa s[36:37], v13, v7 src0_sel:BYTE_0 src1_sel:DWORD
	s_mov_b64 s[30:31], -1
	s_mov_b64 vcc, s[90:91]
	s_and_saveexec_b64 s[34:35], s[36:37]
	s_cbranch_execz .LBB166_4768
; %bb.4767:
	v_cmp_neq_f32_e32 vcc, 0, v6
	v_cndmask_b32_e64 v6, 0, 1, vcc
	flat_store_byte v[4:5], v6
	s_xor_b64 s[30:31], exec, -1
	s_or_b64 vcc, s[90:91], exec
.LBB166_4768:
	s_or_b64 exec, exec, s[34:35]
	s_andn2_b64 s[92:93], s[92:93], exec
	s_and_b64 s[30:31], s[30:31], exec
	s_andn2_b64 s[90:91], s[90:91], exec
	s_and_b64 vcc, vcc, exec
	s_or_b64 s[92:93], s[92:93], s[30:31]
	s_or_b64 s[90:91], s[90:91], vcc
.LBB166_4769:
	s_or_b64 exec, exec, s[94:95]
	s_andn2_b64 s[94:95], s[72:73], exec
	s_and_b64 s[92:93], s[92:93], exec
	s_andn2_b64 s[88:89], s[88:89], exec
	s_and_b64 s[90:91], s[90:91], exec
	s_or_b64 s[92:93], s[94:95], s[92:93]
	s_or_b64 s[88:89], s[88:89], s[90:91]
.LBB166_4770:
	s_or_b64 exec, exec, s[78:79]
	s_andn2_b64 s[72:73], s[72:73], exec
	s_and_b64 s[78:79], s[92:93], exec
	s_or_b64 s[72:73], s[72:73], s[78:79]
	s_andn2_b64 s[4:5], s[4:5], exec
	s_and_b64 s[78:79], s[88:89], exec
	s_or_b64 s[4:5], s[4:5], s[78:79]
.LBB166_4771:
	s_or_b64 exec, exec, s[76:77]
	s_andn2_b64 s[76:77], s[56:57], exec
	s_and_b64 s[72:73], s[72:73], exec
	s_or_b64 s[72:73], s[76:77], s[72:73]
	s_and_b64 s[4:5], s[4:5], exec
                                        ; implicit-def: $vgpr6
                                        ; implicit-def: $vgpr4_vgpr5
.LBB166_4772:
	s_andn2_saveexec_b64 s[60:61], s[60:61]
	s_cbranch_execz .LBB166_4814
; %bb.4773:
	v_mov_b32_e32 v7, 4
	v_cmp_gt_i16_sdwa s[76:77], v13, v7 src0_sel:BYTE_0 src1_sel:DWORD
	s_and_saveexec_b64 s[78:79], s[76:77]
	s_xor_b64 s[76:77], exec, s[78:79]
	s_cbranch_execz .LBB166_4795
; %bb.4774:
	v_mov_b32_e32 v7, 7
	v_cmp_gt_i16_sdwa s[78:79], v13, v7 src0_sel:BYTE_0 src1_sel:DWORD
	s_and_saveexec_b64 s[88:89], s[78:79]
	s_xor_b64 s[78:79], exec, s[88:89]
	;; [unrolled: 6-line block ×4, first 2 shown]
	s_cbranch_execz .LBB166_4778
; %bb.4777:
	v_cvt_f64_f32_e32 v[82:83], v6
	v_mov_b32_e32 v84, 0
	v_mov_b32_e32 v85, v84
                                        ; implicit-def: $vgpr6
	flat_store_dwordx4 v[4:5], v[82:85]
                                        ; implicit-def: $vgpr4_vgpr5
.LBB166_4778:
	s_andn2_saveexec_b64 s[90:91], s[90:91]
	s_cbranch_execz .LBB166_4780
; %bb.4779:
	v_mov_b32_e32 v7, 0
	flat_store_dwordx2 v[4:5], v[6:7]
.LBB166_4780:
	s_or_b64 exec, exec, s[90:91]
                                        ; implicit-def: $vgpr6
                                        ; implicit-def: $vgpr4_vgpr5
.LBB166_4781:
	s_andn2_saveexec_b64 s[88:89], s[88:89]
	s_cbranch_execz .LBB166_4783
; %bb.4782:
	v_cvt_f16_f32_e32 v6, v6
	flat_store_dword v[4:5], v6
.LBB166_4783:
	s_or_b64 exec, exec, s[88:89]
                                        ; implicit-def: $vgpr6
                                        ; implicit-def: $vgpr4_vgpr5
.LBB166_4784:
	s_andn2_saveexec_b64 s[78:79], s[78:79]
	s_cbranch_execz .LBB166_4794
; %bb.4785:
	v_mov_b32_e32 v7, 5
	v_cmp_gt_i16_sdwa s[88:89], v13, v7 src0_sel:BYTE_0 src1_sel:DWORD
	s_and_saveexec_b64 s[90:91], s[88:89]
	s_xor_b64 s[88:89], exec, s[90:91]
	s_cbranch_execz .LBB166_4791
; %bb.4786:
	v_mov_b32_e32 v7, 6
	v_cmp_gt_i16_sdwa s[90:91], v13, v7 src0_sel:BYTE_0 src1_sel:DWORD
	s_and_saveexec_b64 s[92:93], s[90:91]
	s_xor_b64 s[90:91], exec, s[92:93]
	s_cbranch_execz .LBB166_4788
; %bb.4787:
	v_cvt_f64_f32_e32 v[6:7], v6
	flat_store_dwordx2 v[4:5], v[6:7]
                                        ; implicit-def: $vgpr4_vgpr5
                                        ; implicit-def: $vgpr6
.LBB166_4788:
	s_andn2_saveexec_b64 s[90:91], s[90:91]
	s_cbranch_execz .LBB166_4790
; %bb.4789:
	flat_store_dword v[4:5], v6
.LBB166_4790:
	s_or_b64 exec, exec, s[90:91]
                                        ; implicit-def: $vgpr6
                                        ; implicit-def: $vgpr4_vgpr5
.LBB166_4791:
	s_andn2_saveexec_b64 s[88:89], s[88:89]
	s_cbranch_execz .LBB166_4793
; %bb.4792:
	v_cvt_f16_f32_e32 v6, v6
	flat_store_short v[4:5], v6
.LBB166_4793:
	s_or_b64 exec, exec, s[88:89]
.LBB166_4794:
	s_or_b64 exec, exec, s[78:79]
                                        ; implicit-def: $vgpr6
                                        ; implicit-def: $vgpr4_vgpr5
.LBB166_4795:
	s_andn2_saveexec_b64 s[76:77], s[76:77]
	s_cbranch_execz .LBB166_4813
; %bb.4796:
	v_mov_b32_e32 v7, 1
	v_cmp_gt_i16_sdwa s[78:79], v13, v7 src0_sel:BYTE_0 src1_sel:DWORD
	s_and_saveexec_b64 s[88:89], s[78:79]
	s_xor_b64 s[78:79], exec, s[88:89]
	s_cbranch_execz .LBB166_4806
; %bb.4797:
	v_mov_b32_e32 v7, 2
	v_cmp_gt_i16_sdwa s[88:89], v13, v7 src0_sel:BYTE_0 src1_sel:DWORD
	s_and_saveexec_b64 s[90:91], s[88:89]
	s_xor_b64 s[88:89], exec, s[90:91]
	;; [unrolled: 6-line block ×3, first 2 shown]
	s_cbranch_execz .LBB166_4800
; %bb.4799:
	v_trunc_f32_e32 v6, v6
	s_mov_b32 s92, 0x2f800000
	v_mul_f32_e64 v7, |v6|, s92
	v_floor_f32_e32 v7, v7
	s_mov_b32 s92, 0xcf800000
	v_cvt_u32_f32_e32 v82, v7
	v_fma_f32 v7, v7, s92, |v6|
	v_cvt_u32_f32_e32 v7, v7
	v_ashrrev_i32_e32 v83, 31, v6
	v_xor_b32_e32 v82, v82, v83
	v_xor_b32_e32 v6, v7, v83
	v_sub_co_u32_e32 v6, vcc, v6, v83
	v_subb_co_u32_e32 v7, vcc, v82, v83, vcc
	flat_store_dwordx2 v[4:5], v[6:7]
                                        ; implicit-def: $vgpr6
                                        ; implicit-def: $vgpr4_vgpr5
.LBB166_4800:
	s_andn2_saveexec_b64 s[90:91], s[90:91]
	s_cbranch_execz .LBB166_4802
; %bb.4801:
	v_cvt_i32_f32_e32 v6, v6
	flat_store_dword v[4:5], v6
.LBB166_4802:
	s_or_b64 exec, exec, s[90:91]
                                        ; implicit-def: $vgpr6
                                        ; implicit-def: $vgpr4_vgpr5
.LBB166_4803:
	s_andn2_saveexec_b64 s[88:89], s[88:89]
	s_cbranch_execz .LBB166_4805
; %bb.4804:
	v_cvt_i32_f32_e32 v6, v6
	flat_store_short v[4:5], v6
.LBB166_4805:
	s_or_b64 exec, exec, s[88:89]
                                        ; implicit-def: $vgpr6
                                        ; implicit-def: $vgpr4_vgpr5
.LBB166_4806:
	s_andn2_saveexec_b64 s[78:79], s[78:79]
	s_cbranch_execz .LBB166_4812
; %bb.4807:
	v_mov_b32_e32 v7, 0
	v_cmp_gt_i16_sdwa s[88:89], v13, v7 src0_sel:BYTE_0 src1_sel:DWORD
	s_and_saveexec_b64 s[90:91], s[88:89]
	s_xor_b64 s[88:89], exec, s[90:91]
	s_cbranch_execz .LBB166_4809
; %bb.4808:
	v_cvt_i32_f32_e32 v6, v6
	flat_store_byte v[4:5], v6
                                        ; implicit-def: $vgpr6
                                        ; implicit-def: $vgpr4_vgpr5
.LBB166_4809:
	s_andn2_saveexec_b64 s[88:89], s[88:89]
	s_cbranch_execz .LBB166_4811
; %bb.4810:
	v_trunc_f32_e32 v6, v6
	s_mov_b32 s90, 0x2f800000
	v_mul_f32_e64 v7, |v6|, s90
	v_floor_f32_e32 v7, v7
	s_mov_b32 s90, 0xcf800000
	v_fma_f32 v7, v7, s90, |v6|
	v_cvt_u32_f32_e32 v7, v7
	v_ashrrev_i32_e32 v6, 31, v6
	v_xor_b32_e32 v7, v7, v6
	v_sub_u32_e32 v6, v7, v6
	flat_store_byte v[4:5], v6
.LBB166_4811:
	s_or_b64 exec, exec, s[88:89]
.LBB166_4812:
	s_or_b64 exec, exec, s[78:79]
.LBB166_4813:
	s_or_b64 exec, exec, s[76:77]
	s_or_b64 s[4:5], s[4:5], exec
.LBB166_4814:
	s_or_b64 exec, exec, s[60:61]
	s_mov_b64 s[78:79], 0
	s_mov_b64 s[60:61], 0
	s_and_saveexec_b64 s[76:77], s[4:5]
; %bb.4815:
	v_add_u32_e32 v17, 0x200, v17
	v_cmp_lt_i32_e32 vcc, v17, v8
	s_mov_b64 s[78:79], exec
	s_and_b64 s[60:61], vcc, exec
; %bb.4816:
	s_or_b64 exec, exec, s[76:77]
	s_and_b64 s[76:77], s[60:61], exec
	s_andn2_b64 s[4:5], s[56:57], exec
	s_and_b64 s[60:61], s[72:73], exec
	s_or_b64 s[60:61], s[4:5], s[60:61]
	s_orn2_b64 s[72:73], s[78:79], exec
.LBB166_4817:
	s_or_b64 exec, exec, s[62:63]
	s_mov_b64 s[4:5], 0
	s_mov_b64 s[90:91], 0
                                        ; implicit-def: $vgpr4
                                        ; implicit-def: $vgpr112
                                        ; implicit-def: $vgpr6_vgpr7
	s_and_saveexec_b64 s[62:63], s[72:73]
	s_cbranch_execz .LBB166_7759
; %bb.4818:
	s_mov_b64 s[90:91], -1
	s_mov_b64 s[78:79], 0
	s_mov_b64 s[72:73], s[60:61]
	s_and_saveexec_b64 s[74:75], s[76:77]
	s_cbranch_execz .LBB166_4946
; %bb.4819:
	v_readlane_b32 s4, v41, 2
	v_add_u32_e32 v4, s4, v17
	v_mul_lo_u32 v4, v4, v14
	v_mov_b32_e32 v7, 10
	v_cmp_gt_i16_sdwa s[72:73], v13, v7 src0_sel:BYTE_0 src1_sel:DWORD
	s_mov_b64 s[4:5], 0
	v_add_co_u32_e32 v4, vcc, v2, v4
	v_addc_co_u32_e32 v5, vcc, 0, v3, vcc
	s_waitcnt vmcnt(0)
	v_cmp_nle_f32_e32 vcc, v81, v0
	v_cndmask_b32_e32 v6, v1, v80, vcc
	s_mov_b64 s[76:77], s[60:61]
	s_and_saveexec_b64 s[88:89], s[72:73]
	s_xor_b64 s[72:73], exec, s[88:89]
	s_cbranch_execz .LBB166_4901
; %bb.4820:
	v_mov_b32_e32 v7, 25
	v_cmp_gt_i16_sdwa s[88:89], v13, v7 src0_sel:BYTE_0 src1_sel:DWORD
	s_mov_b64 s[76:77], s[60:61]
	s_and_saveexec_b64 s[90:91], s[88:89]
	s_xor_b64 s[88:89], exec, s[90:91]
	s_cbranch_execz .LBB166_4856
; %bb.4821:
	v_mov_b32_e32 v7, 28
	v_cmp_gt_i16_sdwa s[76:77], v13, v7 src0_sel:BYTE_0 src1_sel:DWORD
	;; [unrolled: 7-line block ×4, first 2 shown]
	s_mov_b64 s[92:93], 0
	s_mov_b64 s[94:95], s[60:61]
	s_and_saveexec_b64 vcc, s[4:5]
	s_xor_b64 s[4:5], exec, vcc
	s_cbranch_execz .LBB166_4827
; %bb.4824:
	v_mov_b32_e32 v7, 46
	v_cmp_eq_u16_sdwa s[30:31], v13, v7 src0_sel:BYTE_0 src1_sel:DWORD
	s_mov_b64 vcc, -1
	s_and_saveexec_b64 s[94:95], s[30:31]
	s_cbranch_execz .LBB166_4826
; %bb.4825:
	v_bfe_u32 v7, v6, 16, 1
	s_movk_i32 vcc_lo, 0x7fff
	v_add3_u32 v7, v6, v7, vcc_lo
	v_cmp_o_f32_e32 vcc, v6, v6
	v_mov_b32_e32 v6, 0x7fc0
	v_cndmask_b32_sdwa v6, v6, v7, vcc dst_sel:DWORD dst_unused:UNUSED_PAD src0_sel:DWORD src1_sel:WORD_1
	s_mov_b64 s[92:93], exec
	flat_store_dword v[4:5], v6
	s_xor_b64 vcc, exec, -1
.LBB166_4826:
	s_or_b64 exec, exec, s[94:95]
	s_andn2_b64 s[94:95], s[60:61], exec
	s_and_b64 vcc, vcc, exec
	s_or_b64 s[94:95], s[94:95], vcc
	s_and_b64 s[92:93], s[92:93], exec
                                        ; implicit-def: $vgpr4_vgpr5
                                        ; implicit-def: $vgpr6
.LBB166_4827:
	s_andn2_saveexec_b64 s[30:31], s[4:5]
	s_cbranch_execz .LBB166_4833
; %bb.4828:
	v_mov_b32_e32 v7, 44
	v_cmp_eq_u16_sdwa s[36:37], v13, v7 src0_sel:BYTE_0 src1_sel:DWORD
	s_mov_b64 vcc, -1
	s_mov_b64 s[4:5], s[92:93]
	s_and_saveexec_b64 s[34:35], s[36:37]
	s_cbranch_execz .LBB166_4832
; %bb.4829:
	v_bfe_u32 v7, v6, 23, 8
	s_movk_i32 s4, 0xff
	v_cmp_ne_u32_e32 vcc, s4, v7
	v_mov_b32_e32 v80, 0xff
	s_and_saveexec_b64 s[36:37], vcc
; %bb.4830:
	s_mov_b32 s4, 0x3fffff
	v_lshrrev_b32_e32 v80, 23, v6
	v_and_b32_e32 v81, 0x400000, v6
	v_and_or_b32 v6, v6, s4, v7
	v_cmp_ne_u32_e32 vcc, 0, v81
	v_cmp_ne_u32_e64 s[4:5], 0, v6
	s_and_b64 s[4:5], vcc, s[4:5]
	v_cndmask_b32_e64 v6, 0, 1, s[4:5]
	v_add_u32_e32 v80, v80, v6
; %bb.4831:
	s_or_b64 exec, exec, s[36:37]
	s_xor_b64 vcc, exec, -1
	s_or_b64 s[4:5], s[92:93], exec
	flat_store_byte v[4:5], v80
.LBB166_4832:
	s_or_b64 exec, exec, s[34:35]
	s_andn2_b64 s[94:95], s[94:95], exec
	s_and_b64 vcc, vcc, exec
	s_andn2_b64 s[92:93], s[92:93], exec
	s_and_b64 s[4:5], s[4:5], exec
	s_or_b64 s[94:95], s[94:95], vcc
	s_or_b64 s[92:93], s[92:93], s[4:5]
.LBB166_4833:
	s_or_b64 exec, exec, s[30:31]
	s_andn2_b64 s[4:5], s[60:61], exec
	s_and_b64 s[94:95], s[94:95], exec
	s_or_b64 s[94:95], s[4:5], s[94:95]
	s_and_b64 s[4:5], s[92:93], exec
                                        ; implicit-def: $vgpr6
                                        ; implicit-def: $vgpr4_vgpr5
.LBB166_4834:
	s_andn2_saveexec_b64 s[90:91], s[90:91]
	s_cbranch_execz .LBB166_4838
; %bb.4835:
	v_mov_b32_e32 v7, 29
	v_cmp_eq_u16_sdwa s[34:35], v13, v7 src0_sel:BYTE_0 src1_sel:DWORD
	s_mov_b64 s[30:31], -1
	s_mov_b64 vcc, s[4:5]
	s_and_saveexec_b64 s[92:93], s[34:35]
	s_cbranch_execz .LBB166_4837
; %bb.4836:
	v_trunc_f32_e32 v6, v6
	v_mul_f32_e32 v7, 0x2f800000, v6
	v_floor_f32_e32 v80, v7
	v_fmac_f32_e32 v6, 0xcf800000, v80
	v_cvt_u32_f32_e32 v7, v80
	v_cvt_u32_f32_e32 v6, v6
	s_xor_b64 s[30:31], exec, -1
	s_or_b64 vcc, s[4:5], exec
	flat_store_dwordx2 v[4:5], v[6:7]
.LBB166_4837:
	s_or_b64 exec, exec, s[92:93]
	s_andn2_b64 s[92:93], s[94:95], exec
	s_and_b64 s[94:95], s[30:31], exec
	s_or_b64 s[94:95], s[92:93], s[94:95]
	s_andn2_b64 s[4:5], s[4:5], exec
	s_and_b64 s[92:93], vcc, exec
	s_or_b64 s[4:5], s[4:5], s[92:93]
.LBB166_4838:
	s_or_b64 exec, exec, s[90:91]
	s_andn2_b64 s[90:91], s[60:61], exec
	s_and_b64 s[92:93], s[94:95], exec
	s_or_b64 s[90:91], s[90:91], s[92:93]
	s_and_b64 s[4:5], s[4:5], exec
                                        ; implicit-def: $vgpr4_vgpr5
                                        ; implicit-def: $vgpr6
.LBB166_4839:
	s_andn2_saveexec_b64 s[76:77], s[76:77]
	s_cbranch_execz .LBB166_4855
; %bb.4840:
	v_mov_b32_e32 v7, 26
	v_cmp_gt_i16_sdwa s[92:93], v13, v7 src0_sel:BYTE_0 src1_sel:DWORD
	s_and_saveexec_b64 s[94:95], s[92:93]
	s_xor_b64 s[92:93], exec, s[94:95]
	s_cbranch_execz .LBB166_4846
; %bb.4841:
	v_cvt_u32_f32_e32 v6, v6
	v_mov_b32_e32 v7, 27
	v_cmp_gt_i16_sdwa s[94:95], v13, v7 src0_sel:BYTE_0 src1_sel:DWORD
	s_and_saveexec_b64 vcc, s[94:95]
	s_xor_b64 s[94:95], exec, vcc
	s_cbranch_execz .LBB166_4843
; %bb.4842:
	flat_store_dword v[4:5], v6
                                        ; implicit-def: $vgpr4_vgpr5
                                        ; implicit-def: $vgpr6
.LBB166_4843:
	s_andn2_saveexec_b64 s[94:95], s[94:95]
	s_cbranch_execz .LBB166_4845
; %bb.4844:
	flat_store_short v[4:5], v6
.LBB166_4845:
	s_or_b64 exec, exec, s[94:95]
                                        ; implicit-def: $vgpr4_vgpr5
                                        ; implicit-def: $vgpr6
.LBB166_4846:
	s_andn2_saveexec_b64 s[92:93], s[92:93]
	s_cbranch_execz .LBB166_4854
; %bb.4847:
	v_and_b32_e32 v7, 0x7fffffff, v6
	s_mov_b32 s94, 0x43800000
	v_cmp_gt_u32_e32 vcc, s94, v7
	v_mov_b32_e32 v80, 0x80
	s_and_saveexec_b64 s[94:95], vcc
	s_cbranch_execz .LBB166_4853
; %bb.4848:
	s_mov_b32 vcc_lo, 0x3bffffff
	v_cmp_lt_u32_e32 vcc, vcc_lo, v7
	s_mov_b64 s[30:31], 0
                                        ; implicit-def: $vgpr7
	s_and_saveexec_b64 s[34:35], vcc
	s_xor_b64 vcc, exec, s[34:35]
	s_cbranch_execnz .LBB166_7851
; %bb.4849:
	s_andn2_saveexec_b64 s[34:35], vcc
	s_cbranch_execnz .LBB166_7852
.LBB166_4850:
	s_or_b64 exec, exec, s[34:35]
	v_mov_b32_e32 v80, 0
	s_and_saveexec_b64 vcc, s[30:31]
.LBB166_4851:
	v_lshrrev_b32_e32 v6, 24, v6
	s_movk_i32 s30, 0x80
	v_and_or_b32 v80, v6, s30, v7
.LBB166_4852:
	s_or_b64 exec, exec, vcc
.LBB166_4853:
	s_or_b64 exec, exec, s[94:95]
	flat_store_byte v[4:5], v80
.LBB166_4854:
	s_or_b64 exec, exec, s[92:93]
	s_or_b64 s[4:5], s[4:5], exec
.LBB166_4855:
	s_or_b64 exec, exec, s[76:77]
	s_andn2_b64 s[76:77], s[60:61], exec
	s_and_b64 s[90:91], s[90:91], exec
	s_or_b64 s[76:77], s[76:77], s[90:91]
	s_and_b64 s[4:5], s[4:5], exec
                                        ; implicit-def: $vgpr6
                                        ; implicit-def: $vgpr4_vgpr5
.LBB166_4856:
	s_andn2_saveexec_b64 s[88:89], s[88:89]
	s_cbranch_execz .LBB166_4900
; %bb.4857:
	v_mov_b32_e32 v7, 22
	v_cmp_gt_i16_sdwa s[90:91], v13, v7 src0_sel:BYTE_0 src1_sel:DWORD
	s_mov_b64 s[92:93], s[4:5]
	s_and_saveexec_b64 s[94:95], s[90:91]
	s_xor_b64 s[90:91], exec, s[94:95]
	s_cbranch_execz .LBB166_4889
; %bb.4858:
	v_mov_b32_e32 v7, 23
	v_cmp_gt_i16_sdwa s[92:93], v13, v7 src0_sel:BYTE_0 src1_sel:DWORD
	s_and_saveexec_b64 s[94:95], s[92:93]
	s_xor_b64 s[92:93], exec, s[94:95]
	s_cbranch_execz .LBB166_4878
; %bb.4859:
	v_mov_b32_e32 v7, 24
	v_cmp_gt_i16_sdwa s[94:95], v13, v7 src0_sel:BYTE_0 src1_sel:DWORD
	s_and_saveexec_b64 vcc, s[94:95]
	s_xor_b64 s[94:95], exec, vcc
	s_cbranch_execz .LBB166_4867
; %bb.4860:
	v_and_b32_e32 v7, 0x7fffffff, v6
	s_mov_b32 vcc_lo, 0x47800000
	v_cmp_gt_u32_e32 vcc, vcc_lo, v7
	v_mov_b32_e32 v80, 0x80
	s_and_saveexec_b64 s[30:31], vcc
	s_cbranch_execz .LBB166_4866
; %bb.4861:
	s_mov_b32 vcc_lo, 0x37ffffff
	v_cmp_lt_u32_e32 vcc, vcc_lo, v7
	s_mov_b64 s[34:35], 0
                                        ; implicit-def: $vgpr7
	s_and_saveexec_b64 s[36:37], vcc
	s_xor_b64 vcc, exec, s[36:37]
	s_cbranch_execnz .LBB166_7853
; %bb.4862:
	s_andn2_saveexec_b64 s[36:37], vcc
	s_cbranch_execnz .LBB166_7854
.LBB166_4863:
	s_or_b64 exec, exec, s[36:37]
	v_mov_b32_e32 v80, 0
	s_and_saveexec_b64 vcc, s[34:35]
.LBB166_4864:
	v_lshrrev_b32_e32 v6, 24, v6
	s_movk_i32 s34, 0x80
	v_and_or_b32 v80, v6, s34, v7
.LBB166_4865:
	s_or_b64 exec, exec, vcc
.LBB166_4866:
	s_or_b64 exec, exec, s[30:31]
	flat_store_byte v[4:5], v80
                                        ; implicit-def: $vgpr6
                                        ; implicit-def: $vgpr4_vgpr5
.LBB166_4867:
	s_andn2_saveexec_b64 s[94:95], s[94:95]
	s_cbranch_execz .LBB166_4877
; %bb.4868:
	v_and_b32_e32 v80, 0x7fffffff, v6
	s_mov_b32 vcc_lo, 0x43f00000
	v_cmp_gt_u32_e32 vcc, vcc_lo, v80
                                        ; implicit-def: $vgpr7
	s_and_saveexec_b64 s[30:31], vcc
	s_xor_b64 s[30:31], exec, s[30:31]
	s_cbranch_execz .LBB166_4874
; %bb.4869:
	s_mov_b32 vcc_lo, 0x3c7fffff
	v_cmp_lt_u32_e32 vcc, vcc_lo, v80
                                        ; implicit-def: $vgpr7
	s_and_saveexec_b64 s[34:35], vcc
	s_xor_b64 s[34:35], exec, s[34:35]
; %bb.4870:
	v_bfe_u32 v7, v6, 20, 1
	s_mov_b32 vcc_lo, 0x407ffff
	v_add3_u32 v7, v6, v7, vcc_lo
	v_lshrrev_b32_e32 v80, 20, v7
	v_and_b32_e32 v7, 0xff00000, v7
	s_mov_b32 vcc_lo, 0x7f00000
	v_mov_b32_e32 v81, 0x7e
	v_cmp_ne_u32_e32 vcc, vcc_lo, v7
	v_cndmask_b32_e32 v7, v81, v80, vcc
; %bb.4871:
	s_andn2_saveexec_b64 vcc, s[34:35]
; %bb.4872:
	s_mov_b32 s34, 0x46800000
	v_add_f32_e64 v7, |v6|, s34
; %bb.4873:
	s_or_b64 exec, exec, vcc
                                        ; implicit-def: $vgpr80
.LBB166_4874:
	s_andn2_saveexec_b64 s[30:31], s[30:31]
; %bb.4875:
	s_mov_b32 vcc_lo, 0x7f800000
	v_mov_b32_e32 v7, 0x7e
	v_mov_b32_e32 v81, 0x7f
	v_cmp_lt_u32_e32 vcc, vcc_lo, v80
	v_cndmask_b32_e32 v7, v7, v81, vcc
; %bb.4876:
	s_or_b64 exec, exec, s[30:31]
	v_lshrrev_b32_e32 v6, 24, v6
	s_movk_i32 vcc_lo, 0x80
	v_and_or_b32 v6, v6, vcc_lo, v7
	flat_store_byte v[4:5], v6
.LBB166_4877:
	s_or_b64 exec, exec, s[94:95]
                                        ; implicit-def: $vgpr6
                                        ; implicit-def: $vgpr4_vgpr5
.LBB166_4878:
	s_andn2_saveexec_b64 s[92:93], s[92:93]
	s_cbranch_execz .LBB166_4888
; %bb.4879:
	v_and_b32_e32 v80, 0x7fffffff, v6
	s_mov_b32 s94, 0x47800000
	v_cmp_gt_u32_e32 vcc, s94, v80
                                        ; implicit-def: $vgpr7
	s_and_saveexec_b64 s[94:95], vcc
	s_xor_b64 s[94:95], exec, s[94:95]
	s_cbranch_execz .LBB166_4885
; %bb.4880:
	s_mov_b32 vcc_lo, 0x387fffff
	v_cmp_lt_u32_e32 vcc, vcc_lo, v80
                                        ; implicit-def: $vgpr7
	s_and_saveexec_b64 s[30:31], vcc
	s_xor_b64 vcc, exec, s[30:31]
; %bb.4881:
	v_bfe_u32 v7, v6, 21, 1
	s_mov_b32 s30, 0x80fffff
	v_add3_u32 v7, v6, v7, s30
	v_lshrrev_b32_e32 v7, 21, v7
; %bb.4882:
	s_andn2_saveexec_b64 vcc, vcc
; %bb.4883:
	s_mov_b32 s30, 0x43000000
	v_add_f32_e64 v7, |v6|, s30
; %bb.4884:
	s_or_b64 exec, exec, vcc
                                        ; implicit-def: $vgpr80
.LBB166_4885:
	s_andn2_saveexec_b64 s[94:95], s[94:95]
; %bb.4886:
	s_mov_b32 vcc_lo, 0x7f800000
	v_mov_b32_e32 v7, 0x7c
	v_mov_b32_e32 v81, 0x7f
	v_cmp_lt_u32_e32 vcc, vcc_lo, v80
	v_cndmask_b32_e32 v7, v7, v81, vcc
; %bb.4887:
	s_or_b64 exec, exec, s[94:95]
	v_lshrrev_b32_e32 v6, 24, v6
	s_movk_i32 s94, 0x80
	v_and_or_b32 v6, v6, s94, v7
	flat_store_byte v[4:5], v6
.LBB166_4888:
	s_or_b64 exec, exec, s[92:93]
	s_or_b64 s[92:93], s[4:5], exec
                                        ; implicit-def: $vgpr6
                                        ; implicit-def: $vgpr4_vgpr5
.LBB166_4889:
	s_or_saveexec_b64 s[90:91], s[90:91]
	s_mov_b64 vcc, s[76:77]
	s_xor_b64 exec, exec, s[90:91]
	s_cbranch_execz .LBB166_4899
; %bb.4890:
	v_mov_b32_e32 v7, 14
	v_cmp_gt_i16_sdwa vcc, v13, v7 src0_sel:BYTE_0 src1_sel:DWORD
	s_mov_b64 s[94:95], s[92:93]
	s_mov_b64 s[30:31], s[76:77]
	s_and_saveexec_b64 s[34:35], vcc
	s_xor_b64 s[34:35], exec, s[34:35]
	s_cbranch_execz .LBB166_4894
; %bb.4891:
	v_mov_b32_e32 v7, 15
	v_cmp_eq_u16_sdwa s[36:37], v13, v7 src0_sel:BYTE_0 src1_sel:DWORD
	s_mov_b64 s[30:31], -1
	s_mov_b64 vcc, s[92:93]
	s_and_saveexec_b64 s[94:95], s[36:37]
	s_cbranch_execz .LBB166_4893
; %bb.4892:
	v_bfe_u32 v7, v6, 16, 1
	s_movk_i32 vcc_lo, 0x7fff
	v_add3_u32 v7, v6, v7, vcc_lo
	v_cmp_o_f32_e32 vcc, v6, v6
	v_mov_b32_e32 v6, 0x7fc0
	v_cndmask_b32_sdwa v6, v6, v7, vcc dst_sel:DWORD dst_unused:UNUSED_PAD src0_sel:DWORD src1_sel:WORD_1
	flat_store_short v[4:5], v6
	s_xor_b64 s[30:31], exec, -1
	s_or_b64 vcc, s[92:93], exec
.LBB166_4893:
	s_or_b64 exec, exec, s[94:95]
	s_andn2_b64 s[94:95], s[76:77], exec
	s_and_b64 s[30:31], s[30:31], exec
	s_or_b64 s[30:31], s[94:95], s[30:31]
	s_andn2_b64 s[94:95], s[92:93], exec
	s_and_b64 vcc, vcc, exec
	s_or_b64 s[94:95], s[94:95], vcc
                                        ; implicit-def: $vgpr6
                                        ; implicit-def: $vgpr4_vgpr5
.LBB166_4894:
	s_andn2_saveexec_b64 s[34:35], s[34:35]
	s_cbranch_execz .LBB166_4898
; %bb.4895:
	v_mov_b32_e32 v7, 11
	v_cmp_eq_u16_sdwa s[48:49], v13, v7 src0_sel:BYTE_0 src1_sel:DWORD
	s_mov_b64 s[36:37], -1
	s_mov_b64 vcc, s[94:95]
	s_and_saveexec_b64 s[38:39], s[48:49]
	s_cbranch_execz .LBB166_4897
; %bb.4896:
	v_cmp_neq_f32_e32 vcc, 0, v6
	v_cndmask_b32_e64 v6, 0, 1, vcc
	flat_store_byte v[4:5], v6
	s_xor_b64 s[36:37], exec, -1
	s_or_b64 vcc, s[94:95], exec
.LBB166_4897:
	s_or_b64 exec, exec, s[38:39]
	s_andn2_b64 s[30:31], s[30:31], exec
	s_and_b64 s[36:37], s[36:37], exec
	s_andn2_b64 s[94:95], s[94:95], exec
	s_and_b64 vcc, vcc, exec
	s_or_b64 s[30:31], s[30:31], s[36:37]
	s_or_b64 s[94:95], s[94:95], vcc
.LBB166_4898:
	s_or_b64 exec, exec, s[34:35]
	s_andn2_b64 vcc, s[76:77], exec
	s_and_b64 s[30:31], s[30:31], exec
	s_andn2_b64 s[92:93], s[92:93], exec
	s_and_b64 s[94:95], s[94:95], exec
	s_or_b64 vcc, vcc, s[30:31]
	s_or_b64 s[92:93], s[92:93], s[94:95]
.LBB166_4899:
	s_or_b64 exec, exec, s[90:91]
	s_andn2_b64 s[76:77], s[76:77], exec
	s_and_b64 s[90:91], vcc, exec
	s_or_b64 s[76:77], s[76:77], s[90:91]
	s_andn2_b64 s[4:5], s[4:5], exec
	s_and_b64 s[90:91], s[92:93], exec
	s_or_b64 s[4:5], s[4:5], s[90:91]
.LBB166_4900:
	s_or_b64 exec, exec, s[88:89]
	s_andn2_b64 s[88:89], s[60:61], exec
	s_and_b64 s[76:77], s[76:77], exec
	s_or_b64 s[76:77], s[88:89], s[76:77]
	s_and_b64 s[4:5], s[4:5], exec
                                        ; implicit-def: $vgpr6
                                        ; implicit-def: $vgpr4_vgpr5
.LBB166_4901:
	s_andn2_saveexec_b64 s[72:73], s[72:73]
	s_cbranch_execz .LBB166_4943
; %bb.4902:
	v_mov_b32_e32 v7, 4
	v_cmp_gt_i16_sdwa s[88:89], v13, v7 src0_sel:BYTE_0 src1_sel:DWORD
	s_and_saveexec_b64 s[90:91], s[88:89]
	s_xor_b64 s[88:89], exec, s[90:91]
	s_cbranch_execz .LBB166_4924
; %bb.4903:
	v_mov_b32_e32 v7, 7
	v_cmp_gt_i16_sdwa s[90:91], v13, v7 src0_sel:BYTE_0 src1_sel:DWORD
	s_and_saveexec_b64 s[92:93], s[90:91]
	s_xor_b64 s[90:91], exec, s[92:93]
	;; [unrolled: 6-line block ×3, first 2 shown]
	s_cbranch_execz .LBB166_4910
; %bb.4905:
	v_mov_b32_e32 v7, 9
	v_cmp_gt_i16_sdwa s[94:95], v13, v7 src0_sel:BYTE_0 src1_sel:DWORD
	s_and_saveexec_b64 vcc, s[94:95]
	s_xor_b64 s[94:95], exec, vcc
	s_cbranch_execz .LBB166_4907
; %bb.4906:
	v_cvt_f64_f32_e32 v[80:81], v6
	v_mov_b32_e32 v82, 0
	v_mov_b32_e32 v83, v82
                                        ; implicit-def: $vgpr6
	flat_store_dwordx4 v[4:5], v[80:83]
                                        ; implicit-def: $vgpr4_vgpr5
.LBB166_4907:
	s_andn2_saveexec_b64 s[94:95], s[94:95]
	s_cbranch_execz .LBB166_4909
; %bb.4908:
	v_mov_b32_e32 v7, 0
	flat_store_dwordx2 v[4:5], v[6:7]
.LBB166_4909:
	s_or_b64 exec, exec, s[94:95]
                                        ; implicit-def: $vgpr6
                                        ; implicit-def: $vgpr4_vgpr5
.LBB166_4910:
	s_andn2_saveexec_b64 s[92:93], s[92:93]
	s_cbranch_execz .LBB166_4912
; %bb.4911:
	v_cvt_f16_f32_e32 v6, v6
	flat_store_dword v[4:5], v6
.LBB166_4912:
	s_or_b64 exec, exec, s[92:93]
                                        ; implicit-def: $vgpr6
                                        ; implicit-def: $vgpr4_vgpr5
.LBB166_4913:
	s_andn2_saveexec_b64 s[90:91], s[90:91]
	s_cbranch_execz .LBB166_4923
; %bb.4914:
	v_mov_b32_e32 v7, 5
	v_cmp_gt_i16_sdwa s[92:93], v13, v7 src0_sel:BYTE_0 src1_sel:DWORD
	s_and_saveexec_b64 s[94:95], s[92:93]
	s_xor_b64 s[92:93], exec, s[94:95]
	s_cbranch_execz .LBB166_4920
; %bb.4915:
	v_mov_b32_e32 v7, 6
	v_cmp_gt_i16_sdwa s[94:95], v13, v7 src0_sel:BYTE_0 src1_sel:DWORD
	s_and_saveexec_b64 vcc, s[94:95]
	s_xor_b64 s[94:95], exec, vcc
	s_cbranch_execz .LBB166_4917
; %bb.4916:
	v_cvt_f64_f32_e32 v[6:7], v6
	flat_store_dwordx2 v[4:5], v[6:7]
                                        ; implicit-def: $vgpr4_vgpr5
                                        ; implicit-def: $vgpr6
.LBB166_4917:
	s_andn2_saveexec_b64 s[94:95], s[94:95]
	s_cbranch_execz .LBB166_4919
; %bb.4918:
	flat_store_dword v[4:5], v6
.LBB166_4919:
	s_or_b64 exec, exec, s[94:95]
                                        ; implicit-def: $vgpr6
                                        ; implicit-def: $vgpr4_vgpr5
.LBB166_4920:
	s_andn2_saveexec_b64 s[92:93], s[92:93]
	s_cbranch_execz .LBB166_4922
; %bb.4921:
	v_cvt_f16_f32_e32 v6, v6
	flat_store_short v[4:5], v6
.LBB166_4922:
	s_or_b64 exec, exec, s[92:93]
.LBB166_4923:
	s_or_b64 exec, exec, s[90:91]
                                        ; implicit-def: $vgpr6
                                        ; implicit-def: $vgpr4_vgpr5
.LBB166_4924:
	s_andn2_saveexec_b64 s[88:89], s[88:89]
	s_cbranch_execz .LBB166_4942
; %bb.4925:
	v_mov_b32_e32 v7, 1
	v_cmp_gt_i16_sdwa s[90:91], v13, v7 src0_sel:BYTE_0 src1_sel:DWORD
	s_and_saveexec_b64 s[92:93], s[90:91]
	s_xor_b64 s[90:91], exec, s[92:93]
	s_cbranch_execz .LBB166_4935
; %bb.4926:
	v_mov_b32_e32 v7, 2
	v_cmp_gt_i16_sdwa s[92:93], v13, v7 src0_sel:BYTE_0 src1_sel:DWORD
	s_and_saveexec_b64 s[94:95], s[92:93]
	s_xor_b64 s[92:93], exec, s[94:95]
	s_cbranch_execz .LBB166_4932
; %bb.4927:
	v_mov_b32_e32 v7, 3
	v_cmp_gt_i16_sdwa s[94:95], v13, v7 src0_sel:BYTE_0 src1_sel:DWORD
	s_and_saveexec_b64 vcc, s[94:95]
	s_xor_b64 s[94:95], exec, vcc
	s_cbranch_execz .LBB166_4929
; %bb.4928:
	v_trunc_f32_e32 v6, v6
	s_mov_b32 s30, 0x2f800000
	v_mul_f32_e64 v7, |v6|, s30
	v_floor_f32_e32 v7, v7
	s_mov_b32 s30, 0xcf800000
	v_cvt_u32_f32_e32 v80, v7
	v_fma_f32 v7, v7, s30, |v6|
	v_cvt_u32_f32_e32 v7, v7
	v_ashrrev_i32_e32 v81, 31, v6
	v_xor_b32_e32 v80, v80, v81
	v_xor_b32_e32 v6, v7, v81
	v_sub_co_u32_e32 v6, vcc, v6, v81
	v_subb_co_u32_e32 v7, vcc, v80, v81, vcc
	flat_store_dwordx2 v[4:5], v[6:7]
                                        ; implicit-def: $vgpr6
                                        ; implicit-def: $vgpr4_vgpr5
.LBB166_4929:
	s_andn2_saveexec_b64 s[94:95], s[94:95]
	s_cbranch_execz .LBB166_4931
; %bb.4930:
	v_cvt_i32_f32_e32 v6, v6
	flat_store_dword v[4:5], v6
.LBB166_4931:
	s_or_b64 exec, exec, s[94:95]
                                        ; implicit-def: $vgpr6
                                        ; implicit-def: $vgpr4_vgpr5
.LBB166_4932:
	s_andn2_saveexec_b64 s[92:93], s[92:93]
	s_cbranch_execz .LBB166_4934
; %bb.4933:
	v_cvt_i32_f32_e32 v6, v6
	flat_store_short v[4:5], v6
.LBB166_4934:
	s_or_b64 exec, exec, s[92:93]
                                        ; implicit-def: $vgpr6
                                        ; implicit-def: $vgpr4_vgpr5
.LBB166_4935:
	s_andn2_saveexec_b64 s[90:91], s[90:91]
	s_cbranch_execz .LBB166_4941
; %bb.4936:
	v_mov_b32_e32 v7, 0
	v_cmp_gt_i16_sdwa s[92:93], v13, v7 src0_sel:BYTE_0 src1_sel:DWORD
	s_and_saveexec_b64 s[94:95], s[92:93]
	s_xor_b64 s[92:93], exec, s[94:95]
	s_cbranch_execz .LBB166_4938
; %bb.4937:
	v_cvt_i32_f32_e32 v6, v6
	flat_store_byte v[4:5], v6
                                        ; implicit-def: $vgpr6
                                        ; implicit-def: $vgpr4_vgpr5
.LBB166_4938:
	s_andn2_saveexec_b64 s[92:93], s[92:93]
	s_cbranch_execz .LBB166_4940
; %bb.4939:
	v_trunc_f32_e32 v6, v6
	s_mov_b32 s94, 0x2f800000
	v_mul_f32_e64 v7, |v6|, s94
	v_floor_f32_e32 v7, v7
	s_mov_b32 s94, 0xcf800000
	v_fma_f32 v7, v7, s94, |v6|
	v_cvt_u32_f32_e32 v7, v7
	v_ashrrev_i32_e32 v6, 31, v6
	v_xor_b32_e32 v7, v7, v6
	v_sub_u32_e32 v6, v7, v6
	flat_store_byte v[4:5], v6
.LBB166_4940:
	s_or_b64 exec, exec, s[92:93]
.LBB166_4941:
	s_or_b64 exec, exec, s[90:91]
.LBB166_4942:
	s_or_b64 exec, exec, s[88:89]
	s_or_b64 s[4:5], s[4:5], exec
.LBB166_4943:
	s_or_b64 exec, exec, s[72:73]
	s_mov_b64 s[88:89], 0
	s_mov_b64 s[72:73], 0
	s_and_saveexec_b64 s[90:91], s[4:5]
; %bb.4944:
	v_add_u32_e32 v17, 0x200, v17
	v_cmp_lt_i32_e32 vcc, v17, v8
	s_mov_b64 s[88:89], exec
	s_and_b64 s[72:73], vcc, exec
; %bb.4945:
	s_or_b64 exec, exec, s[90:91]
	s_and_b64 s[4:5], s[72:73], exec
	s_andn2_b64 s[72:73], s[60:61], exec
	s_and_b64 s[76:77], s[76:77], exec
	s_or_b64 s[72:73], s[72:73], s[76:77]
	s_orn2_b64 s[90:91], s[88:89], exec
.LBB166_4946:
	s_or_b64 exec, exec, s[74:75]
	s_mov_b64 s[88:89], 0
	s_mov_b64 s[92:93], 0
                                        ; implicit-def: $vgpr4
                                        ; implicit-def: $vgpr112
                                        ; implicit-def: $vgpr6_vgpr7
	s_and_saveexec_b64 s[74:75], s[90:91]
	s_cbranch_execz .LBB166_7758
; %bb.4947:
	s_mov_b64 s[88:89], -1
	s_mov_b64 s[90:91], 0
	s_mov_b64 s[76:77], s[72:73]
	s_and_saveexec_b64 s[78:79], s[4:5]
	s_cbranch_execz .LBB166_5075
; %bb.4948:
	v_readlane_b32 s4, v41, 2
	v_add_u32_e32 v4, s4, v17
	v_mul_lo_u32 v4, v4, v14
	v_mov_b32_e32 v7, 10
	v_cmp_gt_i16_sdwa s[76:77], v13, v7 src0_sel:BYTE_0 src1_sel:DWORD
	s_mov_b64 s[4:5], 0
	v_add_co_u32_e32 v4, vcc, v2, v4
	v_addc_co_u32_e32 v5, vcc, 0, v3, vcc
	s_waitcnt vmcnt(0)
	v_cmp_nle_f32_e32 vcc, v71, v0
	v_cndmask_b32_e32 v6, v1, v70, vcc
	s_mov_b64 s[88:89], s[72:73]
	s_and_saveexec_b64 s[92:93], s[76:77]
	s_xor_b64 s[76:77], exec, s[92:93]
	s_cbranch_execz .LBB166_5030
; %bb.4949:
	v_mov_b32_e32 v7, 25
	v_cmp_gt_i16_sdwa s[92:93], v13, v7 src0_sel:BYTE_0 src1_sel:DWORD
	s_mov_b64 s[88:89], s[72:73]
	s_and_saveexec_b64 s[94:95], s[92:93]
	s_xor_b64 s[92:93], exec, s[94:95]
	s_cbranch_execz .LBB166_4985
; %bb.4950:
	v_mov_b32_e32 v7, 28
	v_cmp_gt_i16_sdwa s[88:89], v13, v7 src0_sel:BYTE_0 src1_sel:DWORD
	s_mov_b64 s[94:95], s[72:73]
	s_and_saveexec_b64 vcc, s[88:89]
	s_xor_b64 s[88:89], exec, vcc
	s_cbranch_execz .LBB166_4968
; %bb.4951:
	v_mov_b32_e32 v7, 43
	v_cmp_gt_i16_sdwa s[94:95], v13, v7 src0_sel:BYTE_0 src1_sel:DWORD
	s_mov_b64 vcc, s[72:73]
	s_and_saveexec_b64 s[30:31], s[94:95]
	s_xor_b64 s[94:95], exec, s[30:31]
	s_cbranch_execz .LBB166_4963
; %bb.4952:
	v_mov_b32_e32 v7, 45
	v_cmp_gt_i16_sdwa s[4:5], v13, v7 src0_sel:BYTE_0 src1_sel:DWORD
	s_mov_b64 s[30:31], 0
	s_mov_b64 s[34:35], s[72:73]
	s_and_saveexec_b64 vcc, s[4:5]
	s_xor_b64 s[4:5], exec, vcc
	s_cbranch_execz .LBB166_4956
; %bb.4953:
	v_mov_b32_e32 v7, 46
	v_cmp_eq_u16_sdwa s[36:37], v13, v7 src0_sel:BYTE_0 src1_sel:DWORD
	s_mov_b64 vcc, -1
	s_and_saveexec_b64 s[34:35], s[36:37]
	s_cbranch_execz .LBB166_4955
; %bb.4954:
	v_bfe_u32 v7, v6, 16, 1
	s_movk_i32 vcc_lo, 0x7fff
	v_add3_u32 v7, v6, v7, vcc_lo
	v_cmp_o_f32_e32 vcc, v6, v6
	v_mov_b32_e32 v6, 0x7fc0
	v_cndmask_b32_sdwa v6, v6, v7, vcc dst_sel:DWORD dst_unused:UNUSED_PAD src0_sel:DWORD src1_sel:WORD_1
	s_mov_b64 s[30:31], exec
	flat_store_dword v[4:5], v6
	s_xor_b64 vcc, exec, -1
.LBB166_4955:
	s_or_b64 exec, exec, s[34:35]
	s_andn2_b64 s[34:35], s[72:73], exec
	s_and_b64 vcc, vcc, exec
	s_or_b64 s[34:35], s[34:35], vcc
	s_and_b64 s[30:31], s[30:31], exec
                                        ; implicit-def: $vgpr4_vgpr5
                                        ; implicit-def: $vgpr6
.LBB166_4956:
	s_andn2_saveexec_b64 s[36:37], s[4:5]
	s_cbranch_execz .LBB166_4962
; %bb.4957:
	v_mov_b32_e32 v7, 44
	v_cmp_eq_u16_sdwa s[48:49], v13, v7 src0_sel:BYTE_0 src1_sel:DWORD
	s_mov_b64 vcc, -1
	s_mov_b64 s[4:5], s[30:31]
	s_and_saveexec_b64 s[38:39], s[48:49]
	s_cbranch_execz .LBB166_4961
; %bb.4958:
	v_bfe_u32 v7, v6, 23, 8
	s_movk_i32 s4, 0xff
	v_cmp_ne_u32_e32 vcc, s4, v7
	v_mov_b32_e32 v70, 0xff
	s_and_saveexec_b64 s[48:49], vcc
; %bb.4959:
	s_mov_b32 s4, 0x3fffff
	v_lshrrev_b32_e32 v70, 23, v6
	v_and_b32_e32 v71, 0x400000, v6
	v_and_or_b32 v6, v6, s4, v7
	v_cmp_ne_u32_e32 vcc, 0, v71
	v_cmp_ne_u32_e64 s[4:5], 0, v6
	s_and_b64 s[4:5], vcc, s[4:5]
	v_cndmask_b32_e64 v6, 0, 1, s[4:5]
	v_add_u32_e32 v70, v70, v6
; %bb.4960:
	s_or_b64 exec, exec, s[48:49]
	s_xor_b64 vcc, exec, -1
	s_or_b64 s[4:5], s[30:31], exec
	flat_store_byte v[4:5], v70
.LBB166_4961:
	s_or_b64 exec, exec, s[38:39]
	s_andn2_b64 s[34:35], s[34:35], exec
	s_and_b64 vcc, vcc, exec
	s_or_b64 s[34:35], s[34:35], vcc
	s_andn2_b64 vcc, s[30:31], exec
	s_and_b64 s[4:5], s[4:5], exec
	s_or_b64 s[30:31], vcc, s[4:5]
.LBB166_4962:
	s_or_b64 exec, exec, s[36:37]
	s_andn2_b64 s[4:5], s[72:73], exec
	s_and_b64 vcc, s[34:35], exec
	s_or_b64 vcc, s[4:5], vcc
	s_and_b64 s[4:5], s[30:31], exec
                                        ; implicit-def: $vgpr6
                                        ; implicit-def: $vgpr4_vgpr5
.LBB166_4963:
	s_andn2_saveexec_b64 s[94:95], s[94:95]
	s_cbranch_execz .LBB166_4967
; %bb.4964:
	v_mov_b32_e32 v7, 29
	v_cmp_eq_u16_sdwa s[38:39], v13, v7 src0_sel:BYTE_0 src1_sel:DWORD
	s_mov_b64 s[36:37], -1
	s_mov_b64 s[34:35], s[4:5]
	s_and_saveexec_b64 s[30:31], s[38:39]
	s_cbranch_execz .LBB166_4966
; %bb.4965:
	v_trunc_f32_e32 v6, v6
	v_mul_f32_e32 v7, 0x2f800000, v6
	v_floor_f32_e32 v70, v7
	v_fmac_f32_e32 v6, 0xcf800000, v70
	v_cvt_u32_f32_e32 v7, v70
	v_cvt_u32_f32_e32 v6, v6
	s_xor_b64 s[36:37], exec, -1
	s_or_b64 s[34:35], s[4:5], exec
	flat_store_dwordx2 v[4:5], v[6:7]
.LBB166_4966:
	s_or_b64 exec, exec, s[30:31]
	s_andn2_b64 vcc, vcc, exec
	s_and_b64 s[30:31], s[36:37], exec
	s_or_b64 vcc, vcc, s[30:31]
	s_andn2_b64 s[4:5], s[4:5], exec
	s_and_b64 s[30:31], s[34:35], exec
	s_or_b64 s[4:5], s[4:5], s[30:31]
.LBB166_4967:
	s_or_b64 exec, exec, s[94:95]
	s_andn2_b64 s[94:95], s[72:73], exec
	s_and_b64 vcc, vcc, exec
	s_or_b64 s[94:95], s[94:95], vcc
	s_and_b64 s[4:5], s[4:5], exec
                                        ; implicit-def: $vgpr4_vgpr5
                                        ; implicit-def: $vgpr6
.LBB166_4968:
	s_andn2_saveexec_b64 s[88:89], s[88:89]
	s_cbranch_execz .LBB166_4984
; %bb.4969:
	v_mov_b32_e32 v7, 26
	v_cmp_gt_i16_sdwa vcc, v13, v7 src0_sel:BYTE_0 src1_sel:DWORD
	s_and_saveexec_b64 s[30:31], vcc
	s_xor_b64 vcc, exec, s[30:31]
	s_cbranch_execz .LBB166_4975
; %bb.4970:
	v_cvt_u32_f32_e32 v6, v6
	v_mov_b32_e32 v7, 27
	v_cmp_gt_i16_sdwa s[30:31], v13, v7 src0_sel:BYTE_0 src1_sel:DWORD
	s_and_saveexec_b64 s[34:35], s[30:31]
	s_xor_b64 s[30:31], exec, s[34:35]
	s_cbranch_execz .LBB166_4972
; %bb.4971:
	flat_store_dword v[4:5], v6
                                        ; implicit-def: $vgpr4_vgpr5
                                        ; implicit-def: $vgpr6
.LBB166_4972:
	s_andn2_saveexec_b64 s[30:31], s[30:31]
	s_cbranch_execz .LBB166_4974
; %bb.4973:
	flat_store_short v[4:5], v6
.LBB166_4974:
	s_or_b64 exec, exec, s[30:31]
                                        ; implicit-def: $vgpr4_vgpr5
                                        ; implicit-def: $vgpr6
.LBB166_4975:
	s_andn2_saveexec_b64 s[30:31], vcc
	s_cbranch_execz .LBB166_4983
; %bb.4976:
	v_and_b32_e32 v7, 0x7fffffff, v6
	s_mov_b32 vcc_lo, 0x43800000
	v_cmp_gt_u32_e32 vcc, vcc_lo, v7
	v_mov_b32_e32 v70, 0x80
	s_and_saveexec_b64 s[34:35], vcc
	s_cbranch_execz .LBB166_4982
; %bb.4977:
	s_mov_b32 vcc_lo, 0x3bffffff
	v_cmp_lt_u32_e32 vcc, vcc_lo, v7
	s_mov_b64 s[36:37], 0
                                        ; implicit-def: $vgpr7
	s_and_saveexec_b64 s[38:39], vcc
	s_xor_b64 vcc, exec, s[38:39]
	s_cbranch_execnz .LBB166_7855
; %bb.4978:
	s_andn2_saveexec_b64 s[38:39], vcc
	s_cbranch_execnz .LBB166_7856
.LBB166_4979:
	s_or_b64 exec, exec, s[38:39]
	v_mov_b32_e32 v70, 0
	s_and_saveexec_b64 vcc, s[36:37]
.LBB166_4980:
	v_lshrrev_b32_e32 v6, 24, v6
	s_movk_i32 s36, 0x80
	v_and_or_b32 v70, v6, s36, v7
.LBB166_4981:
	s_or_b64 exec, exec, vcc
.LBB166_4982:
	s_or_b64 exec, exec, s[34:35]
	flat_store_byte v[4:5], v70
.LBB166_4983:
	s_or_b64 exec, exec, s[30:31]
	s_or_b64 s[4:5], s[4:5], exec
.LBB166_4984:
	s_or_b64 exec, exec, s[88:89]
	s_andn2_b64 s[88:89], s[72:73], exec
	s_and_b64 s[94:95], s[94:95], exec
	s_or_b64 s[88:89], s[88:89], s[94:95]
	s_and_b64 s[4:5], s[4:5], exec
                                        ; implicit-def: $vgpr6
                                        ; implicit-def: $vgpr4_vgpr5
.LBB166_4985:
	s_andn2_saveexec_b64 s[92:93], s[92:93]
	s_cbranch_execz .LBB166_5029
; %bb.4986:
	v_mov_b32_e32 v7, 22
	v_cmp_gt_i16_sdwa s[94:95], v13, v7 src0_sel:BYTE_0 src1_sel:DWORD
	s_mov_b64 s[30:31], s[4:5]
	s_and_saveexec_b64 vcc, s[94:95]
	s_xor_b64 s[94:95], exec, vcc
	s_cbranch_execz .LBB166_5018
; %bb.4987:
	v_mov_b32_e32 v7, 23
	v_cmp_gt_i16_sdwa vcc, v13, v7 src0_sel:BYTE_0 src1_sel:DWORD
	s_and_saveexec_b64 s[30:31], vcc
	s_xor_b64 s[30:31], exec, s[30:31]
	s_cbranch_execz .LBB166_5007
; %bb.4988:
	v_mov_b32_e32 v7, 24
	v_cmp_gt_i16_sdwa vcc, v13, v7 src0_sel:BYTE_0 src1_sel:DWORD
	s_and_saveexec_b64 s[34:35], vcc
	s_xor_b64 s[34:35], exec, s[34:35]
	s_cbranch_execz .LBB166_4996
; %bb.4989:
	v_and_b32_e32 v7, 0x7fffffff, v6
	s_mov_b32 vcc_lo, 0x47800000
	v_cmp_gt_u32_e32 vcc, vcc_lo, v7
	v_mov_b32_e32 v70, 0x80
	s_and_saveexec_b64 s[36:37], vcc
	s_cbranch_execz .LBB166_4995
; %bb.4990:
	s_mov_b32 vcc_lo, 0x37ffffff
	v_cmp_lt_u32_e32 vcc, vcc_lo, v7
	s_mov_b64 s[38:39], 0
                                        ; implicit-def: $vgpr7
	s_and_saveexec_b64 s[48:49], vcc
	s_xor_b64 vcc, exec, s[48:49]
	s_cbranch_execnz .LBB166_7857
; %bb.4991:
	s_andn2_saveexec_b64 s[48:49], vcc
	s_cbranch_execnz .LBB166_7858
.LBB166_4992:
	s_or_b64 exec, exec, s[48:49]
	v_mov_b32_e32 v70, 0
	s_and_saveexec_b64 vcc, s[38:39]
.LBB166_4993:
	v_lshrrev_b32_e32 v6, 24, v6
	s_movk_i32 s38, 0x80
	v_and_or_b32 v70, v6, s38, v7
.LBB166_4994:
	s_or_b64 exec, exec, vcc
.LBB166_4995:
	s_or_b64 exec, exec, s[36:37]
	flat_store_byte v[4:5], v70
                                        ; implicit-def: $vgpr6
                                        ; implicit-def: $vgpr4_vgpr5
.LBB166_4996:
	s_andn2_saveexec_b64 s[34:35], s[34:35]
	s_cbranch_execz .LBB166_5006
; %bb.4997:
	v_and_b32_e32 v70, 0x7fffffff, v6
	s_mov_b32 vcc_lo, 0x43f00000
	v_cmp_gt_u32_e32 vcc, vcc_lo, v70
                                        ; implicit-def: $vgpr7
	s_and_saveexec_b64 s[36:37], vcc
	s_xor_b64 s[36:37], exec, s[36:37]
	s_cbranch_execz .LBB166_5003
; %bb.4998:
	s_mov_b32 vcc_lo, 0x3c7fffff
	v_cmp_lt_u32_e32 vcc, vcc_lo, v70
                                        ; implicit-def: $vgpr7
	s_and_saveexec_b64 s[38:39], vcc
	s_xor_b64 s[38:39], exec, s[38:39]
; %bb.4999:
	v_bfe_u32 v7, v6, 20, 1
	s_mov_b32 vcc_lo, 0x407ffff
	v_add3_u32 v7, v6, v7, vcc_lo
	v_lshrrev_b32_e32 v70, 20, v7
	v_and_b32_e32 v7, 0xff00000, v7
	s_mov_b32 vcc_lo, 0x7f00000
	v_mov_b32_e32 v71, 0x7e
	v_cmp_ne_u32_e32 vcc, vcc_lo, v7
	v_cndmask_b32_e32 v7, v71, v70, vcc
; %bb.5000:
	s_andn2_saveexec_b64 vcc, s[38:39]
; %bb.5001:
	s_mov_b32 s38, 0x46800000
	v_add_f32_e64 v7, |v6|, s38
; %bb.5002:
	s_or_b64 exec, exec, vcc
                                        ; implicit-def: $vgpr70
.LBB166_5003:
	s_andn2_saveexec_b64 s[36:37], s[36:37]
; %bb.5004:
	s_mov_b32 vcc_lo, 0x7f800000
	v_mov_b32_e32 v7, 0x7e
	v_mov_b32_e32 v71, 0x7f
	v_cmp_lt_u32_e32 vcc, vcc_lo, v70
	v_cndmask_b32_e32 v7, v7, v71, vcc
; %bb.5005:
	s_or_b64 exec, exec, s[36:37]
	v_lshrrev_b32_e32 v6, 24, v6
	s_movk_i32 vcc_lo, 0x80
	v_and_or_b32 v6, v6, vcc_lo, v7
	flat_store_byte v[4:5], v6
.LBB166_5006:
	s_or_b64 exec, exec, s[34:35]
                                        ; implicit-def: $vgpr6
                                        ; implicit-def: $vgpr4_vgpr5
.LBB166_5007:
	s_andn2_saveexec_b64 s[30:31], s[30:31]
	s_cbranch_execz .LBB166_5017
; %bb.5008:
	v_and_b32_e32 v70, 0x7fffffff, v6
	s_mov_b32 vcc_lo, 0x47800000
	v_cmp_gt_u32_e32 vcc, vcc_lo, v70
                                        ; implicit-def: $vgpr7
	s_and_saveexec_b64 s[34:35], vcc
	s_xor_b64 s[34:35], exec, s[34:35]
	s_cbranch_execz .LBB166_5014
; %bb.5009:
	s_mov_b32 vcc_lo, 0x387fffff
	v_cmp_lt_u32_e32 vcc, vcc_lo, v70
                                        ; implicit-def: $vgpr7
	s_and_saveexec_b64 s[36:37], vcc
	s_xor_b64 vcc, exec, s[36:37]
; %bb.5010:
	v_bfe_u32 v7, v6, 21, 1
	s_mov_b32 s36, 0x80fffff
	v_add3_u32 v7, v6, v7, s36
	v_lshrrev_b32_e32 v7, 21, v7
; %bb.5011:
	s_andn2_saveexec_b64 vcc, vcc
; %bb.5012:
	s_mov_b32 s36, 0x43000000
	v_add_f32_e64 v7, |v6|, s36
; %bb.5013:
	s_or_b64 exec, exec, vcc
                                        ; implicit-def: $vgpr70
.LBB166_5014:
	s_andn2_saveexec_b64 s[34:35], s[34:35]
; %bb.5015:
	s_mov_b32 vcc_lo, 0x7f800000
	v_mov_b32_e32 v7, 0x7c
	v_mov_b32_e32 v71, 0x7f
	v_cmp_lt_u32_e32 vcc, vcc_lo, v70
	v_cndmask_b32_e32 v7, v7, v71, vcc
; %bb.5016:
	s_or_b64 exec, exec, s[34:35]
	v_lshrrev_b32_e32 v6, 24, v6
	s_movk_i32 vcc_lo, 0x80
	v_and_or_b32 v6, v6, vcc_lo, v7
	flat_store_byte v[4:5], v6
.LBB166_5017:
	s_or_b64 exec, exec, s[30:31]
	s_or_b64 s[30:31], s[4:5], exec
                                        ; implicit-def: $vgpr6
                                        ; implicit-def: $vgpr4_vgpr5
.LBB166_5018:
	s_or_saveexec_b64 s[94:95], s[94:95]
	s_mov_b64 vcc, s[88:89]
	s_xor_b64 exec, exec, s[94:95]
	s_cbranch_execz .LBB166_5028
; %bb.5019:
	v_mov_b32_e32 v7, 14
	v_cmp_gt_i16_sdwa vcc, v13, v7 src0_sel:BYTE_0 src1_sel:DWORD
	s_mov_b64 s[34:35], s[30:31]
	s_mov_b64 s[36:37], s[88:89]
	s_and_saveexec_b64 s[38:39], vcc
	s_xor_b64 s[38:39], exec, s[38:39]
	s_cbranch_execz .LBB166_5023
; %bb.5020:
	v_mov_b32_e32 v7, 15
	v_cmp_eq_u16_sdwa s[48:49], v13, v7 src0_sel:BYTE_0 src1_sel:DWORD
	s_mov_b64 s[36:37], -1
	s_mov_b64 vcc, s[30:31]
	s_and_saveexec_b64 s[34:35], s[48:49]
	s_cbranch_execz .LBB166_5022
; %bb.5021:
	v_bfe_u32 v7, v6, 16, 1
	s_movk_i32 vcc_lo, 0x7fff
	v_add3_u32 v7, v6, v7, vcc_lo
	v_cmp_o_f32_e32 vcc, v6, v6
	v_mov_b32_e32 v6, 0x7fc0
	v_cndmask_b32_sdwa v6, v6, v7, vcc dst_sel:DWORD dst_unused:UNUSED_PAD src0_sel:DWORD src1_sel:WORD_1
	flat_store_short v[4:5], v6
	s_xor_b64 s[36:37], exec, -1
	s_or_b64 vcc, s[30:31], exec
.LBB166_5022:
	s_or_b64 exec, exec, s[34:35]
	s_andn2_b64 s[34:35], s[88:89], exec
	s_and_b64 s[36:37], s[36:37], exec
	s_or_b64 s[36:37], s[34:35], s[36:37]
	s_andn2_b64 s[34:35], s[30:31], exec
	s_and_b64 vcc, vcc, exec
	s_or_b64 s[34:35], s[34:35], vcc
                                        ; implicit-def: $vgpr6
                                        ; implicit-def: $vgpr4_vgpr5
.LBB166_5023:
	s_andn2_saveexec_b64 s[38:39], s[38:39]
	s_cbranch_execz .LBB166_5027
; %bb.5024:
	v_mov_b32_e32 v7, 11
	v_cmp_eq_u16_sdwa s[52:53], v13, v7 src0_sel:BYTE_0 src1_sel:DWORD
	s_mov_b64 s[48:49], -1
	s_mov_b64 vcc, s[34:35]
	s_and_saveexec_b64 s[50:51], s[52:53]
	s_cbranch_execz .LBB166_5026
; %bb.5025:
	v_cmp_neq_f32_e32 vcc, 0, v6
	v_cndmask_b32_e64 v6, 0, 1, vcc
	flat_store_byte v[4:5], v6
	s_xor_b64 s[48:49], exec, -1
	s_or_b64 vcc, s[34:35], exec
.LBB166_5026:
	s_or_b64 exec, exec, s[50:51]
	s_andn2_b64 s[36:37], s[36:37], exec
	s_and_b64 s[48:49], s[48:49], exec
	s_andn2_b64 s[34:35], s[34:35], exec
	s_and_b64 vcc, vcc, exec
	s_or_b64 s[36:37], s[36:37], s[48:49]
	s_or_b64 s[34:35], s[34:35], vcc
.LBB166_5027:
	s_or_b64 exec, exec, s[38:39]
	s_andn2_b64 vcc, s[88:89], exec
	s_and_b64 s[36:37], s[36:37], exec
	s_andn2_b64 s[30:31], s[30:31], exec
	s_and_b64 s[34:35], s[34:35], exec
	s_or_b64 vcc, vcc, s[36:37]
	s_or_b64 s[30:31], s[30:31], s[34:35]
.LBB166_5028:
	s_or_b64 exec, exec, s[94:95]
	s_andn2_b64 s[88:89], s[88:89], exec
	s_and_b64 s[94:95], vcc, exec
	s_or_b64 s[88:89], s[88:89], s[94:95]
	s_andn2_b64 s[4:5], s[4:5], exec
	s_and_b64 s[94:95], s[30:31], exec
	s_or_b64 s[4:5], s[4:5], s[94:95]
.LBB166_5029:
	s_or_b64 exec, exec, s[92:93]
	s_andn2_b64 s[92:93], s[72:73], exec
	s_and_b64 s[88:89], s[88:89], exec
	s_or_b64 s[88:89], s[92:93], s[88:89]
	s_and_b64 s[4:5], s[4:5], exec
                                        ; implicit-def: $vgpr6
                                        ; implicit-def: $vgpr4_vgpr5
.LBB166_5030:
	s_andn2_saveexec_b64 s[76:77], s[76:77]
	s_cbranch_execz .LBB166_5072
; %bb.5031:
	v_mov_b32_e32 v7, 4
	v_cmp_gt_i16_sdwa s[92:93], v13, v7 src0_sel:BYTE_0 src1_sel:DWORD
	s_and_saveexec_b64 s[94:95], s[92:93]
	s_xor_b64 s[92:93], exec, s[94:95]
	s_cbranch_execz .LBB166_5053
; %bb.5032:
	v_mov_b32_e32 v7, 7
	v_cmp_gt_i16_sdwa s[94:95], v13, v7 src0_sel:BYTE_0 src1_sel:DWORD
	s_and_saveexec_b64 vcc, s[94:95]
	s_xor_b64 s[94:95], exec, vcc
	s_cbranch_execz .LBB166_5042
; %bb.5033:
	v_mov_b32_e32 v7, 8
	v_cmp_gt_i16_sdwa vcc, v13, v7 src0_sel:BYTE_0 src1_sel:DWORD
	s_and_saveexec_b64 s[30:31], vcc
	s_xor_b64 vcc, exec, s[30:31]
	s_cbranch_execz .LBB166_5039
; %bb.5034:
	v_mov_b32_e32 v7, 9
	v_cmp_gt_i16_sdwa s[30:31], v13, v7 src0_sel:BYTE_0 src1_sel:DWORD
	s_and_saveexec_b64 s[34:35], s[30:31]
	s_xor_b64 s[30:31], exec, s[34:35]
	s_cbranch_execz .LBB166_5036
; %bb.5035:
	v_cvt_f64_f32_e32 v[80:81], v6
	v_mov_b32_e32 v82, 0
	v_mov_b32_e32 v83, v82
                                        ; implicit-def: $vgpr6
	flat_store_dwordx4 v[4:5], v[80:83]
                                        ; implicit-def: $vgpr4_vgpr5
.LBB166_5036:
	s_andn2_saveexec_b64 s[30:31], s[30:31]
	s_cbranch_execz .LBB166_5038
; %bb.5037:
	v_mov_b32_e32 v7, 0
	flat_store_dwordx2 v[4:5], v[6:7]
.LBB166_5038:
	s_or_b64 exec, exec, s[30:31]
                                        ; implicit-def: $vgpr6
                                        ; implicit-def: $vgpr4_vgpr5
.LBB166_5039:
	s_andn2_saveexec_b64 vcc, vcc
	s_cbranch_execz .LBB166_5041
; %bb.5040:
	v_cvt_f16_f32_e32 v6, v6
	flat_store_dword v[4:5], v6
.LBB166_5041:
	s_or_b64 exec, exec, vcc
                                        ; implicit-def: $vgpr6
                                        ; implicit-def: $vgpr4_vgpr5
.LBB166_5042:
	s_andn2_saveexec_b64 s[94:95], s[94:95]
	s_cbranch_execz .LBB166_5052
; %bb.5043:
	v_mov_b32_e32 v7, 5
	v_cmp_gt_i16_sdwa vcc, v13, v7 src0_sel:BYTE_0 src1_sel:DWORD
	s_and_saveexec_b64 s[30:31], vcc
	s_xor_b64 vcc, exec, s[30:31]
	s_cbranch_execz .LBB166_5049
; %bb.5044:
	v_mov_b32_e32 v7, 6
	v_cmp_gt_i16_sdwa s[30:31], v13, v7 src0_sel:BYTE_0 src1_sel:DWORD
	s_and_saveexec_b64 s[34:35], s[30:31]
	s_xor_b64 s[30:31], exec, s[34:35]
	s_cbranch_execz .LBB166_5046
; %bb.5045:
	v_cvt_f64_f32_e32 v[6:7], v6
	flat_store_dwordx2 v[4:5], v[6:7]
                                        ; implicit-def: $vgpr4_vgpr5
                                        ; implicit-def: $vgpr6
.LBB166_5046:
	s_andn2_saveexec_b64 s[30:31], s[30:31]
	s_cbranch_execz .LBB166_5048
; %bb.5047:
	flat_store_dword v[4:5], v6
.LBB166_5048:
	s_or_b64 exec, exec, s[30:31]
                                        ; implicit-def: $vgpr6
                                        ; implicit-def: $vgpr4_vgpr5
.LBB166_5049:
	s_andn2_saveexec_b64 vcc, vcc
	s_cbranch_execz .LBB166_5051
; %bb.5050:
	v_cvt_f16_f32_e32 v6, v6
	flat_store_short v[4:5], v6
.LBB166_5051:
	s_or_b64 exec, exec, vcc
.LBB166_5052:
	s_or_b64 exec, exec, s[94:95]
                                        ; implicit-def: $vgpr6
                                        ; implicit-def: $vgpr4_vgpr5
.LBB166_5053:
	s_andn2_saveexec_b64 s[92:93], s[92:93]
	s_cbranch_execz .LBB166_5071
; %bb.5054:
	v_mov_b32_e32 v7, 1
	v_cmp_gt_i16_sdwa s[94:95], v13, v7 src0_sel:BYTE_0 src1_sel:DWORD
	s_and_saveexec_b64 vcc, s[94:95]
	s_xor_b64 s[94:95], exec, vcc
	s_cbranch_execz .LBB166_5064
; %bb.5055:
	v_mov_b32_e32 v7, 2
	v_cmp_gt_i16_sdwa vcc, v13, v7 src0_sel:BYTE_0 src1_sel:DWORD
	s_and_saveexec_b64 s[30:31], vcc
	s_xor_b64 s[30:31], exec, s[30:31]
	s_cbranch_execz .LBB166_5061
; %bb.5056:
	v_mov_b32_e32 v7, 3
	v_cmp_gt_i16_sdwa vcc, v13, v7 src0_sel:BYTE_0 src1_sel:DWORD
	s_and_saveexec_b64 s[34:35], vcc
	s_xor_b64 s[34:35], exec, s[34:35]
	s_cbranch_execz .LBB166_5058
; %bb.5057:
	v_trunc_f32_e32 v6, v6
	s_mov_b32 s36, 0x2f800000
	v_mul_f32_e64 v7, |v6|, s36
	v_floor_f32_e32 v7, v7
	s_mov_b32 s36, 0xcf800000
	v_cvt_u32_f32_e32 v70, v7
	v_fma_f32 v7, v7, s36, |v6|
	v_cvt_u32_f32_e32 v7, v7
	v_ashrrev_i32_e32 v71, 31, v6
	v_xor_b32_e32 v70, v70, v71
	v_xor_b32_e32 v6, v7, v71
	v_sub_co_u32_e32 v6, vcc, v6, v71
	v_subb_co_u32_e32 v7, vcc, v70, v71, vcc
	flat_store_dwordx2 v[4:5], v[6:7]
                                        ; implicit-def: $vgpr6
                                        ; implicit-def: $vgpr4_vgpr5
.LBB166_5058:
	s_andn2_saveexec_b64 vcc, s[34:35]
	s_cbranch_execz .LBB166_5060
; %bb.5059:
	v_cvt_i32_f32_e32 v6, v6
	flat_store_dword v[4:5], v6
.LBB166_5060:
	s_or_b64 exec, exec, vcc
                                        ; implicit-def: $vgpr6
                                        ; implicit-def: $vgpr4_vgpr5
.LBB166_5061:
	s_andn2_saveexec_b64 vcc, s[30:31]
	s_cbranch_execz .LBB166_5063
; %bb.5062:
	v_cvt_i32_f32_e32 v6, v6
	flat_store_short v[4:5], v6
.LBB166_5063:
	s_or_b64 exec, exec, vcc
                                        ; implicit-def: $vgpr6
                                        ; implicit-def: $vgpr4_vgpr5
.LBB166_5064:
	s_andn2_saveexec_b64 s[94:95], s[94:95]
	s_cbranch_execz .LBB166_5070
; %bb.5065:
	v_mov_b32_e32 v7, 0
	v_cmp_gt_i16_sdwa vcc, v13, v7 src0_sel:BYTE_0 src1_sel:DWORD
	s_and_saveexec_b64 s[30:31], vcc
	s_xor_b64 vcc, exec, s[30:31]
	s_cbranch_execz .LBB166_5067
; %bb.5066:
	v_cvt_i32_f32_e32 v6, v6
	flat_store_byte v[4:5], v6
                                        ; implicit-def: $vgpr6
                                        ; implicit-def: $vgpr4_vgpr5
.LBB166_5067:
	s_andn2_saveexec_b64 vcc, vcc
	s_cbranch_execz .LBB166_5069
; %bb.5068:
	v_trunc_f32_e32 v6, v6
	s_mov_b32 s30, 0x2f800000
	v_mul_f32_e64 v7, |v6|, s30
	v_floor_f32_e32 v7, v7
	s_mov_b32 s30, 0xcf800000
	v_fma_f32 v7, v7, s30, |v6|
	v_cvt_u32_f32_e32 v7, v7
	v_ashrrev_i32_e32 v6, 31, v6
	v_xor_b32_e32 v7, v7, v6
	v_sub_u32_e32 v6, v7, v6
	flat_store_byte v[4:5], v6
.LBB166_5069:
	s_or_b64 exec, exec, vcc
.LBB166_5070:
	s_or_b64 exec, exec, s[94:95]
.LBB166_5071:
	s_or_b64 exec, exec, s[92:93]
	s_or_b64 s[4:5], s[4:5], exec
.LBB166_5072:
	s_or_b64 exec, exec, s[76:77]
	s_mov_b64 s[94:95], 0
	s_mov_b64 s[76:77], 0
	s_and_saveexec_b64 s[92:93], s[4:5]
; %bb.5073:
	v_add_u32_e32 v17, 0x200, v17
	v_cmp_lt_i32_e32 vcc, v17, v8
	s_mov_b64 s[94:95], exec
	s_and_b64 s[76:77], vcc, exec
; %bb.5074:
	s_or_b64 exec, exec, s[92:93]
	s_and_b64 s[92:93], s[76:77], exec
	s_andn2_b64 s[4:5], s[72:73], exec
	s_and_b64 s[76:77], s[88:89], exec
	s_or_b64 s[76:77], s[4:5], s[76:77]
	s_orn2_b64 s[88:89], s[94:95], exec
.LBB166_5075:
	s_or_b64 exec, exec, s[78:79]
	s_mov_b64 s[4:5], 0
	s_mov_b64 s[30:31], 0
                                        ; implicit-def: $vgpr4
                                        ; implicit-def: $vgpr112
                                        ; implicit-def: $vgpr6_vgpr7
	s_and_saveexec_b64 s[78:79], s[88:89]
	s_cbranch_execz .LBB166_7757
; %bb.5076:
	s_mov_b64 s[34:35], -1
	s_mov_b64 s[94:95], 0
	s_mov_b64 s[88:89], s[76:77]
	s_and_saveexec_b64 s[90:91], s[92:93]
	s_cbranch_execz .LBB166_5204
; %bb.5077:
	v_readlane_b32 s4, v41, 2
	v_add_u32_e32 v4, s4, v17
	v_mul_lo_u32 v4, v4, v14
	v_mov_b32_e32 v7, 10
	v_cmp_gt_i16_sdwa s[88:89], v13, v7 src0_sel:BYTE_0 src1_sel:DWORD
	s_mov_b64 s[4:5], 0
	v_add_co_u32_e32 v4, vcc, v2, v4
	v_addc_co_u32_e32 v5, vcc, 0, v3, vcc
	s_waitcnt vmcnt(0)
	v_cmp_nle_f32_e32 vcc, v69, v0
	v_cndmask_b32_e32 v6, v1, v68, vcc
	s_mov_b64 s[92:93], s[76:77]
	s_and_saveexec_b64 vcc, s[88:89]
	s_xor_b64 s[88:89], exec, vcc
	s_cbranch_execz .LBB166_5159
; %bb.5078:
	v_mov_b32_e32 v7, 25
	v_cmp_gt_i16_sdwa vcc, v13, v7 src0_sel:BYTE_0 src1_sel:DWORD
	s_mov_b64 s[92:93], s[76:77]
	s_and_saveexec_b64 s[30:31], vcc
	s_xor_b64 s[30:31], exec, s[30:31]
	s_cbranch_execz .LBB166_5114
; %bb.5079:
	v_mov_b32_e32 v7, 28
	v_cmp_gt_i16_sdwa s[92:93], v13, v7 src0_sel:BYTE_0 src1_sel:DWORD
	s_mov_b64 s[34:35], s[76:77]
	s_and_saveexec_b64 vcc, s[92:93]
	s_xor_b64 s[92:93], exec, vcc
	s_cbranch_execz .LBB166_5097
; %bb.5080:
	v_mov_b32_e32 v7, 43
	v_cmp_gt_i16_sdwa s[34:35], v13, v7 src0_sel:BYTE_0 src1_sel:DWORD
	s_mov_b64 vcc, s[76:77]
	s_and_saveexec_b64 s[36:37], s[34:35]
	s_xor_b64 s[34:35], exec, s[36:37]
	s_cbranch_execz .LBB166_5092
; %bb.5081:
	v_mov_b32_e32 v7, 45
	v_cmp_gt_i16_sdwa s[4:5], v13, v7 src0_sel:BYTE_0 src1_sel:DWORD
	s_mov_b64 s[36:37], 0
	s_mov_b64 s[38:39], s[76:77]
	s_and_saveexec_b64 vcc, s[4:5]
	s_xor_b64 s[4:5], exec, vcc
	s_cbranch_execz .LBB166_5085
; %bb.5082:
	v_mov_b32_e32 v7, 46
	v_cmp_eq_u16_sdwa s[48:49], v13, v7 src0_sel:BYTE_0 src1_sel:DWORD
	s_mov_b64 vcc, -1
	s_and_saveexec_b64 s[38:39], s[48:49]
	s_cbranch_execz .LBB166_5084
; %bb.5083:
	v_bfe_u32 v7, v6, 16, 1
	s_movk_i32 vcc_lo, 0x7fff
	v_add3_u32 v7, v6, v7, vcc_lo
	v_cmp_o_f32_e32 vcc, v6, v6
	v_mov_b32_e32 v6, 0x7fc0
	v_cndmask_b32_sdwa v6, v6, v7, vcc dst_sel:DWORD dst_unused:UNUSED_PAD src0_sel:DWORD src1_sel:WORD_1
	s_mov_b64 s[36:37], exec
	flat_store_dword v[4:5], v6
	s_xor_b64 vcc, exec, -1
.LBB166_5084:
	s_or_b64 exec, exec, s[38:39]
	s_andn2_b64 s[38:39], s[76:77], exec
	s_and_b64 vcc, vcc, exec
	s_or_b64 s[38:39], s[38:39], vcc
	s_and_b64 s[36:37], s[36:37], exec
                                        ; implicit-def: $vgpr4_vgpr5
                                        ; implicit-def: $vgpr6
.LBB166_5085:
	s_andn2_saveexec_b64 s[48:49], s[4:5]
	s_cbranch_execz .LBB166_5091
; %bb.5086:
	v_mov_b32_e32 v7, 44
	v_cmp_eq_u16_sdwa s[52:53], v13, v7 src0_sel:BYTE_0 src1_sel:DWORD
	s_mov_b64 vcc, -1
	s_mov_b64 s[4:5], s[36:37]
	s_and_saveexec_b64 s[50:51], s[52:53]
	s_cbranch_execz .LBB166_5090
; %bb.5087:
	v_bfe_u32 v7, v6, 23, 8
	s_movk_i32 s4, 0xff
	v_cmp_ne_u32_e32 vcc, s4, v7
	v_mov_b32_e32 v68, 0xff
	s_and_saveexec_b64 s[52:53], vcc
; %bb.5088:
	s_mov_b32 s4, 0x3fffff
	v_lshrrev_b32_e32 v68, 23, v6
	v_and_b32_e32 v69, 0x400000, v6
	v_and_or_b32 v6, v6, s4, v7
	v_cmp_ne_u32_e32 vcc, 0, v69
	v_cmp_ne_u32_e64 s[4:5], 0, v6
	s_and_b64 s[4:5], vcc, s[4:5]
	v_cndmask_b32_e64 v6, 0, 1, s[4:5]
	v_add_u32_e32 v68, v68, v6
; %bb.5089:
	s_or_b64 exec, exec, s[52:53]
	s_xor_b64 vcc, exec, -1
	s_or_b64 s[4:5], s[36:37], exec
	flat_store_byte v[4:5], v68
.LBB166_5090:
	s_or_b64 exec, exec, s[50:51]
	s_andn2_b64 s[38:39], s[38:39], exec
	s_and_b64 vcc, vcc, exec
	s_or_b64 s[38:39], s[38:39], vcc
	s_andn2_b64 vcc, s[36:37], exec
	s_and_b64 s[4:5], s[4:5], exec
	s_or_b64 s[36:37], vcc, s[4:5]
.LBB166_5091:
	s_or_b64 exec, exec, s[48:49]
	s_andn2_b64 s[4:5], s[76:77], exec
	s_and_b64 vcc, s[38:39], exec
	s_or_b64 vcc, s[4:5], vcc
	s_and_b64 s[4:5], s[36:37], exec
                                        ; implicit-def: $vgpr6
                                        ; implicit-def: $vgpr4_vgpr5
.LBB166_5092:
	s_andn2_saveexec_b64 s[34:35], s[34:35]
	s_cbranch_execz .LBB166_5096
; %bb.5093:
	v_mov_b32_e32 v7, 29
	v_cmp_eq_u16_sdwa s[50:51], v13, v7 src0_sel:BYTE_0 src1_sel:DWORD
	s_mov_b64 s[48:49], -1
	s_mov_b64 s[38:39], s[4:5]
	s_and_saveexec_b64 s[36:37], s[50:51]
	s_cbranch_execz .LBB166_5095
; %bb.5094:
	v_trunc_f32_e32 v6, v6
	v_mul_f32_e32 v7, 0x2f800000, v6
	v_floor_f32_e32 v68, v7
	v_fmac_f32_e32 v6, 0xcf800000, v68
	v_cvt_u32_f32_e32 v7, v68
	v_cvt_u32_f32_e32 v6, v6
	s_xor_b64 s[48:49], exec, -1
	s_or_b64 s[38:39], s[4:5], exec
	flat_store_dwordx2 v[4:5], v[6:7]
.LBB166_5095:
	s_or_b64 exec, exec, s[36:37]
	s_andn2_b64 vcc, vcc, exec
	s_and_b64 s[36:37], s[48:49], exec
	s_or_b64 vcc, vcc, s[36:37]
	s_andn2_b64 s[4:5], s[4:5], exec
	s_and_b64 s[36:37], s[38:39], exec
	s_or_b64 s[4:5], s[4:5], s[36:37]
.LBB166_5096:
	s_or_b64 exec, exec, s[34:35]
	s_andn2_b64 s[34:35], s[76:77], exec
	s_and_b64 vcc, vcc, exec
	s_or_b64 s[34:35], s[34:35], vcc
	s_and_b64 s[4:5], s[4:5], exec
                                        ; implicit-def: $vgpr4_vgpr5
                                        ; implicit-def: $vgpr6
.LBB166_5097:
	s_andn2_saveexec_b64 s[92:93], s[92:93]
	s_cbranch_execz .LBB166_5113
; %bb.5098:
	v_mov_b32_e32 v7, 26
	v_cmp_gt_i16_sdwa vcc, v13, v7 src0_sel:BYTE_0 src1_sel:DWORD
	s_and_saveexec_b64 s[36:37], vcc
	s_xor_b64 vcc, exec, s[36:37]
	s_cbranch_execz .LBB166_5104
; %bb.5099:
	v_cvt_u32_f32_e32 v6, v6
	v_mov_b32_e32 v7, 27
	v_cmp_gt_i16_sdwa s[36:37], v13, v7 src0_sel:BYTE_0 src1_sel:DWORD
	s_and_saveexec_b64 s[38:39], s[36:37]
	s_xor_b64 s[36:37], exec, s[38:39]
	s_cbranch_execz .LBB166_5101
; %bb.5100:
	flat_store_dword v[4:5], v6
                                        ; implicit-def: $vgpr4_vgpr5
                                        ; implicit-def: $vgpr6
.LBB166_5101:
	s_andn2_saveexec_b64 s[36:37], s[36:37]
	s_cbranch_execz .LBB166_5103
; %bb.5102:
	flat_store_short v[4:5], v6
.LBB166_5103:
	s_or_b64 exec, exec, s[36:37]
                                        ; implicit-def: $vgpr4_vgpr5
                                        ; implicit-def: $vgpr6
.LBB166_5104:
	s_andn2_saveexec_b64 s[36:37], vcc
	s_cbranch_execz .LBB166_5112
; %bb.5105:
	v_and_b32_e32 v7, 0x7fffffff, v6
	s_mov_b32 vcc_lo, 0x43800000
	v_cmp_gt_u32_e32 vcc, vcc_lo, v7
	v_mov_b32_e32 v68, 0x80
	s_and_saveexec_b64 s[38:39], vcc
	s_cbranch_execz .LBB166_5111
; %bb.5106:
	s_mov_b32 vcc_lo, 0x3bffffff
	v_cmp_lt_u32_e32 vcc, vcc_lo, v7
	s_mov_b64 s[48:49], 0
                                        ; implicit-def: $vgpr7
	s_and_saveexec_b64 s[50:51], vcc
	s_xor_b64 vcc, exec, s[50:51]
	s_cbranch_execnz .LBB166_7859
; %bb.5107:
	s_andn2_saveexec_b64 s[50:51], vcc
	s_cbranch_execnz .LBB166_7860
.LBB166_5108:
	s_or_b64 exec, exec, s[50:51]
	v_mov_b32_e32 v68, 0
	s_and_saveexec_b64 vcc, s[48:49]
.LBB166_5109:
	v_lshrrev_b32_e32 v6, 24, v6
	s_movk_i32 s48, 0x80
	v_and_or_b32 v68, v6, s48, v7
.LBB166_5110:
	s_or_b64 exec, exec, vcc
.LBB166_5111:
	s_or_b64 exec, exec, s[38:39]
	flat_store_byte v[4:5], v68
.LBB166_5112:
	s_or_b64 exec, exec, s[36:37]
	s_or_b64 s[4:5], s[4:5], exec
.LBB166_5113:
	s_or_b64 exec, exec, s[92:93]
	s_andn2_b64 s[92:93], s[76:77], exec
	s_and_b64 vcc, s[34:35], exec
	s_or_b64 s[92:93], s[92:93], vcc
	s_and_b64 s[4:5], s[4:5], exec
                                        ; implicit-def: $vgpr6
                                        ; implicit-def: $vgpr4_vgpr5
.LBB166_5114:
	s_andn2_saveexec_b64 s[30:31], s[30:31]
	s_cbranch_execz .LBB166_5158
; %bb.5115:
	v_mov_b32_e32 v7, 22
	v_cmp_gt_i16_sdwa vcc, v13, v7 src0_sel:BYTE_0 src1_sel:DWORD
	s_mov_b64 s[36:37], s[4:5]
	s_and_saveexec_b64 s[34:35], vcc
	s_xor_b64 s[34:35], exec, s[34:35]
	s_cbranch_execz .LBB166_5147
; %bb.5116:
	v_mov_b32_e32 v7, 23
	v_cmp_gt_i16_sdwa vcc, v13, v7 src0_sel:BYTE_0 src1_sel:DWORD
	s_and_saveexec_b64 s[36:37], vcc
	s_xor_b64 s[36:37], exec, s[36:37]
	s_cbranch_execz .LBB166_5136
; %bb.5117:
	v_mov_b32_e32 v7, 24
	v_cmp_gt_i16_sdwa vcc, v13, v7 src0_sel:BYTE_0 src1_sel:DWORD
	s_and_saveexec_b64 s[38:39], vcc
	s_xor_b64 s[38:39], exec, s[38:39]
	s_cbranch_execz .LBB166_5125
; %bb.5118:
	v_and_b32_e32 v7, 0x7fffffff, v6
	s_mov_b32 vcc_lo, 0x47800000
	v_cmp_gt_u32_e32 vcc, vcc_lo, v7
	v_mov_b32_e32 v68, 0x80
	s_and_saveexec_b64 s[48:49], vcc
	s_cbranch_execz .LBB166_5124
; %bb.5119:
	s_mov_b32 vcc_lo, 0x37ffffff
	v_cmp_lt_u32_e32 vcc, vcc_lo, v7
	s_mov_b64 s[50:51], 0
                                        ; implicit-def: $vgpr7
	s_and_saveexec_b64 s[52:53], vcc
	s_xor_b64 vcc, exec, s[52:53]
	s_cbranch_execnz .LBB166_7861
; %bb.5120:
	s_andn2_saveexec_b64 s[52:53], vcc
	s_cbranch_execnz .LBB166_7862
.LBB166_5121:
	s_or_b64 exec, exec, s[52:53]
	v_mov_b32_e32 v68, 0
	s_and_saveexec_b64 vcc, s[50:51]
.LBB166_5122:
	v_lshrrev_b32_e32 v6, 24, v6
	s_movk_i32 s50, 0x80
	v_and_or_b32 v68, v6, s50, v7
.LBB166_5123:
	s_or_b64 exec, exec, vcc
.LBB166_5124:
	s_or_b64 exec, exec, s[48:49]
	flat_store_byte v[4:5], v68
                                        ; implicit-def: $vgpr6
                                        ; implicit-def: $vgpr4_vgpr5
.LBB166_5125:
	s_andn2_saveexec_b64 s[38:39], s[38:39]
	s_cbranch_execz .LBB166_5135
; %bb.5126:
	v_and_b32_e32 v68, 0x7fffffff, v6
	s_mov_b32 vcc_lo, 0x43f00000
	v_cmp_gt_u32_e32 vcc, vcc_lo, v68
                                        ; implicit-def: $vgpr7
	s_and_saveexec_b64 s[48:49], vcc
	s_xor_b64 s[48:49], exec, s[48:49]
	s_cbranch_execz .LBB166_5132
; %bb.5127:
	s_mov_b32 vcc_lo, 0x3c7fffff
	v_cmp_lt_u32_e32 vcc, vcc_lo, v68
                                        ; implicit-def: $vgpr7
	s_and_saveexec_b64 s[50:51], vcc
	s_xor_b64 s[50:51], exec, s[50:51]
; %bb.5128:
	v_bfe_u32 v7, v6, 20, 1
	s_mov_b32 vcc_lo, 0x407ffff
	v_add3_u32 v7, v6, v7, vcc_lo
	v_lshrrev_b32_e32 v68, 20, v7
	v_and_b32_e32 v7, 0xff00000, v7
	s_mov_b32 vcc_lo, 0x7f00000
	v_mov_b32_e32 v69, 0x7e
	v_cmp_ne_u32_e32 vcc, vcc_lo, v7
	v_cndmask_b32_e32 v7, v69, v68, vcc
; %bb.5129:
	s_andn2_saveexec_b64 vcc, s[50:51]
; %bb.5130:
	s_mov_b32 s50, 0x46800000
	v_add_f32_e64 v7, |v6|, s50
; %bb.5131:
	s_or_b64 exec, exec, vcc
                                        ; implicit-def: $vgpr68
.LBB166_5132:
	s_andn2_saveexec_b64 s[48:49], s[48:49]
; %bb.5133:
	s_mov_b32 vcc_lo, 0x7f800000
	v_mov_b32_e32 v7, 0x7e
	v_mov_b32_e32 v69, 0x7f
	v_cmp_lt_u32_e32 vcc, vcc_lo, v68
	v_cndmask_b32_e32 v7, v7, v69, vcc
; %bb.5134:
	s_or_b64 exec, exec, s[48:49]
	v_lshrrev_b32_e32 v6, 24, v6
	s_movk_i32 vcc_lo, 0x80
	v_and_or_b32 v6, v6, vcc_lo, v7
	flat_store_byte v[4:5], v6
.LBB166_5135:
	s_or_b64 exec, exec, s[38:39]
                                        ; implicit-def: $vgpr6
                                        ; implicit-def: $vgpr4_vgpr5
.LBB166_5136:
	s_andn2_saveexec_b64 s[36:37], s[36:37]
	s_cbranch_execz .LBB166_5146
; %bb.5137:
	v_and_b32_e32 v68, 0x7fffffff, v6
	s_mov_b32 vcc_lo, 0x47800000
	v_cmp_gt_u32_e32 vcc, vcc_lo, v68
                                        ; implicit-def: $vgpr7
	s_and_saveexec_b64 s[38:39], vcc
	s_xor_b64 s[38:39], exec, s[38:39]
	s_cbranch_execz .LBB166_5143
; %bb.5138:
	s_mov_b32 vcc_lo, 0x387fffff
	v_cmp_lt_u32_e32 vcc, vcc_lo, v68
                                        ; implicit-def: $vgpr7
	s_and_saveexec_b64 s[48:49], vcc
	s_xor_b64 vcc, exec, s[48:49]
; %bb.5139:
	v_bfe_u32 v7, v6, 21, 1
	s_mov_b32 s48, 0x80fffff
	v_add3_u32 v7, v6, v7, s48
	v_lshrrev_b32_e32 v7, 21, v7
; %bb.5140:
	s_andn2_saveexec_b64 vcc, vcc
; %bb.5141:
	s_mov_b32 s48, 0x43000000
	v_add_f32_e64 v7, |v6|, s48
; %bb.5142:
	s_or_b64 exec, exec, vcc
                                        ; implicit-def: $vgpr68
.LBB166_5143:
	s_andn2_saveexec_b64 s[38:39], s[38:39]
; %bb.5144:
	s_mov_b32 vcc_lo, 0x7f800000
	v_mov_b32_e32 v7, 0x7c
	v_mov_b32_e32 v69, 0x7f
	v_cmp_lt_u32_e32 vcc, vcc_lo, v68
	v_cndmask_b32_e32 v7, v7, v69, vcc
; %bb.5145:
	s_or_b64 exec, exec, s[38:39]
	v_lshrrev_b32_e32 v6, 24, v6
	s_movk_i32 vcc_lo, 0x80
	v_and_or_b32 v6, v6, vcc_lo, v7
	flat_store_byte v[4:5], v6
.LBB166_5146:
	s_or_b64 exec, exec, s[36:37]
	s_or_b64 s[36:37], s[4:5], exec
                                        ; implicit-def: $vgpr6
                                        ; implicit-def: $vgpr4_vgpr5
.LBB166_5147:
	s_or_saveexec_b64 s[34:35], s[34:35]
	s_mov_b64 vcc, s[92:93]
	s_xor_b64 exec, exec, s[34:35]
	s_cbranch_execz .LBB166_5157
; %bb.5148:
	v_mov_b32_e32 v7, 14
	v_cmp_gt_i16_sdwa vcc, v13, v7 src0_sel:BYTE_0 src1_sel:DWORD
	s_mov_b64 s[38:39], s[36:37]
	s_mov_b64 s[48:49], s[92:93]
	s_and_saveexec_b64 s[50:51], vcc
	s_xor_b64 s[50:51], exec, s[50:51]
	s_cbranch_execz .LBB166_5152
; %bb.5149:
	v_mov_b32_e32 v7, 15
	v_cmp_eq_u16_sdwa s[52:53], v13, v7 src0_sel:BYTE_0 src1_sel:DWORD
	s_mov_b64 s[48:49], -1
	s_mov_b64 vcc, s[36:37]
	s_and_saveexec_b64 s[38:39], s[52:53]
	s_cbranch_execz .LBB166_5151
; %bb.5150:
	v_bfe_u32 v7, v6, 16, 1
	s_movk_i32 vcc_lo, 0x7fff
	v_add3_u32 v7, v6, v7, vcc_lo
	v_cmp_o_f32_e32 vcc, v6, v6
	v_mov_b32_e32 v6, 0x7fc0
	v_cndmask_b32_sdwa v6, v6, v7, vcc dst_sel:DWORD dst_unused:UNUSED_PAD src0_sel:DWORD src1_sel:WORD_1
	flat_store_short v[4:5], v6
	s_xor_b64 s[48:49], exec, -1
	s_or_b64 vcc, s[36:37], exec
.LBB166_5151:
	s_or_b64 exec, exec, s[38:39]
	s_andn2_b64 s[38:39], s[92:93], exec
	s_and_b64 s[48:49], s[48:49], exec
	s_or_b64 s[48:49], s[38:39], s[48:49]
	s_andn2_b64 s[38:39], s[36:37], exec
	s_and_b64 vcc, vcc, exec
	s_or_b64 s[38:39], s[38:39], vcc
                                        ; implicit-def: $vgpr6
                                        ; implicit-def: $vgpr4_vgpr5
.LBB166_5152:
	s_andn2_saveexec_b64 s[50:51], s[50:51]
	s_cbranch_execz .LBB166_5156
; %bb.5153:
	v_mov_b32_e32 v7, 11
	v_cmp_eq_u16_sdwa s[64:65], v13, v7 src0_sel:BYTE_0 src1_sel:DWORD
	s_mov_b64 s[52:53], -1
	s_mov_b64 vcc, s[38:39]
	s_and_saveexec_b64 s[54:55], s[64:65]
	s_cbranch_execz .LBB166_5155
; %bb.5154:
	v_cmp_neq_f32_e32 vcc, 0, v6
	v_cndmask_b32_e64 v6, 0, 1, vcc
	flat_store_byte v[4:5], v6
	s_xor_b64 s[52:53], exec, -1
	s_or_b64 vcc, s[38:39], exec
.LBB166_5155:
	s_or_b64 exec, exec, s[54:55]
	s_andn2_b64 s[48:49], s[48:49], exec
	s_and_b64 s[52:53], s[52:53], exec
	s_andn2_b64 s[38:39], s[38:39], exec
	s_and_b64 vcc, vcc, exec
	s_or_b64 s[48:49], s[48:49], s[52:53]
	s_or_b64 s[38:39], s[38:39], vcc
.LBB166_5156:
	s_or_b64 exec, exec, s[50:51]
	s_andn2_b64 vcc, s[92:93], exec
	s_and_b64 s[48:49], s[48:49], exec
	s_andn2_b64 s[36:37], s[36:37], exec
	s_and_b64 s[38:39], s[38:39], exec
	s_or_b64 vcc, vcc, s[48:49]
	s_or_b64 s[36:37], s[36:37], s[38:39]
.LBB166_5157:
	s_or_b64 exec, exec, s[34:35]
	s_andn2_b64 s[92:93], s[92:93], exec
	s_and_b64 vcc, vcc, exec
	s_or_b64 s[92:93], s[92:93], vcc
	s_andn2_b64 s[4:5], s[4:5], exec
	s_and_b64 vcc, s[36:37], exec
	s_or_b64 s[4:5], s[4:5], vcc
.LBB166_5158:
	s_or_b64 exec, exec, s[30:31]
	s_andn2_b64 vcc, s[76:77], exec
	s_and_b64 s[92:93], s[92:93], exec
	s_or_b64 s[92:93], vcc, s[92:93]
	s_and_b64 s[4:5], s[4:5], exec
                                        ; implicit-def: $vgpr6
                                        ; implicit-def: $vgpr4_vgpr5
.LBB166_5159:
	s_andn2_saveexec_b64 s[88:89], s[88:89]
	s_cbranch_execz .LBB166_5201
; %bb.5160:
	v_mov_b32_e32 v7, 4
	v_cmp_gt_i16_sdwa vcc, v13, v7 src0_sel:BYTE_0 src1_sel:DWORD
	s_and_saveexec_b64 s[30:31], vcc
	s_xor_b64 vcc, exec, s[30:31]
	s_cbranch_execz .LBB166_5182
; %bb.5161:
	v_mov_b32_e32 v7, 7
	v_cmp_gt_i16_sdwa s[30:31], v13, v7 src0_sel:BYTE_0 src1_sel:DWORD
	s_and_saveexec_b64 s[34:35], s[30:31]
	s_xor_b64 s[30:31], exec, s[34:35]
	s_cbranch_execz .LBB166_5171
; %bb.5162:
	v_mov_b32_e32 v7, 8
	v_cmp_gt_i16_sdwa s[34:35], v13, v7 src0_sel:BYTE_0 src1_sel:DWORD
	s_and_saveexec_b64 s[36:37], s[34:35]
	s_xor_b64 s[34:35], exec, s[36:37]
	;; [unrolled: 6-line block ×3, first 2 shown]
	s_cbranch_execz .LBB166_5165
; %bb.5164:
	v_cvt_f64_f32_e32 v[68:69], v6
	v_mov_b32_e32 v70, 0
	v_mov_b32_e32 v71, v70
                                        ; implicit-def: $vgpr6
	flat_store_dwordx4 v[4:5], v[68:71]
                                        ; implicit-def: $vgpr4_vgpr5
.LBB166_5165:
	s_andn2_saveexec_b64 s[36:37], s[36:37]
	s_cbranch_execz .LBB166_5167
; %bb.5166:
	v_mov_b32_e32 v7, 0
	flat_store_dwordx2 v[4:5], v[6:7]
.LBB166_5167:
	s_or_b64 exec, exec, s[36:37]
                                        ; implicit-def: $vgpr6
                                        ; implicit-def: $vgpr4_vgpr5
.LBB166_5168:
	s_andn2_saveexec_b64 s[34:35], s[34:35]
	s_cbranch_execz .LBB166_5170
; %bb.5169:
	v_cvt_f16_f32_e32 v6, v6
	flat_store_dword v[4:5], v6
.LBB166_5170:
	s_or_b64 exec, exec, s[34:35]
                                        ; implicit-def: $vgpr6
                                        ; implicit-def: $vgpr4_vgpr5
.LBB166_5171:
	s_andn2_saveexec_b64 s[30:31], s[30:31]
	s_cbranch_execz .LBB166_5181
; %bb.5172:
	v_mov_b32_e32 v7, 5
	v_cmp_gt_i16_sdwa s[34:35], v13, v7 src0_sel:BYTE_0 src1_sel:DWORD
	s_and_saveexec_b64 s[36:37], s[34:35]
	s_xor_b64 s[34:35], exec, s[36:37]
	s_cbranch_execz .LBB166_5178
; %bb.5173:
	v_mov_b32_e32 v7, 6
	v_cmp_gt_i16_sdwa s[36:37], v13, v7 src0_sel:BYTE_0 src1_sel:DWORD
	s_and_saveexec_b64 s[38:39], s[36:37]
	s_xor_b64 s[36:37], exec, s[38:39]
	s_cbranch_execz .LBB166_5175
; %bb.5174:
	v_cvt_f64_f32_e32 v[6:7], v6
	flat_store_dwordx2 v[4:5], v[6:7]
                                        ; implicit-def: $vgpr4_vgpr5
                                        ; implicit-def: $vgpr6
.LBB166_5175:
	s_andn2_saveexec_b64 s[36:37], s[36:37]
	s_cbranch_execz .LBB166_5177
; %bb.5176:
	flat_store_dword v[4:5], v6
.LBB166_5177:
	s_or_b64 exec, exec, s[36:37]
                                        ; implicit-def: $vgpr6
                                        ; implicit-def: $vgpr4_vgpr5
.LBB166_5178:
	s_andn2_saveexec_b64 s[34:35], s[34:35]
	s_cbranch_execz .LBB166_5180
; %bb.5179:
	v_cvt_f16_f32_e32 v6, v6
	flat_store_short v[4:5], v6
.LBB166_5180:
	s_or_b64 exec, exec, s[34:35]
.LBB166_5181:
	s_or_b64 exec, exec, s[30:31]
                                        ; implicit-def: $vgpr6
                                        ; implicit-def: $vgpr4_vgpr5
.LBB166_5182:
	s_andn2_saveexec_b64 s[30:31], vcc
	s_cbranch_execz .LBB166_5200
; %bb.5183:
	v_mov_b32_e32 v7, 1
	v_cmp_gt_i16_sdwa vcc, v13, v7 src0_sel:BYTE_0 src1_sel:DWORD
	s_and_saveexec_b64 s[34:35], vcc
	s_xor_b64 s[34:35], exec, s[34:35]
	s_cbranch_execz .LBB166_5193
; %bb.5184:
	v_mov_b32_e32 v7, 2
	v_cmp_gt_i16_sdwa vcc, v13, v7 src0_sel:BYTE_0 src1_sel:DWORD
	s_and_saveexec_b64 s[36:37], vcc
	s_xor_b64 s[36:37], exec, s[36:37]
	;; [unrolled: 6-line block ×3, first 2 shown]
	s_cbranch_execz .LBB166_5187
; %bb.5186:
	v_trunc_f32_e32 v6, v6
	s_mov_b32 s48, 0x2f800000
	v_mul_f32_e64 v7, |v6|, s48
	v_floor_f32_e32 v7, v7
	s_mov_b32 s48, 0xcf800000
	v_cvt_u32_f32_e32 v68, v7
	v_fma_f32 v7, v7, s48, |v6|
	v_cvt_u32_f32_e32 v7, v7
	v_ashrrev_i32_e32 v69, 31, v6
	v_xor_b32_e32 v68, v68, v69
	v_xor_b32_e32 v6, v7, v69
	v_sub_co_u32_e32 v6, vcc, v6, v69
	v_subb_co_u32_e32 v7, vcc, v68, v69, vcc
	flat_store_dwordx2 v[4:5], v[6:7]
                                        ; implicit-def: $vgpr6
                                        ; implicit-def: $vgpr4_vgpr5
.LBB166_5187:
	s_andn2_saveexec_b64 vcc, s[38:39]
	s_cbranch_execz .LBB166_5189
; %bb.5188:
	v_cvt_i32_f32_e32 v6, v6
	flat_store_dword v[4:5], v6
.LBB166_5189:
	s_or_b64 exec, exec, vcc
                                        ; implicit-def: $vgpr6
                                        ; implicit-def: $vgpr4_vgpr5
.LBB166_5190:
	s_andn2_saveexec_b64 vcc, s[36:37]
	s_cbranch_execz .LBB166_5192
; %bb.5191:
	v_cvt_i32_f32_e32 v6, v6
	flat_store_short v[4:5], v6
.LBB166_5192:
	s_or_b64 exec, exec, vcc
                                        ; implicit-def: $vgpr6
                                        ; implicit-def: $vgpr4_vgpr5
.LBB166_5193:
	s_andn2_saveexec_b64 vcc, s[34:35]
	s_cbranch_execz .LBB166_5199
; %bb.5194:
	v_mov_b32_e32 v7, 0
	v_cmp_gt_i16_sdwa s[34:35], v13, v7 src0_sel:BYTE_0 src1_sel:DWORD
	s_and_saveexec_b64 s[36:37], s[34:35]
	s_xor_b64 s[34:35], exec, s[36:37]
	s_cbranch_execz .LBB166_5196
; %bb.5195:
	v_cvt_i32_f32_e32 v6, v6
	flat_store_byte v[4:5], v6
                                        ; implicit-def: $vgpr6
                                        ; implicit-def: $vgpr4_vgpr5
.LBB166_5196:
	s_andn2_saveexec_b64 s[34:35], s[34:35]
	s_cbranch_execz .LBB166_5198
; %bb.5197:
	v_trunc_f32_e32 v6, v6
	s_mov_b32 s36, 0x2f800000
	v_mul_f32_e64 v7, |v6|, s36
	v_floor_f32_e32 v7, v7
	s_mov_b32 s36, 0xcf800000
	v_fma_f32 v7, v7, s36, |v6|
	v_cvt_u32_f32_e32 v7, v7
	v_ashrrev_i32_e32 v6, 31, v6
	v_xor_b32_e32 v7, v7, v6
	v_sub_u32_e32 v6, v7, v6
	flat_store_byte v[4:5], v6
.LBB166_5198:
	s_or_b64 exec, exec, s[34:35]
.LBB166_5199:
	s_or_b64 exec, exec, vcc
.LBB166_5200:
	s_or_b64 exec, exec, s[30:31]
	s_or_b64 s[4:5], s[4:5], exec
.LBB166_5201:
	s_or_b64 exec, exec, s[88:89]
	s_mov_b64 s[30:31], 0
	s_mov_b64 s[88:89], 0
	s_and_saveexec_b64 s[34:35], s[4:5]
; %bb.5202:
	v_add_u32_e32 v17, 0x200, v17
	v_cmp_lt_i32_e32 vcc, v17, v8
	s_mov_b64 s[30:31], exec
	s_and_b64 s[88:89], vcc, exec
; %bb.5203:
	s_or_b64 exec, exec, s[34:35]
	s_and_b64 s[4:5], s[88:89], exec
	s_andn2_b64 s[88:89], s[76:77], exec
	s_and_b64 s[92:93], s[92:93], exec
	s_or_b64 s[88:89], s[88:89], s[92:93]
	s_orn2_b64 s[34:35], s[30:31], exec
.LBB166_5204:
	s_or_b64 exec, exec, s[90:91]
	s_mov_b64 vcc, 0
	s_mov_b64 s[30:31], 0
                                        ; implicit-def: $vgpr4
                                        ; implicit-def: $vgpr112
                                        ; implicit-def: $vgpr6_vgpr7
	s_and_saveexec_b64 s[90:91], s[34:35]
	s_cbranch_execz .LBB166_7756
; %bb.5205:
	s_mov_b64 s[30:31], -1
	s_mov_b64 s[34:35], 0
	s_mov_b64 s[92:93], s[88:89]
	s_and_saveexec_b64 s[94:95], s[4:5]
	s_cbranch_execz .LBB166_5333
; %bb.5206:
	v_readlane_b32 s4, v41, 2
	v_add_u32_e32 v4, s4, v17
	v_mul_lo_u32 v4, v4, v14
	v_mov_b32_e32 v7, 10
	v_cmp_gt_i16_sdwa s[92:93], v13, v7 src0_sel:BYTE_0 src1_sel:DWORD
	s_mov_b64 s[4:5], 0
	v_add_co_u32_e32 v4, vcc, v2, v4
	v_addc_co_u32_e32 v5, vcc, 0, v3, vcc
	s_waitcnt vmcnt(0)
	v_cmp_nle_f32_e32 vcc, v67, v0
	v_cndmask_b32_e32 v6, v1, v66, vcc
	s_mov_b64 s[30:31], s[88:89]
	s_and_saveexec_b64 vcc, s[92:93]
	s_xor_b64 s[92:93], exec, vcc
	s_cbranch_execz .LBB166_5288
; %bb.5207:
	v_mov_b32_e32 v7, 25
	v_cmp_gt_i16_sdwa vcc, v13, v7 src0_sel:BYTE_0 src1_sel:DWORD
	s_mov_b64 s[30:31], s[88:89]
	s_and_saveexec_b64 s[36:37], vcc
	s_xor_b64 s[36:37], exec, s[36:37]
	s_cbranch_execz .LBB166_5243
; %bb.5208:
	v_mov_b32_e32 v7, 28
	v_cmp_gt_i16_sdwa vcc, v13, v7 src0_sel:BYTE_0 src1_sel:DWORD
	s_mov_b64 s[38:39], s[88:89]
	s_and_saveexec_b64 s[30:31], vcc
	s_xor_b64 s[30:31], exec, s[30:31]
	s_cbranch_execz .LBB166_5226
; %bb.5209:
	v_mov_b32_e32 v7, 43
	v_cmp_gt_i16_sdwa s[38:39], v13, v7 src0_sel:BYTE_0 src1_sel:DWORD
	s_mov_b64 vcc, s[88:89]
	s_and_saveexec_b64 s[48:49], s[38:39]
	s_xor_b64 s[38:39], exec, s[48:49]
	s_cbranch_execz .LBB166_5221
; %bb.5210:
	v_mov_b32_e32 v7, 45
	v_cmp_gt_i16_sdwa s[4:5], v13, v7 src0_sel:BYTE_0 src1_sel:DWORD
	s_mov_b64 s[48:49], 0
	s_mov_b64 s[50:51], s[88:89]
	s_and_saveexec_b64 vcc, s[4:5]
	s_xor_b64 s[4:5], exec, vcc
	s_cbranch_execz .LBB166_5214
; %bb.5211:
	v_mov_b32_e32 v7, 46
	v_cmp_eq_u16_sdwa s[52:53], v13, v7 src0_sel:BYTE_0 src1_sel:DWORD
	s_mov_b64 vcc, -1
	s_and_saveexec_b64 s[50:51], s[52:53]
	s_cbranch_execz .LBB166_5213
; %bb.5212:
	v_bfe_u32 v7, v6, 16, 1
	s_movk_i32 vcc_lo, 0x7fff
	v_add3_u32 v7, v6, v7, vcc_lo
	v_cmp_o_f32_e32 vcc, v6, v6
	v_mov_b32_e32 v6, 0x7fc0
	v_cndmask_b32_sdwa v6, v6, v7, vcc dst_sel:DWORD dst_unused:UNUSED_PAD src0_sel:DWORD src1_sel:WORD_1
	s_mov_b64 s[48:49], exec
	flat_store_dword v[4:5], v6
	s_xor_b64 vcc, exec, -1
.LBB166_5213:
	s_or_b64 exec, exec, s[50:51]
	s_andn2_b64 s[50:51], s[88:89], exec
	s_and_b64 vcc, vcc, exec
	s_or_b64 s[50:51], s[50:51], vcc
	s_and_b64 s[48:49], s[48:49], exec
                                        ; implicit-def: $vgpr4_vgpr5
                                        ; implicit-def: $vgpr6
.LBB166_5214:
	s_andn2_saveexec_b64 s[52:53], s[4:5]
	s_cbranch_execz .LBB166_5220
; %bb.5215:
	v_mov_b32_e32 v7, 44
	v_cmp_eq_u16_sdwa s[64:65], v13, v7 src0_sel:BYTE_0 src1_sel:DWORD
	s_mov_b64 vcc, -1
	s_mov_b64 s[4:5], s[48:49]
	s_and_saveexec_b64 s[54:55], s[64:65]
	s_cbranch_execz .LBB166_5219
; %bb.5216:
	v_bfe_u32 v7, v6, 23, 8
	s_movk_i32 s4, 0xff
	v_cmp_ne_u32_e32 vcc, s4, v7
	v_mov_b32_e32 v66, 0xff
	s_and_saveexec_b64 s[64:65], vcc
; %bb.5217:
	s_mov_b32 s4, 0x3fffff
	v_lshrrev_b32_e32 v66, 23, v6
	v_and_b32_e32 v67, 0x400000, v6
	v_and_or_b32 v6, v6, s4, v7
	v_cmp_ne_u32_e32 vcc, 0, v67
	v_cmp_ne_u32_e64 s[4:5], 0, v6
	s_and_b64 s[4:5], vcc, s[4:5]
	v_cndmask_b32_e64 v6, 0, 1, s[4:5]
	v_add_u32_e32 v66, v66, v6
; %bb.5218:
	s_or_b64 exec, exec, s[64:65]
	s_xor_b64 vcc, exec, -1
	s_or_b64 s[4:5], s[48:49], exec
	flat_store_byte v[4:5], v66
.LBB166_5219:
	s_or_b64 exec, exec, s[54:55]
	s_andn2_b64 s[50:51], s[50:51], exec
	s_and_b64 vcc, vcc, exec
	s_or_b64 s[50:51], s[50:51], vcc
	s_andn2_b64 vcc, s[48:49], exec
	s_and_b64 s[4:5], s[4:5], exec
	s_or_b64 s[48:49], vcc, s[4:5]
.LBB166_5220:
	s_or_b64 exec, exec, s[52:53]
	s_andn2_b64 s[4:5], s[88:89], exec
	s_and_b64 vcc, s[50:51], exec
	s_or_b64 vcc, s[4:5], vcc
	s_and_b64 s[4:5], s[48:49], exec
                                        ; implicit-def: $vgpr6
                                        ; implicit-def: $vgpr4_vgpr5
.LBB166_5221:
	s_andn2_saveexec_b64 s[38:39], s[38:39]
	s_cbranch_execz .LBB166_5225
; %bb.5222:
	v_mov_b32_e32 v7, 29
	v_cmp_eq_u16_sdwa s[54:55], v13, v7 src0_sel:BYTE_0 src1_sel:DWORD
	s_mov_b64 s[52:53], -1
	s_mov_b64 s[50:51], s[4:5]
	s_and_saveexec_b64 s[48:49], s[54:55]
	s_cbranch_execz .LBB166_5224
; %bb.5223:
	v_trunc_f32_e32 v6, v6
	v_mul_f32_e32 v7, 0x2f800000, v6
	v_floor_f32_e32 v66, v7
	v_fmac_f32_e32 v6, 0xcf800000, v66
	v_cvt_u32_f32_e32 v7, v66
	v_cvt_u32_f32_e32 v6, v6
	s_xor_b64 s[52:53], exec, -1
	s_or_b64 s[50:51], s[4:5], exec
	flat_store_dwordx2 v[4:5], v[6:7]
.LBB166_5224:
	s_or_b64 exec, exec, s[48:49]
	s_andn2_b64 vcc, vcc, exec
	s_and_b64 s[48:49], s[52:53], exec
	s_or_b64 vcc, vcc, s[48:49]
	s_andn2_b64 s[4:5], s[4:5], exec
	s_and_b64 s[48:49], s[50:51], exec
	s_or_b64 s[4:5], s[4:5], s[48:49]
.LBB166_5225:
	s_or_b64 exec, exec, s[38:39]
	s_andn2_b64 s[38:39], s[88:89], exec
	s_and_b64 vcc, vcc, exec
	s_or_b64 s[38:39], s[38:39], vcc
	s_and_b64 s[4:5], s[4:5], exec
                                        ; implicit-def: $vgpr4_vgpr5
                                        ; implicit-def: $vgpr6
.LBB166_5226:
	s_andn2_saveexec_b64 s[30:31], s[30:31]
	s_cbranch_execz .LBB166_5242
; %bb.5227:
	v_mov_b32_e32 v7, 26
	v_cmp_gt_i16_sdwa vcc, v13, v7 src0_sel:BYTE_0 src1_sel:DWORD
	s_and_saveexec_b64 s[48:49], vcc
	s_xor_b64 vcc, exec, s[48:49]
	s_cbranch_execz .LBB166_5233
; %bb.5228:
	v_cvt_u32_f32_e32 v6, v6
	v_mov_b32_e32 v7, 27
	v_cmp_gt_i16_sdwa s[48:49], v13, v7 src0_sel:BYTE_0 src1_sel:DWORD
	s_and_saveexec_b64 s[50:51], s[48:49]
	s_xor_b64 s[48:49], exec, s[50:51]
	s_cbranch_execz .LBB166_5230
; %bb.5229:
	flat_store_dword v[4:5], v6
                                        ; implicit-def: $vgpr4_vgpr5
                                        ; implicit-def: $vgpr6
.LBB166_5230:
	s_andn2_saveexec_b64 s[48:49], s[48:49]
	s_cbranch_execz .LBB166_5232
; %bb.5231:
	flat_store_short v[4:5], v6
.LBB166_5232:
	s_or_b64 exec, exec, s[48:49]
                                        ; implicit-def: $vgpr4_vgpr5
                                        ; implicit-def: $vgpr6
.LBB166_5233:
	s_andn2_saveexec_b64 s[48:49], vcc
	s_cbranch_execz .LBB166_5241
; %bb.5234:
	v_and_b32_e32 v7, 0x7fffffff, v6
	s_mov_b32 vcc_lo, 0x43800000
	v_cmp_gt_u32_e32 vcc, vcc_lo, v7
	v_mov_b32_e32 v66, 0x80
	s_and_saveexec_b64 s[50:51], vcc
	s_cbranch_execz .LBB166_5240
; %bb.5235:
	s_mov_b32 vcc_lo, 0x3bffffff
	v_cmp_lt_u32_e32 vcc, vcc_lo, v7
	s_mov_b64 s[52:53], 0
                                        ; implicit-def: $vgpr7
	s_and_saveexec_b64 s[54:55], vcc
	s_xor_b64 vcc, exec, s[54:55]
	s_cbranch_execnz .LBB166_7863
; %bb.5236:
	s_andn2_saveexec_b64 s[54:55], vcc
	s_cbranch_execnz .LBB166_7864
.LBB166_5237:
	s_or_b64 exec, exec, s[54:55]
	v_mov_b32_e32 v66, 0
	s_and_saveexec_b64 vcc, s[52:53]
.LBB166_5238:
	v_lshrrev_b32_e32 v6, 24, v6
	s_movk_i32 s52, 0x80
	v_and_or_b32 v66, v6, s52, v7
.LBB166_5239:
	s_or_b64 exec, exec, vcc
.LBB166_5240:
	s_or_b64 exec, exec, s[50:51]
	flat_store_byte v[4:5], v66
.LBB166_5241:
	s_or_b64 exec, exec, s[48:49]
	s_or_b64 s[4:5], s[4:5], exec
.LBB166_5242:
	s_or_b64 exec, exec, s[30:31]
	s_andn2_b64 vcc, s[88:89], exec
	s_and_b64 s[30:31], s[38:39], exec
	s_or_b64 s[30:31], vcc, s[30:31]
	s_and_b64 s[4:5], s[4:5], exec
                                        ; implicit-def: $vgpr6
                                        ; implicit-def: $vgpr4_vgpr5
.LBB166_5243:
	s_andn2_saveexec_b64 s[36:37], s[36:37]
	s_cbranch_execz .LBB166_5287
; %bb.5244:
	v_mov_b32_e32 v7, 22
	v_cmp_gt_i16_sdwa vcc, v13, v7 src0_sel:BYTE_0 src1_sel:DWORD
	s_mov_b64 s[48:49], s[4:5]
	s_and_saveexec_b64 s[38:39], vcc
	s_xor_b64 s[38:39], exec, s[38:39]
	s_cbranch_execz .LBB166_5276
; %bb.5245:
	v_mov_b32_e32 v7, 23
	v_cmp_gt_i16_sdwa vcc, v13, v7 src0_sel:BYTE_0 src1_sel:DWORD
	s_and_saveexec_b64 s[48:49], vcc
	s_xor_b64 s[48:49], exec, s[48:49]
	s_cbranch_execz .LBB166_5265
; %bb.5246:
	v_mov_b32_e32 v7, 24
	v_cmp_gt_i16_sdwa vcc, v13, v7 src0_sel:BYTE_0 src1_sel:DWORD
	s_and_saveexec_b64 s[50:51], vcc
	s_xor_b64 s[50:51], exec, s[50:51]
	s_cbranch_execz .LBB166_5254
; %bb.5247:
	v_and_b32_e32 v7, 0x7fffffff, v6
	s_mov_b32 vcc_lo, 0x47800000
	v_cmp_gt_u32_e32 vcc, vcc_lo, v7
	v_mov_b32_e32 v66, 0x80
	s_and_saveexec_b64 s[52:53], vcc
	s_cbranch_execz .LBB166_5253
; %bb.5248:
	s_mov_b32 vcc_lo, 0x37ffffff
	v_cmp_lt_u32_e32 vcc, vcc_lo, v7
	s_mov_b64 s[54:55], 0
                                        ; implicit-def: $vgpr7
	s_and_saveexec_b64 s[64:65], vcc
	s_xor_b64 vcc, exec, s[64:65]
	s_cbranch_execnz .LBB166_7865
; %bb.5249:
	s_andn2_saveexec_b64 s[64:65], vcc
	s_cbranch_execnz .LBB166_7866
.LBB166_5250:
	s_or_b64 exec, exec, s[64:65]
	v_mov_b32_e32 v66, 0
	s_and_saveexec_b64 vcc, s[54:55]
.LBB166_5251:
	v_lshrrev_b32_e32 v6, 24, v6
	s_movk_i32 s54, 0x80
	v_and_or_b32 v66, v6, s54, v7
.LBB166_5252:
	s_or_b64 exec, exec, vcc
.LBB166_5253:
	s_or_b64 exec, exec, s[52:53]
	flat_store_byte v[4:5], v66
                                        ; implicit-def: $vgpr6
                                        ; implicit-def: $vgpr4_vgpr5
.LBB166_5254:
	s_andn2_saveexec_b64 s[50:51], s[50:51]
	s_cbranch_execz .LBB166_5264
; %bb.5255:
	v_and_b32_e32 v66, 0x7fffffff, v6
	s_mov_b32 vcc_lo, 0x43f00000
	v_cmp_gt_u32_e32 vcc, vcc_lo, v66
                                        ; implicit-def: $vgpr7
	s_and_saveexec_b64 s[52:53], vcc
	s_xor_b64 s[52:53], exec, s[52:53]
	s_cbranch_execz .LBB166_5261
; %bb.5256:
	s_mov_b32 vcc_lo, 0x3c7fffff
	v_cmp_lt_u32_e32 vcc, vcc_lo, v66
                                        ; implicit-def: $vgpr7
	s_and_saveexec_b64 s[54:55], vcc
	s_xor_b64 s[54:55], exec, s[54:55]
; %bb.5257:
	v_bfe_u32 v7, v6, 20, 1
	s_mov_b32 vcc_lo, 0x407ffff
	v_add3_u32 v7, v6, v7, vcc_lo
	v_lshrrev_b32_e32 v66, 20, v7
	v_and_b32_e32 v7, 0xff00000, v7
	s_mov_b32 vcc_lo, 0x7f00000
	v_mov_b32_e32 v67, 0x7e
	v_cmp_ne_u32_e32 vcc, vcc_lo, v7
	v_cndmask_b32_e32 v7, v67, v66, vcc
; %bb.5258:
	s_andn2_saveexec_b64 vcc, s[54:55]
; %bb.5259:
	s_mov_b32 s54, 0x46800000
	v_add_f32_e64 v7, |v6|, s54
; %bb.5260:
	s_or_b64 exec, exec, vcc
                                        ; implicit-def: $vgpr66
.LBB166_5261:
	s_andn2_saveexec_b64 s[52:53], s[52:53]
; %bb.5262:
	s_mov_b32 vcc_lo, 0x7f800000
	v_mov_b32_e32 v7, 0x7e
	v_mov_b32_e32 v67, 0x7f
	v_cmp_lt_u32_e32 vcc, vcc_lo, v66
	v_cndmask_b32_e32 v7, v7, v67, vcc
; %bb.5263:
	s_or_b64 exec, exec, s[52:53]
	v_lshrrev_b32_e32 v6, 24, v6
	s_movk_i32 vcc_lo, 0x80
	v_and_or_b32 v6, v6, vcc_lo, v7
	flat_store_byte v[4:5], v6
.LBB166_5264:
	s_or_b64 exec, exec, s[50:51]
                                        ; implicit-def: $vgpr6
                                        ; implicit-def: $vgpr4_vgpr5
.LBB166_5265:
	s_andn2_saveexec_b64 s[48:49], s[48:49]
	s_cbranch_execz .LBB166_5275
; %bb.5266:
	v_and_b32_e32 v66, 0x7fffffff, v6
	s_mov_b32 vcc_lo, 0x47800000
	v_cmp_gt_u32_e32 vcc, vcc_lo, v66
                                        ; implicit-def: $vgpr7
	s_and_saveexec_b64 s[50:51], vcc
	s_xor_b64 s[50:51], exec, s[50:51]
	s_cbranch_execz .LBB166_5272
; %bb.5267:
	s_mov_b32 vcc_lo, 0x387fffff
	v_cmp_lt_u32_e32 vcc, vcc_lo, v66
                                        ; implicit-def: $vgpr7
	s_and_saveexec_b64 s[52:53], vcc
	s_xor_b64 vcc, exec, s[52:53]
; %bb.5268:
	v_bfe_u32 v7, v6, 21, 1
	s_mov_b32 s52, 0x80fffff
	v_add3_u32 v7, v6, v7, s52
	v_lshrrev_b32_e32 v7, 21, v7
; %bb.5269:
	s_andn2_saveexec_b64 vcc, vcc
; %bb.5270:
	s_mov_b32 s52, 0x43000000
	v_add_f32_e64 v7, |v6|, s52
; %bb.5271:
	s_or_b64 exec, exec, vcc
                                        ; implicit-def: $vgpr66
.LBB166_5272:
	s_andn2_saveexec_b64 s[50:51], s[50:51]
; %bb.5273:
	s_mov_b32 vcc_lo, 0x7f800000
	v_mov_b32_e32 v7, 0x7c
	v_mov_b32_e32 v67, 0x7f
	v_cmp_lt_u32_e32 vcc, vcc_lo, v66
	v_cndmask_b32_e32 v7, v7, v67, vcc
; %bb.5274:
	s_or_b64 exec, exec, s[50:51]
	v_lshrrev_b32_e32 v6, 24, v6
	s_movk_i32 vcc_lo, 0x80
	v_and_or_b32 v6, v6, vcc_lo, v7
	flat_store_byte v[4:5], v6
.LBB166_5275:
	s_or_b64 exec, exec, s[48:49]
	s_or_b64 s[48:49], s[4:5], exec
                                        ; implicit-def: $vgpr6
                                        ; implicit-def: $vgpr4_vgpr5
.LBB166_5276:
	s_or_saveexec_b64 s[38:39], s[38:39]
	s_mov_b64 vcc, s[30:31]
	s_xor_b64 exec, exec, s[38:39]
	s_cbranch_execz .LBB166_5286
; %bb.5277:
	v_mov_b32_e32 v7, 14
	v_cmp_gt_i16_sdwa vcc, v13, v7 src0_sel:BYTE_0 src1_sel:DWORD
	s_mov_b64 s[50:51], s[48:49]
	s_mov_b64 s[52:53], s[30:31]
	s_and_saveexec_b64 s[54:55], vcc
	s_xor_b64 s[54:55], exec, s[54:55]
	s_cbranch_execz .LBB166_5281
; %bb.5278:
	v_mov_b32_e32 v7, 15
	v_cmp_eq_u16_sdwa s[64:65], v13, v7 src0_sel:BYTE_0 src1_sel:DWORD
	s_mov_b64 s[52:53], -1
	s_mov_b64 vcc, s[48:49]
	s_and_saveexec_b64 s[50:51], s[64:65]
	s_cbranch_execz .LBB166_5280
; %bb.5279:
	v_bfe_u32 v7, v6, 16, 1
	s_movk_i32 vcc_lo, 0x7fff
	v_add3_u32 v7, v6, v7, vcc_lo
	v_cmp_o_f32_e32 vcc, v6, v6
	v_mov_b32_e32 v6, 0x7fc0
	v_cndmask_b32_sdwa v6, v6, v7, vcc dst_sel:DWORD dst_unused:UNUSED_PAD src0_sel:DWORD src1_sel:WORD_1
	flat_store_short v[4:5], v6
	s_xor_b64 s[52:53], exec, -1
	s_or_b64 vcc, s[48:49], exec
.LBB166_5280:
	s_or_b64 exec, exec, s[50:51]
	s_andn2_b64 s[50:51], s[30:31], exec
	s_and_b64 s[52:53], s[52:53], exec
	s_or_b64 s[52:53], s[50:51], s[52:53]
	s_andn2_b64 s[50:51], s[48:49], exec
	s_and_b64 vcc, vcc, exec
	s_or_b64 s[50:51], s[50:51], vcc
                                        ; implicit-def: $vgpr6
                                        ; implicit-def: $vgpr4_vgpr5
.LBB166_5281:
	s_andn2_saveexec_b64 s[54:55], s[54:55]
	s_cbranch_execz .LBB166_5285
; %bb.5282:
	v_mov_b32_e32 v7, 11
	v_cmp_eq_u16_sdwa s[68:69], v13, v7 src0_sel:BYTE_0 src1_sel:DWORD
	s_mov_b64 s[64:65], -1
	s_mov_b64 vcc, s[50:51]
	s_and_saveexec_b64 s[66:67], s[68:69]
	s_cbranch_execz .LBB166_5284
; %bb.5283:
	v_cmp_neq_f32_e32 vcc, 0, v6
	v_cndmask_b32_e64 v6, 0, 1, vcc
	flat_store_byte v[4:5], v6
	s_xor_b64 s[64:65], exec, -1
	s_or_b64 vcc, s[50:51], exec
.LBB166_5284:
	s_or_b64 exec, exec, s[66:67]
	s_andn2_b64 s[52:53], s[52:53], exec
	s_and_b64 s[64:65], s[64:65], exec
	s_andn2_b64 s[50:51], s[50:51], exec
	s_and_b64 vcc, vcc, exec
	s_or_b64 s[52:53], s[52:53], s[64:65]
	s_or_b64 s[50:51], s[50:51], vcc
.LBB166_5285:
	s_or_b64 exec, exec, s[54:55]
	s_andn2_b64 vcc, s[30:31], exec
	s_and_b64 s[52:53], s[52:53], exec
	s_andn2_b64 s[48:49], s[48:49], exec
	s_and_b64 s[50:51], s[50:51], exec
	s_or_b64 vcc, vcc, s[52:53]
	s_or_b64 s[48:49], s[48:49], s[50:51]
.LBB166_5286:
	s_or_b64 exec, exec, s[38:39]
	s_andn2_b64 s[30:31], s[30:31], exec
	s_and_b64 vcc, vcc, exec
	s_or_b64 s[30:31], s[30:31], vcc
	s_andn2_b64 s[4:5], s[4:5], exec
	s_and_b64 vcc, s[48:49], exec
	s_or_b64 s[4:5], s[4:5], vcc
.LBB166_5287:
	s_or_b64 exec, exec, s[36:37]
	s_andn2_b64 vcc, s[88:89], exec
	s_and_b64 s[30:31], s[30:31], exec
	s_or_b64 s[30:31], vcc, s[30:31]
	s_and_b64 s[4:5], s[4:5], exec
                                        ; implicit-def: $vgpr6
                                        ; implicit-def: $vgpr4_vgpr5
.LBB166_5288:
	s_andn2_saveexec_b64 s[92:93], s[92:93]
	s_cbranch_execz .LBB166_5330
; %bb.5289:
	v_mov_b32_e32 v7, 4
	v_cmp_gt_i16_sdwa vcc, v13, v7 src0_sel:BYTE_0 src1_sel:DWORD
	s_and_saveexec_b64 s[36:37], vcc
	s_xor_b64 vcc, exec, s[36:37]
	s_cbranch_execz .LBB166_5311
; %bb.5290:
	v_mov_b32_e32 v7, 7
	v_cmp_gt_i16_sdwa s[36:37], v13, v7 src0_sel:BYTE_0 src1_sel:DWORD
	s_and_saveexec_b64 s[38:39], s[36:37]
	s_xor_b64 s[36:37], exec, s[38:39]
	s_cbranch_execz .LBB166_5300
; %bb.5291:
	v_mov_b32_e32 v7, 8
	v_cmp_gt_i16_sdwa s[38:39], v13, v7 src0_sel:BYTE_0 src1_sel:DWORD
	s_and_saveexec_b64 s[48:49], s[38:39]
	s_xor_b64 s[38:39], exec, s[48:49]
	;; [unrolled: 6-line block ×3, first 2 shown]
	s_cbranch_execz .LBB166_5294
; %bb.5293:
	v_cvt_f64_f32_e32 v[66:67], v6
	v_mov_b32_e32 v68, 0
	v_mov_b32_e32 v69, v68
                                        ; implicit-def: $vgpr6
	flat_store_dwordx4 v[4:5], v[66:69]
                                        ; implicit-def: $vgpr4_vgpr5
.LBB166_5294:
	s_andn2_saveexec_b64 s[48:49], s[48:49]
	s_cbranch_execz .LBB166_5296
; %bb.5295:
	v_mov_b32_e32 v7, 0
	flat_store_dwordx2 v[4:5], v[6:7]
.LBB166_5296:
	s_or_b64 exec, exec, s[48:49]
                                        ; implicit-def: $vgpr6
                                        ; implicit-def: $vgpr4_vgpr5
.LBB166_5297:
	s_andn2_saveexec_b64 s[38:39], s[38:39]
	s_cbranch_execz .LBB166_5299
; %bb.5298:
	v_cvt_f16_f32_e32 v6, v6
	flat_store_dword v[4:5], v6
.LBB166_5299:
	s_or_b64 exec, exec, s[38:39]
                                        ; implicit-def: $vgpr6
                                        ; implicit-def: $vgpr4_vgpr5
.LBB166_5300:
	s_andn2_saveexec_b64 s[36:37], s[36:37]
	s_cbranch_execz .LBB166_5310
; %bb.5301:
	v_mov_b32_e32 v7, 5
	v_cmp_gt_i16_sdwa s[38:39], v13, v7 src0_sel:BYTE_0 src1_sel:DWORD
	s_and_saveexec_b64 s[48:49], s[38:39]
	s_xor_b64 s[38:39], exec, s[48:49]
	s_cbranch_execz .LBB166_5307
; %bb.5302:
	v_mov_b32_e32 v7, 6
	v_cmp_gt_i16_sdwa s[48:49], v13, v7 src0_sel:BYTE_0 src1_sel:DWORD
	s_and_saveexec_b64 s[50:51], s[48:49]
	s_xor_b64 s[48:49], exec, s[50:51]
	s_cbranch_execz .LBB166_5304
; %bb.5303:
	v_cvt_f64_f32_e32 v[6:7], v6
	flat_store_dwordx2 v[4:5], v[6:7]
                                        ; implicit-def: $vgpr4_vgpr5
                                        ; implicit-def: $vgpr6
.LBB166_5304:
	s_andn2_saveexec_b64 s[48:49], s[48:49]
	s_cbranch_execz .LBB166_5306
; %bb.5305:
	flat_store_dword v[4:5], v6
.LBB166_5306:
	s_or_b64 exec, exec, s[48:49]
                                        ; implicit-def: $vgpr6
                                        ; implicit-def: $vgpr4_vgpr5
.LBB166_5307:
	s_andn2_saveexec_b64 s[38:39], s[38:39]
	s_cbranch_execz .LBB166_5309
; %bb.5308:
	v_cvt_f16_f32_e32 v6, v6
	flat_store_short v[4:5], v6
.LBB166_5309:
	s_or_b64 exec, exec, s[38:39]
.LBB166_5310:
	s_or_b64 exec, exec, s[36:37]
                                        ; implicit-def: $vgpr6
                                        ; implicit-def: $vgpr4_vgpr5
.LBB166_5311:
	s_andn2_saveexec_b64 s[36:37], vcc
	s_cbranch_execz .LBB166_5329
; %bb.5312:
	v_mov_b32_e32 v7, 1
	v_cmp_gt_i16_sdwa vcc, v13, v7 src0_sel:BYTE_0 src1_sel:DWORD
	s_and_saveexec_b64 s[38:39], vcc
	s_xor_b64 s[38:39], exec, s[38:39]
	s_cbranch_execz .LBB166_5322
; %bb.5313:
	v_mov_b32_e32 v7, 2
	v_cmp_gt_i16_sdwa vcc, v13, v7 src0_sel:BYTE_0 src1_sel:DWORD
	s_and_saveexec_b64 s[48:49], vcc
	s_xor_b64 s[48:49], exec, s[48:49]
	;; [unrolled: 6-line block ×3, first 2 shown]
	s_cbranch_execz .LBB166_5316
; %bb.5315:
	v_trunc_f32_e32 v6, v6
	s_mov_b32 s52, 0x2f800000
	v_mul_f32_e64 v7, |v6|, s52
	v_floor_f32_e32 v7, v7
	s_mov_b32 s52, 0xcf800000
	v_cvt_u32_f32_e32 v66, v7
	v_fma_f32 v7, v7, s52, |v6|
	v_cvt_u32_f32_e32 v7, v7
	v_ashrrev_i32_e32 v67, 31, v6
	v_xor_b32_e32 v66, v66, v67
	v_xor_b32_e32 v6, v7, v67
	v_sub_co_u32_e32 v6, vcc, v6, v67
	v_subb_co_u32_e32 v7, vcc, v66, v67, vcc
	flat_store_dwordx2 v[4:5], v[6:7]
                                        ; implicit-def: $vgpr6
                                        ; implicit-def: $vgpr4_vgpr5
.LBB166_5316:
	s_andn2_saveexec_b64 vcc, s[50:51]
	s_cbranch_execz .LBB166_5318
; %bb.5317:
	v_cvt_i32_f32_e32 v6, v6
	flat_store_dword v[4:5], v6
.LBB166_5318:
	s_or_b64 exec, exec, vcc
                                        ; implicit-def: $vgpr6
                                        ; implicit-def: $vgpr4_vgpr5
.LBB166_5319:
	s_andn2_saveexec_b64 vcc, s[48:49]
	s_cbranch_execz .LBB166_5321
; %bb.5320:
	v_cvt_i32_f32_e32 v6, v6
	flat_store_short v[4:5], v6
.LBB166_5321:
	s_or_b64 exec, exec, vcc
                                        ; implicit-def: $vgpr6
                                        ; implicit-def: $vgpr4_vgpr5
.LBB166_5322:
	s_andn2_saveexec_b64 vcc, s[38:39]
	s_cbranch_execz .LBB166_5328
; %bb.5323:
	v_mov_b32_e32 v7, 0
	v_cmp_gt_i16_sdwa s[38:39], v13, v7 src0_sel:BYTE_0 src1_sel:DWORD
	s_and_saveexec_b64 s[48:49], s[38:39]
	s_xor_b64 s[38:39], exec, s[48:49]
	s_cbranch_execz .LBB166_5325
; %bb.5324:
	v_cvt_i32_f32_e32 v6, v6
	flat_store_byte v[4:5], v6
                                        ; implicit-def: $vgpr6
                                        ; implicit-def: $vgpr4_vgpr5
.LBB166_5325:
	s_andn2_saveexec_b64 s[38:39], s[38:39]
	s_cbranch_execz .LBB166_5327
; %bb.5326:
	v_trunc_f32_e32 v6, v6
	s_mov_b32 s48, 0x2f800000
	v_mul_f32_e64 v7, |v6|, s48
	v_floor_f32_e32 v7, v7
	s_mov_b32 s48, 0xcf800000
	v_fma_f32 v7, v7, s48, |v6|
	v_cvt_u32_f32_e32 v7, v7
	v_ashrrev_i32_e32 v6, 31, v6
	v_xor_b32_e32 v7, v7, v6
	v_sub_u32_e32 v6, v7, v6
	flat_store_byte v[4:5], v6
.LBB166_5327:
	s_or_b64 exec, exec, s[38:39]
.LBB166_5328:
	s_or_b64 exec, exec, vcc
.LBB166_5329:
	s_or_b64 exec, exec, s[36:37]
	s_or_b64 s[4:5], s[4:5], exec
.LBB166_5330:
	s_or_b64 exec, exec, s[92:93]
	s_mov_b64 s[36:37], 0
	s_mov_b64 s[92:93], 0
	s_and_saveexec_b64 s[38:39], s[4:5]
; %bb.5331:
	v_add_u32_e32 v17, 0x200, v17
	v_cmp_lt_i32_e32 vcc, v17, v8
	s_mov_b64 s[36:37], exec
	s_and_b64 s[92:93], vcc, exec
; %bb.5332:
	s_or_b64 exec, exec, s[38:39]
	s_and_b64 vcc, s[92:93], exec
	s_andn2_b64 s[4:5], s[88:89], exec
	s_and_b64 s[92:93], s[30:31], exec
	s_or_b64 s[92:93], s[4:5], s[92:93]
	s_orn2_b64 s[30:31], s[36:37], exec
.LBB166_5333:
	s_or_b64 exec, exec, s[94:95]
	s_mov_b64 s[4:5], 0
	s_mov_b64 s[36:37], 0
                                        ; implicit-def: $vgpr4
                                        ; implicit-def: $vgpr112
                                        ; implicit-def: $vgpr6_vgpr7
	s_and_saveexec_b64 s[94:95], s[30:31]
	s_cbranch_execz .LBB166_7755
; %bb.5334:
	s_mov_b64 s[36:37], -1
	s_mov_b64 s[38:39], 0
	s_mov_b64 s[30:31], s[92:93]
	s_and_saveexec_b64 s[34:35], vcc
	s_cbranch_execz .LBB166_5462
; %bb.5335:
	v_readlane_b32 s4, v41, 2
	v_add_u32_e32 v4, s4, v17
	v_mul_lo_u32 v4, v4, v14
	v_mov_b32_e32 v7, 10
	s_mov_b64 s[4:5], 0
	s_mov_b64 s[36:37], s[92:93]
	v_add_co_u32_e32 v4, vcc, v2, v4
	v_addc_co_u32_e32 v5, vcc, 0, v3, vcc
	s_waitcnt vmcnt(0)
	v_cmp_nle_f32_e32 vcc, v65, v0
	v_cndmask_b32_e32 v6, v1, v64, vcc
	v_cmp_gt_i16_sdwa vcc, v13, v7 src0_sel:BYTE_0 src1_sel:DWORD
	s_and_saveexec_b64 s[30:31], vcc
	s_xor_b64 s[30:31], exec, s[30:31]
	s_cbranch_execz .LBB166_5417
; %bb.5336:
	v_mov_b32_e32 v7, 25
	v_cmp_gt_i16_sdwa vcc, v13, v7 src0_sel:BYTE_0 src1_sel:DWORD
	s_mov_b64 s[36:37], s[92:93]
	s_and_saveexec_b64 s[48:49], vcc
	s_xor_b64 s[48:49], exec, s[48:49]
	s_cbranch_execz .LBB166_5372
; %bb.5337:
	v_mov_b32_e32 v7, 28
	v_cmp_gt_i16_sdwa vcc, v13, v7 src0_sel:BYTE_0 src1_sel:DWORD
	s_mov_b64 s[50:51], s[92:93]
	s_and_saveexec_b64 s[36:37], vcc
	s_xor_b64 s[36:37], exec, s[36:37]
	s_cbranch_execz .LBB166_5355
; %bb.5338:
	v_mov_b32_e32 v7, 43
	v_cmp_gt_i16_sdwa s[50:51], v13, v7 src0_sel:BYTE_0 src1_sel:DWORD
	s_mov_b64 vcc, s[92:93]
	s_and_saveexec_b64 s[52:53], s[50:51]
	s_xor_b64 s[50:51], exec, s[52:53]
	s_cbranch_execz .LBB166_5350
; %bb.5339:
	v_mov_b32_e32 v7, 45
	v_cmp_gt_i16_sdwa s[4:5], v13, v7 src0_sel:BYTE_0 src1_sel:DWORD
	s_mov_b64 s[52:53], 0
	s_mov_b64 s[54:55], s[92:93]
	s_and_saveexec_b64 vcc, s[4:5]
	s_xor_b64 s[4:5], exec, vcc
	s_cbranch_execz .LBB166_5343
; %bb.5340:
	v_mov_b32_e32 v7, 46
	v_cmp_eq_u16_sdwa s[64:65], v13, v7 src0_sel:BYTE_0 src1_sel:DWORD
	s_mov_b64 vcc, -1
	s_and_saveexec_b64 s[54:55], s[64:65]
	s_cbranch_execz .LBB166_5342
; %bb.5341:
	v_bfe_u32 v7, v6, 16, 1
	s_movk_i32 vcc_lo, 0x7fff
	v_add3_u32 v7, v6, v7, vcc_lo
	v_cmp_o_f32_e32 vcc, v6, v6
	v_mov_b32_e32 v6, 0x7fc0
	v_cndmask_b32_sdwa v6, v6, v7, vcc dst_sel:DWORD dst_unused:UNUSED_PAD src0_sel:DWORD src1_sel:WORD_1
	s_mov_b64 s[52:53], exec
	flat_store_dword v[4:5], v6
	s_xor_b64 vcc, exec, -1
.LBB166_5342:
	s_or_b64 exec, exec, s[54:55]
	s_andn2_b64 s[54:55], s[92:93], exec
	s_and_b64 vcc, vcc, exec
	s_or_b64 s[54:55], s[54:55], vcc
	s_and_b64 s[52:53], s[52:53], exec
                                        ; implicit-def: $vgpr4_vgpr5
                                        ; implicit-def: $vgpr6
.LBB166_5343:
	s_andn2_saveexec_b64 s[64:65], s[4:5]
	s_cbranch_execz .LBB166_5349
; %bb.5344:
	v_mov_b32_e32 v7, 44
	v_cmp_eq_u16_sdwa s[68:69], v13, v7 src0_sel:BYTE_0 src1_sel:DWORD
	s_mov_b64 vcc, -1
	s_mov_b64 s[4:5], s[52:53]
	s_and_saveexec_b64 s[66:67], s[68:69]
	s_cbranch_execz .LBB166_5348
; %bb.5345:
	v_bfe_u32 v7, v6, 23, 8
	s_movk_i32 s4, 0xff
	v_cmp_ne_u32_e32 vcc, s4, v7
	v_mov_b32_e32 v64, 0xff
	s_and_saveexec_b64 s[68:69], vcc
; %bb.5346:
	s_mov_b32 s4, 0x3fffff
	v_lshrrev_b32_e32 v64, 23, v6
	v_and_b32_e32 v65, 0x400000, v6
	v_and_or_b32 v6, v6, s4, v7
	v_cmp_ne_u32_e32 vcc, 0, v65
	v_cmp_ne_u32_e64 s[4:5], 0, v6
	s_and_b64 s[4:5], vcc, s[4:5]
	v_cndmask_b32_e64 v6, 0, 1, s[4:5]
	v_add_u32_e32 v64, v64, v6
; %bb.5347:
	s_or_b64 exec, exec, s[68:69]
	s_xor_b64 vcc, exec, -1
	s_or_b64 s[4:5], s[52:53], exec
	flat_store_byte v[4:5], v64
.LBB166_5348:
	s_or_b64 exec, exec, s[66:67]
	s_andn2_b64 s[54:55], s[54:55], exec
	s_and_b64 vcc, vcc, exec
	s_or_b64 s[54:55], s[54:55], vcc
	s_andn2_b64 vcc, s[52:53], exec
	s_and_b64 s[4:5], s[4:5], exec
	s_or_b64 s[52:53], vcc, s[4:5]
.LBB166_5349:
	s_or_b64 exec, exec, s[64:65]
	s_andn2_b64 s[4:5], s[92:93], exec
	s_and_b64 vcc, s[54:55], exec
	s_or_b64 vcc, s[4:5], vcc
	s_and_b64 s[4:5], s[52:53], exec
                                        ; implicit-def: $vgpr6
                                        ; implicit-def: $vgpr4_vgpr5
.LBB166_5350:
	s_andn2_saveexec_b64 s[50:51], s[50:51]
	s_cbranch_execz .LBB166_5354
; %bb.5351:
	v_mov_b32_e32 v7, 29
	v_cmp_eq_u16_sdwa s[66:67], v13, v7 src0_sel:BYTE_0 src1_sel:DWORD
	s_mov_b64 s[64:65], -1
	s_mov_b64 s[54:55], s[4:5]
	s_and_saveexec_b64 s[52:53], s[66:67]
	s_cbranch_execz .LBB166_5353
; %bb.5352:
	v_trunc_f32_e32 v6, v6
	v_mul_f32_e32 v7, 0x2f800000, v6
	v_floor_f32_e32 v64, v7
	v_fmac_f32_e32 v6, 0xcf800000, v64
	v_cvt_u32_f32_e32 v7, v64
	v_cvt_u32_f32_e32 v6, v6
	s_xor_b64 s[64:65], exec, -1
	s_or_b64 s[54:55], s[4:5], exec
	flat_store_dwordx2 v[4:5], v[6:7]
.LBB166_5353:
	s_or_b64 exec, exec, s[52:53]
	s_andn2_b64 vcc, vcc, exec
	s_and_b64 s[52:53], s[64:65], exec
	s_or_b64 vcc, vcc, s[52:53]
	s_andn2_b64 s[4:5], s[4:5], exec
	s_and_b64 s[52:53], s[54:55], exec
	s_or_b64 s[4:5], s[4:5], s[52:53]
.LBB166_5354:
	s_or_b64 exec, exec, s[50:51]
	s_andn2_b64 s[50:51], s[92:93], exec
	s_and_b64 vcc, vcc, exec
	s_or_b64 s[50:51], s[50:51], vcc
	s_and_b64 s[4:5], s[4:5], exec
                                        ; implicit-def: $vgpr4_vgpr5
                                        ; implicit-def: $vgpr6
.LBB166_5355:
	s_andn2_saveexec_b64 s[36:37], s[36:37]
	s_cbranch_execz .LBB166_5371
; %bb.5356:
	v_mov_b32_e32 v7, 26
	v_cmp_gt_i16_sdwa vcc, v13, v7 src0_sel:BYTE_0 src1_sel:DWORD
	s_and_saveexec_b64 s[52:53], vcc
	s_xor_b64 vcc, exec, s[52:53]
	s_cbranch_execz .LBB166_5362
; %bb.5357:
	v_cvt_u32_f32_e32 v6, v6
	v_mov_b32_e32 v7, 27
	v_cmp_gt_i16_sdwa s[52:53], v13, v7 src0_sel:BYTE_0 src1_sel:DWORD
	s_and_saveexec_b64 s[54:55], s[52:53]
	s_xor_b64 s[52:53], exec, s[54:55]
	s_cbranch_execz .LBB166_5359
; %bb.5358:
	flat_store_dword v[4:5], v6
                                        ; implicit-def: $vgpr4_vgpr5
                                        ; implicit-def: $vgpr6
.LBB166_5359:
	s_andn2_saveexec_b64 s[52:53], s[52:53]
	s_cbranch_execz .LBB166_5361
; %bb.5360:
	flat_store_short v[4:5], v6
.LBB166_5361:
	s_or_b64 exec, exec, s[52:53]
                                        ; implicit-def: $vgpr4_vgpr5
                                        ; implicit-def: $vgpr6
.LBB166_5362:
	s_andn2_saveexec_b64 s[52:53], vcc
	s_cbranch_execz .LBB166_5370
; %bb.5363:
	v_and_b32_e32 v7, 0x7fffffff, v6
	s_mov_b32 vcc_lo, 0x43800000
	v_cmp_gt_u32_e32 vcc, vcc_lo, v7
	v_mov_b32_e32 v64, 0x80
	s_and_saveexec_b64 s[54:55], vcc
	s_cbranch_execz .LBB166_5369
; %bb.5364:
	s_mov_b32 vcc_lo, 0x3bffffff
	v_cmp_lt_u32_e32 vcc, vcc_lo, v7
	s_mov_b64 s[64:65], 0
                                        ; implicit-def: $vgpr7
	s_and_saveexec_b64 s[66:67], vcc
	s_xor_b64 vcc, exec, s[66:67]
	s_cbranch_execnz .LBB166_7867
; %bb.5365:
	s_andn2_saveexec_b64 s[66:67], vcc
	s_cbranch_execnz .LBB166_7868
.LBB166_5366:
	s_or_b64 exec, exec, s[66:67]
	v_mov_b32_e32 v64, 0
	s_and_saveexec_b64 vcc, s[64:65]
.LBB166_5367:
	v_lshrrev_b32_e32 v6, 24, v6
	s_movk_i32 s64, 0x80
	v_and_or_b32 v64, v6, s64, v7
.LBB166_5368:
	s_or_b64 exec, exec, vcc
.LBB166_5369:
	s_or_b64 exec, exec, s[54:55]
	flat_store_byte v[4:5], v64
.LBB166_5370:
	s_or_b64 exec, exec, s[52:53]
	s_or_b64 s[4:5], s[4:5], exec
.LBB166_5371:
	s_or_b64 exec, exec, s[36:37]
	s_andn2_b64 vcc, s[92:93], exec
	s_and_b64 s[36:37], s[50:51], exec
	s_or_b64 s[36:37], vcc, s[36:37]
	s_and_b64 s[4:5], s[4:5], exec
                                        ; implicit-def: $vgpr6
                                        ; implicit-def: $vgpr4_vgpr5
.LBB166_5372:
	s_andn2_saveexec_b64 s[48:49], s[48:49]
	s_cbranch_execz .LBB166_5416
; %bb.5373:
	v_mov_b32_e32 v7, 22
	v_cmp_gt_i16_sdwa vcc, v13, v7 src0_sel:BYTE_0 src1_sel:DWORD
	s_mov_b64 s[52:53], s[4:5]
	s_and_saveexec_b64 s[50:51], vcc
	s_xor_b64 s[50:51], exec, s[50:51]
	s_cbranch_execz .LBB166_5405
; %bb.5374:
	v_mov_b32_e32 v7, 23
	v_cmp_gt_i16_sdwa vcc, v13, v7 src0_sel:BYTE_0 src1_sel:DWORD
	s_and_saveexec_b64 s[52:53], vcc
	s_xor_b64 s[52:53], exec, s[52:53]
	s_cbranch_execz .LBB166_5394
; %bb.5375:
	v_mov_b32_e32 v7, 24
	v_cmp_gt_i16_sdwa vcc, v13, v7 src0_sel:BYTE_0 src1_sel:DWORD
	s_and_saveexec_b64 s[54:55], vcc
	s_xor_b64 s[54:55], exec, s[54:55]
	s_cbranch_execz .LBB166_5383
; %bb.5376:
	v_and_b32_e32 v7, 0x7fffffff, v6
	s_mov_b32 vcc_lo, 0x47800000
	v_cmp_gt_u32_e32 vcc, vcc_lo, v7
	v_mov_b32_e32 v64, 0x80
	s_and_saveexec_b64 s[64:65], vcc
	s_cbranch_execz .LBB166_5382
; %bb.5377:
	s_mov_b32 vcc_lo, 0x37ffffff
	v_cmp_lt_u32_e32 vcc, vcc_lo, v7
	s_mov_b64 s[66:67], 0
                                        ; implicit-def: $vgpr7
	s_and_saveexec_b64 s[68:69], vcc
	s_xor_b64 vcc, exec, s[68:69]
	s_cbranch_execnz .LBB166_7869
; %bb.5378:
	s_andn2_saveexec_b64 s[68:69], vcc
	s_cbranch_execnz .LBB166_7870
.LBB166_5379:
	s_or_b64 exec, exec, s[68:69]
	v_mov_b32_e32 v64, 0
	s_and_saveexec_b64 vcc, s[66:67]
.LBB166_5380:
	v_lshrrev_b32_e32 v6, 24, v6
	s_movk_i32 s66, 0x80
	v_and_or_b32 v64, v6, s66, v7
.LBB166_5381:
	s_or_b64 exec, exec, vcc
.LBB166_5382:
	s_or_b64 exec, exec, s[64:65]
	flat_store_byte v[4:5], v64
                                        ; implicit-def: $vgpr6
                                        ; implicit-def: $vgpr4_vgpr5
.LBB166_5383:
	s_andn2_saveexec_b64 s[54:55], s[54:55]
	s_cbranch_execz .LBB166_5393
; %bb.5384:
	v_and_b32_e32 v64, 0x7fffffff, v6
	s_mov_b32 vcc_lo, 0x43f00000
	v_cmp_gt_u32_e32 vcc, vcc_lo, v64
                                        ; implicit-def: $vgpr7
	s_and_saveexec_b64 s[64:65], vcc
	s_xor_b64 s[64:65], exec, s[64:65]
	s_cbranch_execz .LBB166_5390
; %bb.5385:
	s_mov_b32 vcc_lo, 0x3c7fffff
	v_cmp_lt_u32_e32 vcc, vcc_lo, v64
                                        ; implicit-def: $vgpr7
	s_and_saveexec_b64 s[66:67], vcc
	s_xor_b64 s[66:67], exec, s[66:67]
; %bb.5386:
	v_bfe_u32 v7, v6, 20, 1
	s_mov_b32 vcc_lo, 0x407ffff
	v_add3_u32 v7, v6, v7, vcc_lo
	v_lshrrev_b32_e32 v64, 20, v7
	v_and_b32_e32 v7, 0xff00000, v7
	s_mov_b32 vcc_lo, 0x7f00000
	v_mov_b32_e32 v65, 0x7e
	v_cmp_ne_u32_e32 vcc, vcc_lo, v7
	v_cndmask_b32_e32 v7, v65, v64, vcc
; %bb.5387:
	s_andn2_saveexec_b64 vcc, s[66:67]
; %bb.5388:
	s_mov_b32 s66, 0x46800000
	v_add_f32_e64 v7, |v6|, s66
; %bb.5389:
	s_or_b64 exec, exec, vcc
                                        ; implicit-def: $vgpr64
.LBB166_5390:
	s_andn2_saveexec_b64 s[64:65], s[64:65]
; %bb.5391:
	s_mov_b32 vcc_lo, 0x7f800000
	v_mov_b32_e32 v7, 0x7e
	v_mov_b32_e32 v65, 0x7f
	v_cmp_lt_u32_e32 vcc, vcc_lo, v64
	v_cndmask_b32_e32 v7, v7, v65, vcc
; %bb.5392:
	s_or_b64 exec, exec, s[64:65]
	v_lshrrev_b32_e32 v6, 24, v6
	s_movk_i32 vcc_lo, 0x80
	v_and_or_b32 v6, v6, vcc_lo, v7
	flat_store_byte v[4:5], v6
.LBB166_5393:
	s_or_b64 exec, exec, s[54:55]
                                        ; implicit-def: $vgpr6
                                        ; implicit-def: $vgpr4_vgpr5
.LBB166_5394:
	s_andn2_saveexec_b64 s[52:53], s[52:53]
	s_cbranch_execz .LBB166_5404
; %bb.5395:
	v_and_b32_e32 v64, 0x7fffffff, v6
	s_mov_b32 vcc_lo, 0x47800000
	v_cmp_gt_u32_e32 vcc, vcc_lo, v64
                                        ; implicit-def: $vgpr7
	s_and_saveexec_b64 s[54:55], vcc
	s_xor_b64 s[54:55], exec, s[54:55]
	s_cbranch_execz .LBB166_5401
; %bb.5396:
	s_mov_b32 vcc_lo, 0x387fffff
	v_cmp_lt_u32_e32 vcc, vcc_lo, v64
                                        ; implicit-def: $vgpr7
	s_and_saveexec_b64 s[64:65], vcc
	s_xor_b64 vcc, exec, s[64:65]
; %bb.5397:
	v_bfe_u32 v7, v6, 21, 1
	s_mov_b32 s64, 0x80fffff
	v_add3_u32 v7, v6, v7, s64
	v_lshrrev_b32_e32 v7, 21, v7
; %bb.5398:
	s_andn2_saveexec_b64 vcc, vcc
; %bb.5399:
	s_mov_b32 s64, 0x43000000
	v_add_f32_e64 v7, |v6|, s64
; %bb.5400:
	s_or_b64 exec, exec, vcc
                                        ; implicit-def: $vgpr64
.LBB166_5401:
	s_andn2_saveexec_b64 s[54:55], s[54:55]
; %bb.5402:
	s_mov_b32 vcc_lo, 0x7f800000
	v_mov_b32_e32 v7, 0x7c
	v_mov_b32_e32 v65, 0x7f
	v_cmp_lt_u32_e32 vcc, vcc_lo, v64
	v_cndmask_b32_e32 v7, v7, v65, vcc
; %bb.5403:
	s_or_b64 exec, exec, s[54:55]
	v_lshrrev_b32_e32 v6, 24, v6
	s_movk_i32 vcc_lo, 0x80
	v_and_or_b32 v6, v6, vcc_lo, v7
	flat_store_byte v[4:5], v6
.LBB166_5404:
	s_or_b64 exec, exec, s[52:53]
	s_or_b64 s[52:53], s[4:5], exec
                                        ; implicit-def: $vgpr6
                                        ; implicit-def: $vgpr4_vgpr5
.LBB166_5405:
	s_or_saveexec_b64 s[50:51], s[50:51]
	s_mov_b64 vcc, s[36:37]
	s_xor_b64 exec, exec, s[50:51]
	s_cbranch_execz .LBB166_5415
; %bb.5406:
	v_mov_b32_e32 v7, 14
	v_cmp_gt_i16_sdwa vcc, v13, v7 src0_sel:BYTE_0 src1_sel:DWORD
	s_mov_b64 s[54:55], s[52:53]
	s_mov_b64 s[64:65], s[36:37]
	s_and_saveexec_b64 s[66:67], vcc
	s_xor_b64 s[66:67], exec, s[66:67]
	s_cbranch_execz .LBB166_5410
; %bb.5407:
	v_mov_b32_e32 v7, 15
	v_cmp_eq_u16_sdwa s[68:69], v13, v7 src0_sel:BYTE_0 src1_sel:DWORD
	s_mov_b64 s[64:65], -1
	s_mov_b64 vcc, s[52:53]
	s_and_saveexec_b64 s[54:55], s[68:69]
	s_cbranch_execz .LBB166_5409
; %bb.5408:
	v_bfe_u32 v7, v6, 16, 1
	s_movk_i32 vcc_lo, 0x7fff
	v_add3_u32 v7, v6, v7, vcc_lo
	v_cmp_o_f32_e32 vcc, v6, v6
	v_mov_b32_e32 v6, 0x7fc0
	v_cndmask_b32_sdwa v6, v6, v7, vcc dst_sel:DWORD dst_unused:UNUSED_PAD src0_sel:DWORD src1_sel:WORD_1
	flat_store_short v[4:5], v6
	s_xor_b64 s[64:65], exec, -1
	s_or_b64 vcc, s[52:53], exec
.LBB166_5409:
	s_or_b64 exec, exec, s[54:55]
	s_andn2_b64 s[54:55], s[36:37], exec
	s_and_b64 s[64:65], s[64:65], exec
	s_or_b64 s[64:65], s[54:55], s[64:65]
	s_andn2_b64 s[54:55], s[52:53], exec
	s_and_b64 vcc, vcc, exec
	s_or_b64 s[54:55], s[54:55], vcc
                                        ; implicit-def: $vgpr6
                                        ; implicit-def: $vgpr4_vgpr5
.LBB166_5410:
	s_andn2_saveexec_b64 s[66:67], s[66:67]
	s_cbranch_execz .LBB166_5414
; %bb.5411:
	v_mov_b32_e32 v7, 11
	v_cmp_eq_u16_sdwa s[80:81], v13, v7 src0_sel:BYTE_0 src1_sel:DWORD
	s_mov_b64 s[68:69], -1
	s_mov_b64 vcc, s[54:55]
	s_and_saveexec_b64 s[70:71], s[80:81]
	s_cbranch_execz .LBB166_5413
; %bb.5412:
	v_cmp_neq_f32_e32 vcc, 0, v6
	v_cndmask_b32_e64 v6, 0, 1, vcc
	flat_store_byte v[4:5], v6
	s_xor_b64 s[68:69], exec, -1
	s_or_b64 vcc, s[54:55], exec
.LBB166_5413:
	s_or_b64 exec, exec, s[70:71]
	s_andn2_b64 s[64:65], s[64:65], exec
	s_and_b64 s[68:69], s[68:69], exec
	s_andn2_b64 s[54:55], s[54:55], exec
	s_and_b64 vcc, vcc, exec
	s_or_b64 s[64:65], s[64:65], s[68:69]
	s_or_b64 s[54:55], s[54:55], vcc
.LBB166_5414:
	s_or_b64 exec, exec, s[66:67]
	s_andn2_b64 vcc, s[36:37], exec
	s_and_b64 s[64:65], s[64:65], exec
	s_andn2_b64 s[52:53], s[52:53], exec
	s_and_b64 s[54:55], s[54:55], exec
	s_or_b64 vcc, vcc, s[64:65]
	s_or_b64 s[52:53], s[52:53], s[54:55]
.LBB166_5415:
	s_or_b64 exec, exec, s[50:51]
	s_andn2_b64 s[36:37], s[36:37], exec
	s_and_b64 vcc, vcc, exec
	s_or_b64 s[36:37], s[36:37], vcc
	s_andn2_b64 s[4:5], s[4:5], exec
	s_and_b64 vcc, s[52:53], exec
	s_or_b64 s[4:5], s[4:5], vcc
.LBB166_5416:
	s_or_b64 exec, exec, s[48:49]
	s_andn2_b64 vcc, s[92:93], exec
	s_and_b64 s[36:37], s[36:37], exec
	s_or_b64 s[36:37], vcc, s[36:37]
	s_and_b64 s[4:5], s[4:5], exec
                                        ; implicit-def: $vgpr6
                                        ; implicit-def: $vgpr4_vgpr5
.LBB166_5417:
	s_andn2_saveexec_b64 s[30:31], s[30:31]
	s_cbranch_execz .LBB166_5459
; %bb.5418:
	v_mov_b32_e32 v7, 4
	v_cmp_gt_i16_sdwa vcc, v13, v7 src0_sel:BYTE_0 src1_sel:DWORD
	s_and_saveexec_b64 s[48:49], vcc
	s_xor_b64 vcc, exec, s[48:49]
	s_cbranch_execz .LBB166_5440
; %bb.5419:
	v_mov_b32_e32 v7, 7
	v_cmp_gt_i16_sdwa s[48:49], v13, v7 src0_sel:BYTE_0 src1_sel:DWORD
	s_and_saveexec_b64 s[50:51], s[48:49]
	s_xor_b64 s[48:49], exec, s[50:51]
	s_cbranch_execz .LBB166_5429
; %bb.5420:
	v_mov_b32_e32 v7, 8
	v_cmp_gt_i16_sdwa s[50:51], v13, v7 src0_sel:BYTE_0 src1_sel:DWORD
	s_and_saveexec_b64 s[52:53], s[50:51]
	s_xor_b64 s[50:51], exec, s[52:53]
	s_cbranch_execz .LBB166_5426
; %bb.5421:
	v_mov_b32_e32 v7, 9
	v_cmp_gt_i16_sdwa s[52:53], v13, v7 src0_sel:BYTE_0 src1_sel:DWORD
	s_and_saveexec_b64 s[54:55], s[52:53]
	s_xor_b64 s[52:53], exec, s[54:55]
	s_cbranch_execz .LBB166_5423
; %bb.5422:
	v_cvt_f64_f32_e32 v[64:65], v6
	v_mov_b32_e32 v66, 0
	v_mov_b32_e32 v67, v66
                                        ; implicit-def: $vgpr6
	flat_store_dwordx4 v[4:5], v[64:67]
                                        ; implicit-def: $vgpr4_vgpr5
.LBB166_5423:
	s_andn2_saveexec_b64 s[52:53], s[52:53]
	s_cbranch_execz .LBB166_5425
; %bb.5424:
	v_mov_b32_e32 v7, 0
	flat_store_dwordx2 v[4:5], v[6:7]
.LBB166_5425:
	s_or_b64 exec, exec, s[52:53]
                                        ; implicit-def: $vgpr6
                                        ; implicit-def: $vgpr4_vgpr5
.LBB166_5426:
	s_andn2_saveexec_b64 s[50:51], s[50:51]
	s_cbranch_execz .LBB166_5428
; %bb.5427:
	v_cvt_f16_f32_e32 v6, v6
	flat_store_dword v[4:5], v6
.LBB166_5428:
	s_or_b64 exec, exec, s[50:51]
                                        ; implicit-def: $vgpr6
                                        ; implicit-def: $vgpr4_vgpr5
.LBB166_5429:
	s_andn2_saveexec_b64 s[48:49], s[48:49]
	s_cbranch_execz .LBB166_5439
; %bb.5430:
	v_mov_b32_e32 v7, 5
	v_cmp_gt_i16_sdwa s[50:51], v13, v7 src0_sel:BYTE_0 src1_sel:DWORD
	s_and_saveexec_b64 s[52:53], s[50:51]
	s_xor_b64 s[50:51], exec, s[52:53]
	s_cbranch_execz .LBB166_5436
; %bb.5431:
	v_mov_b32_e32 v7, 6
	v_cmp_gt_i16_sdwa s[52:53], v13, v7 src0_sel:BYTE_0 src1_sel:DWORD
	s_and_saveexec_b64 s[54:55], s[52:53]
	s_xor_b64 s[52:53], exec, s[54:55]
	s_cbranch_execz .LBB166_5433
; %bb.5432:
	v_cvt_f64_f32_e32 v[6:7], v6
	flat_store_dwordx2 v[4:5], v[6:7]
                                        ; implicit-def: $vgpr4_vgpr5
                                        ; implicit-def: $vgpr6
.LBB166_5433:
	s_andn2_saveexec_b64 s[52:53], s[52:53]
	s_cbranch_execz .LBB166_5435
; %bb.5434:
	flat_store_dword v[4:5], v6
.LBB166_5435:
	s_or_b64 exec, exec, s[52:53]
                                        ; implicit-def: $vgpr6
                                        ; implicit-def: $vgpr4_vgpr5
.LBB166_5436:
	s_andn2_saveexec_b64 s[50:51], s[50:51]
	s_cbranch_execz .LBB166_5438
; %bb.5437:
	v_cvt_f16_f32_e32 v6, v6
	flat_store_short v[4:5], v6
.LBB166_5438:
	s_or_b64 exec, exec, s[50:51]
.LBB166_5439:
	s_or_b64 exec, exec, s[48:49]
                                        ; implicit-def: $vgpr6
                                        ; implicit-def: $vgpr4_vgpr5
.LBB166_5440:
	s_andn2_saveexec_b64 s[48:49], vcc
	s_cbranch_execz .LBB166_5458
; %bb.5441:
	v_mov_b32_e32 v7, 1
	v_cmp_gt_i16_sdwa vcc, v13, v7 src0_sel:BYTE_0 src1_sel:DWORD
	s_and_saveexec_b64 s[50:51], vcc
	s_xor_b64 s[50:51], exec, s[50:51]
	s_cbranch_execz .LBB166_5451
; %bb.5442:
	v_mov_b32_e32 v7, 2
	v_cmp_gt_i16_sdwa vcc, v13, v7 src0_sel:BYTE_0 src1_sel:DWORD
	s_and_saveexec_b64 s[52:53], vcc
	s_xor_b64 s[52:53], exec, s[52:53]
	;; [unrolled: 6-line block ×3, first 2 shown]
	s_cbranch_execz .LBB166_5445
; %bb.5444:
	v_trunc_f32_e32 v6, v6
	s_mov_b32 s64, 0x2f800000
	v_mul_f32_e64 v7, |v6|, s64
	v_floor_f32_e32 v7, v7
	s_mov_b32 s64, 0xcf800000
	v_cvt_u32_f32_e32 v64, v7
	v_fma_f32 v7, v7, s64, |v6|
	v_cvt_u32_f32_e32 v7, v7
	v_ashrrev_i32_e32 v65, 31, v6
	v_xor_b32_e32 v64, v64, v65
	v_xor_b32_e32 v6, v7, v65
	v_sub_co_u32_e32 v6, vcc, v6, v65
	v_subb_co_u32_e32 v7, vcc, v64, v65, vcc
	flat_store_dwordx2 v[4:5], v[6:7]
                                        ; implicit-def: $vgpr6
                                        ; implicit-def: $vgpr4_vgpr5
.LBB166_5445:
	s_andn2_saveexec_b64 vcc, s[54:55]
	s_cbranch_execz .LBB166_5447
; %bb.5446:
	v_cvt_i32_f32_e32 v6, v6
	flat_store_dword v[4:5], v6
.LBB166_5447:
	s_or_b64 exec, exec, vcc
                                        ; implicit-def: $vgpr6
                                        ; implicit-def: $vgpr4_vgpr5
.LBB166_5448:
	s_andn2_saveexec_b64 vcc, s[52:53]
	s_cbranch_execz .LBB166_5450
; %bb.5449:
	v_cvt_i32_f32_e32 v6, v6
	flat_store_short v[4:5], v6
.LBB166_5450:
	s_or_b64 exec, exec, vcc
                                        ; implicit-def: $vgpr6
                                        ; implicit-def: $vgpr4_vgpr5
.LBB166_5451:
	s_andn2_saveexec_b64 vcc, s[50:51]
	s_cbranch_execz .LBB166_5457
; %bb.5452:
	v_mov_b32_e32 v7, 0
	v_cmp_gt_i16_sdwa s[50:51], v13, v7 src0_sel:BYTE_0 src1_sel:DWORD
	s_and_saveexec_b64 s[52:53], s[50:51]
	s_xor_b64 s[50:51], exec, s[52:53]
	s_cbranch_execz .LBB166_5454
; %bb.5453:
	v_cvt_i32_f32_e32 v6, v6
	flat_store_byte v[4:5], v6
                                        ; implicit-def: $vgpr6
                                        ; implicit-def: $vgpr4_vgpr5
.LBB166_5454:
	s_andn2_saveexec_b64 s[50:51], s[50:51]
	s_cbranch_execz .LBB166_5456
; %bb.5455:
	v_trunc_f32_e32 v6, v6
	s_mov_b32 s52, 0x2f800000
	v_mul_f32_e64 v7, |v6|, s52
	v_floor_f32_e32 v7, v7
	s_mov_b32 s52, 0xcf800000
	v_fma_f32 v7, v7, s52, |v6|
	v_cvt_u32_f32_e32 v7, v7
	v_ashrrev_i32_e32 v6, 31, v6
	v_xor_b32_e32 v7, v7, v6
	v_sub_u32_e32 v6, v7, v6
	flat_store_byte v[4:5], v6
.LBB166_5456:
	s_or_b64 exec, exec, s[50:51]
.LBB166_5457:
	s_or_b64 exec, exec, vcc
.LBB166_5458:
	s_or_b64 exec, exec, s[48:49]
	s_or_b64 s[4:5], s[4:5], exec
.LBB166_5459:
	s_or_b64 exec, exec, s[30:31]
	s_mov_b64 s[48:49], 0
	s_mov_b64 vcc, 0
	s_and_saveexec_b64 s[30:31], s[4:5]
; %bb.5460:
	v_add_u32_e32 v17, 0x200, v17
	v_cmp_lt_i32_e32 vcc, v17, v8
	s_mov_b64 s[48:49], exec
	s_and_b64 vcc, vcc, exec
; %bb.5461:
	s_or_b64 exec, exec, s[30:31]
	s_and_b64 s[4:5], vcc, exec
	s_andn2_b64 vcc, s[92:93], exec
	s_and_b64 s[30:31], s[36:37], exec
	s_or_b64 s[30:31], vcc, s[30:31]
	s_orn2_b64 s[36:37], s[48:49], exec
.LBB166_5462:
	s_or_b64 exec, exec, s[34:35]
	s_mov_b64 vcc, 0
	s_mov_b64 s[48:49], 0
                                        ; implicit-def: $vgpr4
                                        ; implicit-def: $vgpr112
                                        ; implicit-def: $vgpr6_vgpr7
	s_and_saveexec_b64 s[34:35], s[36:37]
	s_cbranch_execz .LBB166_7754
; %bb.5463:
	s_mov_b64 s[48:49], -1
	s_mov_b64 s[50:51], 0
	s_mov_b64 s[36:37], s[30:31]
	s_and_saveexec_b64 s[38:39], s[4:5]
	s_cbranch_execz .LBB166_5591
; %bb.5464:
	v_readlane_b32 s4, v41, 2
	v_add_u32_e32 v4, s4, v17
	v_mul_lo_u32 v4, v4, v14
	v_mov_b32_e32 v7, 10
	s_mov_b64 s[4:5], 0
	s_mov_b64 s[48:49], s[30:31]
	v_add_co_u32_e32 v4, vcc, v2, v4
	v_addc_co_u32_e32 v5, vcc, 0, v3, vcc
	s_waitcnt vmcnt(0)
	v_cmp_nle_f32_e32 vcc, v55, v0
	v_cndmask_b32_e32 v6, v1, v54, vcc
	v_cmp_gt_i16_sdwa vcc, v13, v7 src0_sel:BYTE_0 src1_sel:DWORD
	s_and_saveexec_b64 s[36:37], vcc
	s_xor_b64 s[36:37], exec, s[36:37]
	s_cbranch_execz .LBB166_5546
; %bb.5465:
	v_mov_b32_e32 v7, 25
	v_cmp_gt_i16_sdwa vcc, v13, v7 src0_sel:BYTE_0 src1_sel:DWORD
	s_mov_b64 s[48:49], s[30:31]
	s_and_saveexec_b64 s[52:53], vcc
	s_xor_b64 s[52:53], exec, s[52:53]
	s_cbranch_execz .LBB166_5501
; %bb.5466:
	v_mov_b32_e32 v7, 28
	v_cmp_gt_i16_sdwa vcc, v13, v7 src0_sel:BYTE_0 src1_sel:DWORD
	s_mov_b64 s[54:55], s[30:31]
	s_and_saveexec_b64 s[48:49], vcc
	s_xor_b64 s[48:49], exec, s[48:49]
	s_cbranch_execz .LBB166_5484
; %bb.5467:
	v_mov_b32_e32 v7, 43
	v_cmp_gt_i16_sdwa s[54:55], v13, v7 src0_sel:BYTE_0 src1_sel:DWORD
	s_mov_b64 vcc, s[30:31]
	s_and_saveexec_b64 s[64:65], s[54:55]
	s_xor_b64 s[54:55], exec, s[64:65]
	s_cbranch_execz .LBB166_5479
; %bb.5468:
	v_mov_b32_e32 v7, 45
	v_cmp_gt_i16_sdwa s[4:5], v13, v7 src0_sel:BYTE_0 src1_sel:DWORD
	s_mov_b64 s[64:65], 0
	s_mov_b64 s[66:67], s[30:31]
	s_and_saveexec_b64 vcc, s[4:5]
	s_xor_b64 s[4:5], exec, vcc
	s_cbranch_execz .LBB166_5472
; %bb.5469:
	v_mov_b32_e32 v7, 46
	v_cmp_eq_u16_sdwa s[68:69], v13, v7 src0_sel:BYTE_0 src1_sel:DWORD
	s_mov_b64 vcc, -1
	s_and_saveexec_b64 s[66:67], s[68:69]
	s_cbranch_execz .LBB166_5471
; %bb.5470:
	v_bfe_u32 v7, v6, 16, 1
	s_movk_i32 vcc_lo, 0x7fff
	v_add3_u32 v7, v6, v7, vcc_lo
	v_cmp_o_f32_e32 vcc, v6, v6
	v_mov_b32_e32 v6, 0x7fc0
	v_cndmask_b32_sdwa v6, v6, v7, vcc dst_sel:DWORD dst_unused:UNUSED_PAD src0_sel:DWORD src1_sel:WORD_1
	s_mov_b64 s[64:65], exec
	flat_store_dword v[4:5], v6
	s_xor_b64 vcc, exec, -1
.LBB166_5471:
	s_or_b64 exec, exec, s[66:67]
	s_andn2_b64 s[66:67], s[30:31], exec
	s_and_b64 vcc, vcc, exec
	s_or_b64 s[66:67], s[66:67], vcc
	s_and_b64 s[64:65], s[64:65], exec
                                        ; implicit-def: $vgpr4_vgpr5
                                        ; implicit-def: $vgpr6
.LBB166_5472:
	s_andn2_saveexec_b64 s[68:69], s[4:5]
	s_cbranch_execz .LBB166_5478
; %bb.5473:
	v_mov_b32_e32 v7, 44
	v_cmp_eq_u16_sdwa s[80:81], v13, v7 src0_sel:BYTE_0 src1_sel:DWORD
	s_mov_b64 vcc, -1
	s_mov_b64 s[4:5], s[64:65]
	s_and_saveexec_b64 s[70:71], s[80:81]
	s_cbranch_execz .LBB166_5477
; %bb.5474:
	v_bfe_u32 v7, v6, 23, 8
	s_movk_i32 s4, 0xff
	v_cmp_ne_u32_e32 vcc, s4, v7
	v_mov_b32_e32 v54, 0xff
	s_and_saveexec_b64 s[80:81], vcc
; %bb.5475:
	s_mov_b32 s4, 0x3fffff
	v_lshrrev_b32_e32 v54, 23, v6
	v_and_b32_e32 v55, 0x400000, v6
	v_and_or_b32 v6, v6, s4, v7
	v_cmp_ne_u32_e32 vcc, 0, v55
	v_cmp_ne_u32_e64 s[4:5], 0, v6
	s_and_b64 s[4:5], vcc, s[4:5]
	v_cndmask_b32_e64 v6, 0, 1, s[4:5]
	v_add_u32_e32 v54, v54, v6
; %bb.5476:
	s_or_b64 exec, exec, s[80:81]
	s_xor_b64 vcc, exec, -1
	s_or_b64 s[4:5], s[64:65], exec
	flat_store_byte v[4:5], v54
.LBB166_5477:
	s_or_b64 exec, exec, s[70:71]
	s_andn2_b64 s[66:67], s[66:67], exec
	s_and_b64 vcc, vcc, exec
	s_or_b64 s[66:67], s[66:67], vcc
	s_andn2_b64 vcc, s[64:65], exec
	s_and_b64 s[4:5], s[4:5], exec
	s_or_b64 s[64:65], vcc, s[4:5]
.LBB166_5478:
	s_or_b64 exec, exec, s[68:69]
	s_andn2_b64 s[4:5], s[30:31], exec
	s_and_b64 vcc, s[66:67], exec
	s_or_b64 vcc, s[4:5], vcc
	s_and_b64 s[4:5], s[64:65], exec
                                        ; implicit-def: $vgpr6
                                        ; implicit-def: $vgpr4_vgpr5
.LBB166_5479:
	s_andn2_saveexec_b64 s[54:55], s[54:55]
	s_cbranch_execz .LBB166_5483
; %bb.5480:
	v_mov_b32_e32 v7, 29
	v_cmp_eq_u16_sdwa s[70:71], v13, v7 src0_sel:BYTE_0 src1_sel:DWORD
	s_mov_b64 s[68:69], -1
	s_mov_b64 s[66:67], s[4:5]
	s_and_saveexec_b64 s[64:65], s[70:71]
	s_cbranch_execz .LBB166_5482
; %bb.5481:
	v_trunc_f32_e32 v6, v6
	v_mul_f32_e32 v7, 0x2f800000, v6
	v_floor_f32_e32 v54, v7
	v_fmac_f32_e32 v6, 0xcf800000, v54
	v_cvt_u32_f32_e32 v7, v54
	v_cvt_u32_f32_e32 v6, v6
	s_xor_b64 s[68:69], exec, -1
	s_or_b64 s[66:67], s[4:5], exec
	flat_store_dwordx2 v[4:5], v[6:7]
.LBB166_5482:
	s_or_b64 exec, exec, s[64:65]
	s_andn2_b64 vcc, vcc, exec
	s_and_b64 s[64:65], s[68:69], exec
	s_or_b64 vcc, vcc, s[64:65]
	s_andn2_b64 s[4:5], s[4:5], exec
	s_and_b64 s[64:65], s[66:67], exec
	s_or_b64 s[4:5], s[4:5], s[64:65]
.LBB166_5483:
	s_or_b64 exec, exec, s[54:55]
	s_andn2_b64 s[54:55], s[30:31], exec
	s_and_b64 vcc, vcc, exec
	s_or_b64 s[54:55], s[54:55], vcc
	s_and_b64 s[4:5], s[4:5], exec
                                        ; implicit-def: $vgpr4_vgpr5
                                        ; implicit-def: $vgpr6
.LBB166_5484:
	s_andn2_saveexec_b64 s[48:49], s[48:49]
	s_cbranch_execz .LBB166_5500
; %bb.5485:
	v_mov_b32_e32 v7, 26
	v_cmp_gt_i16_sdwa vcc, v13, v7 src0_sel:BYTE_0 src1_sel:DWORD
	s_and_saveexec_b64 s[64:65], vcc
	s_xor_b64 vcc, exec, s[64:65]
	s_cbranch_execz .LBB166_5491
; %bb.5486:
	v_cvt_u32_f32_e32 v6, v6
	v_mov_b32_e32 v7, 27
	v_cmp_gt_i16_sdwa s[64:65], v13, v7 src0_sel:BYTE_0 src1_sel:DWORD
	s_and_saveexec_b64 s[66:67], s[64:65]
	s_xor_b64 s[64:65], exec, s[66:67]
	s_cbranch_execz .LBB166_5488
; %bb.5487:
	flat_store_dword v[4:5], v6
                                        ; implicit-def: $vgpr4_vgpr5
                                        ; implicit-def: $vgpr6
.LBB166_5488:
	s_andn2_saveexec_b64 s[64:65], s[64:65]
	s_cbranch_execz .LBB166_5490
; %bb.5489:
	flat_store_short v[4:5], v6
.LBB166_5490:
	s_or_b64 exec, exec, s[64:65]
                                        ; implicit-def: $vgpr4_vgpr5
                                        ; implicit-def: $vgpr6
.LBB166_5491:
	s_andn2_saveexec_b64 s[64:65], vcc
	s_cbranch_execz .LBB166_5499
; %bb.5492:
	v_and_b32_e32 v7, 0x7fffffff, v6
	s_mov_b32 vcc_lo, 0x43800000
	v_cmp_gt_u32_e32 vcc, vcc_lo, v7
	v_mov_b32_e32 v54, 0x80
	s_and_saveexec_b64 s[66:67], vcc
	s_cbranch_execz .LBB166_5498
; %bb.5493:
	s_mov_b32 vcc_lo, 0x3bffffff
	v_cmp_lt_u32_e32 vcc, vcc_lo, v7
	s_mov_b64 s[68:69], 0
                                        ; implicit-def: $vgpr7
	s_and_saveexec_b64 s[70:71], vcc
	s_xor_b64 vcc, exec, s[70:71]
	s_cbranch_execnz .LBB166_7871
; %bb.5494:
	s_andn2_saveexec_b64 s[70:71], vcc
	s_cbranch_execnz .LBB166_7872
.LBB166_5495:
	s_or_b64 exec, exec, s[70:71]
	v_mov_b32_e32 v54, 0
	s_and_saveexec_b64 vcc, s[68:69]
.LBB166_5496:
	v_lshrrev_b32_e32 v6, 24, v6
	s_movk_i32 s68, 0x80
	v_and_or_b32 v54, v6, s68, v7
.LBB166_5497:
	s_or_b64 exec, exec, vcc
.LBB166_5498:
	s_or_b64 exec, exec, s[66:67]
	flat_store_byte v[4:5], v54
.LBB166_5499:
	s_or_b64 exec, exec, s[64:65]
	s_or_b64 s[4:5], s[4:5], exec
.LBB166_5500:
	s_or_b64 exec, exec, s[48:49]
	s_andn2_b64 vcc, s[30:31], exec
	s_and_b64 s[48:49], s[54:55], exec
	s_or_b64 s[48:49], vcc, s[48:49]
	s_and_b64 s[4:5], s[4:5], exec
                                        ; implicit-def: $vgpr6
                                        ; implicit-def: $vgpr4_vgpr5
.LBB166_5501:
	s_andn2_saveexec_b64 s[52:53], s[52:53]
	s_cbranch_execz .LBB166_5545
; %bb.5502:
	v_mov_b32_e32 v7, 22
	v_cmp_gt_i16_sdwa vcc, v13, v7 src0_sel:BYTE_0 src1_sel:DWORD
	s_mov_b64 s[64:65], s[4:5]
	s_and_saveexec_b64 s[54:55], vcc
	s_xor_b64 s[54:55], exec, s[54:55]
	s_cbranch_execz .LBB166_5534
; %bb.5503:
	v_mov_b32_e32 v7, 23
	v_cmp_gt_i16_sdwa vcc, v13, v7 src0_sel:BYTE_0 src1_sel:DWORD
	s_and_saveexec_b64 s[64:65], vcc
	s_xor_b64 s[64:65], exec, s[64:65]
	s_cbranch_execz .LBB166_5523
; %bb.5504:
	v_mov_b32_e32 v7, 24
	v_cmp_gt_i16_sdwa vcc, v13, v7 src0_sel:BYTE_0 src1_sel:DWORD
	s_and_saveexec_b64 s[66:67], vcc
	s_xor_b64 s[66:67], exec, s[66:67]
	s_cbranch_execz .LBB166_5512
; %bb.5505:
	v_and_b32_e32 v7, 0x7fffffff, v6
	s_mov_b32 vcc_lo, 0x47800000
	v_cmp_gt_u32_e32 vcc, vcc_lo, v7
	v_mov_b32_e32 v54, 0x80
	s_and_saveexec_b64 s[68:69], vcc
	s_cbranch_execz .LBB166_5511
; %bb.5506:
	s_mov_b32 vcc_lo, 0x37ffffff
	v_cmp_lt_u32_e32 vcc, vcc_lo, v7
	s_mov_b64 s[70:71], 0
                                        ; implicit-def: $vgpr7
	s_and_saveexec_b64 s[80:81], vcc
	s_xor_b64 vcc, exec, s[80:81]
	s_cbranch_execnz .LBB166_7873
; %bb.5507:
	s_andn2_saveexec_b64 s[80:81], vcc
	s_cbranch_execnz .LBB166_7874
.LBB166_5508:
	s_or_b64 exec, exec, s[80:81]
	v_mov_b32_e32 v54, 0
	s_and_saveexec_b64 vcc, s[70:71]
.LBB166_5509:
	v_lshrrev_b32_e32 v6, 24, v6
	s_movk_i32 s70, 0x80
	v_and_or_b32 v54, v6, s70, v7
.LBB166_5510:
	s_or_b64 exec, exec, vcc
.LBB166_5511:
	s_or_b64 exec, exec, s[68:69]
	flat_store_byte v[4:5], v54
                                        ; implicit-def: $vgpr6
                                        ; implicit-def: $vgpr4_vgpr5
.LBB166_5512:
	s_andn2_saveexec_b64 s[66:67], s[66:67]
	s_cbranch_execz .LBB166_5522
; %bb.5513:
	v_and_b32_e32 v54, 0x7fffffff, v6
	s_mov_b32 vcc_lo, 0x43f00000
	v_cmp_gt_u32_e32 vcc, vcc_lo, v54
                                        ; implicit-def: $vgpr7
	s_and_saveexec_b64 s[68:69], vcc
	s_xor_b64 s[68:69], exec, s[68:69]
	s_cbranch_execz .LBB166_5519
; %bb.5514:
	s_mov_b32 vcc_lo, 0x3c7fffff
	v_cmp_lt_u32_e32 vcc, vcc_lo, v54
                                        ; implicit-def: $vgpr7
	s_and_saveexec_b64 s[70:71], vcc
	s_xor_b64 s[70:71], exec, s[70:71]
; %bb.5515:
	v_bfe_u32 v7, v6, 20, 1
	s_mov_b32 vcc_lo, 0x407ffff
	v_add3_u32 v7, v6, v7, vcc_lo
	v_lshrrev_b32_e32 v54, 20, v7
	v_and_b32_e32 v7, 0xff00000, v7
	s_mov_b32 vcc_lo, 0x7f00000
	v_mov_b32_e32 v55, 0x7e
	v_cmp_ne_u32_e32 vcc, vcc_lo, v7
	v_cndmask_b32_e32 v7, v55, v54, vcc
; %bb.5516:
	s_andn2_saveexec_b64 vcc, s[70:71]
; %bb.5517:
	s_mov_b32 s70, 0x46800000
	v_add_f32_e64 v7, |v6|, s70
; %bb.5518:
	s_or_b64 exec, exec, vcc
                                        ; implicit-def: $vgpr54
.LBB166_5519:
	s_andn2_saveexec_b64 s[68:69], s[68:69]
; %bb.5520:
	s_mov_b32 vcc_lo, 0x7f800000
	v_mov_b32_e32 v7, 0x7e
	v_mov_b32_e32 v55, 0x7f
	v_cmp_lt_u32_e32 vcc, vcc_lo, v54
	v_cndmask_b32_e32 v7, v7, v55, vcc
; %bb.5521:
	s_or_b64 exec, exec, s[68:69]
	v_lshrrev_b32_e32 v6, 24, v6
	s_movk_i32 vcc_lo, 0x80
	v_and_or_b32 v6, v6, vcc_lo, v7
	flat_store_byte v[4:5], v6
.LBB166_5522:
	s_or_b64 exec, exec, s[66:67]
                                        ; implicit-def: $vgpr6
                                        ; implicit-def: $vgpr4_vgpr5
.LBB166_5523:
	s_andn2_saveexec_b64 s[64:65], s[64:65]
	s_cbranch_execz .LBB166_5533
; %bb.5524:
	v_and_b32_e32 v54, 0x7fffffff, v6
	s_mov_b32 vcc_lo, 0x47800000
	v_cmp_gt_u32_e32 vcc, vcc_lo, v54
                                        ; implicit-def: $vgpr7
	s_and_saveexec_b64 s[66:67], vcc
	s_xor_b64 s[66:67], exec, s[66:67]
	s_cbranch_execz .LBB166_5530
; %bb.5525:
	s_mov_b32 vcc_lo, 0x387fffff
	v_cmp_lt_u32_e32 vcc, vcc_lo, v54
                                        ; implicit-def: $vgpr7
	s_and_saveexec_b64 s[68:69], vcc
	s_xor_b64 vcc, exec, s[68:69]
; %bb.5526:
	v_bfe_u32 v7, v6, 21, 1
	s_mov_b32 s68, 0x80fffff
	v_add3_u32 v7, v6, v7, s68
	v_lshrrev_b32_e32 v7, 21, v7
; %bb.5527:
	s_andn2_saveexec_b64 vcc, vcc
; %bb.5528:
	s_mov_b32 s68, 0x43000000
	v_add_f32_e64 v7, |v6|, s68
; %bb.5529:
	s_or_b64 exec, exec, vcc
                                        ; implicit-def: $vgpr54
.LBB166_5530:
	s_andn2_saveexec_b64 s[66:67], s[66:67]
; %bb.5531:
	s_mov_b32 vcc_lo, 0x7f800000
	v_mov_b32_e32 v7, 0x7c
	v_mov_b32_e32 v55, 0x7f
	v_cmp_lt_u32_e32 vcc, vcc_lo, v54
	v_cndmask_b32_e32 v7, v7, v55, vcc
; %bb.5532:
	s_or_b64 exec, exec, s[66:67]
	v_lshrrev_b32_e32 v6, 24, v6
	s_movk_i32 vcc_lo, 0x80
	v_and_or_b32 v6, v6, vcc_lo, v7
	flat_store_byte v[4:5], v6
.LBB166_5533:
	s_or_b64 exec, exec, s[64:65]
	s_or_b64 s[64:65], s[4:5], exec
                                        ; implicit-def: $vgpr6
                                        ; implicit-def: $vgpr4_vgpr5
.LBB166_5534:
	s_or_saveexec_b64 s[54:55], s[54:55]
	s_mov_b64 vcc, s[48:49]
	s_xor_b64 exec, exec, s[54:55]
	s_cbranch_execz .LBB166_5544
; %bb.5535:
	v_mov_b32_e32 v7, 14
	v_cmp_gt_i16_sdwa vcc, v13, v7 src0_sel:BYTE_0 src1_sel:DWORD
	s_mov_b64 s[66:67], s[64:65]
	s_mov_b64 s[68:69], s[48:49]
	s_and_saveexec_b64 s[70:71], vcc
	s_xor_b64 s[70:71], exec, s[70:71]
	s_cbranch_execz .LBB166_5539
; %bb.5536:
	v_mov_b32_e32 v7, 15
	v_cmp_eq_u16_sdwa s[80:81], v13, v7 src0_sel:BYTE_0 src1_sel:DWORD
	s_mov_b64 s[68:69], -1
	s_mov_b64 vcc, s[64:65]
	s_and_saveexec_b64 s[66:67], s[80:81]
	s_cbranch_execz .LBB166_5538
; %bb.5537:
	v_bfe_u32 v7, v6, 16, 1
	s_movk_i32 vcc_lo, 0x7fff
	v_add3_u32 v7, v6, v7, vcc_lo
	v_cmp_o_f32_e32 vcc, v6, v6
	v_mov_b32_e32 v6, 0x7fc0
	v_cndmask_b32_sdwa v6, v6, v7, vcc dst_sel:DWORD dst_unused:UNUSED_PAD src0_sel:DWORD src1_sel:WORD_1
	flat_store_short v[4:5], v6
	s_xor_b64 s[68:69], exec, -1
	s_or_b64 vcc, s[64:65], exec
.LBB166_5538:
	s_or_b64 exec, exec, s[66:67]
	s_andn2_b64 s[66:67], s[48:49], exec
	s_and_b64 s[68:69], s[68:69], exec
	s_or_b64 s[68:69], s[66:67], s[68:69]
	s_andn2_b64 s[66:67], s[64:65], exec
	s_and_b64 vcc, vcc, exec
	s_or_b64 s[66:67], s[66:67], vcc
                                        ; implicit-def: $vgpr6
                                        ; implicit-def: $vgpr4_vgpr5
.LBB166_5539:
	s_andn2_saveexec_b64 s[70:71], s[70:71]
	s_cbranch_execz .LBB166_5543
; %bb.5540:
	v_mov_b32_e32 v7, 11
	v_cmp_eq_u16_sdwa s[84:85], v13, v7 src0_sel:BYTE_0 src1_sel:DWORD
	s_mov_b64 s[80:81], -1
	s_mov_b64 vcc, s[66:67]
	s_and_saveexec_b64 s[82:83], s[84:85]
	s_cbranch_execz .LBB166_5542
; %bb.5541:
	v_cmp_neq_f32_e32 vcc, 0, v6
	v_cndmask_b32_e64 v6, 0, 1, vcc
	flat_store_byte v[4:5], v6
	s_xor_b64 s[80:81], exec, -1
	s_or_b64 vcc, s[66:67], exec
.LBB166_5542:
	s_or_b64 exec, exec, s[82:83]
	s_andn2_b64 s[68:69], s[68:69], exec
	s_and_b64 s[80:81], s[80:81], exec
	s_andn2_b64 s[66:67], s[66:67], exec
	s_and_b64 vcc, vcc, exec
	s_or_b64 s[68:69], s[68:69], s[80:81]
	s_or_b64 s[66:67], s[66:67], vcc
.LBB166_5543:
	s_or_b64 exec, exec, s[70:71]
	s_andn2_b64 vcc, s[48:49], exec
	s_and_b64 s[68:69], s[68:69], exec
	s_andn2_b64 s[64:65], s[64:65], exec
	s_and_b64 s[66:67], s[66:67], exec
	s_or_b64 vcc, vcc, s[68:69]
	s_or_b64 s[64:65], s[64:65], s[66:67]
.LBB166_5544:
	s_or_b64 exec, exec, s[54:55]
	s_andn2_b64 s[48:49], s[48:49], exec
	s_and_b64 vcc, vcc, exec
	s_or_b64 s[48:49], s[48:49], vcc
	s_andn2_b64 s[4:5], s[4:5], exec
	s_and_b64 vcc, s[64:65], exec
	s_or_b64 s[4:5], s[4:5], vcc
.LBB166_5545:
	s_or_b64 exec, exec, s[52:53]
	s_andn2_b64 vcc, s[30:31], exec
	s_and_b64 s[48:49], s[48:49], exec
	s_or_b64 s[48:49], vcc, s[48:49]
	s_and_b64 s[4:5], s[4:5], exec
                                        ; implicit-def: $vgpr6
                                        ; implicit-def: $vgpr4_vgpr5
.LBB166_5546:
	s_andn2_saveexec_b64 s[36:37], s[36:37]
	s_cbranch_execz .LBB166_5588
; %bb.5547:
	v_mov_b32_e32 v7, 4
	v_cmp_gt_i16_sdwa vcc, v13, v7 src0_sel:BYTE_0 src1_sel:DWORD
	s_and_saveexec_b64 s[52:53], vcc
	s_xor_b64 vcc, exec, s[52:53]
	s_cbranch_execz .LBB166_5569
; %bb.5548:
	v_mov_b32_e32 v7, 7
	v_cmp_gt_i16_sdwa s[52:53], v13, v7 src0_sel:BYTE_0 src1_sel:DWORD
	s_and_saveexec_b64 s[54:55], s[52:53]
	s_xor_b64 s[52:53], exec, s[54:55]
	s_cbranch_execz .LBB166_5558
; %bb.5549:
	v_mov_b32_e32 v7, 8
	v_cmp_gt_i16_sdwa s[54:55], v13, v7 src0_sel:BYTE_0 src1_sel:DWORD
	s_and_saveexec_b64 s[64:65], s[54:55]
	s_xor_b64 s[54:55], exec, s[64:65]
	;; [unrolled: 6-line block ×3, first 2 shown]
	s_cbranch_execz .LBB166_5552
; %bb.5551:
	v_cvt_f64_f32_e32 v[64:65], v6
	v_mov_b32_e32 v66, 0
	v_mov_b32_e32 v67, v66
                                        ; implicit-def: $vgpr6
	flat_store_dwordx4 v[4:5], v[64:67]
                                        ; implicit-def: $vgpr4_vgpr5
.LBB166_5552:
	s_andn2_saveexec_b64 s[64:65], s[64:65]
	s_cbranch_execz .LBB166_5554
; %bb.5553:
	v_mov_b32_e32 v7, 0
	flat_store_dwordx2 v[4:5], v[6:7]
.LBB166_5554:
	s_or_b64 exec, exec, s[64:65]
                                        ; implicit-def: $vgpr6
                                        ; implicit-def: $vgpr4_vgpr5
.LBB166_5555:
	s_andn2_saveexec_b64 s[54:55], s[54:55]
	s_cbranch_execz .LBB166_5557
; %bb.5556:
	v_cvt_f16_f32_e32 v6, v6
	flat_store_dword v[4:5], v6
.LBB166_5557:
	s_or_b64 exec, exec, s[54:55]
                                        ; implicit-def: $vgpr6
                                        ; implicit-def: $vgpr4_vgpr5
.LBB166_5558:
	s_andn2_saveexec_b64 s[52:53], s[52:53]
	s_cbranch_execz .LBB166_5568
; %bb.5559:
	v_mov_b32_e32 v7, 5
	v_cmp_gt_i16_sdwa s[54:55], v13, v7 src0_sel:BYTE_0 src1_sel:DWORD
	s_and_saveexec_b64 s[64:65], s[54:55]
	s_xor_b64 s[54:55], exec, s[64:65]
	s_cbranch_execz .LBB166_5565
; %bb.5560:
	v_mov_b32_e32 v7, 6
	v_cmp_gt_i16_sdwa s[64:65], v13, v7 src0_sel:BYTE_0 src1_sel:DWORD
	s_and_saveexec_b64 s[66:67], s[64:65]
	s_xor_b64 s[64:65], exec, s[66:67]
	s_cbranch_execz .LBB166_5562
; %bb.5561:
	v_cvt_f64_f32_e32 v[6:7], v6
	flat_store_dwordx2 v[4:5], v[6:7]
                                        ; implicit-def: $vgpr4_vgpr5
                                        ; implicit-def: $vgpr6
.LBB166_5562:
	s_andn2_saveexec_b64 s[64:65], s[64:65]
	s_cbranch_execz .LBB166_5564
; %bb.5563:
	flat_store_dword v[4:5], v6
.LBB166_5564:
	s_or_b64 exec, exec, s[64:65]
                                        ; implicit-def: $vgpr6
                                        ; implicit-def: $vgpr4_vgpr5
.LBB166_5565:
	s_andn2_saveexec_b64 s[54:55], s[54:55]
	s_cbranch_execz .LBB166_5567
; %bb.5566:
	v_cvt_f16_f32_e32 v6, v6
	flat_store_short v[4:5], v6
.LBB166_5567:
	s_or_b64 exec, exec, s[54:55]
.LBB166_5568:
	s_or_b64 exec, exec, s[52:53]
                                        ; implicit-def: $vgpr6
                                        ; implicit-def: $vgpr4_vgpr5
.LBB166_5569:
	s_andn2_saveexec_b64 s[52:53], vcc
	s_cbranch_execz .LBB166_5587
; %bb.5570:
	v_mov_b32_e32 v7, 1
	v_cmp_gt_i16_sdwa vcc, v13, v7 src0_sel:BYTE_0 src1_sel:DWORD
	s_and_saveexec_b64 s[54:55], vcc
	s_xor_b64 s[54:55], exec, s[54:55]
	s_cbranch_execz .LBB166_5580
; %bb.5571:
	v_mov_b32_e32 v7, 2
	v_cmp_gt_i16_sdwa vcc, v13, v7 src0_sel:BYTE_0 src1_sel:DWORD
	s_and_saveexec_b64 s[64:65], vcc
	s_xor_b64 s[64:65], exec, s[64:65]
	;; [unrolled: 6-line block ×3, first 2 shown]
	s_cbranch_execz .LBB166_5574
; %bb.5573:
	v_trunc_f32_e32 v6, v6
	s_mov_b32 s68, 0x2f800000
	v_mul_f32_e64 v7, |v6|, s68
	v_floor_f32_e32 v7, v7
	s_mov_b32 s68, 0xcf800000
	v_cvt_u32_f32_e32 v54, v7
	v_fma_f32 v7, v7, s68, |v6|
	v_cvt_u32_f32_e32 v7, v7
	v_ashrrev_i32_e32 v55, 31, v6
	v_xor_b32_e32 v54, v54, v55
	v_xor_b32_e32 v6, v7, v55
	v_sub_co_u32_e32 v6, vcc, v6, v55
	v_subb_co_u32_e32 v7, vcc, v54, v55, vcc
	flat_store_dwordx2 v[4:5], v[6:7]
                                        ; implicit-def: $vgpr6
                                        ; implicit-def: $vgpr4_vgpr5
.LBB166_5574:
	s_andn2_saveexec_b64 vcc, s[66:67]
	s_cbranch_execz .LBB166_5576
; %bb.5575:
	v_cvt_i32_f32_e32 v6, v6
	flat_store_dword v[4:5], v6
.LBB166_5576:
	s_or_b64 exec, exec, vcc
                                        ; implicit-def: $vgpr6
                                        ; implicit-def: $vgpr4_vgpr5
.LBB166_5577:
	s_andn2_saveexec_b64 vcc, s[64:65]
	s_cbranch_execz .LBB166_5579
; %bb.5578:
	v_cvt_i32_f32_e32 v6, v6
	flat_store_short v[4:5], v6
.LBB166_5579:
	s_or_b64 exec, exec, vcc
                                        ; implicit-def: $vgpr6
                                        ; implicit-def: $vgpr4_vgpr5
.LBB166_5580:
	s_andn2_saveexec_b64 vcc, s[54:55]
	s_cbranch_execz .LBB166_5586
; %bb.5581:
	v_mov_b32_e32 v7, 0
	v_cmp_gt_i16_sdwa s[54:55], v13, v7 src0_sel:BYTE_0 src1_sel:DWORD
	s_and_saveexec_b64 s[64:65], s[54:55]
	s_xor_b64 s[54:55], exec, s[64:65]
	s_cbranch_execz .LBB166_5583
; %bb.5582:
	v_cvt_i32_f32_e32 v6, v6
	flat_store_byte v[4:5], v6
                                        ; implicit-def: $vgpr6
                                        ; implicit-def: $vgpr4_vgpr5
.LBB166_5583:
	s_andn2_saveexec_b64 s[54:55], s[54:55]
	s_cbranch_execz .LBB166_5585
; %bb.5584:
	v_trunc_f32_e32 v6, v6
	s_mov_b32 s64, 0x2f800000
	v_mul_f32_e64 v7, |v6|, s64
	v_floor_f32_e32 v7, v7
	s_mov_b32 s64, 0xcf800000
	v_fma_f32 v7, v7, s64, |v6|
	v_cvt_u32_f32_e32 v7, v7
	v_ashrrev_i32_e32 v6, 31, v6
	v_xor_b32_e32 v7, v7, v6
	v_sub_u32_e32 v6, v7, v6
	flat_store_byte v[4:5], v6
.LBB166_5585:
	s_or_b64 exec, exec, s[54:55]
.LBB166_5586:
	s_or_b64 exec, exec, vcc
.LBB166_5587:
	s_or_b64 exec, exec, s[52:53]
	s_or_b64 s[4:5], s[4:5], exec
.LBB166_5588:
	s_or_b64 exec, exec, s[36:37]
	s_mov_b64 s[52:53], 0
	s_mov_b64 vcc, 0
	s_and_saveexec_b64 s[36:37], s[4:5]
; %bb.5589:
	v_add_u32_e32 v17, 0x200, v17
	v_cmp_lt_i32_e32 vcc, v17, v8
	s_mov_b64 s[52:53], exec
	s_and_b64 vcc, vcc, exec
; %bb.5590:
	s_or_b64 exec, exec, s[36:37]
	s_andn2_b64 s[4:5], s[30:31], exec
	s_and_b64 s[36:37], s[48:49], exec
	s_and_b64 vcc, vcc, exec
	s_or_b64 s[36:37], s[4:5], s[36:37]
	s_orn2_b64 s[48:49], s[52:53], exec
.LBB166_5591:
	s_or_b64 exec, exec, s[38:39]
	s_mov_b64 s[4:5], 0
	s_mov_b64 s[52:53], 0
                                        ; implicit-def: $vgpr4
                                        ; implicit-def: $vgpr112
                                        ; implicit-def: $vgpr6_vgpr7
	s_and_saveexec_b64 s[38:39], s[48:49]
	s_cbranch_execz .LBB166_7753
; %bb.5592:
	s_mov_b64 s[52:53], -1
	s_mov_b64 s[54:55], 0
	v_writelane_b32 v41, s36, 0
	v_writelane_b32 v41, s37, 1
	s_and_saveexec_b64 s[50:51], vcc
	s_cbranch_execz .LBB166_5720
; %bb.5593:
	v_readlane_b32 s4, v41, 2
	v_add_u32_e32 v4, s4, v17
	v_mul_lo_u32 v4, v4, v14
	v_mov_b32_e32 v7, 10
	s_mov_b64 s[4:5], 0
	s_mov_b64 s[52:53], s[36:37]
	v_add_co_u32_e32 v4, vcc, v2, v4
	v_addc_co_u32_e32 v5, vcc, 0, v3, vcc
	s_waitcnt vmcnt(0)
	v_cmp_nle_f32_e32 vcc, v53, v0
	v_cndmask_b32_e32 v6, v1, v52, vcc
	v_cmp_gt_i16_sdwa vcc, v13, v7 src0_sel:BYTE_0 src1_sel:DWORD
	s_and_saveexec_b64 s[48:49], vcc
	s_xor_b64 s[48:49], exec, s[48:49]
	s_cbranch_execz .LBB166_5675
; %bb.5594:
	v_mov_b32_e32 v7, 25
	v_cmp_gt_i16_sdwa vcc, v13, v7 src0_sel:BYTE_0 src1_sel:DWORD
	s_mov_b64 s[52:53], s[36:37]
	s_and_saveexec_b64 s[64:65], vcc
	s_xor_b64 s[64:65], exec, s[64:65]
	s_cbranch_execz .LBB166_5630
; %bb.5595:
	v_mov_b32_e32 v7, 28
	v_cmp_gt_i16_sdwa vcc, v13, v7 src0_sel:BYTE_0 src1_sel:DWORD
	s_mov_b64 s[66:67], s[36:37]
	s_and_saveexec_b64 s[52:53], vcc
	s_xor_b64 s[52:53], exec, s[52:53]
	s_cbranch_execz .LBB166_5613
; %bb.5596:
	v_mov_b32_e32 v7, 43
	v_cmp_gt_i16_sdwa s[66:67], v13, v7 src0_sel:BYTE_0 src1_sel:DWORD
	s_mov_b64 vcc, s[36:37]
	s_and_saveexec_b64 s[68:69], s[66:67]
	s_xor_b64 s[66:67], exec, s[68:69]
	s_cbranch_execz .LBB166_5608
; %bb.5597:
	v_mov_b32_e32 v7, 45
	v_cmp_gt_i16_sdwa s[4:5], v13, v7 src0_sel:BYTE_0 src1_sel:DWORD
	s_mov_b64 s[68:69], 0
	s_mov_b64 s[70:71], s[36:37]
	s_and_saveexec_b64 vcc, s[4:5]
	s_xor_b64 s[4:5], exec, vcc
	s_cbranch_execz .LBB166_5601
; %bb.5598:
	v_mov_b32_e32 v7, 46
	v_cmp_eq_u16_sdwa s[80:81], v13, v7 src0_sel:BYTE_0 src1_sel:DWORD
	s_mov_b64 vcc, -1
	s_and_saveexec_b64 s[70:71], s[80:81]
	s_cbranch_execz .LBB166_5600
; %bb.5599:
	v_bfe_u32 v7, v6, 16, 1
	s_movk_i32 vcc_lo, 0x7fff
	v_add3_u32 v7, v6, v7, vcc_lo
	v_cmp_o_f32_e32 vcc, v6, v6
	v_mov_b32_e32 v6, 0x7fc0
	v_cndmask_b32_sdwa v6, v6, v7, vcc dst_sel:DWORD dst_unused:UNUSED_PAD src0_sel:DWORD src1_sel:WORD_1
	s_mov_b64 s[68:69], exec
	flat_store_dword v[4:5], v6
	s_xor_b64 vcc, exec, -1
.LBB166_5600:
	s_or_b64 exec, exec, s[70:71]
	s_andn2_b64 s[70:71], s[36:37], exec
	s_and_b64 vcc, vcc, exec
	s_or_b64 s[70:71], s[70:71], vcc
	s_and_b64 s[68:69], s[68:69], exec
                                        ; implicit-def: $vgpr4_vgpr5
                                        ; implicit-def: $vgpr6
.LBB166_5601:
	s_andn2_saveexec_b64 s[80:81], s[4:5]
	s_cbranch_execz .LBB166_5607
; %bb.5602:
	v_mov_b32_e32 v7, 44
	v_cmp_eq_u16_sdwa s[84:85], v13, v7 src0_sel:BYTE_0 src1_sel:DWORD
	s_mov_b64 vcc, -1
	s_mov_b64 s[4:5], s[68:69]
	s_and_saveexec_b64 s[82:83], s[84:85]
	s_cbranch_execz .LBB166_5606
; %bb.5603:
	v_bfe_u32 v7, v6, 23, 8
	s_movk_i32 s4, 0xff
	v_cmp_ne_u32_e32 vcc, s4, v7
	v_mov_b32_e32 v52, 0xff
	s_and_saveexec_b64 s[84:85], vcc
; %bb.5604:
	s_mov_b32 s4, 0x3fffff
	v_lshrrev_b32_e32 v52, 23, v6
	v_and_b32_e32 v53, 0x400000, v6
	v_and_or_b32 v6, v6, s4, v7
	v_cmp_ne_u32_e32 vcc, 0, v53
	v_cmp_ne_u32_e64 s[4:5], 0, v6
	s_and_b64 s[4:5], vcc, s[4:5]
	v_cndmask_b32_e64 v6, 0, 1, s[4:5]
	v_add_u32_e32 v52, v52, v6
; %bb.5605:
	s_or_b64 exec, exec, s[84:85]
	s_xor_b64 vcc, exec, -1
	s_or_b64 s[4:5], s[68:69], exec
	flat_store_byte v[4:5], v52
.LBB166_5606:
	s_or_b64 exec, exec, s[82:83]
	s_andn2_b64 s[70:71], s[70:71], exec
	s_and_b64 vcc, vcc, exec
	s_or_b64 s[70:71], s[70:71], vcc
	s_andn2_b64 vcc, s[68:69], exec
	s_and_b64 s[4:5], s[4:5], exec
	s_or_b64 s[68:69], vcc, s[4:5]
.LBB166_5607:
	s_or_b64 exec, exec, s[80:81]
	s_andn2_b64 s[4:5], s[36:37], exec
	s_and_b64 vcc, s[70:71], exec
	s_or_b64 vcc, s[4:5], vcc
	s_and_b64 s[4:5], s[68:69], exec
                                        ; implicit-def: $vgpr6
                                        ; implicit-def: $vgpr4_vgpr5
.LBB166_5608:
	s_andn2_saveexec_b64 s[66:67], s[66:67]
	s_cbranch_execz .LBB166_5612
; %bb.5609:
	v_mov_b32_e32 v7, 29
	v_cmp_eq_u16_sdwa s[82:83], v13, v7 src0_sel:BYTE_0 src1_sel:DWORD
	s_mov_b64 s[80:81], -1
	s_mov_b64 s[70:71], s[4:5]
	s_and_saveexec_b64 s[68:69], s[82:83]
	s_cbranch_execz .LBB166_5611
; %bb.5610:
	v_trunc_f32_e32 v6, v6
	v_mul_f32_e32 v7, 0x2f800000, v6
	v_floor_f32_e32 v52, v7
	v_fmac_f32_e32 v6, 0xcf800000, v52
	v_cvt_u32_f32_e32 v7, v52
	v_cvt_u32_f32_e32 v6, v6
	s_xor_b64 s[80:81], exec, -1
	s_or_b64 s[70:71], s[4:5], exec
	flat_store_dwordx2 v[4:5], v[6:7]
.LBB166_5611:
	s_or_b64 exec, exec, s[68:69]
	s_andn2_b64 vcc, vcc, exec
	s_and_b64 s[68:69], s[80:81], exec
	s_or_b64 vcc, vcc, s[68:69]
	s_andn2_b64 s[4:5], s[4:5], exec
	s_and_b64 s[68:69], s[70:71], exec
	s_or_b64 s[4:5], s[4:5], s[68:69]
.LBB166_5612:
	s_or_b64 exec, exec, s[66:67]
	s_andn2_b64 s[66:67], s[36:37], exec
	s_and_b64 vcc, vcc, exec
	s_or_b64 s[66:67], s[66:67], vcc
	s_and_b64 s[4:5], s[4:5], exec
                                        ; implicit-def: $vgpr4_vgpr5
                                        ; implicit-def: $vgpr6
.LBB166_5613:
	s_andn2_saveexec_b64 s[52:53], s[52:53]
	s_cbranch_execz .LBB166_5629
; %bb.5614:
	v_mov_b32_e32 v7, 26
	v_cmp_gt_i16_sdwa vcc, v13, v7 src0_sel:BYTE_0 src1_sel:DWORD
	s_and_saveexec_b64 s[68:69], vcc
	s_xor_b64 vcc, exec, s[68:69]
	s_cbranch_execz .LBB166_5620
; %bb.5615:
	v_cvt_u32_f32_e32 v6, v6
	v_mov_b32_e32 v7, 27
	v_cmp_gt_i16_sdwa s[68:69], v13, v7 src0_sel:BYTE_0 src1_sel:DWORD
	s_and_saveexec_b64 s[70:71], s[68:69]
	s_xor_b64 s[68:69], exec, s[70:71]
	s_cbranch_execz .LBB166_5617
; %bb.5616:
	flat_store_dword v[4:5], v6
                                        ; implicit-def: $vgpr4_vgpr5
                                        ; implicit-def: $vgpr6
.LBB166_5617:
	s_andn2_saveexec_b64 s[68:69], s[68:69]
	s_cbranch_execz .LBB166_5619
; %bb.5618:
	flat_store_short v[4:5], v6
.LBB166_5619:
	s_or_b64 exec, exec, s[68:69]
                                        ; implicit-def: $vgpr4_vgpr5
                                        ; implicit-def: $vgpr6
.LBB166_5620:
	s_andn2_saveexec_b64 s[68:69], vcc
	s_cbranch_execz .LBB166_5628
; %bb.5621:
	v_and_b32_e32 v7, 0x7fffffff, v6
	s_mov_b32 vcc_lo, 0x43800000
	v_cmp_gt_u32_e32 vcc, vcc_lo, v7
	v_mov_b32_e32 v52, 0x80
	s_and_saveexec_b64 s[70:71], vcc
	s_cbranch_execz .LBB166_5627
; %bb.5622:
	s_mov_b32 vcc_lo, 0x3bffffff
	v_cmp_lt_u32_e32 vcc, vcc_lo, v7
	s_mov_b64 s[80:81], 0
                                        ; implicit-def: $vgpr7
	s_and_saveexec_b64 s[82:83], vcc
	s_xor_b64 vcc, exec, s[82:83]
	s_cbranch_execnz .LBB166_7875
; %bb.5623:
	s_andn2_saveexec_b64 s[82:83], vcc
	s_cbranch_execnz .LBB166_7876
.LBB166_5624:
	s_or_b64 exec, exec, s[82:83]
	v_mov_b32_e32 v52, 0
	s_and_saveexec_b64 vcc, s[80:81]
.LBB166_5625:
	v_lshrrev_b32_e32 v6, 24, v6
	s_movk_i32 s80, 0x80
	v_and_or_b32 v52, v6, s80, v7
.LBB166_5626:
	s_or_b64 exec, exec, vcc
.LBB166_5627:
	s_or_b64 exec, exec, s[70:71]
	flat_store_byte v[4:5], v52
.LBB166_5628:
	s_or_b64 exec, exec, s[68:69]
	s_or_b64 s[4:5], s[4:5], exec
.LBB166_5629:
	s_or_b64 exec, exec, s[52:53]
	s_andn2_b64 vcc, s[36:37], exec
	s_and_b64 s[52:53], s[66:67], exec
	s_or_b64 s[52:53], vcc, s[52:53]
	s_and_b64 s[4:5], s[4:5], exec
                                        ; implicit-def: $vgpr6
                                        ; implicit-def: $vgpr4_vgpr5
.LBB166_5630:
	s_andn2_saveexec_b64 s[64:65], s[64:65]
	s_cbranch_execz .LBB166_5674
; %bb.5631:
	v_mov_b32_e32 v7, 22
	v_cmp_gt_i16_sdwa vcc, v13, v7 src0_sel:BYTE_0 src1_sel:DWORD
	s_mov_b64 s[68:69], s[4:5]
	s_and_saveexec_b64 s[66:67], vcc
	s_xor_b64 s[66:67], exec, s[66:67]
	s_cbranch_execz .LBB166_5663
; %bb.5632:
	v_mov_b32_e32 v7, 23
	v_cmp_gt_i16_sdwa vcc, v13, v7 src0_sel:BYTE_0 src1_sel:DWORD
	s_and_saveexec_b64 s[68:69], vcc
	s_xor_b64 s[68:69], exec, s[68:69]
	s_cbranch_execz .LBB166_5652
; %bb.5633:
	v_mov_b32_e32 v7, 24
	v_cmp_gt_i16_sdwa vcc, v13, v7 src0_sel:BYTE_0 src1_sel:DWORD
	s_and_saveexec_b64 s[70:71], vcc
	s_xor_b64 s[70:71], exec, s[70:71]
	s_cbranch_execz .LBB166_5641
; %bb.5634:
	v_and_b32_e32 v7, 0x7fffffff, v6
	s_mov_b32 vcc_lo, 0x47800000
	v_cmp_gt_u32_e32 vcc, vcc_lo, v7
	v_mov_b32_e32 v52, 0x80
	s_and_saveexec_b64 s[80:81], vcc
	s_cbranch_execz .LBB166_5640
; %bb.5635:
	s_mov_b32 vcc_lo, 0x37ffffff
	v_cmp_lt_u32_e32 vcc, vcc_lo, v7
	s_mov_b64 s[82:83], 0
                                        ; implicit-def: $vgpr7
	s_and_saveexec_b64 s[84:85], vcc
	s_xor_b64 vcc, exec, s[84:85]
	s_cbranch_execnz .LBB166_7877
; %bb.5636:
	s_andn2_saveexec_b64 s[84:85], vcc
	s_cbranch_execnz .LBB166_7878
.LBB166_5637:
	s_or_b64 exec, exec, s[84:85]
	v_mov_b32_e32 v52, 0
	s_and_saveexec_b64 vcc, s[82:83]
.LBB166_5638:
	v_lshrrev_b32_e32 v6, 24, v6
	s_movk_i32 s82, 0x80
	v_and_or_b32 v52, v6, s82, v7
.LBB166_5639:
	s_or_b64 exec, exec, vcc
.LBB166_5640:
	s_or_b64 exec, exec, s[80:81]
	flat_store_byte v[4:5], v52
                                        ; implicit-def: $vgpr6
                                        ; implicit-def: $vgpr4_vgpr5
.LBB166_5641:
	s_andn2_saveexec_b64 s[70:71], s[70:71]
	s_cbranch_execz .LBB166_5651
; %bb.5642:
	v_and_b32_e32 v52, 0x7fffffff, v6
	s_mov_b32 vcc_lo, 0x43f00000
	v_cmp_gt_u32_e32 vcc, vcc_lo, v52
                                        ; implicit-def: $vgpr7
	s_and_saveexec_b64 s[80:81], vcc
	s_xor_b64 s[80:81], exec, s[80:81]
	s_cbranch_execz .LBB166_5648
; %bb.5643:
	s_mov_b32 vcc_lo, 0x3c7fffff
	v_cmp_lt_u32_e32 vcc, vcc_lo, v52
                                        ; implicit-def: $vgpr7
	s_and_saveexec_b64 s[82:83], vcc
	s_xor_b64 s[82:83], exec, s[82:83]
; %bb.5644:
	v_bfe_u32 v7, v6, 20, 1
	s_mov_b32 vcc_lo, 0x407ffff
	v_add3_u32 v7, v6, v7, vcc_lo
	v_lshrrev_b32_e32 v52, 20, v7
	v_and_b32_e32 v7, 0xff00000, v7
	s_mov_b32 vcc_lo, 0x7f00000
	v_mov_b32_e32 v53, 0x7e
	v_cmp_ne_u32_e32 vcc, vcc_lo, v7
	v_cndmask_b32_e32 v7, v53, v52, vcc
; %bb.5645:
	s_andn2_saveexec_b64 vcc, s[82:83]
; %bb.5646:
	s_mov_b32 s82, 0x46800000
	v_add_f32_e64 v7, |v6|, s82
; %bb.5647:
	s_or_b64 exec, exec, vcc
                                        ; implicit-def: $vgpr52
.LBB166_5648:
	s_andn2_saveexec_b64 s[80:81], s[80:81]
; %bb.5649:
	s_mov_b32 vcc_lo, 0x7f800000
	v_mov_b32_e32 v7, 0x7e
	v_mov_b32_e32 v53, 0x7f
	v_cmp_lt_u32_e32 vcc, vcc_lo, v52
	v_cndmask_b32_e32 v7, v7, v53, vcc
; %bb.5650:
	s_or_b64 exec, exec, s[80:81]
	v_lshrrev_b32_e32 v6, 24, v6
	s_movk_i32 vcc_lo, 0x80
	v_and_or_b32 v6, v6, vcc_lo, v7
	flat_store_byte v[4:5], v6
.LBB166_5651:
	s_or_b64 exec, exec, s[70:71]
                                        ; implicit-def: $vgpr6
                                        ; implicit-def: $vgpr4_vgpr5
.LBB166_5652:
	s_andn2_saveexec_b64 s[68:69], s[68:69]
	s_cbranch_execz .LBB166_5662
; %bb.5653:
	v_and_b32_e32 v52, 0x7fffffff, v6
	s_mov_b32 vcc_lo, 0x47800000
	v_cmp_gt_u32_e32 vcc, vcc_lo, v52
                                        ; implicit-def: $vgpr7
	s_and_saveexec_b64 s[70:71], vcc
	s_xor_b64 s[70:71], exec, s[70:71]
	s_cbranch_execz .LBB166_5659
; %bb.5654:
	s_mov_b32 vcc_lo, 0x387fffff
	v_cmp_lt_u32_e32 vcc, vcc_lo, v52
                                        ; implicit-def: $vgpr7
	s_and_saveexec_b64 s[80:81], vcc
	s_xor_b64 vcc, exec, s[80:81]
; %bb.5655:
	v_bfe_u32 v7, v6, 21, 1
	s_mov_b32 s80, 0x80fffff
	v_add3_u32 v7, v6, v7, s80
	v_lshrrev_b32_e32 v7, 21, v7
; %bb.5656:
	s_andn2_saveexec_b64 vcc, vcc
; %bb.5657:
	s_mov_b32 s80, 0x43000000
	v_add_f32_e64 v7, |v6|, s80
; %bb.5658:
	s_or_b64 exec, exec, vcc
                                        ; implicit-def: $vgpr52
.LBB166_5659:
	s_andn2_saveexec_b64 s[70:71], s[70:71]
; %bb.5660:
	s_mov_b32 vcc_lo, 0x7f800000
	v_mov_b32_e32 v7, 0x7c
	v_mov_b32_e32 v53, 0x7f
	v_cmp_lt_u32_e32 vcc, vcc_lo, v52
	v_cndmask_b32_e32 v7, v7, v53, vcc
; %bb.5661:
	s_or_b64 exec, exec, s[70:71]
	v_lshrrev_b32_e32 v6, 24, v6
	s_movk_i32 vcc_lo, 0x80
	v_and_or_b32 v6, v6, vcc_lo, v7
	flat_store_byte v[4:5], v6
.LBB166_5662:
	s_or_b64 exec, exec, s[68:69]
	s_or_b64 s[68:69], s[4:5], exec
                                        ; implicit-def: $vgpr6
                                        ; implicit-def: $vgpr4_vgpr5
.LBB166_5663:
	s_or_saveexec_b64 s[66:67], s[66:67]
	s_mov_b64 vcc, s[52:53]
	s_xor_b64 exec, exec, s[66:67]
	s_cbranch_execz .LBB166_5673
; %bb.5664:
	v_mov_b32_e32 v7, 14
	v_cmp_gt_i16_sdwa vcc, v13, v7 src0_sel:BYTE_0 src1_sel:DWORD
	s_mov_b64 s[70:71], s[68:69]
	s_mov_b64 s[80:81], s[52:53]
	s_and_saveexec_b64 s[82:83], vcc
	s_xor_b64 s[82:83], exec, s[82:83]
	s_cbranch_execz .LBB166_5668
; %bb.5665:
	v_mov_b32_e32 v7, 15
	v_cmp_eq_u16_sdwa s[84:85], v13, v7 src0_sel:BYTE_0 src1_sel:DWORD
	s_mov_b64 s[80:81], -1
	s_mov_b64 vcc, s[68:69]
	s_and_saveexec_b64 s[70:71], s[84:85]
	s_cbranch_execz .LBB166_5667
; %bb.5666:
	v_bfe_u32 v7, v6, 16, 1
	s_movk_i32 vcc_lo, 0x7fff
	v_add3_u32 v7, v6, v7, vcc_lo
	v_cmp_o_f32_e32 vcc, v6, v6
	v_mov_b32_e32 v6, 0x7fc0
	v_cndmask_b32_sdwa v6, v6, v7, vcc dst_sel:DWORD dst_unused:UNUSED_PAD src0_sel:DWORD src1_sel:WORD_1
	flat_store_short v[4:5], v6
	s_xor_b64 s[80:81], exec, -1
	s_or_b64 vcc, s[68:69], exec
.LBB166_5667:
	s_or_b64 exec, exec, s[70:71]
	s_andn2_b64 s[70:71], s[52:53], exec
	s_and_b64 s[80:81], s[80:81], exec
	s_or_b64 s[80:81], s[70:71], s[80:81]
	s_andn2_b64 s[70:71], s[68:69], exec
	s_and_b64 vcc, vcc, exec
	s_or_b64 s[70:71], s[70:71], vcc
                                        ; implicit-def: $vgpr6
                                        ; implicit-def: $vgpr4_vgpr5
.LBB166_5668:
	s_andn2_saveexec_b64 s[82:83], s[82:83]
	s_cbranch_execz .LBB166_5672
; %bb.5669:
	v_mov_b32_e32 v7, 11
	v_cmp_eq_u16_sdwa s[96:97], v13, v7 src0_sel:BYTE_0 src1_sel:DWORD
	s_mov_b64 s[84:85], -1
	s_mov_b64 vcc, s[70:71]
	s_and_saveexec_b64 s[86:87], s[96:97]
	s_cbranch_execz .LBB166_5671
; %bb.5670:
	v_cmp_neq_f32_e32 vcc, 0, v6
	v_cndmask_b32_e64 v6, 0, 1, vcc
	flat_store_byte v[4:5], v6
	s_xor_b64 s[84:85], exec, -1
	s_or_b64 vcc, s[70:71], exec
.LBB166_5671:
	s_or_b64 exec, exec, s[86:87]
	s_andn2_b64 s[80:81], s[80:81], exec
	s_and_b64 s[84:85], s[84:85], exec
	s_andn2_b64 s[70:71], s[70:71], exec
	s_and_b64 vcc, vcc, exec
	s_or_b64 s[80:81], s[80:81], s[84:85]
	s_or_b64 s[70:71], s[70:71], vcc
.LBB166_5672:
	s_or_b64 exec, exec, s[82:83]
	s_andn2_b64 vcc, s[52:53], exec
	s_and_b64 s[80:81], s[80:81], exec
	s_andn2_b64 s[68:69], s[68:69], exec
	s_and_b64 s[70:71], s[70:71], exec
	s_or_b64 vcc, vcc, s[80:81]
	s_or_b64 s[68:69], s[68:69], s[70:71]
.LBB166_5673:
	s_or_b64 exec, exec, s[66:67]
	s_andn2_b64 s[52:53], s[52:53], exec
	s_and_b64 vcc, vcc, exec
	s_or_b64 s[52:53], s[52:53], vcc
	s_andn2_b64 s[4:5], s[4:5], exec
	s_and_b64 vcc, s[68:69], exec
	s_or_b64 s[4:5], s[4:5], vcc
.LBB166_5674:
	s_or_b64 exec, exec, s[64:65]
	s_andn2_b64 vcc, s[36:37], exec
	s_and_b64 s[52:53], s[52:53], exec
	s_or_b64 s[52:53], vcc, s[52:53]
	s_and_b64 s[4:5], s[4:5], exec
                                        ; implicit-def: $vgpr6
                                        ; implicit-def: $vgpr4_vgpr5
.LBB166_5675:
	s_andn2_saveexec_b64 s[48:49], s[48:49]
	s_cbranch_execz .LBB166_5717
; %bb.5676:
	v_mov_b32_e32 v7, 4
	v_cmp_gt_i16_sdwa vcc, v13, v7 src0_sel:BYTE_0 src1_sel:DWORD
	s_and_saveexec_b64 s[64:65], vcc
	s_xor_b64 vcc, exec, s[64:65]
	s_cbranch_execz .LBB166_5698
; %bb.5677:
	v_mov_b32_e32 v7, 7
	v_cmp_gt_i16_sdwa s[64:65], v13, v7 src0_sel:BYTE_0 src1_sel:DWORD
	s_and_saveexec_b64 s[66:67], s[64:65]
	s_xor_b64 s[64:65], exec, s[66:67]
	s_cbranch_execz .LBB166_5687
; %bb.5678:
	v_mov_b32_e32 v7, 8
	v_cmp_gt_i16_sdwa s[66:67], v13, v7 src0_sel:BYTE_0 src1_sel:DWORD
	s_and_saveexec_b64 s[68:69], s[66:67]
	s_xor_b64 s[66:67], exec, s[68:69]
	;; [unrolled: 6-line block ×3, first 2 shown]
	s_cbranch_execz .LBB166_5681
; %bb.5680:
	v_cvt_f64_f32_e32 v[52:53], v6
	v_mov_b32_e32 v54, 0
	v_mov_b32_e32 v55, v54
                                        ; implicit-def: $vgpr6
	flat_store_dwordx4 v[4:5], v[52:55]
                                        ; implicit-def: $vgpr4_vgpr5
.LBB166_5681:
	s_andn2_saveexec_b64 s[68:69], s[68:69]
	s_cbranch_execz .LBB166_5683
; %bb.5682:
	v_mov_b32_e32 v7, 0
	flat_store_dwordx2 v[4:5], v[6:7]
.LBB166_5683:
	s_or_b64 exec, exec, s[68:69]
                                        ; implicit-def: $vgpr6
                                        ; implicit-def: $vgpr4_vgpr5
.LBB166_5684:
	s_andn2_saveexec_b64 s[66:67], s[66:67]
	s_cbranch_execz .LBB166_5686
; %bb.5685:
	v_cvt_f16_f32_e32 v6, v6
	flat_store_dword v[4:5], v6
.LBB166_5686:
	s_or_b64 exec, exec, s[66:67]
                                        ; implicit-def: $vgpr6
                                        ; implicit-def: $vgpr4_vgpr5
.LBB166_5687:
	s_andn2_saveexec_b64 s[64:65], s[64:65]
	s_cbranch_execz .LBB166_5697
; %bb.5688:
	v_mov_b32_e32 v7, 5
	v_cmp_gt_i16_sdwa s[66:67], v13, v7 src0_sel:BYTE_0 src1_sel:DWORD
	s_and_saveexec_b64 s[68:69], s[66:67]
	s_xor_b64 s[66:67], exec, s[68:69]
	s_cbranch_execz .LBB166_5694
; %bb.5689:
	v_mov_b32_e32 v7, 6
	v_cmp_gt_i16_sdwa s[68:69], v13, v7 src0_sel:BYTE_0 src1_sel:DWORD
	s_and_saveexec_b64 s[70:71], s[68:69]
	s_xor_b64 s[68:69], exec, s[70:71]
	s_cbranch_execz .LBB166_5691
; %bb.5690:
	v_cvt_f64_f32_e32 v[6:7], v6
	flat_store_dwordx2 v[4:5], v[6:7]
                                        ; implicit-def: $vgpr4_vgpr5
                                        ; implicit-def: $vgpr6
.LBB166_5691:
	s_andn2_saveexec_b64 s[68:69], s[68:69]
	s_cbranch_execz .LBB166_5693
; %bb.5692:
	flat_store_dword v[4:5], v6
.LBB166_5693:
	s_or_b64 exec, exec, s[68:69]
                                        ; implicit-def: $vgpr6
                                        ; implicit-def: $vgpr4_vgpr5
.LBB166_5694:
	s_andn2_saveexec_b64 s[66:67], s[66:67]
	s_cbranch_execz .LBB166_5696
; %bb.5695:
	v_cvt_f16_f32_e32 v6, v6
	flat_store_short v[4:5], v6
.LBB166_5696:
	s_or_b64 exec, exec, s[66:67]
.LBB166_5697:
	s_or_b64 exec, exec, s[64:65]
                                        ; implicit-def: $vgpr6
                                        ; implicit-def: $vgpr4_vgpr5
.LBB166_5698:
	s_andn2_saveexec_b64 s[64:65], vcc
	s_cbranch_execz .LBB166_5716
; %bb.5699:
	v_mov_b32_e32 v7, 1
	v_cmp_gt_i16_sdwa vcc, v13, v7 src0_sel:BYTE_0 src1_sel:DWORD
	s_and_saveexec_b64 s[66:67], vcc
	s_xor_b64 s[66:67], exec, s[66:67]
	s_cbranch_execz .LBB166_5709
; %bb.5700:
	v_mov_b32_e32 v7, 2
	v_cmp_gt_i16_sdwa vcc, v13, v7 src0_sel:BYTE_0 src1_sel:DWORD
	s_and_saveexec_b64 s[68:69], vcc
	s_xor_b64 s[68:69], exec, s[68:69]
	;; [unrolled: 6-line block ×3, first 2 shown]
	s_cbranch_execz .LBB166_5703
; %bb.5702:
	v_trunc_f32_e32 v6, v6
	s_mov_b32 s80, 0x2f800000
	v_mul_f32_e64 v7, |v6|, s80
	v_floor_f32_e32 v7, v7
	s_mov_b32 s80, 0xcf800000
	v_cvt_u32_f32_e32 v52, v7
	v_fma_f32 v7, v7, s80, |v6|
	v_cvt_u32_f32_e32 v7, v7
	v_ashrrev_i32_e32 v53, 31, v6
	v_xor_b32_e32 v52, v52, v53
	v_xor_b32_e32 v6, v7, v53
	v_sub_co_u32_e32 v6, vcc, v6, v53
	v_subb_co_u32_e32 v7, vcc, v52, v53, vcc
	flat_store_dwordx2 v[4:5], v[6:7]
                                        ; implicit-def: $vgpr6
                                        ; implicit-def: $vgpr4_vgpr5
.LBB166_5703:
	s_andn2_saveexec_b64 vcc, s[70:71]
	s_cbranch_execz .LBB166_5705
; %bb.5704:
	v_cvt_i32_f32_e32 v6, v6
	flat_store_dword v[4:5], v6
.LBB166_5705:
	s_or_b64 exec, exec, vcc
                                        ; implicit-def: $vgpr6
                                        ; implicit-def: $vgpr4_vgpr5
.LBB166_5706:
	s_andn2_saveexec_b64 vcc, s[68:69]
	s_cbranch_execz .LBB166_5708
; %bb.5707:
	v_cvt_i32_f32_e32 v6, v6
	flat_store_short v[4:5], v6
.LBB166_5708:
	s_or_b64 exec, exec, vcc
                                        ; implicit-def: $vgpr6
                                        ; implicit-def: $vgpr4_vgpr5
.LBB166_5709:
	s_andn2_saveexec_b64 vcc, s[66:67]
	s_cbranch_execz .LBB166_5715
; %bb.5710:
	v_mov_b32_e32 v7, 0
	v_cmp_gt_i16_sdwa s[66:67], v13, v7 src0_sel:BYTE_0 src1_sel:DWORD
	s_and_saveexec_b64 s[68:69], s[66:67]
	s_xor_b64 s[66:67], exec, s[68:69]
	s_cbranch_execz .LBB166_5712
; %bb.5711:
	v_cvt_i32_f32_e32 v6, v6
	flat_store_byte v[4:5], v6
                                        ; implicit-def: $vgpr6
                                        ; implicit-def: $vgpr4_vgpr5
.LBB166_5712:
	s_andn2_saveexec_b64 s[66:67], s[66:67]
	s_cbranch_execz .LBB166_5714
; %bb.5713:
	v_trunc_f32_e32 v6, v6
	s_mov_b32 s68, 0x2f800000
	v_mul_f32_e64 v7, |v6|, s68
	v_floor_f32_e32 v7, v7
	s_mov_b32 s68, 0xcf800000
	v_fma_f32 v7, v7, s68, |v6|
	v_cvt_u32_f32_e32 v7, v7
	v_ashrrev_i32_e32 v6, 31, v6
	v_xor_b32_e32 v7, v7, v6
	v_sub_u32_e32 v6, v7, v6
	flat_store_byte v[4:5], v6
.LBB166_5714:
	s_or_b64 exec, exec, s[66:67]
.LBB166_5715:
	s_or_b64 exec, exec, vcc
.LBB166_5716:
	s_or_b64 exec, exec, s[64:65]
	s_or_b64 s[4:5], s[4:5], exec
.LBB166_5717:
	s_or_b64 exec, exec, s[48:49]
	s_mov_b64 s[64:65], 0
	s_mov_b64 vcc, 0
	s_and_saveexec_b64 s[48:49], s[4:5]
; %bb.5718:
	v_add_u32_e32 v17, 0x200, v17
	v_cmp_lt_i32_e32 vcc, v17, v8
	s_mov_b64 s[64:65], exec
	s_and_b64 vcc, vcc, exec
; %bb.5719:
	s_or_b64 exec, exec, s[48:49]
	s_and_b64 s[4:5], vcc, exec
	s_andn2_b64 vcc, s[36:37], exec
	s_and_b64 s[48:49], s[52:53], exec
	s_or_b64 vcc, vcc, s[48:49]
	v_writelane_b32 v41, vcc_lo, 0
	v_writelane_b32 v41, vcc_hi, 1
	s_orn2_b64 s[52:53], s[64:65], exec
.LBB166_5720:
	s_or_b64 exec, exec, s[50:51]
	s_mov_b64 vcc, 0
	s_mov_b64 s[64:65], 0
                                        ; implicit-def: $vgpr4
                                        ; implicit-def: $vgpr112
                                        ; implicit-def: $vgpr6_vgpr7
	s_mov_b64 s[48:49], exec
	v_writelane_b32 v41, s48, 10
	s_and_b64 s[50:51], s[48:49], s[52:53]
	v_writelane_b32 v41, s49, 11
	s_mov_b64 exec, s[50:51]
	s_cbranch_execz .LBB166_7752
; %bb.5721:
	v_readlane_b32 vcc_lo, v41, 0
	v_readlane_b32 vcc_hi, v41, 1
	v_writelane_b32 v41, vcc_lo, 4
	s_mov_b64 s[64:65], -1
	s_mov_b64 s[66:67], 0
	v_writelane_b32 v41, vcc_hi, 5
	s_mov_b64 vcc, 0
	s_and_saveexec_b64 s[54:55], s[4:5]
	s_cbranch_execz .LBB166_5849
; %bb.5722:
	v_readlane_b32 s4, v41, 2
	v_add_u32_e32 v4, s4, v17
	v_mul_lo_u32 v4, v4, v14
	v_mov_b32_e32 v7, 10
	v_readlane_b32 s64, v41, 0
	s_mov_b64 s[4:5], 0
	v_add_co_u32_e32 v4, vcc, v2, v4
	v_addc_co_u32_e32 v5, vcc, 0, v3, vcc
	s_waitcnt vmcnt(0)
	v_cmp_nle_f32_e32 vcc, v51, v0
	v_cndmask_b32_e32 v6, v1, v50, vcc
	v_cmp_gt_i16_sdwa vcc, v13, v7 src0_sel:BYTE_0 src1_sel:DWORD
	v_readlane_b32 s65, v41, 1
	s_and_saveexec_b64 s[50:51], vcc
	s_xor_b64 s[52:53], exec, s[50:51]
	s_cbranch_execz .LBB166_5804
; %bb.5723:
	v_mov_b32_e32 v7, 25
	v_readlane_b32 s64, v41, 0
	v_cmp_gt_i16_sdwa vcc, v13, v7 src0_sel:BYTE_0 src1_sel:DWORD
	v_readlane_b32 s65, v41, 1
	s_and_saveexec_b64 s[50:51], vcc
	s_xor_b64 s[68:69], exec, s[50:51]
	s_cbranch_execz .LBB166_5759
; %bb.5724:
	v_mov_b32_e32 v7, 28
	v_readlane_b32 s70, v41, 0
	v_cmp_gt_i16_sdwa vcc, v13, v7 src0_sel:BYTE_0 src1_sel:DWORD
	v_readlane_b32 s71, v41, 1
	s_and_saveexec_b64 s[50:51], vcc
	s_xor_b64 s[64:65], exec, s[50:51]
	s_cbranch_execz .LBB166_5742
; %bb.5725:
	v_mov_b32_e32 v7, 43
	v_readlane_b32 vcc_lo, v41, 0
	v_cmp_gt_i16_sdwa s[50:51], v13, v7 src0_sel:BYTE_0 src1_sel:DWORD
	v_readlane_b32 vcc_hi, v41, 1
	s_and_saveexec_b64 s[70:71], s[50:51]
	s_xor_b64 s[70:71], exec, s[70:71]
	s_cbranch_execz .LBB166_5737
; %bb.5726:
	v_mov_b32_e32 v7, 45
	v_readlane_b32 s82, v41, 0
	v_cmp_gt_i16_sdwa s[4:5], v13, v7 src0_sel:BYTE_0 src1_sel:DWORD
	s_mov_b64 s[80:81], 0
	v_readlane_b32 s83, v41, 1
	s_and_saveexec_b64 vcc, s[4:5]
	s_xor_b64 s[4:5], exec, vcc
	s_cbranch_execz .LBB166_5730
; %bb.5727:
	v_mov_b32_e32 v7, 46
	v_cmp_eq_u16_sdwa s[50:51], v13, v7 src0_sel:BYTE_0 src1_sel:DWORD
	s_mov_b64 vcc, -1
	s_and_saveexec_b64 s[82:83], s[50:51]
	s_cbranch_execz .LBB166_5729
; %bb.5728:
	v_bfe_u32 v7, v6, 16, 1
	s_movk_i32 vcc_lo, 0x7fff
	v_add3_u32 v7, v6, v7, vcc_lo
	v_cmp_o_f32_e32 vcc, v6, v6
	v_mov_b32_e32 v6, 0x7fc0
	v_cndmask_b32_sdwa v6, v6, v7, vcc dst_sel:DWORD dst_unused:UNUSED_PAD src0_sel:DWORD src1_sel:WORD_1
	s_mov_b64 s[80:81], exec
	flat_store_dword v[4:5], v6
	s_xor_b64 vcc, exec, -1
.LBB166_5729:
	s_or_b64 exec, exec, s[82:83]
	v_readlane_b32 s48, v41, 0
	v_readlane_b32 s49, v41, 1
	s_andn2_b64 s[50:51], s[48:49], exec
	s_and_b64 vcc, vcc, exec
	s_or_b64 s[82:83], s[50:51], vcc
	s_and_b64 s[80:81], s[80:81], exec
                                        ; implicit-def: $vgpr4_vgpr5
                                        ; implicit-def: $vgpr6
.LBB166_5730:
	s_andn2_saveexec_b64 s[84:85], s[4:5]
	s_cbranch_execz .LBB166_5736
; %bb.5731:
	v_mov_b32_e32 v7, 44
	v_cmp_eq_u16_sdwa s[50:51], v13, v7 src0_sel:BYTE_0 src1_sel:DWORD
	s_mov_b64 vcc, -1
	s_mov_b64 s[4:5], s[80:81]
	s_and_saveexec_b64 s[86:87], s[50:51]
	s_cbranch_execz .LBB166_5735
; %bb.5732:
	v_bfe_u32 v7, v6, 23, 8
	s_movk_i32 s4, 0xff
	v_cmp_ne_u32_e32 vcc, s4, v7
	v_mov_b32_e32 v50, 0xff
	s_and_saveexec_b64 s[96:97], vcc
; %bb.5733:
	s_mov_b32 s4, 0x3fffff
	v_lshrrev_b32_e32 v50, 23, v6
	v_and_b32_e32 v51, 0x400000, v6
	v_and_or_b32 v6, v6, s4, v7
	v_cmp_ne_u32_e32 vcc, 0, v51
	v_cmp_ne_u32_e64 s[4:5], 0, v6
	s_and_b64 s[4:5], vcc, s[4:5]
	v_cndmask_b32_e64 v6, 0, 1, s[4:5]
	v_add_u32_e32 v50, v50, v6
; %bb.5734:
	s_or_b64 exec, exec, s[96:97]
	s_xor_b64 vcc, exec, -1
	s_or_b64 s[4:5], s[80:81], exec
	flat_store_byte v[4:5], v50
.LBB166_5735:
	s_or_b64 exec, exec, s[86:87]
	s_andn2_b64 s[48:49], s[82:83], exec
	s_and_b64 vcc, vcc, exec
	s_or_b64 s[82:83], s[48:49], vcc
	s_andn2_b64 vcc, s[80:81], exec
	s_and_b64 s[4:5], s[4:5], exec
	s_or_b64 s[80:81], vcc, s[4:5]
.LBB166_5736:
	s_or_b64 exec, exec, s[84:85]
	v_readlane_b32 s4, v41, 0
	v_readlane_b32 s5, v41, 1
	s_andn2_b64 s[4:5], s[4:5], exec
	s_and_b64 vcc, s[82:83], exec
	s_or_b64 vcc, s[4:5], vcc
	s_and_b64 s[4:5], s[80:81], exec
                                        ; implicit-def: $vgpr6
                                        ; implicit-def: $vgpr4_vgpr5
.LBB166_5737:
	s_andn2_saveexec_b64 s[70:71], s[70:71]
	s_cbranch_execz .LBB166_5741
; %bb.5738:
	v_mov_b32_e32 v7, 29
	v_cmp_eq_u16_sdwa s[50:51], v13, v7 src0_sel:BYTE_0 src1_sel:DWORD
	s_mov_b64 s[84:85], -1
	s_mov_b64 s[82:83], s[4:5]
	s_and_saveexec_b64 s[80:81], s[50:51]
	s_cbranch_execz .LBB166_5740
; %bb.5739:
	v_trunc_f32_e32 v6, v6
	v_mul_f32_e32 v7, 0x2f800000, v6
	v_floor_f32_e32 v50, v7
	v_fmac_f32_e32 v6, 0xcf800000, v50
	v_cvt_u32_f32_e32 v7, v50
	v_cvt_u32_f32_e32 v6, v6
	s_xor_b64 s[84:85], exec, -1
	s_or_b64 s[82:83], s[4:5], exec
	flat_store_dwordx2 v[4:5], v[6:7]
.LBB166_5740:
	s_or_b64 exec, exec, s[80:81]
	s_andn2_b64 vcc, vcc, exec
	s_and_b64 s[50:51], s[84:85], exec
	s_or_b64 vcc, vcc, s[50:51]
	s_andn2_b64 s[4:5], s[4:5], exec
	s_and_b64 s[50:51], s[82:83], exec
	s_or_b64 s[4:5], s[4:5], s[50:51]
.LBB166_5741:
	s_or_b64 exec, exec, s[70:71]
	v_readlane_b32 s48, v41, 0
	v_readlane_b32 s49, v41, 1
	s_andn2_b64 s[48:49], s[48:49], exec
	s_and_b64 vcc, vcc, exec
	s_or_b64 s[70:71], s[48:49], vcc
	s_and_b64 s[4:5], s[4:5], exec
                                        ; implicit-def: $vgpr4_vgpr5
                                        ; implicit-def: $vgpr6
.LBB166_5742:
	s_andn2_saveexec_b64 s[64:65], s[64:65]
	s_cbranch_execz .LBB166_5758
; %bb.5743:
	v_mov_b32_e32 v7, 26
	v_cmp_gt_i16_sdwa vcc, v13, v7 src0_sel:BYTE_0 src1_sel:DWORD
	s_and_saveexec_b64 s[50:51], vcc
	s_xor_b64 vcc, exec, s[50:51]
	s_cbranch_execz .LBB166_5749
; %bb.5744:
	v_cvt_u32_f32_e32 v6, v6
	v_mov_b32_e32 v7, 27
	v_cmp_gt_i16_sdwa s[50:51], v13, v7 src0_sel:BYTE_0 src1_sel:DWORD
	s_and_saveexec_b64 s[80:81], s[50:51]
	s_xor_b64 s[50:51], exec, s[80:81]
	s_cbranch_execz .LBB166_5746
; %bb.5745:
	flat_store_dword v[4:5], v6
                                        ; implicit-def: $vgpr4_vgpr5
                                        ; implicit-def: $vgpr6
.LBB166_5746:
	s_andn2_saveexec_b64 s[50:51], s[50:51]
	s_cbranch_execz .LBB166_5748
; %bb.5747:
	flat_store_short v[4:5], v6
.LBB166_5748:
	s_or_b64 exec, exec, s[50:51]
                                        ; implicit-def: $vgpr4_vgpr5
                                        ; implicit-def: $vgpr6
.LBB166_5749:
	s_andn2_saveexec_b64 s[80:81], vcc
	s_cbranch_execz .LBB166_5757
; %bb.5750:
	v_and_b32_e32 v7, 0x7fffffff, v6
	s_mov_b32 vcc_lo, 0x43800000
	v_cmp_gt_u32_e32 vcc, vcc_lo, v7
	v_mov_b32_e32 v50, 0x80
	s_and_saveexec_b64 s[82:83], vcc
	s_cbranch_execz .LBB166_5756
; %bb.5751:
	s_mov_b32 vcc_lo, 0x3bffffff
	v_cmp_lt_u32_e32 vcc, vcc_lo, v7
	s_mov_b64 s[84:85], 0
                                        ; implicit-def: $vgpr7
	s_and_saveexec_b64 s[48:49], vcc
	s_xor_b64 vcc, exec, s[48:49]
	s_cbranch_execnz .LBB166_7879
; %bb.5752:
	s_andn2_saveexec_b64 s[86:87], vcc
	s_cbranch_execnz .LBB166_7880
.LBB166_5753:
	s_or_b64 exec, exec, s[86:87]
	v_mov_b32_e32 v50, 0
	s_and_saveexec_b64 vcc, s[84:85]
.LBB166_5754:
	v_lshrrev_b32_e32 v6, 24, v6
	s_movk_i32 s48, 0x80
	v_and_or_b32 v50, v6, s48, v7
.LBB166_5755:
	s_or_b64 exec, exec, vcc
.LBB166_5756:
	s_or_b64 exec, exec, s[82:83]
	flat_store_byte v[4:5], v50
.LBB166_5757:
	s_or_b64 exec, exec, s[80:81]
	s_or_b64 s[4:5], s[4:5], exec
.LBB166_5758:
	s_or_b64 exec, exec, s[64:65]
	v_readlane_b32 vcc_lo, v41, 0
	v_readlane_b32 vcc_hi, v41, 1
	s_andn2_b64 vcc, vcc, exec
	s_and_b64 s[50:51], s[70:71], exec
	s_or_b64 s[64:65], vcc, s[50:51]
	s_and_b64 s[4:5], s[4:5], exec
                                        ; implicit-def: $vgpr6
                                        ; implicit-def: $vgpr4_vgpr5
.LBB166_5759:
	s_andn2_saveexec_b64 s[68:69], s[68:69]
	s_cbranch_execz .LBB166_5803
; %bb.5760:
	v_mov_b32_e32 v7, 22
	v_cmp_gt_i16_sdwa vcc, v13, v7 src0_sel:BYTE_0 src1_sel:DWORD
	s_mov_b64 s[80:81], s[4:5]
	s_and_saveexec_b64 s[50:51], vcc
	s_xor_b64 s[70:71], exec, s[50:51]
	s_cbranch_execz .LBB166_5792
; %bb.5761:
	v_mov_b32_e32 v7, 23
	v_cmp_gt_i16_sdwa vcc, v13, v7 src0_sel:BYTE_0 src1_sel:DWORD
	s_and_saveexec_b64 s[50:51], vcc
	s_xor_b64 s[80:81], exec, s[50:51]
	s_cbranch_execz .LBB166_5781
; %bb.5762:
	v_mov_b32_e32 v7, 24
	v_cmp_gt_i16_sdwa vcc, v13, v7 src0_sel:BYTE_0 src1_sel:DWORD
	s_and_saveexec_b64 s[50:51], vcc
	s_xor_b64 s[82:83], exec, s[50:51]
	s_cbranch_execz .LBB166_5770
; %bb.5763:
	v_and_b32_e32 v7, 0x7fffffff, v6
	s_mov_b32 vcc_lo, 0x47800000
	v_cmp_gt_u32_e32 vcc, vcc_lo, v7
	v_mov_b32_e32 v50, 0x80
	s_and_saveexec_b64 s[84:85], vcc
	s_cbranch_execz .LBB166_5769
; %bb.5764:
	s_mov_b32 vcc_lo, 0x37ffffff
	v_cmp_lt_u32_e32 vcc, vcc_lo, v7
	s_mov_b64 s[86:87], 0
                                        ; implicit-def: $vgpr7
	s_and_saveexec_b64 s[48:49], vcc
	s_xor_b64 vcc, exec, s[48:49]
	s_cbranch_execnz .LBB166_7881
; %bb.5765:
	s_andn2_saveexec_b64 s[96:97], vcc
	s_cbranch_execnz .LBB166_7882
.LBB166_5766:
	s_or_b64 exec, exec, s[96:97]
	v_mov_b32_e32 v50, 0
	s_and_saveexec_b64 vcc, s[86:87]
.LBB166_5767:
	v_lshrrev_b32_e32 v6, 24, v6
	s_movk_i32 s48, 0x80
	v_and_or_b32 v50, v6, s48, v7
.LBB166_5768:
	s_or_b64 exec, exec, vcc
.LBB166_5769:
	s_or_b64 exec, exec, s[84:85]
	flat_store_byte v[4:5], v50
                                        ; implicit-def: $vgpr6
                                        ; implicit-def: $vgpr4_vgpr5
.LBB166_5770:
	s_andn2_saveexec_b64 s[82:83], s[82:83]
	s_cbranch_execz .LBB166_5780
; %bb.5771:
	v_and_b32_e32 v50, 0x7fffffff, v6
	s_mov_b32 vcc_lo, 0x43f00000
	v_cmp_gt_u32_e32 vcc, vcc_lo, v50
                                        ; implicit-def: $vgpr7
	s_and_saveexec_b64 s[48:49], vcc
	s_xor_b64 s[84:85], exec, s[48:49]
	s_cbranch_execz .LBB166_5777
; %bb.5772:
	s_mov_b32 vcc_lo, 0x3c7fffff
	v_cmp_lt_u32_e32 vcc, vcc_lo, v50
                                        ; implicit-def: $vgpr7
	s_and_saveexec_b64 s[48:49], vcc
	s_xor_b64 s[86:87], exec, s[48:49]
; %bb.5773:
	v_bfe_u32 v7, v6, 20, 1
	s_mov_b32 vcc_lo, 0x407ffff
	v_add3_u32 v7, v6, v7, vcc_lo
	v_lshrrev_b32_e32 v50, 20, v7
	v_and_b32_e32 v7, 0xff00000, v7
	s_mov_b32 vcc_lo, 0x7f00000
	v_mov_b32_e32 v51, 0x7e
	v_cmp_ne_u32_e32 vcc, vcc_lo, v7
	v_cndmask_b32_e32 v7, v51, v50, vcc
; %bb.5774:
	s_andn2_saveexec_b64 vcc, s[86:87]
; %bb.5775:
	s_mov_b32 s48, 0x46800000
	v_add_f32_e64 v7, |v6|, s48
; %bb.5776:
	s_or_b64 exec, exec, vcc
                                        ; implicit-def: $vgpr50
.LBB166_5777:
	s_andn2_saveexec_b64 s[84:85], s[84:85]
; %bb.5778:
	s_mov_b32 vcc_lo, 0x7f800000
	v_mov_b32_e32 v7, 0x7e
	v_mov_b32_e32 v51, 0x7f
	v_cmp_lt_u32_e32 vcc, vcc_lo, v50
	v_cndmask_b32_e32 v7, v7, v51, vcc
; %bb.5779:
	s_or_b64 exec, exec, s[84:85]
	v_lshrrev_b32_e32 v6, 24, v6
	s_movk_i32 vcc_lo, 0x80
	v_and_or_b32 v6, v6, vcc_lo, v7
	flat_store_byte v[4:5], v6
.LBB166_5780:
	s_or_b64 exec, exec, s[82:83]
                                        ; implicit-def: $vgpr6
                                        ; implicit-def: $vgpr4_vgpr5
.LBB166_5781:
	s_andn2_saveexec_b64 s[80:81], s[80:81]
	s_cbranch_execz .LBB166_5791
; %bb.5782:
	v_and_b32_e32 v50, 0x7fffffff, v6
	s_mov_b32 vcc_lo, 0x47800000
	v_cmp_gt_u32_e32 vcc, vcc_lo, v50
                                        ; implicit-def: $vgpr7
	s_and_saveexec_b64 s[48:49], vcc
	s_xor_b64 s[82:83], exec, s[48:49]
	s_cbranch_execz .LBB166_5788
; %bb.5783:
	s_mov_b32 vcc_lo, 0x387fffff
	v_cmp_lt_u32_e32 vcc, vcc_lo, v50
                                        ; implicit-def: $vgpr7
	s_and_saveexec_b64 s[48:49], vcc
	s_xor_b64 vcc, exec, s[48:49]
; %bb.5784:
	v_bfe_u32 v7, v6, 21, 1
	s_mov_b32 s48, 0x80fffff
	v_add3_u32 v7, v6, v7, s48
	v_lshrrev_b32_e32 v7, 21, v7
; %bb.5785:
	s_andn2_saveexec_b64 vcc, vcc
; %bb.5786:
	s_mov_b32 s48, 0x43000000
	v_add_f32_e64 v7, |v6|, s48
; %bb.5787:
	s_or_b64 exec, exec, vcc
                                        ; implicit-def: $vgpr50
.LBB166_5788:
	s_andn2_saveexec_b64 s[82:83], s[82:83]
; %bb.5789:
	s_mov_b32 vcc_lo, 0x7f800000
	v_mov_b32_e32 v7, 0x7c
	v_mov_b32_e32 v51, 0x7f
	v_cmp_lt_u32_e32 vcc, vcc_lo, v50
	v_cndmask_b32_e32 v7, v7, v51, vcc
; %bb.5790:
	s_or_b64 exec, exec, s[82:83]
	v_lshrrev_b32_e32 v6, 24, v6
	s_movk_i32 vcc_lo, 0x80
	v_and_or_b32 v6, v6, vcc_lo, v7
	flat_store_byte v[4:5], v6
.LBB166_5791:
	s_or_b64 exec, exec, s[80:81]
	s_or_b64 s[80:81], s[4:5], exec
                                        ; implicit-def: $vgpr6
                                        ; implicit-def: $vgpr4_vgpr5
.LBB166_5792:
	s_or_saveexec_b64 s[70:71], s[70:71]
	s_mov_b64 vcc, s[64:65]
	s_xor_b64 exec, exec, s[70:71]
	s_cbranch_execz .LBB166_5802
; %bb.5793:
	v_mov_b32_e32 v7, 14
	v_cmp_gt_i16_sdwa vcc, v13, v7 src0_sel:BYTE_0 src1_sel:DWORD
	s_mov_b64 s[82:83], s[80:81]
	s_mov_b64 s[84:85], s[64:65]
	s_and_saveexec_b64 s[50:51], vcc
	s_xor_b64 s[86:87], exec, s[50:51]
	s_cbranch_execz .LBB166_5797
; %bb.5794:
	v_mov_b32_e32 v7, 15
	v_cmp_eq_u16_sdwa s[50:51], v13, v7 src0_sel:BYTE_0 src1_sel:DWORD
	s_mov_b64 s[84:85], -1
	s_mov_b64 vcc, s[80:81]
	s_and_saveexec_b64 s[82:83], s[50:51]
	s_cbranch_execz .LBB166_5796
; %bb.5795:
	v_bfe_u32 v7, v6, 16, 1
	s_movk_i32 vcc_lo, 0x7fff
	v_add3_u32 v7, v6, v7, vcc_lo
	v_cmp_o_f32_e32 vcc, v6, v6
	v_mov_b32_e32 v6, 0x7fc0
	v_cndmask_b32_sdwa v6, v6, v7, vcc dst_sel:DWORD dst_unused:UNUSED_PAD src0_sel:DWORD src1_sel:WORD_1
	flat_store_short v[4:5], v6
	s_xor_b64 s[84:85], exec, -1
	s_or_b64 vcc, s[80:81], exec
.LBB166_5796:
	s_or_b64 exec, exec, s[82:83]
	s_andn2_b64 s[50:51], s[64:65], exec
	s_and_b64 s[82:83], s[84:85], exec
	s_or_b64 s[84:85], s[50:51], s[82:83]
	s_andn2_b64 s[50:51], s[80:81], exec
	s_and_b64 vcc, vcc, exec
	s_or_b64 s[82:83], s[50:51], vcc
                                        ; implicit-def: $vgpr6
                                        ; implicit-def: $vgpr4_vgpr5
.LBB166_5797:
	s_andn2_saveexec_b64 s[86:87], s[86:87]
	s_cbranch_execz .LBB166_5801
; %bb.5798:
	v_mov_b32_e32 v7, 11
	v_cmp_eq_u16_sdwa s[48:49], v13, v7 src0_sel:BYTE_0 src1_sel:DWORD
	s_mov_b64 s[96:97], -1
	s_mov_b64 vcc, s[82:83]
	s_and_saveexec_b64 s[50:51], s[48:49]
	s_cbranch_execz .LBB166_5800
; %bb.5799:
	v_cmp_neq_f32_e32 vcc, 0, v6
	v_cndmask_b32_e64 v6, 0, 1, vcc
	flat_store_byte v[4:5], v6
	s_xor_b64 s[96:97], exec, -1
	s_or_b64 vcc, s[82:83], exec
.LBB166_5800:
	s_or_b64 exec, exec, s[50:51]
	s_andn2_b64 s[48:49], s[84:85], exec
	s_and_b64 s[50:51], s[96:97], exec
	s_or_b64 s[84:85], s[48:49], s[50:51]
	s_andn2_b64 s[48:49], s[82:83], exec
	s_and_b64 vcc, vcc, exec
	s_or_b64 s[82:83], s[48:49], vcc
.LBB166_5801:
	s_or_b64 exec, exec, s[86:87]
	s_andn2_b64 vcc, s[64:65], exec
	s_and_b64 s[48:49], s[84:85], exec
	s_or_b64 vcc, vcc, s[48:49]
	s_andn2_b64 s[48:49], s[80:81], exec
	s_and_b64 s[50:51], s[82:83], exec
	s_or_b64 s[80:81], s[48:49], s[50:51]
.LBB166_5802:
	s_or_b64 exec, exec, s[70:71]
	s_andn2_b64 s[50:51], s[64:65], exec
	s_and_b64 vcc, vcc, exec
	s_or_b64 s[64:65], s[50:51], vcc
	s_andn2_b64 s[4:5], s[4:5], exec
	s_and_b64 vcc, s[80:81], exec
	s_or_b64 s[4:5], s[4:5], vcc
.LBB166_5803:
	s_or_b64 exec, exec, s[68:69]
	v_readlane_b32 vcc_lo, v41, 0
	v_readlane_b32 vcc_hi, v41, 1
	s_andn2_b64 vcc, vcc, exec
	s_and_b64 s[50:51], s[64:65], exec
	s_or_b64 s[64:65], vcc, s[50:51]
	s_and_b64 s[4:5], s[4:5], exec
                                        ; implicit-def: $vgpr6
                                        ; implicit-def: $vgpr4_vgpr5
.LBB166_5804:
	s_andn2_saveexec_b64 s[52:53], s[52:53]
	s_cbranch_execz .LBB166_5846
; %bb.5805:
	v_mov_b32_e32 v7, 4
	v_cmp_gt_i16_sdwa vcc, v13, v7 src0_sel:BYTE_0 src1_sel:DWORD
	s_and_saveexec_b64 s[48:49], vcc
	s_xor_b64 vcc, exec, s[48:49]
	s_cbranch_execz .LBB166_5827
; %bb.5806:
	v_mov_b32_e32 v7, 7
	v_cmp_gt_i16_sdwa s[48:49], v13, v7 src0_sel:BYTE_0 src1_sel:DWORD
	s_and_saveexec_b64 s[50:51], s[48:49]
	s_xor_b64 s[68:69], exec, s[50:51]
	s_cbranch_execz .LBB166_5816
; %bb.5807:
	v_mov_b32_e32 v7, 8
	v_cmp_gt_i16_sdwa s[48:49], v13, v7 src0_sel:BYTE_0 src1_sel:DWORD
	s_and_saveexec_b64 s[50:51], s[48:49]
	s_xor_b64 s[70:71], exec, s[50:51]
	;; [unrolled: 6-line block ×3, first 2 shown]
	s_cbranch_execz .LBB166_5810
; %bb.5809:
	v_cvt_f64_f32_e32 v[50:51], v6
	v_mov_b32_e32 v52, 0
	v_mov_b32_e32 v53, v52
                                        ; implicit-def: $vgpr6
	flat_store_dwordx4 v[4:5], v[50:53]
                                        ; implicit-def: $vgpr4_vgpr5
.LBB166_5810:
	s_andn2_saveexec_b64 s[50:51], s[50:51]
	s_cbranch_execz .LBB166_5812
; %bb.5811:
	v_mov_b32_e32 v7, 0
	flat_store_dwordx2 v[4:5], v[6:7]
.LBB166_5812:
	s_or_b64 exec, exec, s[50:51]
                                        ; implicit-def: $vgpr6
                                        ; implicit-def: $vgpr4_vgpr5
.LBB166_5813:
	s_andn2_saveexec_b64 s[50:51], s[70:71]
	s_cbranch_execz .LBB166_5815
; %bb.5814:
	v_cvt_f16_f32_e32 v6, v6
	flat_store_dword v[4:5], v6
.LBB166_5815:
	s_or_b64 exec, exec, s[50:51]
                                        ; implicit-def: $vgpr6
                                        ; implicit-def: $vgpr4_vgpr5
.LBB166_5816:
	s_andn2_saveexec_b64 s[68:69], s[68:69]
	s_cbranch_execz .LBB166_5826
; %bb.5817:
	v_mov_b32_e32 v7, 5
	v_cmp_gt_i16_sdwa s[48:49], v13, v7 src0_sel:BYTE_0 src1_sel:DWORD
	s_and_saveexec_b64 s[50:51], s[48:49]
	s_xor_b64 s[70:71], exec, s[50:51]
	s_cbranch_execz .LBB166_5823
; %bb.5818:
	v_mov_b32_e32 v7, 6
	v_cmp_gt_i16_sdwa s[48:49], v13, v7 src0_sel:BYTE_0 src1_sel:DWORD
	s_and_saveexec_b64 s[50:51], s[48:49]
	s_xor_b64 s[50:51], exec, s[50:51]
	s_cbranch_execz .LBB166_5820
; %bb.5819:
	v_cvt_f64_f32_e32 v[6:7], v6
	flat_store_dwordx2 v[4:5], v[6:7]
                                        ; implicit-def: $vgpr4_vgpr5
                                        ; implicit-def: $vgpr6
.LBB166_5820:
	s_andn2_saveexec_b64 s[50:51], s[50:51]
	s_cbranch_execz .LBB166_5822
; %bb.5821:
	flat_store_dword v[4:5], v6
.LBB166_5822:
	s_or_b64 exec, exec, s[50:51]
                                        ; implicit-def: $vgpr6
                                        ; implicit-def: $vgpr4_vgpr5
.LBB166_5823:
	s_andn2_saveexec_b64 s[50:51], s[70:71]
	s_cbranch_execz .LBB166_5825
; %bb.5824:
	v_cvt_f16_f32_e32 v6, v6
	flat_store_short v[4:5], v6
.LBB166_5825:
	s_or_b64 exec, exec, s[50:51]
.LBB166_5826:
	s_or_b64 exec, exec, s[68:69]
                                        ; implicit-def: $vgpr6
                                        ; implicit-def: $vgpr4_vgpr5
.LBB166_5827:
	s_andn2_saveexec_b64 s[68:69], vcc
	s_cbranch_execz .LBB166_5845
; %bb.5828:
	v_mov_b32_e32 v7, 1
	v_cmp_gt_i16_sdwa vcc, v13, v7 src0_sel:BYTE_0 src1_sel:DWORD
	s_and_saveexec_b64 s[48:49], vcc
	s_xor_b64 s[70:71], exec, s[48:49]
	s_cbranch_execz .LBB166_5838
; %bb.5829:
	v_mov_b32_e32 v7, 2
	v_cmp_gt_i16_sdwa vcc, v13, v7 src0_sel:BYTE_0 src1_sel:DWORD
	s_and_saveexec_b64 s[48:49], vcc
	s_xor_b64 s[80:81], exec, s[48:49]
	;; [unrolled: 6-line block ×3, first 2 shown]
	s_cbranch_execz .LBB166_5832
; %bb.5831:
	v_trunc_f32_e32 v6, v6
	s_mov_b32 s48, 0x2f800000
	v_mul_f32_e64 v7, |v6|, s48
	v_floor_f32_e32 v7, v7
	s_mov_b32 s48, 0xcf800000
	v_cvt_u32_f32_e32 v50, v7
	v_fma_f32 v7, v7, s48, |v6|
	v_cvt_u32_f32_e32 v7, v7
	v_ashrrev_i32_e32 v51, 31, v6
	v_xor_b32_e32 v50, v50, v51
	v_xor_b32_e32 v6, v7, v51
	v_sub_co_u32_e32 v6, vcc, v6, v51
	v_subb_co_u32_e32 v7, vcc, v50, v51, vcc
	flat_store_dwordx2 v[4:5], v[6:7]
                                        ; implicit-def: $vgpr6
                                        ; implicit-def: $vgpr4_vgpr5
.LBB166_5832:
	s_andn2_saveexec_b64 vcc, s[82:83]
	s_cbranch_execz .LBB166_5834
; %bb.5833:
	v_cvt_i32_f32_e32 v6, v6
	flat_store_dword v[4:5], v6
.LBB166_5834:
	s_or_b64 exec, exec, vcc
                                        ; implicit-def: $vgpr6
                                        ; implicit-def: $vgpr4_vgpr5
.LBB166_5835:
	s_andn2_saveexec_b64 vcc, s[80:81]
	s_cbranch_execz .LBB166_5837
; %bb.5836:
	v_cvt_i32_f32_e32 v6, v6
	flat_store_short v[4:5], v6
.LBB166_5837:
	s_or_b64 exec, exec, vcc
                                        ; implicit-def: $vgpr6
                                        ; implicit-def: $vgpr4_vgpr5
.LBB166_5838:
	s_andn2_saveexec_b64 vcc, s[70:71]
	s_cbranch_execz .LBB166_5844
; %bb.5839:
	v_mov_b32_e32 v7, 0
	v_cmp_gt_i16_sdwa s[48:49], v13, v7 src0_sel:BYTE_0 src1_sel:DWORD
	s_and_saveexec_b64 s[50:51], s[48:49]
	s_xor_b64 s[50:51], exec, s[50:51]
	s_cbranch_execz .LBB166_5841
; %bb.5840:
	v_cvt_i32_f32_e32 v6, v6
	flat_store_byte v[4:5], v6
                                        ; implicit-def: $vgpr6
                                        ; implicit-def: $vgpr4_vgpr5
.LBB166_5841:
	s_andn2_saveexec_b64 s[70:71], s[50:51]
	s_cbranch_execz .LBB166_5843
; %bb.5842:
	v_trunc_f32_e32 v6, v6
	s_mov_b32 s48, 0x2f800000
	v_mul_f32_e64 v7, |v6|, s48
	v_floor_f32_e32 v7, v7
	s_mov_b32 s48, 0xcf800000
	v_fma_f32 v7, v7, s48, |v6|
	v_cvt_u32_f32_e32 v7, v7
	v_ashrrev_i32_e32 v6, 31, v6
	v_xor_b32_e32 v7, v7, v6
	v_sub_u32_e32 v6, v7, v6
	flat_store_byte v[4:5], v6
.LBB166_5843:
	s_or_b64 exec, exec, s[70:71]
.LBB166_5844:
	s_or_b64 exec, exec, vcc
.LBB166_5845:
	s_or_b64 exec, exec, s[68:69]
	s_or_b64 s[4:5], s[4:5], exec
.LBB166_5846:
	s_or_b64 exec, exec, s[52:53]
	s_mov_b64 s[68:69], 0
	s_mov_b64 vcc, 0
	s_and_saveexec_b64 s[52:53], s[4:5]
; %bb.5847:
	v_add_u32_e32 v17, 0x200, v17
	v_cmp_lt_i32_e32 vcc, v17, v8
	s_mov_b64 s[68:69], exec
	s_and_b64 vcc, vcc, exec
; %bb.5848:
	s_or_b64 exec, exec, s[52:53]
	v_readlane_b32 s4, v41, 0
	v_readlane_b32 s5, v41, 1
	s_andn2_b64 s[4:5], s[4:5], exec
	s_and_b64 s[48:49], s[64:65], exec
	s_or_b64 s[4:5], s[4:5], s[48:49]
	v_writelane_b32 v41, s4, 4
	s_and_b64 vcc, vcc, exec
	v_writelane_b32 v41, s5, 5
	s_orn2_b64 s[64:65], s[68:69], exec
.LBB166_5849:
	s_or_b64 exec, exec, s[54:55]
	s_mov_b64 s[4:5], 0
	s_mov_b64 s[54:55], 0
                                        ; implicit-def: $vgpr4
                                        ; implicit-def: $vgpr112
                                        ; implicit-def: $vgpr6_vgpr7
	s_mov_b64 s[48:49], exec
	v_writelane_b32 v41, s48, 8
	s_and_b64 s[50:51], s[48:49], s[64:65]
	v_writelane_b32 v41, s49, 9
	s_mov_b64 exec, s[50:51]
	s_cbranch_execz .LBB166_7751
; %bb.5850:
	v_readlane_b32 s4, v41, 4
	v_readlane_b32 s5, v41, 5
	v_writelane_b32 v41, s4, 6
	s_mov_b64 s[64:65], -1
	s_mov_b64 s[70:71], 0
	v_writelane_b32 v41, s5, 7
	s_mov_b64 s[4:5], 0
	s_and_saveexec_b64 s[66:67], vcc
	s_cbranch_execz .LBB166_5978
; %bb.5851:
	v_readlane_b32 s4, v41, 2
	v_add_u32_e32 v4, s4, v17
	v_mul_lo_u32 v4, v4, v14
	v_mov_b32_e32 v7, 10
	v_readlane_b32 s68, v41, 4
	s_mov_b64 s[4:5], 0
	v_add_co_u32_e32 v4, vcc, v2, v4
	v_addc_co_u32_e32 v5, vcc, 0, v3, vcc
	s_waitcnt vmcnt(0)
	v_cmp_nle_f32_e32 vcc, v49, v0
	v_cndmask_b32_e32 v6, v1, v48, vcc
	v_cmp_gt_i16_sdwa vcc, v13, v7 src0_sel:BYTE_0 src1_sel:DWORD
	v_readlane_b32 s69, v41, 5
	s_and_saveexec_b64 s[48:49], vcc
	s_xor_b64 s[64:65], exec, s[48:49]
	s_cbranch_execz .LBB166_5933
; %bb.5852:
	v_mov_b32_e32 v7, 25
	v_readlane_b32 s68, v41, 4
	v_cmp_gt_i16_sdwa vcc, v13, v7 src0_sel:BYTE_0 src1_sel:DWORD
	v_readlane_b32 s69, v41, 5
	s_and_saveexec_b64 s[48:49], vcc
	s_xor_b64 s[80:81], exec, s[48:49]
	s_cbranch_execz .LBB166_5888
; %bb.5853:
	v_mov_b32_e32 v7, 28
	v_readlane_b32 s82, v41, 4
	v_cmp_gt_i16_sdwa vcc, v13, v7 src0_sel:BYTE_0 src1_sel:DWORD
	v_readlane_b32 s83, v41, 5
	s_and_saveexec_b64 s[48:49], vcc
	s_xor_b64 s[68:69], exec, s[48:49]
	s_cbranch_execz .LBB166_5871
; %bb.5854:
	v_mov_b32_e32 v7, 43
	v_readlane_b32 vcc_lo, v41, 4
	v_cmp_gt_i16_sdwa s[48:49], v13, v7 src0_sel:BYTE_0 src1_sel:DWORD
	v_readlane_b32 vcc_hi, v41, 5
	s_and_saveexec_b64 s[50:51], s[48:49]
	s_xor_b64 s[82:83], exec, s[50:51]
	s_cbranch_execz .LBB166_5866
; %bb.5855:
	v_mov_b32_e32 v7, 45
	v_readlane_b32 s86, v41, 4
	v_cmp_gt_i16_sdwa s[4:5], v13, v7 src0_sel:BYTE_0 src1_sel:DWORD
	s_mov_b64 s[84:85], 0
	v_readlane_b32 s87, v41, 5
	s_and_saveexec_b64 vcc, s[4:5]
	s_xor_b64 s[4:5], exec, vcc
	s_cbranch_execz .LBB166_5859
; %bb.5856:
	v_mov_b32_e32 v7, 46
	v_cmp_eq_u16_sdwa s[48:49], v13, v7 src0_sel:BYTE_0 src1_sel:DWORD
	s_mov_b64 vcc, -1
	s_and_saveexec_b64 s[84:85], s[48:49]
	s_cbranch_execz .LBB166_5858
; %bb.5857:
	v_bfe_u32 v7, v6, 16, 1
	s_movk_i32 vcc_lo, 0x7fff
	v_add3_u32 v7, v6, v7, vcc_lo
	v_cmp_o_f32_e32 vcc, v6, v6
	v_mov_b32_e32 v6, 0x7fc0
	v_cndmask_b32_sdwa v6, v6, v7, vcc dst_sel:DWORD dst_unused:UNUSED_PAD src0_sel:DWORD src1_sel:WORD_1
	s_mov_b64 s[54:55], exec
	flat_store_dword v[4:5], v6
	s_xor_b64 vcc, exec, -1
.LBB166_5858:
	s_or_b64 exec, exec, s[84:85]
	v_readlane_b32 s48, v41, 4
	v_readlane_b32 s49, v41, 5
	s_andn2_b64 s[48:49], s[48:49], exec
	s_and_b64 vcc, vcc, exec
	s_or_b64 s[86:87], s[48:49], vcc
	s_and_b64 s[84:85], s[54:55], exec
                                        ; implicit-def: $vgpr4_vgpr5
                                        ; implicit-def: $vgpr6
.LBB166_5859:
	s_andn2_saveexec_b64 s[96:97], s[4:5]
	s_cbranch_execz .LBB166_5865
; %bb.5860:
	v_mov_b32_e32 v7, 44
	v_cmp_eq_u16_sdwa s[48:49], v13, v7 src0_sel:BYTE_0 src1_sel:DWORD
	s_mov_b64 vcc, -1
	s_mov_b64 s[4:5], s[84:85]
	s_and_saveexec_b64 s[54:55], s[48:49]
	s_cbranch_execz .LBB166_5864
; %bb.5861:
	v_bfe_u32 v7, v6, 23, 8
	s_movk_i32 s4, 0xff
	v_cmp_ne_u32_e32 vcc, s4, v7
	v_mov_b32_e32 v48, 0xff
	s_and_saveexec_b64 s[52:53], vcc
; %bb.5862:
	s_mov_b32 s4, 0x3fffff
	v_lshrrev_b32_e32 v48, 23, v6
	v_and_b32_e32 v49, 0x400000, v6
	v_and_or_b32 v6, v6, s4, v7
	v_cmp_ne_u32_e32 vcc, 0, v49
	v_cmp_ne_u32_e64 s[4:5], 0, v6
	s_and_b64 s[4:5], vcc, s[4:5]
	v_cndmask_b32_e64 v6, 0, 1, s[4:5]
	v_add_u32_e32 v48, v48, v6
; %bb.5863:
	s_or_b64 exec, exec, s[52:53]
	s_xor_b64 vcc, exec, -1
	s_or_b64 s[4:5], s[84:85], exec
	flat_store_byte v[4:5], v48
.LBB166_5864:
	s_or_b64 exec, exec, s[54:55]
	s_andn2_b64 s[48:49], s[86:87], exec
	s_and_b64 vcc, vcc, exec
	s_or_b64 s[86:87], s[48:49], vcc
	s_andn2_b64 vcc, s[84:85], exec
	s_and_b64 s[4:5], s[4:5], exec
	s_or_b64 s[84:85], vcc, s[4:5]
.LBB166_5865:
	s_or_b64 exec, exec, s[96:97]
	v_readlane_b32 s4, v41, 4
	v_readlane_b32 s5, v41, 5
	s_andn2_b64 s[4:5], s[4:5], exec
	s_and_b64 vcc, s[86:87], exec
	s_or_b64 vcc, s[4:5], vcc
	s_and_b64 s[4:5], s[84:85], exec
                                        ; implicit-def: $vgpr6
                                        ; implicit-def: $vgpr4_vgpr5
.LBB166_5866:
	s_andn2_saveexec_b64 s[82:83], s[82:83]
	s_cbranch_execz .LBB166_5870
; %bb.5867:
	v_mov_b32_e32 v7, 29
	v_cmp_eq_u16_sdwa s[48:49], v13, v7 src0_sel:BYTE_0 src1_sel:DWORD
	s_mov_b64 s[84:85], -1
	s_mov_b64 s[52:53], s[4:5]
	s_and_saveexec_b64 s[54:55], s[48:49]
	s_cbranch_execz .LBB166_5869
; %bb.5868:
	v_trunc_f32_e32 v6, v6
	v_mul_f32_e32 v7, 0x2f800000, v6
	v_floor_f32_e32 v48, v7
	v_fmac_f32_e32 v6, 0xcf800000, v48
	v_cvt_u32_f32_e32 v7, v48
	v_cvt_u32_f32_e32 v6, v6
	s_xor_b64 s[84:85], exec, -1
	s_or_b64 s[52:53], s[4:5], exec
	flat_store_dwordx2 v[4:5], v[6:7]
.LBB166_5869:
	s_or_b64 exec, exec, s[54:55]
	s_andn2_b64 vcc, vcc, exec
	s_and_b64 s[48:49], s[84:85], exec
	s_or_b64 vcc, vcc, s[48:49]
	s_andn2_b64 s[4:5], s[4:5], exec
	s_and_b64 s[48:49], s[52:53], exec
	s_or_b64 s[4:5], s[4:5], s[48:49]
.LBB166_5870:
	s_or_b64 exec, exec, s[82:83]
	v_readlane_b32 s48, v41, 4
	v_readlane_b32 s49, v41, 5
	s_andn2_b64 s[48:49], s[48:49], exec
	s_and_b64 vcc, vcc, exec
	s_or_b64 s[82:83], s[48:49], vcc
	s_and_b64 s[4:5], s[4:5], exec
                                        ; implicit-def: $vgpr4_vgpr5
                                        ; implicit-def: $vgpr6
.LBB166_5871:
	s_andn2_saveexec_b64 s[68:69], s[68:69]
	s_cbranch_execz .LBB166_5887
; %bb.5872:
	v_mov_b32_e32 v7, 26
	v_cmp_gt_i16_sdwa vcc, v13, v7 src0_sel:BYTE_0 src1_sel:DWORD
	s_and_saveexec_b64 s[48:49], vcc
	s_xor_b64 vcc, exec, s[48:49]
	s_cbranch_execz .LBB166_5878
; %bb.5873:
	v_cvt_u32_f32_e32 v6, v6
	v_mov_b32_e32 v7, 27
	v_cmp_gt_i16_sdwa s[48:49], v13, v7 src0_sel:BYTE_0 src1_sel:DWORD
	s_and_saveexec_b64 s[50:51], s[48:49]
	s_xor_b64 s[50:51], exec, s[50:51]
	s_cbranch_execz .LBB166_5875
; %bb.5874:
	flat_store_dword v[4:5], v6
                                        ; implicit-def: $vgpr4_vgpr5
                                        ; implicit-def: $vgpr6
.LBB166_5875:
	s_andn2_saveexec_b64 s[50:51], s[50:51]
	s_cbranch_execz .LBB166_5877
; %bb.5876:
	flat_store_short v[4:5], v6
.LBB166_5877:
	s_or_b64 exec, exec, s[50:51]
                                        ; implicit-def: $vgpr4_vgpr5
                                        ; implicit-def: $vgpr6
.LBB166_5878:
	s_andn2_saveexec_b64 s[84:85], vcc
	s_cbranch_execz .LBB166_5886
; %bb.5879:
	v_and_b32_e32 v7, 0x7fffffff, v6
	s_mov_b32 vcc_lo, 0x43800000
	v_cmp_gt_u32_e32 vcc, vcc_lo, v7
	v_mov_b32_e32 v48, 0x80
	s_and_saveexec_b64 s[86:87], vcc
	s_cbranch_execz .LBB166_5885
; %bb.5880:
	s_mov_b32 vcc_lo, 0x3bffffff
	v_cmp_lt_u32_e32 vcc, vcc_lo, v7
	s_mov_b64 s[54:55], 0
                                        ; implicit-def: $vgpr7
	s_and_saveexec_b64 s[48:49], vcc
	s_xor_b64 vcc, exec, s[48:49]
	s_cbranch_execnz .LBB166_7883
; %bb.5881:
	s_andn2_saveexec_b64 s[96:97], vcc
	s_cbranch_execnz .LBB166_7884
.LBB166_5882:
	s_or_b64 exec, exec, s[96:97]
	v_mov_b32_e32 v48, 0
	s_and_saveexec_b64 vcc, s[54:55]
.LBB166_5883:
	v_lshrrev_b32_e32 v6, 24, v6
	s_movk_i32 s48, 0x80
	v_and_or_b32 v48, v6, s48, v7
.LBB166_5884:
	s_or_b64 exec, exec, vcc
.LBB166_5885:
	s_or_b64 exec, exec, s[86:87]
	flat_store_byte v[4:5], v48
.LBB166_5886:
	s_or_b64 exec, exec, s[84:85]
	s_or_b64 s[4:5], s[4:5], exec
.LBB166_5887:
	s_or_b64 exec, exec, s[68:69]
	v_readlane_b32 vcc_lo, v41, 4
	v_readlane_b32 vcc_hi, v41, 5
	s_andn2_b64 vcc, vcc, exec
	s_and_b64 s[48:49], s[82:83], exec
	s_or_b64 s[68:69], vcc, s[48:49]
	s_and_b64 s[4:5], s[4:5], exec
                                        ; implicit-def: $vgpr6
                                        ; implicit-def: $vgpr4_vgpr5
.LBB166_5888:
	s_andn2_saveexec_b64 s[80:81], s[80:81]
	s_cbranch_execz .LBB166_5932
; %bb.5889:
	v_mov_b32_e32 v7, 22
	v_cmp_gt_i16_sdwa vcc, v13, v7 src0_sel:BYTE_0 src1_sel:DWORD
	s_mov_b64 s[84:85], s[4:5]
	s_and_saveexec_b64 s[48:49], vcc
	s_xor_b64 s[82:83], exec, s[48:49]
	s_cbranch_execz .LBB166_5921
; %bb.5890:
	v_mov_b32_e32 v7, 23
	v_cmp_gt_i16_sdwa vcc, v13, v7 src0_sel:BYTE_0 src1_sel:DWORD
	s_and_saveexec_b64 s[48:49], vcc
	s_xor_b64 s[84:85], exec, s[48:49]
	s_cbranch_execz .LBB166_5910
; %bb.5891:
	v_mov_b32_e32 v7, 24
	v_cmp_gt_i16_sdwa vcc, v13, v7 src0_sel:BYTE_0 src1_sel:DWORD
	s_and_saveexec_b64 s[48:49], vcc
	s_xor_b64 s[86:87], exec, s[48:49]
	s_cbranch_execz .LBB166_5899
; %bb.5892:
	v_and_b32_e32 v7, 0x7fffffff, v6
	s_mov_b32 vcc_lo, 0x47800000
	v_cmp_gt_u32_e32 vcc, vcc_lo, v7
	v_mov_b32_e32 v48, 0x80
	s_and_saveexec_b64 s[96:97], vcc
	s_cbranch_execz .LBB166_5898
; %bb.5893:
	s_mov_b32 vcc_lo, 0x37ffffff
	v_cmp_lt_u32_e32 vcc, vcc_lo, v7
	s_mov_b64 s[52:53], 0
                                        ; implicit-def: $vgpr7
	s_and_saveexec_b64 s[48:49], vcc
	s_xor_b64 vcc, exec, s[48:49]
	s_cbranch_execnz .LBB166_7885
; %bb.5894:
	s_andn2_saveexec_b64 s[54:55], vcc
	s_cbranch_execnz .LBB166_7886
.LBB166_5895:
	s_or_b64 exec, exec, s[54:55]
	v_mov_b32_e32 v48, 0
	s_and_saveexec_b64 vcc, s[52:53]
.LBB166_5896:
	v_lshrrev_b32_e32 v6, 24, v6
	s_movk_i32 s48, 0x80
	v_and_or_b32 v48, v6, s48, v7
.LBB166_5897:
	s_or_b64 exec, exec, vcc
.LBB166_5898:
	s_or_b64 exec, exec, s[96:97]
	flat_store_byte v[4:5], v48
                                        ; implicit-def: $vgpr6
                                        ; implicit-def: $vgpr4_vgpr5
.LBB166_5899:
	s_andn2_saveexec_b64 s[86:87], s[86:87]
	s_cbranch_execz .LBB166_5909
; %bb.5900:
	v_and_b32_e32 v48, 0x7fffffff, v6
	s_mov_b32 vcc_lo, 0x43f00000
	v_cmp_gt_u32_e32 vcc, vcc_lo, v48
                                        ; implicit-def: $vgpr7
	s_and_saveexec_b64 s[48:49], vcc
	s_xor_b64 s[96:97], exec, s[48:49]
	s_cbranch_execz .LBB166_5906
; %bb.5901:
	s_mov_b32 vcc_lo, 0x3c7fffff
	v_cmp_lt_u32_e32 vcc, vcc_lo, v48
                                        ; implicit-def: $vgpr7
	s_and_saveexec_b64 s[48:49], vcc
	s_xor_b64 s[52:53], exec, s[48:49]
; %bb.5902:
	v_bfe_u32 v7, v6, 20, 1
	s_mov_b32 vcc_lo, 0x407ffff
	v_add3_u32 v7, v6, v7, vcc_lo
	v_lshrrev_b32_e32 v48, 20, v7
	v_and_b32_e32 v7, 0xff00000, v7
	s_mov_b32 vcc_lo, 0x7f00000
	v_mov_b32_e32 v49, 0x7e
	v_cmp_ne_u32_e32 vcc, vcc_lo, v7
	v_cndmask_b32_e32 v7, v49, v48, vcc
; %bb.5903:
	s_andn2_saveexec_b64 vcc, s[52:53]
; %bb.5904:
	s_mov_b32 s48, 0x46800000
	v_add_f32_e64 v7, |v6|, s48
; %bb.5905:
	s_or_b64 exec, exec, vcc
                                        ; implicit-def: $vgpr48
.LBB166_5906:
	s_andn2_saveexec_b64 s[52:53], s[96:97]
; %bb.5907:
	s_mov_b32 vcc_lo, 0x7f800000
	v_mov_b32_e32 v7, 0x7e
	v_mov_b32_e32 v49, 0x7f
	v_cmp_lt_u32_e32 vcc, vcc_lo, v48
	v_cndmask_b32_e32 v7, v7, v49, vcc
; %bb.5908:
	s_or_b64 exec, exec, s[52:53]
	v_lshrrev_b32_e32 v6, 24, v6
	s_movk_i32 vcc_lo, 0x80
	v_and_or_b32 v6, v6, vcc_lo, v7
	flat_store_byte v[4:5], v6
.LBB166_5909:
	s_or_b64 exec, exec, s[86:87]
                                        ; implicit-def: $vgpr6
                                        ; implicit-def: $vgpr4_vgpr5
.LBB166_5910:
	s_andn2_saveexec_b64 s[84:85], s[84:85]
	s_cbranch_execz .LBB166_5920
; %bb.5911:
	v_and_b32_e32 v48, 0x7fffffff, v6
	s_mov_b32 vcc_lo, 0x47800000
	v_cmp_gt_u32_e32 vcc, vcc_lo, v48
                                        ; implicit-def: $vgpr7
	s_and_saveexec_b64 s[48:49], vcc
	s_xor_b64 s[54:55], exec, s[48:49]
	s_cbranch_execz .LBB166_5917
; %bb.5912:
	s_mov_b32 vcc_lo, 0x387fffff
	v_cmp_lt_u32_e32 vcc, vcc_lo, v48
                                        ; implicit-def: $vgpr7
	s_and_saveexec_b64 s[48:49], vcc
	s_xor_b64 vcc, exec, s[48:49]
; %bb.5913:
	v_bfe_u32 v7, v6, 21, 1
	s_mov_b32 s48, 0x80fffff
	v_add3_u32 v7, v6, v7, s48
	v_lshrrev_b32_e32 v7, 21, v7
; %bb.5914:
	s_andn2_saveexec_b64 vcc, vcc
; %bb.5915:
	s_mov_b32 s48, 0x43000000
	v_add_f32_e64 v7, |v6|, s48
; %bb.5916:
	s_or_b64 exec, exec, vcc
                                        ; implicit-def: $vgpr48
.LBB166_5917:
	s_andn2_saveexec_b64 s[52:53], s[54:55]
; %bb.5918:
	s_mov_b32 vcc_lo, 0x7f800000
	v_mov_b32_e32 v7, 0x7c
	v_mov_b32_e32 v49, 0x7f
	v_cmp_lt_u32_e32 vcc, vcc_lo, v48
	v_cndmask_b32_e32 v7, v7, v49, vcc
; %bb.5919:
	s_or_b64 exec, exec, s[52:53]
	v_lshrrev_b32_e32 v6, 24, v6
	s_movk_i32 vcc_lo, 0x80
	v_and_or_b32 v6, v6, vcc_lo, v7
	flat_store_byte v[4:5], v6
.LBB166_5920:
	s_or_b64 exec, exec, s[84:85]
	s_or_b64 s[84:85], s[4:5], exec
                                        ; implicit-def: $vgpr6
                                        ; implicit-def: $vgpr4_vgpr5
.LBB166_5921:
	s_or_saveexec_b64 s[82:83], s[82:83]
	s_mov_b64 vcc, s[68:69]
	s_xor_b64 exec, exec, s[82:83]
	s_cbranch_execz .LBB166_5931
; %bb.5922:
	v_mov_b32_e32 v7, 14
	v_cmp_gt_i16_sdwa vcc, v13, v7 src0_sel:BYTE_0 src1_sel:DWORD
	s_mov_b64 s[86:87], s[84:85]
	s_mov_b64 s[96:97], s[68:69]
	s_and_saveexec_b64 s[48:49], vcc
	s_xor_b64 s[54:55], exec, s[48:49]
	s_cbranch_execz .LBB166_5926
; %bb.5923:
	v_mov_b32_e32 v7, 15
	v_cmp_eq_u16_sdwa s[48:49], v13, v7 src0_sel:BYTE_0 src1_sel:DWORD
	s_mov_b64 s[52:53], -1
	s_mov_b64 vcc, s[84:85]
	s_and_saveexec_b64 s[86:87], s[48:49]
	s_cbranch_execz .LBB166_5925
; %bb.5924:
	v_bfe_u32 v7, v6, 16, 1
	s_movk_i32 vcc_lo, 0x7fff
	v_add3_u32 v7, v6, v7, vcc_lo
	v_cmp_o_f32_e32 vcc, v6, v6
	v_mov_b32_e32 v6, 0x7fc0
	v_cndmask_b32_sdwa v6, v6, v7, vcc dst_sel:DWORD dst_unused:UNUSED_PAD src0_sel:DWORD src1_sel:WORD_1
	flat_store_short v[4:5], v6
	s_xor_b64 s[52:53], exec, -1
	s_or_b64 vcc, s[84:85], exec
.LBB166_5925:
	s_or_b64 exec, exec, s[86:87]
	s_andn2_b64 s[48:49], s[68:69], exec
	s_and_b64 s[50:51], s[52:53], exec
	s_or_b64 s[96:97], s[48:49], s[50:51]
	s_andn2_b64 s[48:49], s[84:85], exec
	s_and_b64 vcc, vcc, exec
	s_or_b64 s[86:87], s[48:49], vcc
                                        ; implicit-def: $vgpr6
                                        ; implicit-def: $vgpr4_vgpr5
.LBB166_5926:
	s_andn2_saveexec_b64 s[54:55], s[54:55]
	s_cbranch_execz .LBB166_5930
; %bb.5927:
	v_mov_b32_e32 v7, 11
	v_cmp_eq_u16_sdwa s[48:49], v13, v7 src0_sel:BYTE_0 src1_sel:DWORD
	s_mov_b64 s[52:53], -1
	s_mov_b64 vcc, s[86:87]
	s_and_saveexec_b64 s[50:51], s[48:49]
	s_cbranch_execz .LBB166_5929
; %bb.5928:
	v_cmp_neq_f32_e32 vcc, 0, v6
	v_cndmask_b32_e64 v6, 0, 1, vcc
	flat_store_byte v[4:5], v6
	s_xor_b64 s[52:53], exec, -1
	s_or_b64 vcc, s[86:87], exec
.LBB166_5929:
	s_or_b64 exec, exec, s[50:51]
	s_andn2_b64 s[48:49], s[96:97], exec
	s_and_b64 s[50:51], s[52:53], exec
	s_or_b64 s[96:97], s[48:49], s[50:51]
	s_andn2_b64 s[48:49], s[86:87], exec
	s_and_b64 vcc, vcc, exec
	s_or_b64 s[86:87], s[48:49], vcc
.LBB166_5930:
	s_or_b64 exec, exec, s[54:55]
	s_andn2_b64 vcc, s[68:69], exec
	s_and_b64 s[48:49], s[96:97], exec
	s_or_b64 vcc, vcc, s[48:49]
	s_andn2_b64 s[48:49], s[84:85], exec
	s_and_b64 s[50:51], s[86:87], exec
	s_or_b64 s[84:85], s[48:49], s[50:51]
.LBB166_5931:
	s_or_b64 exec, exec, s[82:83]
	s_andn2_b64 s[48:49], s[68:69], exec
	s_and_b64 vcc, vcc, exec
	s_or_b64 s[68:69], s[48:49], vcc
	s_andn2_b64 s[4:5], s[4:5], exec
	s_and_b64 vcc, s[84:85], exec
	s_or_b64 s[4:5], s[4:5], vcc
.LBB166_5932:
	s_or_b64 exec, exec, s[80:81]
	v_readlane_b32 vcc_lo, v41, 4
	v_readlane_b32 vcc_hi, v41, 5
	s_andn2_b64 vcc, vcc, exec
	s_and_b64 s[48:49], s[68:69], exec
	s_or_b64 s[68:69], vcc, s[48:49]
	s_and_b64 s[4:5], s[4:5], exec
                                        ; implicit-def: $vgpr6
                                        ; implicit-def: $vgpr4_vgpr5
.LBB166_5933:
	s_andn2_saveexec_b64 s[64:65], s[64:65]
	s_cbranch_execz .LBB166_5975
; %bb.5934:
	v_mov_b32_e32 v7, 4
	v_cmp_gt_i16_sdwa vcc, v13, v7 src0_sel:BYTE_0 src1_sel:DWORD
	s_and_saveexec_b64 s[48:49], vcc
	s_xor_b64 vcc, exec, s[48:49]
	s_cbranch_execz .LBB166_5956
; %bb.5935:
	v_mov_b32_e32 v7, 7
	v_cmp_gt_i16_sdwa s[48:49], v13, v7 src0_sel:BYTE_0 src1_sel:DWORD
	s_and_saveexec_b64 s[50:51], s[48:49]
	s_xor_b64 s[80:81], exec, s[50:51]
	s_cbranch_execz .LBB166_5945
; %bb.5936:
	v_mov_b32_e32 v7, 8
	v_cmp_gt_i16_sdwa s[48:49], v13, v7 src0_sel:BYTE_0 src1_sel:DWORD
	s_and_saveexec_b64 s[50:51], s[48:49]
	s_xor_b64 s[54:55], exec, s[50:51]
	;; [unrolled: 6-line block ×3, first 2 shown]
	s_cbranch_execz .LBB166_5939
; %bb.5938:
	v_cvt_f64_f32_e32 v[48:49], v6
	v_mov_b32_e32 v50, 0
	v_mov_b32_e32 v51, v50
                                        ; implicit-def: $vgpr6
	flat_store_dwordx4 v[4:5], v[48:51]
                                        ; implicit-def: $vgpr4_vgpr5
.LBB166_5939:
	s_andn2_saveexec_b64 s[50:51], s[50:51]
	s_cbranch_execz .LBB166_5941
; %bb.5940:
	v_mov_b32_e32 v7, 0
	flat_store_dwordx2 v[4:5], v[6:7]
.LBB166_5941:
	s_or_b64 exec, exec, s[50:51]
                                        ; implicit-def: $vgpr6
                                        ; implicit-def: $vgpr4_vgpr5
.LBB166_5942:
	s_andn2_saveexec_b64 s[50:51], s[54:55]
	s_cbranch_execz .LBB166_5944
; %bb.5943:
	v_cvt_f16_f32_e32 v6, v6
	flat_store_dword v[4:5], v6
.LBB166_5944:
	s_or_b64 exec, exec, s[50:51]
                                        ; implicit-def: $vgpr6
                                        ; implicit-def: $vgpr4_vgpr5
.LBB166_5945:
	s_andn2_saveexec_b64 s[80:81], s[80:81]
	s_cbranch_execz .LBB166_5955
; %bb.5946:
	v_mov_b32_e32 v7, 5
	v_cmp_gt_i16_sdwa s[48:49], v13, v7 src0_sel:BYTE_0 src1_sel:DWORD
	s_and_saveexec_b64 s[50:51], s[48:49]
	s_xor_b64 s[54:55], exec, s[50:51]
	s_cbranch_execz .LBB166_5952
; %bb.5947:
	v_mov_b32_e32 v7, 6
	v_cmp_gt_i16_sdwa s[48:49], v13, v7 src0_sel:BYTE_0 src1_sel:DWORD
	s_and_saveexec_b64 s[50:51], s[48:49]
	s_xor_b64 s[50:51], exec, s[50:51]
	s_cbranch_execz .LBB166_5949
; %bb.5948:
	v_cvt_f64_f32_e32 v[6:7], v6
	flat_store_dwordx2 v[4:5], v[6:7]
                                        ; implicit-def: $vgpr4_vgpr5
                                        ; implicit-def: $vgpr6
.LBB166_5949:
	s_andn2_saveexec_b64 s[50:51], s[50:51]
	s_cbranch_execz .LBB166_5951
; %bb.5950:
	flat_store_dword v[4:5], v6
.LBB166_5951:
	s_or_b64 exec, exec, s[50:51]
                                        ; implicit-def: $vgpr6
                                        ; implicit-def: $vgpr4_vgpr5
.LBB166_5952:
	s_andn2_saveexec_b64 s[50:51], s[54:55]
	s_cbranch_execz .LBB166_5954
; %bb.5953:
	v_cvt_f16_f32_e32 v6, v6
	flat_store_short v[4:5], v6
.LBB166_5954:
	s_or_b64 exec, exec, s[50:51]
.LBB166_5955:
	s_or_b64 exec, exec, s[80:81]
                                        ; implicit-def: $vgpr6
                                        ; implicit-def: $vgpr4_vgpr5
.LBB166_5956:
	s_andn2_saveexec_b64 s[80:81], vcc
	s_cbranch_execz .LBB166_5974
; %bb.5957:
	v_mov_b32_e32 v7, 1
	v_cmp_gt_i16_sdwa vcc, v13, v7 src0_sel:BYTE_0 src1_sel:DWORD
	s_and_saveexec_b64 s[48:49], vcc
	s_xor_b64 s[82:83], exec, s[48:49]
	s_cbranch_execz .LBB166_5967
; %bb.5958:
	v_mov_b32_e32 v7, 2
	v_cmp_gt_i16_sdwa vcc, v13, v7 src0_sel:BYTE_0 src1_sel:DWORD
	s_and_saveexec_b64 s[48:49], vcc
	s_xor_b64 s[84:85], exec, s[48:49]
	;; [unrolled: 6-line block ×3, first 2 shown]
	s_cbranch_execz .LBB166_5961
; %bb.5960:
	v_trunc_f32_e32 v6, v6
	s_mov_b32 s48, 0x2f800000
	v_mul_f32_e64 v7, |v6|, s48
	v_floor_f32_e32 v7, v7
	s_mov_b32 s48, 0xcf800000
	v_cvt_u32_f32_e32 v48, v7
	v_fma_f32 v7, v7, s48, |v6|
	v_cvt_u32_f32_e32 v7, v7
	v_ashrrev_i32_e32 v49, 31, v6
	v_xor_b32_e32 v48, v48, v49
	v_xor_b32_e32 v6, v7, v49
	v_sub_co_u32_e32 v6, vcc, v6, v49
	v_subb_co_u32_e32 v7, vcc, v48, v49, vcc
	flat_store_dwordx2 v[4:5], v[6:7]
                                        ; implicit-def: $vgpr6
                                        ; implicit-def: $vgpr4_vgpr5
.LBB166_5961:
	s_andn2_saveexec_b64 vcc, s[54:55]
	s_cbranch_execz .LBB166_5963
; %bb.5962:
	v_cvt_i32_f32_e32 v6, v6
	flat_store_dword v[4:5], v6
.LBB166_5963:
	s_or_b64 exec, exec, vcc
                                        ; implicit-def: $vgpr6
                                        ; implicit-def: $vgpr4_vgpr5
.LBB166_5964:
	s_andn2_saveexec_b64 vcc, s[84:85]
	s_cbranch_execz .LBB166_5966
; %bb.5965:
	v_cvt_i32_f32_e32 v6, v6
	flat_store_short v[4:5], v6
.LBB166_5966:
	s_or_b64 exec, exec, vcc
                                        ; implicit-def: $vgpr6
                                        ; implicit-def: $vgpr4_vgpr5
.LBB166_5967:
	s_andn2_saveexec_b64 vcc, s[82:83]
	s_cbranch_execz .LBB166_5973
; %bb.5968:
	v_mov_b32_e32 v7, 0
	v_cmp_gt_i16_sdwa s[48:49], v13, v7 src0_sel:BYTE_0 src1_sel:DWORD
	s_and_saveexec_b64 s[50:51], s[48:49]
	s_xor_b64 s[50:51], exec, s[50:51]
	s_cbranch_execz .LBB166_5970
; %bb.5969:
	v_cvt_i32_f32_e32 v6, v6
	flat_store_byte v[4:5], v6
                                        ; implicit-def: $vgpr6
                                        ; implicit-def: $vgpr4_vgpr5
.LBB166_5970:
	s_andn2_saveexec_b64 s[54:55], s[50:51]
	s_cbranch_execz .LBB166_5972
; %bb.5971:
	v_trunc_f32_e32 v6, v6
	s_mov_b32 s48, 0x2f800000
	v_mul_f32_e64 v7, |v6|, s48
	v_floor_f32_e32 v7, v7
	s_mov_b32 s48, 0xcf800000
	v_fma_f32 v7, v7, s48, |v6|
	v_cvt_u32_f32_e32 v7, v7
	v_ashrrev_i32_e32 v6, 31, v6
	v_xor_b32_e32 v7, v7, v6
	v_sub_u32_e32 v6, v7, v6
	flat_store_byte v[4:5], v6
.LBB166_5972:
	s_or_b64 exec, exec, s[54:55]
.LBB166_5973:
	s_or_b64 exec, exec, vcc
.LBB166_5974:
	s_or_b64 exec, exec, s[80:81]
	s_or_b64 s[4:5], s[4:5], exec
.LBB166_5975:
	s_or_b64 exec, exec, s[64:65]
	s_mov_b64 s[54:55], 0
	s_mov_b64 vcc, 0
	s_and_saveexec_b64 s[52:53], s[4:5]
; %bb.5976:
	v_add_u32_e32 v17, 0x200, v17
	v_cmp_lt_i32_e32 vcc, v17, v8
	s_mov_b64 s[54:55], exec
	s_and_b64 vcc, vcc, exec
; %bb.5977:
	s_or_b64 exec, exec, s[52:53]
	s_and_b64 s[4:5], vcc, exec
	v_readlane_b32 vcc_lo, v41, 4
	v_readlane_b32 vcc_hi, v41, 5
	s_andn2_b64 vcc, vcc, exec
	s_and_b64 s[48:49], s[68:69], exec
	s_or_b64 vcc, vcc, s[48:49]
	v_writelane_b32 v41, vcc_lo, 6
	v_writelane_b32 v41, vcc_hi, 7
	s_orn2_b64 s[64:65], s[54:55], exec
.LBB166_5978:
	s_or_b64 exec, exec, s[66:67]
	s_mov_b64 vcc, 0
	s_mov_b64 s[54:55], 0
                                        ; implicit-def: $vgpr4
                                        ; implicit-def: $vgpr112
                                        ; implicit-def: $vgpr6_vgpr7
	s_mov_b64 s[48:49], exec
	v_writelane_b32 v41, s48, 12
	v_writelane_b32 v41, s49, 13
	s_and_b64 s[48:49], s[48:49], s[64:65]
	s_mov_b64 exec, s[48:49]
	s_cbranch_execz .LBB166_7750
; %bb.5979:
	v_readlane_b32 vcc_lo, v41, 6
	v_readlane_b32 vcc_hi, v41, 7
	v_writelane_b32 v41, vcc_lo, 16
	s_mov_b64 s[64:65], -1
	s_mov_b64 s[82:83], 0
	v_writelane_b32 v41, vcc_hi, 17
	s_mov_b64 vcc, 0
	s_and_saveexec_b64 s[70:71], s[4:5]
	s_cbranch_execz .LBB166_6107
; %bb.5980:
	v_readlane_b32 s4, v41, 2
	v_add_u32_e32 v4, s4, v17
	v_mul_lo_u32 v4, v4, v14
	v_mov_b32_e32 v7, 10
	v_readlane_b32 s80, v41, 6
	s_mov_b64 s[4:5], 0
	v_add_co_u32_e32 v4, vcc, v2, v4
	v_addc_co_u32_e32 v5, vcc, 0, v3, vcc
	s_waitcnt vmcnt(0)
	v_cmp_nle_f32_e32 vcc, v39, v0
	v_cndmask_b32_e32 v6, v1, v38, vcc
	v_cmp_gt_i16_sdwa vcc, v13, v7 src0_sel:BYTE_0 src1_sel:DWORD
	v_readlane_b32 s81, v41, 7
	s_and_saveexec_b64 s[48:49], vcc
	s_xor_b64 s[68:69], exec, s[48:49]
	s_cbranch_execz .LBB166_6062
; %bb.5981:
	v_mov_b32_e32 v7, 25
	v_readlane_b32 s80, v41, 6
	v_cmp_gt_i16_sdwa vcc, v13, v7 src0_sel:BYTE_0 src1_sel:DWORD
	v_readlane_b32 s81, v41, 7
	s_and_saveexec_b64 s[48:49], vcc
	s_xor_b64 s[84:85], exec, s[48:49]
	s_cbranch_execz .LBB166_6017
; %bb.5982:
	v_mov_b32_e32 v7, 28
	v_readlane_b32 s86, v41, 6
	v_cmp_gt_i16_sdwa vcc, v13, v7 src0_sel:BYTE_0 src1_sel:DWORD
	v_readlane_b32 s87, v41, 7
	s_and_saveexec_b64 s[48:49], vcc
	s_xor_b64 s[80:81], exec, s[48:49]
	s_cbranch_execz .LBB166_6000
; %bb.5983:
	v_mov_b32_e32 v7, 43
	v_readlane_b32 vcc_lo, v41, 6
	v_cmp_gt_i16_sdwa s[48:49], v13, v7 src0_sel:BYTE_0 src1_sel:DWORD
	v_readlane_b32 vcc_hi, v41, 7
	s_and_saveexec_b64 s[50:51], s[48:49]
	s_xor_b64 s[86:87], exec, s[50:51]
	s_cbranch_execz .LBB166_5995
; %bb.5984:
	v_mov_b32_e32 v7, 45
	v_readlane_b32 s64, v41, 6
	v_cmp_gt_i16_sdwa s[4:5], v13, v7 src0_sel:BYTE_0 src1_sel:DWORD
	s_mov_b64 s[96:97], 0
	v_readlane_b32 s65, v41, 7
	s_and_saveexec_b64 vcc, s[4:5]
	s_xor_b64 s[4:5], exec, vcc
	s_cbranch_execz .LBB166_5988
; %bb.5985:
	v_mov_b32_e32 v7, 46
	v_cmp_eq_u16_sdwa s[48:49], v13, v7 src0_sel:BYTE_0 src1_sel:DWORD
	s_mov_b64 vcc, -1
	s_and_saveexec_b64 s[64:65], s[48:49]
	s_cbranch_execz .LBB166_5987
; %bb.5986:
	v_bfe_u32 v7, v6, 16, 1
	s_movk_i32 vcc_lo, 0x7fff
	v_add3_u32 v7, v6, v7, vcc_lo
	v_cmp_o_f32_e32 vcc, v6, v6
	v_mov_b32_e32 v6, 0x7fc0
	v_cndmask_b32_sdwa v6, v6, v7, vcc dst_sel:DWORD dst_unused:UNUSED_PAD src0_sel:DWORD src1_sel:WORD_1
	s_mov_b64 s[54:55], exec
	flat_store_dword v[4:5], v6
	s_xor_b64 vcc, exec, -1
.LBB166_5987:
	s_or_b64 exec, exec, s[64:65]
	v_readlane_b32 s48, v41, 6
	v_readlane_b32 s49, v41, 7
	s_andn2_b64 s[48:49], s[48:49], exec
	s_and_b64 vcc, vcc, exec
	s_or_b64 s[64:65], s[48:49], vcc
	s_and_b64 s[96:97], s[54:55], exec
                                        ; implicit-def: $vgpr4_vgpr5
                                        ; implicit-def: $vgpr6
.LBB166_5988:
	s_andn2_saveexec_b64 s[66:67], s[4:5]
	s_cbranch_execz .LBB166_5994
; %bb.5989:
	v_mov_b32_e32 v7, 44
	v_cmp_eq_u16_sdwa s[48:49], v13, v7 src0_sel:BYTE_0 src1_sel:DWORD
	s_mov_b64 vcc, -1
	s_mov_b64 s[4:5], s[96:97]
	s_and_saveexec_b64 s[54:55], s[48:49]
	s_cbranch_execz .LBB166_5993
; %bb.5990:
	v_bfe_u32 v7, v6, 23, 8
	s_movk_i32 s4, 0xff
	v_cmp_ne_u32_e32 vcc, s4, v7
	v_mov_b32_e32 v38, 0xff
	s_and_saveexec_b64 s[52:53], vcc
; %bb.5991:
	s_mov_b32 s4, 0x3fffff
	v_lshrrev_b32_e32 v38, 23, v6
	v_and_b32_e32 v39, 0x400000, v6
	v_and_or_b32 v6, v6, s4, v7
	v_cmp_ne_u32_e32 vcc, 0, v39
	v_cmp_ne_u32_e64 s[4:5], 0, v6
	s_and_b64 s[4:5], vcc, s[4:5]
	v_cndmask_b32_e64 v6, 0, 1, s[4:5]
	v_add_u32_e32 v38, v38, v6
; %bb.5992:
	s_or_b64 exec, exec, s[52:53]
	s_xor_b64 vcc, exec, -1
	s_or_b64 s[4:5], s[96:97], exec
	flat_store_byte v[4:5], v38
.LBB166_5993:
	s_or_b64 exec, exec, s[54:55]
	s_andn2_b64 s[48:49], s[64:65], exec
	s_and_b64 vcc, vcc, exec
	s_or_b64 s[64:65], s[48:49], vcc
	s_andn2_b64 vcc, s[96:97], exec
	s_and_b64 s[4:5], s[4:5], exec
	s_or_b64 s[96:97], vcc, s[4:5]
.LBB166_5994:
	s_or_b64 exec, exec, s[66:67]
	v_readlane_b32 s4, v41, 6
	v_readlane_b32 s5, v41, 7
	s_andn2_b64 s[4:5], s[4:5], exec
	s_and_b64 vcc, s[64:65], exec
	s_or_b64 vcc, s[4:5], vcc
	s_and_b64 s[4:5], s[96:97], exec
                                        ; implicit-def: $vgpr6
                                        ; implicit-def: $vgpr4_vgpr5
.LBB166_5995:
	s_andn2_saveexec_b64 s[64:65], s[86:87]
	s_cbranch_execz .LBB166_5999
; %bb.5996:
	v_mov_b32_e32 v7, 29
	v_cmp_eq_u16_sdwa s[48:49], v13, v7 src0_sel:BYTE_0 src1_sel:DWORD
	s_mov_b64 s[66:67], -1
	s_mov_b64 s[52:53], s[4:5]
	s_and_saveexec_b64 s[54:55], s[48:49]
	s_cbranch_execz .LBB166_5998
; %bb.5997:
	v_trunc_f32_e32 v6, v6
	v_mul_f32_e32 v7, 0x2f800000, v6
	v_floor_f32_e32 v38, v7
	v_fmac_f32_e32 v6, 0xcf800000, v38
	v_cvt_u32_f32_e32 v7, v38
	v_cvt_u32_f32_e32 v6, v6
	s_xor_b64 s[66:67], exec, -1
	s_or_b64 s[52:53], s[4:5], exec
	flat_store_dwordx2 v[4:5], v[6:7]
.LBB166_5998:
	s_or_b64 exec, exec, s[54:55]
	s_andn2_b64 vcc, vcc, exec
	s_and_b64 s[48:49], s[66:67], exec
	s_or_b64 vcc, vcc, s[48:49]
	s_andn2_b64 s[4:5], s[4:5], exec
	s_and_b64 s[48:49], s[52:53], exec
	s_or_b64 s[4:5], s[4:5], s[48:49]
.LBB166_5999:
	s_or_b64 exec, exec, s[64:65]
	v_readlane_b32 s48, v41, 6
	v_readlane_b32 s49, v41, 7
	s_andn2_b64 s[48:49], s[48:49], exec
	s_and_b64 vcc, vcc, exec
	s_or_b64 s[86:87], s[48:49], vcc
	s_and_b64 s[4:5], s[4:5], exec
                                        ; implicit-def: $vgpr4_vgpr5
                                        ; implicit-def: $vgpr6
.LBB166_6000:
	s_andn2_saveexec_b64 s[80:81], s[80:81]
	s_cbranch_execz .LBB166_6016
; %bb.6001:
	v_mov_b32_e32 v7, 26
	v_cmp_gt_i16_sdwa vcc, v13, v7 src0_sel:BYTE_0 src1_sel:DWORD
	s_and_saveexec_b64 s[48:49], vcc
	s_xor_b64 vcc, exec, s[48:49]
	s_cbranch_execz .LBB166_6007
; %bb.6002:
	v_cvt_u32_f32_e32 v6, v6
	v_mov_b32_e32 v7, 27
	v_cmp_gt_i16_sdwa s[48:49], v13, v7 src0_sel:BYTE_0 src1_sel:DWORD
	s_and_saveexec_b64 s[50:51], s[48:49]
	s_xor_b64 s[50:51], exec, s[50:51]
	s_cbranch_execz .LBB166_6004
; %bb.6003:
	flat_store_dword v[4:5], v6
                                        ; implicit-def: $vgpr4_vgpr5
                                        ; implicit-def: $vgpr6
.LBB166_6004:
	s_andn2_saveexec_b64 s[50:51], s[50:51]
	s_cbranch_execz .LBB166_6006
; %bb.6005:
	flat_store_short v[4:5], v6
.LBB166_6006:
	s_or_b64 exec, exec, s[50:51]
                                        ; implicit-def: $vgpr4_vgpr5
                                        ; implicit-def: $vgpr6
.LBB166_6007:
	s_andn2_saveexec_b64 s[64:65], vcc
	s_cbranch_execz .LBB166_6015
; %bb.6008:
	v_and_b32_e32 v7, 0x7fffffff, v6
	s_mov_b32 vcc_lo, 0x43800000
	v_cmp_gt_u32_e32 vcc, vcc_lo, v7
	v_mov_b32_e32 v38, 0x80
	s_and_saveexec_b64 s[96:97], vcc
	s_cbranch_execz .LBB166_6014
; %bb.6009:
	s_mov_b32 vcc_lo, 0x3bffffff
	v_cmp_lt_u32_e32 vcc, vcc_lo, v7
	s_mov_b64 s[54:55], 0
                                        ; implicit-def: $vgpr7
	s_and_saveexec_b64 s[48:49], vcc
	s_xor_b64 vcc, exec, s[48:49]
	s_cbranch_execnz .LBB166_7887
; %bb.6010:
	s_andn2_saveexec_b64 s[66:67], vcc
	s_cbranch_execnz .LBB166_7888
.LBB166_6011:
	s_or_b64 exec, exec, s[66:67]
	v_mov_b32_e32 v38, 0
	s_and_saveexec_b64 vcc, s[54:55]
.LBB166_6012:
	v_lshrrev_b32_e32 v6, 24, v6
	s_movk_i32 s48, 0x80
	v_and_or_b32 v38, v6, s48, v7
.LBB166_6013:
	s_or_b64 exec, exec, vcc
.LBB166_6014:
	s_or_b64 exec, exec, s[96:97]
	flat_store_byte v[4:5], v38
.LBB166_6015:
	s_or_b64 exec, exec, s[64:65]
	s_or_b64 s[4:5], s[4:5], exec
.LBB166_6016:
	s_or_b64 exec, exec, s[80:81]
	v_readlane_b32 vcc_lo, v41, 6
	v_readlane_b32 vcc_hi, v41, 7
	s_andn2_b64 vcc, vcc, exec
	s_and_b64 s[48:49], s[86:87], exec
	s_or_b64 s[80:81], vcc, s[48:49]
	s_and_b64 s[4:5], s[4:5], exec
                                        ; implicit-def: $vgpr6
                                        ; implicit-def: $vgpr4_vgpr5
.LBB166_6017:
	s_andn2_saveexec_b64 s[84:85], s[84:85]
	s_cbranch_execz .LBB166_6061
; %bb.6018:
	v_mov_b32_e32 v7, 22
	v_cmp_gt_i16_sdwa vcc, v13, v7 src0_sel:BYTE_0 src1_sel:DWORD
	s_mov_b64 s[96:97], s[4:5]
	s_and_saveexec_b64 s[48:49], vcc
	s_xor_b64 s[86:87], exec, s[48:49]
	s_cbranch_execz .LBB166_6050
; %bb.6019:
	v_mov_b32_e32 v7, 23
	v_cmp_gt_i16_sdwa vcc, v13, v7 src0_sel:BYTE_0 src1_sel:DWORD
	s_and_saveexec_b64 s[48:49], vcc
	s_xor_b64 s[96:97], exec, s[48:49]
	s_cbranch_execz .LBB166_6039
; %bb.6020:
	v_mov_b32_e32 v7, 24
	v_cmp_gt_i16_sdwa vcc, v13, v7 src0_sel:BYTE_0 src1_sel:DWORD
	s_and_saveexec_b64 s[48:49], vcc
	s_xor_b64 s[64:65], exec, s[48:49]
	s_cbranch_execz .LBB166_6028
; %bb.6021:
	v_and_b32_e32 v7, 0x7fffffff, v6
	s_mov_b32 vcc_lo, 0x47800000
	v_cmp_gt_u32_e32 vcc, vcc_lo, v7
	v_mov_b32_e32 v38, 0x80
	s_and_saveexec_b64 s[66:67], vcc
	s_cbranch_execz .LBB166_6027
; %bb.6022:
	s_mov_b32 vcc_lo, 0x37ffffff
	v_cmp_lt_u32_e32 vcc, vcc_lo, v7
	s_mov_b64 s[52:53], 0
                                        ; implicit-def: $vgpr7
	s_and_saveexec_b64 s[48:49], vcc
	s_xor_b64 vcc, exec, s[48:49]
	s_cbranch_execnz .LBB166_7889
; %bb.6023:
	s_andn2_saveexec_b64 s[54:55], vcc
	s_cbranch_execnz .LBB166_7890
.LBB166_6024:
	s_or_b64 exec, exec, s[54:55]
	v_mov_b32_e32 v38, 0
	s_and_saveexec_b64 vcc, s[52:53]
.LBB166_6025:
	v_lshrrev_b32_e32 v6, 24, v6
	s_movk_i32 s48, 0x80
	v_and_or_b32 v38, v6, s48, v7
.LBB166_6026:
	s_or_b64 exec, exec, vcc
.LBB166_6027:
	s_or_b64 exec, exec, s[66:67]
	flat_store_byte v[4:5], v38
                                        ; implicit-def: $vgpr6
                                        ; implicit-def: $vgpr4_vgpr5
.LBB166_6028:
	s_andn2_saveexec_b64 s[64:65], s[64:65]
	s_cbranch_execz .LBB166_6038
; %bb.6029:
	v_and_b32_e32 v38, 0x7fffffff, v6
	s_mov_b32 vcc_lo, 0x43f00000
	v_cmp_gt_u32_e32 vcc, vcc_lo, v38
                                        ; implicit-def: $vgpr7
	s_and_saveexec_b64 s[48:49], vcc
	s_xor_b64 s[66:67], exec, s[48:49]
	s_cbranch_execz .LBB166_6035
; %bb.6030:
	s_mov_b32 vcc_lo, 0x3c7fffff
	v_cmp_lt_u32_e32 vcc, vcc_lo, v38
                                        ; implicit-def: $vgpr7
	s_and_saveexec_b64 s[48:49], vcc
	s_xor_b64 s[52:53], exec, s[48:49]
; %bb.6031:
	v_bfe_u32 v7, v6, 20, 1
	s_mov_b32 vcc_lo, 0x407ffff
	v_add3_u32 v7, v6, v7, vcc_lo
	v_lshrrev_b32_e32 v38, 20, v7
	v_and_b32_e32 v7, 0xff00000, v7
	s_mov_b32 vcc_lo, 0x7f00000
	v_mov_b32_e32 v39, 0x7e
	v_cmp_ne_u32_e32 vcc, vcc_lo, v7
	v_cndmask_b32_e32 v7, v39, v38, vcc
; %bb.6032:
	s_andn2_saveexec_b64 vcc, s[52:53]
; %bb.6033:
	s_mov_b32 s48, 0x46800000
	v_add_f32_e64 v7, |v6|, s48
; %bb.6034:
	s_or_b64 exec, exec, vcc
                                        ; implicit-def: $vgpr38
.LBB166_6035:
	s_andn2_saveexec_b64 s[52:53], s[66:67]
; %bb.6036:
	s_mov_b32 vcc_lo, 0x7f800000
	v_mov_b32_e32 v7, 0x7e
	v_mov_b32_e32 v39, 0x7f
	v_cmp_lt_u32_e32 vcc, vcc_lo, v38
	v_cndmask_b32_e32 v7, v7, v39, vcc
; %bb.6037:
	s_or_b64 exec, exec, s[52:53]
	v_lshrrev_b32_e32 v6, 24, v6
	s_movk_i32 vcc_lo, 0x80
	v_and_or_b32 v6, v6, vcc_lo, v7
	flat_store_byte v[4:5], v6
.LBB166_6038:
	s_or_b64 exec, exec, s[64:65]
                                        ; implicit-def: $vgpr6
                                        ; implicit-def: $vgpr4_vgpr5
.LBB166_6039:
	s_andn2_saveexec_b64 s[64:65], s[96:97]
	s_cbranch_execz .LBB166_6049
; %bb.6040:
	v_and_b32_e32 v38, 0x7fffffff, v6
	s_mov_b32 vcc_lo, 0x47800000
	v_cmp_gt_u32_e32 vcc, vcc_lo, v38
                                        ; implicit-def: $vgpr7
	s_and_saveexec_b64 s[48:49], vcc
	s_xor_b64 s[54:55], exec, s[48:49]
	s_cbranch_execz .LBB166_6046
; %bb.6041:
	s_mov_b32 vcc_lo, 0x387fffff
	v_cmp_lt_u32_e32 vcc, vcc_lo, v38
                                        ; implicit-def: $vgpr7
	s_and_saveexec_b64 s[48:49], vcc
	s_xor_b64 vcc, exec, s[48:49]
; %bb.6042:
	v_bfe_u32 v7, v6, 21, 1
	s_mov_b32 s48, 0x80fffff
	v_add3_u32 v7, v6, v7, s48
	v_lshrrev_b32_e32 v7, 21, v7
; %bb.6043:
	s_andn2_saveexec_b64 vcc, vcc
; %bb.6044:
	s_mov_b32 s48, 0x43000000
	v_add_f32_e64 v7, |v6|, s48
; %bb.6045:
	s_or_b64 exec, exec, vcc
                                        ; implicit-def: $vgpr38
.LBB166_6046:
	s_andn2_saveexec_b64 s[52:53], s[54:55]
; %bb.6047:
	s_mov_b32 vcc_lo, 0x7f800000
	v_mov_b32_e32 v7, 0x7c
	v_mov_b32_e32 v39, 0x7f
	v_cmp_lt_u32_e32 vcc, vcc_lo, v38
	v_cndmask_b32_e32 v7, v7, v39, vcc
; %bb.6048:
	s_or_b64 exec, exec, s[52:53]
	v_lshrrev_b32_e32 v6, 24, v6
	s_movk_i32 vcc_lo, 0x80
	v_and_or_b32 v6, v6, vcc_lo, v7
	flat_store_byte v[4:5], v6
.LBB166_6049:
	s_or_b64 exec, exec, s[64:65]
	s_or_b64 s[96:97], s[4:5], exec
                                        ; implicit-def: $vgpr6
                                        ; implicit-def: $vgpr4_vgpr5
.LBB166_6050:
	s_or_saveexec_b64 s[86:87], s[86:87]
	s_mov_b64 vcc, s[80:81]
	s_xor_b64 exec, exec, s[86:87]
	s_cbranch_execz .LBB166_6060
; %bb.6051:
	v_mov_b32_e32 v7, 14
	v_cmp_gt_i16_sdwa vcc, v13, v7 src0_sel:BYTE_0 src1_sel:DWORD
	s_mov_b64 s[64:65], s[96:97]
	s_mov_b64 s[66:67], s[80:81]
	s_and_saveexec_b64 s[48:49], vcc
	s_xor_b64 s[54:55], exec, s[48:49]
	s_cbranch_execz .LBB166_6055
; %bb.6052:
	v_mov_b32_e32 v7, 15
	v_cmp_eq_u16_sdwa s[48:49], v13, v7 src0_sel:BYTE_0 src1_sel:DWORD
	s_mov_b64 s[52:53], -1
	s_mov_b64 vcc, s[96:97]
	s_and_saveexec_b64 s[64:65], s[48:49]
	s_cbranch_execz .LBB166_6054
; %bb.6053:
	v_bfe_u32 v7, v6, 16, 1
	s_movk_i32 vcc_lo, 0x7fff
	v_add3_u32 v7, v6, v7, vcc_lo
	v_cmp_o_f32_e32 vcc, v6, v6
	v_mov_b32_e32 v6, 0x7fc0
	v_cndmask_b32_sdwa v6, v6, v7, vcc dst_sel:DWORD dst_unused:UNUSED_PAD src0_sel:DWORD src1_sel:WORD_1
	flat_store_short v[4:5], v6
	s_xor_b64 s[52:53], exec, -1
	s_or_b64 vcc, s[96:97], exec
.LBB166_6054:
	s_or_b64 exec, exec, s[64:65]
	s_andn2_b64 s[48:49], s[80:81], exec
	s_and_b64 s[50:51], s[52:53], exec
	s_or_b64 s[66:67], s[48:49], s[50:51]
	s_andn2_b64 s[48:49], s[96:97], exec
	s_and_b64 vcc, vcc, exec
	s_or_b64 s[64:65], s[48:49], vcc
                                        ; implicit-def: $vgpr6
                                        ; implicit-def: $vgpr4_vgpr5
.LBB166_6055:
	s_andn2_saveexec_b64 s[54:55], s[54:55]
	s_cbranch_execz .LBB166_6059
; %bb.6056:
	v_mov_b32_e32 v7, 11
	v_cmp_eq_u16_sdwa s[48:49], v13, v7 src0_sel:BYTE_0 src1_sel:DWORD
	s_mov_b64 s[52:53], -1
	s_mov_b64 vcc, s[64:65]
	s_and_saveexec_b64 s[50:51], s[48:49]
	s_cbranch_execz .LBB166_6058
; %bb.6057:
	v_cmp_neq_f32_e32 vcc, 0, v6
	v_cndmask_b32_e64 v6, 0, 1, vcc
	flat_store_byte v[4:5], v6
	s_xor_b64 s[52:53], exec, -1
	s_or_b64 vcc, s[64:65], exec
.LBB166_6058:
	s_or_b64 exec, exec, s[50:51]
	s_andn2_b64 s[48:49], s[66:67], exec
	s_and_b64 s[50:51], s[52:53], exec
	s_or_b64 s[66:67], s[48:49], s[50:51]
	s_andn2_b64 s[48:49], s[64:65], exec
	s_and_b64 vcc, vcc, exec
	s_or_b64 s[64:65], s[48:49], vcc
.LBB166_6059:
	s_or_b64 exec, exec, s[54:55]
	s_andn2_b64 vcc, s[80:81], exec
	s_and_b64 s[48:49], s[66:67], exec
	s_or_b64 vcc, vcc, s[48:49]
	s_andn2_b64 s[48:49], s[96:97], exec
	s_and_b64 s[50:51], s[64:65], exec
	s_or_b64 s[96:97], s[48:49], s[50:51]
.LBB166_6060:
	s_or_b64 exec, exec, s[86:87]
	s_andn2_b64 s[48:49], s[80:81], exec
	s_and_b64 vcc, vcc, exec
	s_or_b64 s[80:81], s[48:49], vcc
	s_andn2_b64 s[4:5], s[4:5], exec
	s_and_b64 vcc, s[96:97], exec
	s_or_b64 s[4:5], s[4:5], vcc
.LBB166_6061:
	s_or_b64 exec, exec, s[84:85]
	v_readlane_b32 vcc_lo, v41, 6
	v_readlane_b32 vcc_hi, v41, 7
	s_andn2_b64 vcc, vcc, exec
	s_and_b64 s[48:49], s[80:81], exec
	s_or_b64 s[80:81], vcc, s[48:49]
	s_and_b64 s[4:5], s[4:5], exec
                                        ; implicit-def: $vgpr6
                                        ; implicit-def: $vgpr4_vgpr5
.LBB166_6062:
	s_andn2_saveexec_b64 s[68:69], s[68:69]
	s_cbranch_execz .LBB166_6104
; %bb.6063:
	v_mov_b32_e32 v7, 4
	v_cmp_gt_i16_sdwa vcc, v13, v7 src0_sel:BYTE_0 src1_sel:DWORD
	s_and_saveexec_b64 s[48:49], vcc
	s_xor_b64 vcc, exec, s[48:49]
	s_cbranch_execz .LBB166_6085
; %bb.6064:
	v_mov_b32_e32 v7, 7
	v_cmp_gt_i16_sdwa s[48:49], v13, v7 src0_sel:BYTE_0 src1_sel:DWORD
	s_and_saveexec_b64 s[50:51], s[48:49]
	s_xor_b64 s[64:65], exec, s[50:51]
	s_cbranch_execz .LBB166_6074
; %bb.6065:
	v_mov_b32_e32 v7, 8
	v_cmp_gt_i16_sdwa s[48:49], v13, v7 src0_sel:BYTE_0 src1_sel:DWORD
	s_and_saveexec_b64 s[50:51], s[48:49]
	s_xor_b64 s[54:55], exec, s[50:51]
	;; [unrolled: 6-line block ×3, first 2 shown]
	s_cbranch_execz .LBB166_6068
; %bb.6067:
	v_cvt_f64_f32_e32 v[48:49], v6
	v_mov_b32_e32 v50, 0
	v_mov_b32_e32 v51, v50
                                        ; implicit-def: $vgpr6
	flat_store_dwordx4 v[4:5], v[48:51]
                                        ; implicit-def: $vgpr4_vgpr5
.LBB166_6068:
	s_andn2_saveexec_b64 s[50:51], s[50:51]
	s_cbranch_execz .LBB166_6070
; %bb.6069:
	v_mov_b32_e32 v7, 0
	flat_store_dwordx2 v[4:5], v[6:7]
.LBB166_6070:
	s_or_b64 exec, exec, s[50:51]
                                        ; implicit-def: $vgpr6
                                        ; implicit-def: $vgpr4_vgpr5
.LBB166_6071:
	s_andn2_saveexec_b64 s[50:51], s[54:55]
	s_cbranch_execz .LBB166_6073
; %bb.6072:
	v_cvt_f16_f32_e32 v6, v6
	flat_store_dword v[4:5], v6
.LBB166_6073:
	s_or_b64 exec, exec, s[50:51]
                                        ; implicit-def: $vgpr6
                                        ; implicit-def: $vgpr4_vgpr5
.LBB166_6074:
	s_andn2_saveexec_b64 s[64:65], s[64:65]
	s_cbranch_execz .LBB166_6084
; %bb.6075:
	v_mov_b32_e32 v7, 5
	v_cmp_gt_i16_sdwa s[48:49], v13, v7 src0_sel:BYTE_0 src1_sel:DWORD
	s_and_saveexec_b64 s[50:51], s[48:49]
	s_xor_b64 s[54:55], exec, s[50:51]
	s_cbranch_execz .LBB166_6081
; %bb.6076:
	v_mov_b32_e32 v7, 6
	v_cmp_gt_i16_sdwa s[48:49], v13, v7 src0_sel:BYTE_0 src1_sel:DWORD
	s_and_saveexec_b64 s[50:51], s[48:49]
	s_xor_b64 s[50:51], exec, s[50:51]
	s_cbranch_execz .LBB166_6078
; %bb.6077:
	v_cvt_f64_f32_e32 v[6:7], v6
	flat_store_dwordx2 v[4:5], v[6:7]
                                        ; implicit-def: $vgpr4_vgpr5
                                        ; implicit-def: $vgpr6
.LBB166_6078:
	s_andn2_saveexec_b64 s[50:51], s[50:51]
	s_cbranch_execz .LBB166_6080
; %bb.6079:
	flat_store_dword v[4:5], v6
.LBB166_6080:
	s_or_b64 exec, exec, s[50:51]
                                        ; implicit-def: $vgpr6
                                        ; implicit-def: $vgpr4_vgpr5
.LBB166_6081:
	s_andn2_saveexec_b64 s[50:51], s[54:55]
	s_cbranch_execz .LBB166_6083
; %bb.6082:
	v_cvt_f16_f32_e32 v6, v6
	flat_store_short v[4:5], v6
.LBB166_6083:
	s_or_b64 exec, exec, s[50:51]
.LBB166_6084:
	s_or_b64 exec, exec, s[64:65]
                                        ; implicit-def: $vgpr6
                                        ; implicit-def: $vgpr4_vgpr5
.LBB166_6085:
	s_andn2_saveexec_b64 s[84:85], vcc
	s_cbranch_execz .LBB166_6103
; %bb.6086:
	v_mov_b32_e32 v7, 1
	v_cmp_gt_i16_sdwa vcc, v13, v7 src0_sel:BYTE_0 src1_sel:DWORD
	s_and_saveexec_b64 s[48:49], vcc
	s_xor_b64 s[64:65], exec, s[48:49]
	s_cbranch_execz .LBB166_6096
; %bb.6087:
	v_mov_b32_e32 v7, 2
	v_cmp_gt_i16_sdwa vcc, v13, v7 src0_sel:BYTE_0 src1_sel:DWORD
	s_and_saveexec_b64 s[48:49], vcc
	s_xor_b64 s[66:67], exec, s[48:49]
	;; [unrolled: 6-line block ×3, first 2 shown]
	s_cbranch_execz .LBB166_6090
; %bb.6089:
	v_trunc_f32_e32 v6, v6
	s_mov_b32 s48, 0x2f800000
	v_mul_f32_e64 v7, |v6|, s48
	v_floor_f32_e32 v7, v7
	s_mov_b32 s48, 0xcf800000
	v_cvt_u32_f32_e32 v38, v7
	v_fma_f32 v7, v7, s48, |v6|
	v_cvt_u32_f32_e32 v7, v7
	v_ashrrev_i32_e32 v39, 31, v6
	v_xor_b32_e32 v38, v38, v39
	v_xor_b32_e32 v6, v7, v39
	v_sub_co_u32_e32 v6, vcc, v6, v39
	v_subb_co_u32_e32 v7, vcc, v38, v39, vcc
	flat_store_dwordx2 v[4:5], v[6:7]
                                        ; implicit-def: $vgpr6
                                        ; implicit-def: $vgpr4_vgpr5
.LBB166_6090:
	s_andn2_saveexec_b64 vcc, s[54:55]
	s_cbranch_execz .LBB166_6092
; %bb.6091:
	v_cvt_i32_f32_e32 v6, v6
	flat_store_dword v[4:5], v6
.LBB166_6092:
	s_or_b64 exec, exec, vcc
                                        ; implicit-def: $vgpr6
                                        ; implicit-def: $vgpr4_vgpr5
.LBB166_6093:
	s_andn2_saveexec_b64 vcc, s[66:67]
	s_cbranch_execz .LBB166_6095
; %bb.6094:
	v_cvt_i32_f32_e32 v6, v6
	flat_store_short v[4:5], v6
.LBB166_6095:
	s_or_b64 exec, exec, vcc
                                        ; implicit-def: $vgpr6
                                        ; implicit-def: $vgpr4_vgpr5
.LBB166_6096:
	s_andn2_saveexec_b64 vcc, s[64:65]
	s_cbranch_execz .LBB166_6102
; %bb.6097:
	v_mov_b32_e32 v7, 0
	v_cmp_gt_i16_sdwa s[48:49], v13, v7 src0_sel:BYTE_0 src1_sel:DWORD
	s_and_saveexec_b64 s[50:51], s[48:49]
	s_xor_b64 s[50:51], exec, s[50:51]
	s_cbranch_execz .LBB166_6099
; %bb.6098:
	v_cvt_i32_f32_e32 v6, v6
	flat_store_byte v[4:5], v6
                                        ; implicit-def: $vgpr6
                                        ; implicit-def: $vgpr4_vgpr5
.LBB166_6099:
	s_andn2_saveexec_b64 s[54:55], s[50:51]
	s_cbranch_execz .LBB166_6101
; %bb.6100:
	v_trunc_f32_e32 v6, v6
	s_mov_b32 s48, 0x2f800000
	v_mul_f32_e64 v7, |v6|, s48
	v_floor_f32_e32 v7, v7
	s_mov_b32 s48, 0xcf800000
	v_fma_f32 v7, v7, s48, |v6|
	v_cvt_u32_f32_e32 v7, v7
	v_ashrrev_i32_e32 v6, 31, v6
	v_xor_b32_e32 v7, v7, v6
	v_sub_u32_e32 v6, v7, v6
	flat_store_byte v[4:5], v6
.LBB166_6101:
	s_or_b64 exec, exec, s[54:55]
.LBB166_6102:
	s_or_b64 exec, exec, vcc
.LBB166_6103:
	s_or_b64 exec, exec, s[84:85]
	s_or_b64 s[4:5], s[4:5], exec
.LBB166_6104:
	s_or_b64 exec, exec, s[68:69]
	s_mov_b64 s[54:55], 0
	s_mov_b64 vcc, 0
	s_and_saveexec_b64 s[52:53], s[4:5]
; %bb.6105:
	v_add_u32_e32 v17, 0x200, v17
	v_cmp_lt_i32_e32 vcc, v17, v8
	s_mov_b64 s[54:55], exec
	s_and_b64 vcc, vcc, exec
; %bb.6106:
	s_or_b64 exec, exec, s[52:53]
	v_readlane_b32 s4, v41, 6
	v_readlane_b32 s5, v41, 7
	s_andn2_b64 s[4:5], s[4:5], exec
	s_and_b64 s[48:49], s[80:81], exec
	s_or_b64 s[4:5], s[4:5], s[48:49]
	v_writelane_b32 v41, s4, 16
	s_and_b64 vcc, vcc, exec
	v_writelane_b32 v41, s5, 17
	s_orn2_b64 s[64:65], s[54:55], exec
.LBB166_6107:
	s_or_b64 exec, exec, s[70:71]
	s_mov_b64 s[4:5], 0
	s_mov_b64 s[54:55], 0
                                        ; implicit-def: $vgpr4
                                        ; implicit-def: $vgpr112
                                        ; implicit-def: $vgpr6_vgpr7
	s_mov_b64 s[48:49], exec
	v_writelane_b32 v41, s48, 20
	v_writelane_b32 v41, s49, 21
	s_and_b64 s[48:49], s[48:49], s[64:65]
	s_mov_b64 exec, s[48:49]
	s_cbranch_execz .LBB166_7749
; %bb.6108:
	v_readlane_b32 s4, v41, 16
	v_readlane_b32 s5, v41, 17
	v_writelane_b32 v41, s4, 14
	s_mov_b64 s[64:65], -1
	s_mov_b64 s[86:87], 0
	v_writelane_b32 v41, s5, 15
	s_mov_b64 s[4:5], 0
	s_and_saveexec_b64 s[82:83], vcc
	s_cbranch_execz .LBB166_6236
; %bb.6109:
	v_readlane_b32 s4, v41, 2
	v_add_u32_e32 v4, s4, v17
	v_mul_lo_u32 v4, v4, v14
	v_mov_b32_e32 v7, 10
	v_readlane_b32 s84, v41, 16
	s_mov_b64 s[4:5], 0
	v_add_co_u32_e32 v4, vcc, v2, v4
	v_addc_co_u32_e32 v5, vcc, 0, v3, vcc
	s_waitcnt vmcnt(0)
	v_cmp_nle_f32_e32 vcc, v37, v0
	v_cndmask_b32_e32 v6, v1, v36, vcc
	v_cmp_gt_i16_sdwa vcc, v13, v7 src0_sel:BYTE_0 src1_sel:DWORD
	v_readlane_b32 s85, v41, 17
	s_and_saveexec_b64 s[48:49], vcc
	s_xor_b64 s[80:81], exec, s[48:49]
	s_cbranch_execz .LBB166_6191
; %bb.6110:
	v_mov_b32_e32 v7, 25
	v_readlane_b32 s84, v41, 16
	v_cmp_gt_i16_sdwa s[4:5], v13, v7 src0_sel:BYTE_0 src1_sel:DWORD
	s_mov_b64 s[68:69], 0
	v_readlane_b32 s85, v41, 17
	s_and_saveexec_b64 vcc, s[4:5]
	s_xor_b64 s[96:97], exec, vcc
	s_cbranch_execz .LBB166_6146
; %bb.6111:
	v_mov_b32_e32 v7, 28
	v_readlane_b32 s84, v41, 16
	v_cmp_gt_i16_sdwa vcc, v13, v7 src0_sel:BYTE_0 src1_sel:DWORD
	s_mov_b64 s[4:5], 0
	v_readlane_b32 s85, v41, 17
	s_and_saveexec_b64 s[48:49], vcc
	s_xor_b64 s[70:71], exec, s[48:49]
	s_cbranch_execz .LBB166_6129
; %bb.6112:
	v_mov_b32_e32 v7, 43
	v_readlane_b32 vcc_lo, v41, 16
	v_cmp_gt_i16_sdwa s[48:49], v13, v7 src0_sel:BYTE_0 src1_sel:DWORD
	v_readlane_b32 vcc_hi, v41, 17
	s_and_saveexec_b64 s[50:51], s[48:49]
	s_xor_b64 s[84:85], exec, s[50:51]
	s_cbranch_execz .LBB166_6124
; %bb.6113:
	v_mov_b32_e32 v7, 45
	v_readlane_b32 s64, v41, 16
	v_cmp_gt_i16_sdwa s[4:5], v13, v7 src0_sel:BYTE_0 src1_sel:DWORD
	v_readlane_b32 s65, v41, 17
	s_and_saveexec_b64 vcc, s[4:5]
	s_xor_b64 s[4:5], exec, vcc
	s_cbranch_execz .LBB166_6117
; %bb.6114:
	v_mov_b32_e32 v7, 46
	v_cmp_eq_u16_sdwa s[48:49], v13, v7 src0_sel:BYTE_0 src1_sel:DWORD
	s_mov_b64 vcc, -1
	s_and_saveexec_b64 s[64:65], s[48:49]
	s_cbranch_execz .LBB166_6116
; %bb.6115:
	v_bfe_u32 v7, v6, 16, 1
	s_movk_i32 vcc_lo, 0x7fff
	v_add3_u32 v7, v6, v7, vcc_lo
	v_cmp_o_f32_e32 vcc, v6, v6
	v_mov_b32_e32 v6, 0x7fc0
	v_cndmask_b32_sdwa v6, v6, v7, vcc dst_sel:DWORD dst_unused:UNUSED_PAD src0_sel:DWORD src1_sel:WORD_1
	s_mov_b64 s[54:55], exec
	flat_store_dword v[4:5], v6
	s_xor_b64 vcc, exec, -1
.LBB166_6116:
	s_or_b64 exec, exec, s[64:65]
	v_readlane_b32 s48, v41, 16
	v_readlane_b32 s49, v41, 17
	s_andn2_b64 s[48:49], s[48:49], exec
	s_and_b64 vcc, vcc, exec
	s_or_b64 s[64:65], s[48:49], vcc
	s_and_b64 s[68:69], s[54:55], exec
                                        ; implicit-def: $vgpr4_vgpr5
                                        ; implicit-def: $vgpr6
.LBB166_6117:
	s_andn2_saveexec_b64 s[66:67], s[4:5]
	s_cbranch_execz .LBB166_6123
; %bb.6118:
	v_mov_b32_e32 v7, 44
	v_cmp_eq_u16_sdwa s[48:49], v13, v7 src0_sel:BYTE_0 src1_sel:DWORD
	s_mov_b64 vcc, -1
	s_mov_b64 s[4:5], s[68:69]
	s_and_saveexec_b64 s[54:55], s[48:49]
	s_cbranch_execz .LBB166_6122
; %bb.6119:
	v_bfe_u32 v7, v6, 23, 8
	s_movk_i32 s4, 0xff
	v_cmp_ne_u32_e32 vcc, s4, v7
	v_mov_b32_e32 v36, 0xff
	s_and_saveexec_b64 s[52:53], vcc
; %bb.6120:
	s_mov_b32 s4, 0x3fffff
	v_lshrrev_b32_e32 v36, 23, v6
	v_and_b32_e32 v37, 0x400000, v6
	v_and_or_b32 v6, v6, s4, v7
	v_cmp_ne_u32_e32 vcc, 0, v37
	v_cmp_ne_u32_e64 s[4:5], 0, v6
	s_and_b64 s[4:5], vcc, s[4:5]
	v_cndmask_b32_e64 v6, 0, 1, s[4:5]
	v_add_u32_e32 v36, v36, v6
; %bb.6121:
	s_or_b64 exec, exec, s[52:53]
	s_xor_b64 vcc, exec, -1
	s_or_b64 s[4:5], s[68:69], exec
	flat_store_byte v[4:5], v36
.LBB166_6122:
	s_or_b64 exec, exec, s[54:55]
	s_andn2_b64 s[48:49], s[64:65], exec
	s_and_b64 vcc, vcc, exec
	s_or_b64 s[64:65], s[48:49], vcc
	s_andn2_b64 vcc, s[68:69], exec
	s_and_b64 s[4:5], s[4:5], exec
	s_or_b64 s[68:69], vcc, s[4:5]
.LBB166_6123:
	s_or_b64 exec, exec, s[66:67]
	v_readlane_b32 s4, v41, 16
	v_readlane_b32 s5, v41, 17
	s_andn2_b64 s[4:5], s[4:5], exec
	s_and_b64 vcc, s[64:65], exec
	s_or_b64 vcc, s[4:5], vcc
	s_and_b64 s[4:5], s[68:69], exec
                                        ; implicit-def: $vgpr6
                                        ; implicit-def: $vgpr4_vgpr5
.LBB166_6124:
	s_andn2_saveexec_b64 s[64:65], s[84:85]
	s_cbranch_execz .LBB166_6128
; %bb.6125:
	v_mov_b32_e32 v7, 29
	v_cmp_eq_u16_sdwa s[48:49], v13, v7 src0_sel:BYTE_0 src1_sel:DWORD
	s_mov_b64 s[66:67], -1
	s_mov_b64 s[52:53], s[4:5]
	s_and_saveexec_b64 s[54:55], s[48:49]
	s_cbranch_execz .LBB166_6127
; %bb.6126:
	v_trunc_f32_e32 v6, v6
	v_mul_f32_e32 v7, 0x2f800000, v6
	v_floor_f32_e32 v36, v7
	v_fmac_f32_e32 v6, 0xcf800000, v36
	v_cvt_u32_f32_e32 v7, v36
	v_cvt_u32_f32_e32 v6, v6
	s_xor_b64 s[66:67], exec, -1
	s_or_b64 s[52:53], s[4:5], exec
	flat_store_dwordx2 v[4:5], v[6:7]
.LBB166_6127:
	s_or_b64 exec, exec, s[54:55]
	s_andn2_b64 vcc, vcc, exec
	s_and_b64 s[48:49], s[66:67], exec
	s_or_b64 vcc, vcc, s[48:49]
	s_andn2_b64 s[4:5], s[4:5], exec
	s_and_b64 s[48:49], s[52:53], exec
	s_or_b64 s[4:5], s[4:5], s[48:49]
.LBB166_6128:
	s_or_b64 exec, exec, s[64:65]
	v_readlane_b32 s48, v41, 16
	v_readlane_b32 s49, v41, 17
	s_andn2_b64 s[48:49], s[48:49], exec
	s_and_b64 vcc, vcc, exec
	s_or_b64 s[84:85], s[48:49], vcc
	s_and_b64 s[4:5], s[4:5], exec
                                        ; implicit-def: $vgpr4_vgpr5
                                        ; implicit-def: $vgpr6
.LBB166_6129:
	s_andn2_saveexec_b64 s[70:71], s[70:71]
	s_cbranch_execz .LBB166_6145
; %bb.6130:
	v_mov_b32_e32 v7, 26
	v_cmp_gt_i16_sdwa vcc, v13, v7 src0_sel:BYTE_0 src1_sel:DWORD
	s_and_saveexec_b64 s[48:49], vcc
	s_xor_b64 vcc, exec, s[48:49]
	s_cbranch_execz .LBB166_6136
; %bb.6131:
	v_cvt_u32_f32_e32 v6, v6
	v_mov_b32_e32 v7, 27
	v_cmp_gt_i16_sdwa s[48:49], v13, v7 src0_sel:BYTE_0 src1_sel:DWORD
	s_and_saveexec_b64 s[50:51], s[48:49]
	s_xor_b64 s[50:51], exec, s[50:51]
	s_cbranch_execz .LBB166_6133
; %bb.6132:
	flat_store_dword v[4:5], v6
                                        ; implicit-def: $vgpr4_vgpr5
                                        ; implicit-def: $vgpr6
.LBB166_6133:
	s_andn2_saveexec_b64 s[50:51], s[50:51]
	s_cbranch_execz .LBB166_6135
; %bb.6134:
	flat_store_short v[4:5], v6
.LBB166_6135:
	s_or_b64 exec, exec, s[50:51]
                                        ; implicit-def: $vgpr4_vgpr5
                                        ; implicit-def: $vgpr6
.LBB166_6136:
	s_andn2_saveexec_b64 s[64:65], vcc
	s_cbranch_execz .LBB166_6144
; %bb.6137:
	v_and_b32_e32 v7, 0x7fffffff, v6
	s_mov_b32 vcc_lo, 0x43800000
	v_cmp_gt_u32_e32 vcc, vcc_lo, v7
	v_mov_b32_e32 v36, 0x80
	s_and_saveexec_b64 s[66:67], vcc
	s_cbranch_execz .LBB166_6143
; %bb.6138:
	s_mov_b32 vcc_lo, 0x3bffffff
	v_cmp_lt_u32_e32 vcc, vcc_lo, v7
	s_mov_b64 s[54:55], 0
                                        ; implicit-def: $vgpr7
	s_and_saveexec_b64 s[48:49], vcc
	s_xor_b64 vcc, exec, s[48:49]
	s_cbranch_execnz .LBB166_7891
; %bb.6139:
	s_andn2_saveexec_b64 s[68:69], vcc
	s_cbranch_execnz .LBB166_7892
.LBB166_6140:
	s_or_b64 exec, exec, s[68:69]
	v_mov_b32_e32 v36, 0
	s_and_saveexec_b64 vcc, s[54:55]
.LBB166_6141:
	v_lshrrev_b32_e32 v6, 24, v6
	s_movk_i32 s48, 0x80
	v_and_or_b32 v36, v6, s48, v7
.LBB166_6142:
	s_or_b64 exec, exec, vcc
.LBB166_6143:
	s_or_b64 exec, exec, s[66:67]
	flat_store_byte v[4:5], v36
.LBB166_6144:
	s_or_b64 exec, exec, s[64:65]
	s_or_b64 s[4:5], s[4:5], exec
.LBB166_6145:
	s_or_b64 exec, exec, s[70:71]
	v_readlane_b32 vcc_lo, v41, 16
	v_readlane_b32 vcc_hi, v41, 17
	s_andn2_b64 vcc, vcc, exec
	s_and_b64 s[48:49], s[84:85], exec
	s_or_b64 s[84:85], vcc, s[48:49]
	s_and_b64 s[68:69], s[4:5], exec
                                        ; implicit-def: $vgpr6
                                        ; implicit-def: $vgpr4_vgpr5
.LBB166_6146:
	s_andn2_saveexec_b64 s[96:97], s[96:97]
	s_cbranch_execz .LBB166_6190
; %bb.6147:
	v_mov_b32_e32 v7, 22
	v_cmp_gt_i16_sdwa vcc, v13, v7 src0_sel:BYTE_0 src1_sel:DWORD
	s_mov_b64 s[4:5], s[68:69]
	s_and_saveexec_b64 s[48:49], vcc
	s_xor_b64 s[70:71], exec, s[48:49]
	s_cbranch_execz .LBB166_6179
; %bb.6148:
	v_mov_b32_e32 v7, 23
	v_cmp_gt_i16_sdwa s[4:5], v13, v7 src0_sel:BYTE_0 src1_sel:DWORD
	s_and_saveexec_b64 vcc, s[4:5]
	s_xor_b64 vcc, exec, vcc
	v_writelane_b32 v41, vcc_lo, 14
	v_writelane_b32 v41, vcc_hi, 15
	s_cbranch_execz .LBB166_6168
; %bb.6149:
	v_mov_b32_e32 v7, 24
	v_cmp_gt_i16_sdwa s[4:5], v13, v7 src0_sel:BYTE_0 src1_sel:DWORD
	s_and_saveexec_b64 vcc, s[4:5]
	s_xor_b64 s[4:5], exec, vcc
	s_cbranch_execz .LBB166_6157
; %bb.6150:
	v_and_b32_e32 v7, 0x7fffffff, v6
	s_mov_b32 vcc_lo, 0x47800000
	v_cmp_gt_u32_e32 vcc, vcc_lo, v7
	v_mov_b32_e32 v36, 0x80
	s_and_saveexec_b64 s[64:65], vcc
	s_cbranch_execz .LBB166_6156
; %bb.6151:
	s_mov_b32 vcc_lo, 0x37ffffff
	v_cmp_lt_u32_e32 vcc, vcc_lo, v7
	s_mov_b64 s[54:55], 0
                                        ; implicit-def: $vgpr7
	s_and_saveexec_b64 s[48:49], vcc
	s_xor_b64 vcc, exec, s[48:49]
	s_cbranch_execnz .LBB166_7893
; %bb.6152:
	s_andn2_saveexec_b64 s[66:67], vcc
	s_cbranch_execnz .LBB166_7894
.LBB166_6153:
	s_or_b64 exec, exec, s[66:67]
	v_mov_b32_e32 v36, 0
	s_and_saveexec_b64 vcc, s[54:55]
.LBB166_6154:
	v_lshrrev_b32_e32 v6, 24, v6
	s_movk_i32 s48, 0x80
	v_and_or_b32 v36, v6, s48, v7
.LBB166_6155:
	s_or_b64 exec, exec, vcc
.LBB166_6156:
	s_or_b64 exec, exec, s[64:65]
	flat_store_byte v[4:5], v36
                                        ; implicit-def: $vgpr6
                                        ; implicit-def: $vgpr4_vgpr5
.LBB166_6157:
	s_andn2_saveexec_b64 s[4:5], s[4:5]
	s_cbranch_execz .LBB166_6167
; %bb.6158:
	v_and_b32_e32 v36, 0x7fffffff, v6
	s_mov_b32 vcc_lo, 0x43f00000
	v_cmp_gt_u32_e32 vcc, vcc_lo, v36
                                        ; implicit-def: $vgpr7
	s_and_saveexec_b64 s[48:49], vcc
	s_xor_b64 s[64:65], exec, s[48:49]
	s_cbranch_execz .LBB166_6164
; %bb.6159:
	s_mov_b32 vcc_lo, 0x3c7fffff
	v_cmp_lt_u32_e32 vcc, vcc_lo, v36
                                        ; implicit-def: $vgpr7
	s_and_saveexec_b64 s[48:49], vcc
	s_xor_b64 s[52:53], exec, s[48:49]
; %bb.6160:
	v_bfe_u32 v7, v6, 20, 1
	s_mov_b32 vcc_lo, 0x407ffff
	v_add3_u32 v7, v6, v7, vcc_lo
	v_lshrrev_b32_e32 v36, 20, v7
	v_and_b32_e32 v7, 0xff00000, v7
	s_mov_b32 vcc_lo, 0x7f00000
	v_mov_b32_e32 v37, 0x7e
	v_cmp_ne_u32_e32 vcc, vcc_lo, v7
	v_cndmask_b32_e32 v7, v37, v36, vcc
; %bb.6161:
	s_andn2_saveexec_b64 vcc, s[52:53]
; %bb.6162:
	s_mov_b32 s48, 0x46800000
	v_add_f32_e64 v7, |v6|, s48
; %bb.6163:
	s_or_b64 exec, exec, vcc
                                        ; implicit-def: $vgpr36
.LBB166_6164:
	s_andn2_saveexec_b64 s[52:53], s[64:65]
; %bb.6165:
	s_mov_b32 vcc_lo, 0x7f800000
	v_mov_b32_e32 v7, 0x7e
	v_mov_b32_e32 v37, 0x7f
	v_cmp_lt_u32_e32 vcc, vcc_lo, v36
	v_cndmask_b32_e32 v7, v7, v37, vcc
; %bb.6166:
	s_or_b64 exec, exec, s[52:53]
	v_lshrrev_b32_e32 v6, 24, v6
	s_movk_i32 vcc_lo, 0x80
	v_and_or_b32 v6, v6, vcc_lo, v7
	flat_store_byte v[4:5], v6
.LBB166_6167:
	s_or_b64 exec, exec, s[4:5]
                                        ; implicit-def: $vgpr6
                                        ; implicit-def: $vgpr4_vgpr5
.LBB166_6168:
	v_readlane_b32 s4, v41, 14
	v_readlane_b32 s5, v41, 15
	s_andn2_saveexec_b64 s[4:5], s[4:5]
	s_cbranch_execz .LBB166_6178
; %bb.6169:
	v_and_b32_e32 v36, 0x7fffffff, v6
	s_mov_b32 vcc_lo, 0x47800000
	v_cmp_gt_u32_e32 vcc, vcc_lo, v36
                                        ; implicit-def: $vgpr7
	s_and_saveexec_b64 s[48:49], vcc
	s_xor_b64 s[54:55], exec, s[48:49]
	s_cbranch_execz .LBB166_6175
; %bb.6170:
	s_mov_b32 vcc_lo, 0x387fffff
	v_cmp_lt_u32_e32 vcc, vcc_lo, v36
                                        ; implicit-def: $vgpr7
	s_and_saveexec_b64 s[48:49], vcc
	s_xor_b64 vcc, exec, s[48:49]
; %bb.6171:
	v_bfe_u32 v7, v6, 21, 1
	s_mov_b32 s48, 0x80fffff
	v_add3_u32 v7, v6, v7, s48
	v_lshrrev_b32_e32 v7, 21, v7
; %bb.6172:
	s_andn2_saveexec_b64 vcc, vcc
; %bb.6173:
	s_mov_b32 s48, 0x43000000
	v_add_f32_e64 v7, |v6|, s48
; %bb.6174:
	s_or_b64 exec, exec, vcc
                                        ; implicit-def: $vgpr36
.LBB166_6175:
	s_andn2_saveexec_b64 s[52:53], s[54:55]
; %bb.6176:
	s_mov_b32 vcc_lo, 0x7f800000
	v_mov_b32_e32 v7, 0x7c
	v_mov_b32_e32 v37, 0x7f
	v_cmp_lt_u32_e32 vcc, vcc_lo, v36
	v_cndmask_b32_e32 v7, v7, v37, vcc
; %bb.6177:
	s_or_b64 exec, exec, s[52:53]
	v_lshrrev_b32_e32 v6, 24, v6
	s_movk_i32 vcc_lo, 0x80
	v_and_or_b32 v6, v6, vcc_lo, v7
	flat_store_byte v[4:5], v6
.LBB166_6178:
	s_or_b64 exec, exec, s[4:5]
	s_or_b64 s[4:5], s[68:69], exec
                                        ; implicit-def: $vgpr6
                                        ; implicit-def: $vgpr4_vgpr5
.LBB166_6179:
	s_or_saveexec_b64 s[70:71], s[70:71]
	s_mov_b64 vcc, s[84:85]
	s_xor_b64 exec, exec, s[70:71]
	s_cbranch_execz .LBB166_6189
; %bb.6180:
	v_mov_b32_e32 v7, 14
	v_cmp_gt_i16_sdwa vcc, v13, v7 src0_sel:BYTE_0 src1_sel:DWORD
	s_mov_b64 s[64:65], s[4:5]
	s_mov_b64 s[66:67], s[84:85]
	s_and_saveexec_b64 s[48:49], vcc
	s_xor_b64 s[54:55], exec, s[48:49]
	s_cbranch_execz .LBB166_6184
; %bb.6181:
	v_mov_b32_e32 v7, 15
	v_cmp_eq_u16_sdwa s[48:49], v13, v7 src0_sel:BYTE_0 src1_sel:DWORD
	s_mov_b64 s[52:53], -1
	s_mov_b64 vcc, s[4:5]
	s_and_saveexec_b64 s[64:65], s[48:49]
	s_cbranch_execz .LBB166_6183
; %bb.6182:
	v_bfe_u32 v7, v6, 16, 1
	s_movk_i32 vcc_lo, 0x7fff
	v_add3_u32 v7, v6, v7, vcc_lo
	v_cmp_o_f32_e32 vcc, v6, v6
	v_mov_b32_e32 v6, 0x7fc0
	v_cndmask_b32_sdwa v6, v6, v7, vcc dst_sel:DWORD dst_unused:UNUSED_PAD src0_sel:DWORD src1_sel:WORD_1
	flat_store_short v[4:5], v6
	s_xor_b64 s[52:53], exec, -1
	s_or_b64 vcc, s[4:5], exec
.LBB166_6183:
	s_or_b64 exec, exec, s[64:65]
	s_andn2_b64 s[48:49], s[84:85], exec
	s_and_b64 s[50:51], s[52:53], exec
	s_or_b64 s[66:67], s[48:49], s[50:51]
	s_andn2_b64 s[48:49], s[4:5], exec
	s_and_b64 vcc, vcc, exec
	s_or_b64 s[64:65], s[48:49], vcc
                                        ; implicit-def: $vgpr6
                                        ; implicit-def: $vgpr4_vgpr5
.LBB166_6184:
	s_andn2_saveexec_b64 s[54:55], s[54:55]
	s_cbranch_execz .LBB166_6188
; %bb.6185:
	v_mov_b32_e32 v7, 11
	v_cmp_eq_u16_sdwa s[48:49], v13, v7 src0_sel:BYTE_0 src1_sel:DWORD
	s_mov_b64 s[52:53], -1
	s_mov_b64 vcc, s[64:65]
	s_and_saveexec_b64 s[50:51], s[48:49]
	s_cbranch_execz .LBB166_6187
; %bb.6186:
	v_cmp_neq_f32_e32 vcc, 0, v6
	v_cndmask_b32_e64 v6, 0, 1, vcc
	flat_store_byte v[4:5], v6
	s_xor_b64 s[52:53], exec, -1
	s_or_b64 vcc, s[64:65], exec
.LBB166_6187:
	s_or_b64 exec, exec, s[50:51]
	s_andn2_b64 s[48:49], s[66:67], exec
	s_and_b64 s[50:51], s[52:53], exec
	s_or_b64 s[66:67], s[48:49], s[50:51]
	s_andn2_b64 s[48:49], s[64:65], exec
	s_and_b64 vcc, vcc, exec
	s_or_b64 s[64:65], s[48:49], vcc
.LBB166_6188:
	s_or_b64 exec, exec, s[54:55]
	s_andn2_b64 vcc, s[84:85], exec
	s_and_b64 s[48:49], s[66:67], exec
	s_or_b64 vcc, vcc, s[48:49]
	s_andn2_b64 s[4:5], s[4:5], exec
	s_and_b64 s[48:49], s[64:65], exec
	s_or_b64 s[4:5], s[4:5], s[48:49]
.LBB166_6189:
	s_or_b64 exec, exec, s[70:71]
	s_andn2_b64 s[48:49], s[84:85], exec
	s_and_b64 vcc, vcc, exec
	s_or_b64 s[84:85], s[48:49], vcc
	s_andn2_b64 vcc, s[68:69], exec
	s_and_b64 s[4:5], s[4:5], exec
	s_or_b64 s[68:69], vcc, s[4:5]
.LBB166_6190:
	s_or_b64 exec, exec, s[96:97]
	v_readlane_b32 s4, v41, 16
	v_readlane_b32 s5, v41, 17
	s_andn2_b64 s[4:5], s[4:5], exec
	s_and_b64 vcc, s[84:85], exec
	s_or_b64 s[84:85], s[4:5], vcc
	s_and_b64 s[4:5], s[68:69], exec
                                        ; implicit-def: $vgpr6
                                        ; implicit-def: $vgpr4_vgpr5
.LBB166_6191:
	s_andn2_saveexec_b64 s[80:81], s[80:81]
	s_cbranch_execz .LBB166_6233
; %bb.6192:
	v_mov_b32_e32 v7, 4
	v_cmp_gt_i16_sdwa vcc, v13, v7 src0_sel:BYTE_0 src1_sel:DWORD
	s_and_saveexec_b64 s[48:49], vcc
	s_xor_b64 vcc, exec, s[48:49]
	s_cbranch_execz .LBB166_6214
; %bb.6193:
	v_mov_b32_e32 v7, 7
	v_cmp_gt_i16_sdwa s[48:49], v13, v7 src0_sel:BYTE_0 src1_sel:DWORD
	s_and_saveexec_b64 s[50:51], s[48:49]
	s_xor_b64 s[64:65], exec, s[50:51]
	s_cbranch_execz .LBB166_6203
; %bb.6194:
	v_mov_b32_e32 v7, 8
	v_cmp_gt_i16_sdwa s[48:49], v13, v7 src0_sel:BYTE_0 src1_sel:DWORD
	s_and_saveexec_b64 s[50:51], s[48:49]
	s_xor_b64 s[54:55], exec, s[50:51]
	;; [unrolled: 6-line block ×3, first 2 shown]
	s_cbranch_execz .LBB166_6197
; %bb.6196:
	v_cvt_f64_f32_e32 v[36:37], v6
	v_mov_b32_e32 v38, 0
	v_mov_b32_e32 v39, v38
                                        ; implicit-def: $vgpr6
	flat_store_dwordx4 v[4:5], v[36:39]
                                        ; implicit-def: $vgpr4_vgpr5
.LBB166_6197:
	s_andn2_saveexec_b64 s[50:51], s[50:51]
	s_cbranch_execz .LBB166_6199
; %bb.6198:
	v_mov_b32_e32 v7, 0
	flat_store_dwordx2 v[4:5], v[6:7]
.LBB166_6199:
	s_or_b64 exec, exec, s[50:51]
                                        ; implicit-def: $vgpr6
                                        ; implicit-def: $vgpr4_vgpr5
.LBB166_6200:
	s_andn2_saveexec_b64 s[50:51], s[54:55]
	s_cbranch_execz .LBB166_6202
; %bb.6201:
	v_cvt_f16_f32_e32 v6, v6
	flat_store_dword v[4:5], v6
.LBB166_6202:
	s_or_b64 exec, exec, s[50:51]
                                        ; implicit-def: $vgpr6
                                        ; implicit-def: $vgpr4_vgpr5
.LBB166_6203:
	s_andn2_saveexec_b64 s[64:65], s[64:65]
	s_cbranch_execz .LBB166_6213
; %bb.6204:
	v_mov_b32_e32 v7, 5
	v_cmp_gt_i16_sdwa s[48:49], v13, v7 src0_sel:BYTE_0 src1_sel:DWORD
	s_and_saveexec_b64 s[50:51], s[48:49]
	s_xor_b64 s[54:55], exec, s[50:51]
	s_cbranch_execz .LBB166_6210
; %bb.6205:
	v_mov_b32_e32 v7, 6
	v_cmp_gt_i16_sdwa s[48:49], v13, v7 src0_sel:BYTE_0 src1_sel:DWORD
	s_and_saveexec_b64 s[50:51], s[48:49]
	s_xor_b64 s[50:51], exec, s[50:51]
	s_cbranch_execz .LBB166_6207
; %bb.6206:
	v_cvt_f64_f32_e32 v[6:7], v6
	flat_store_dwordx2 v[4:5], v[6:7]
                                        ; implicit-def: $vgpr4_vgpr5
                                        ; implicit-def: $vgpr6
.LBB166_6207:
	s_andn2_saveexec_b64 s[50:51], s[50:51]
	s_cbranch_execz .LBB166_6209
; %bb.6208:
	flat_store_dword v[4:5], v6
.LBB166_6209:
	s_or_b64 exec, exec, s[50:51]
                                        ; implicit-def: $vgpr6
                                        ; implicit-def: $vgpr4_vgpr5
.LBB166_6210:
	s_andn2_saveexec_b64 s[50:51], s[54:55]
	s_cbranch_execz .LBB166_6212
; %bb.6211:
	v_cvt_f16_f32_e32 v6, v6
	flat_store_short v[4:5], v6
.LBB166_6212:
	s_or_b64 exec, exec, s[50:51]
.LBB166_6213:
	s_or_b64 exec, exec, s[64:65]
                                        ; implicit-def: $vgpr6
                                        ; implicit-def: $vgpr4_vgpr5
.LBB166_6214:
	s_andn2_saveexec_b64 s[70:71], vcc
	s_cbranch_execz .LBB166_6232
; %bb.6215:
	v_mov_b32_e32 v7, 1
	v_cmp_gt_i16_sdwa vcc, v13, v7 src0_sel:BYTE_0 src1_sel:DWORD
	s_and_saveexec_b64 s[48:49], vcc
	s_xor_b64 s[64:65], exec, s[48:49]
	s_cbranch_execz .LBB166_6225
; %bb.6216:
	v_mov_b32_e32 v7, 2
	v_cmp_gt_i16_sdwa vcc, v13, v7 src0_sel:BYTE_0 src1_sel:DWORD
	s_and_saveexec_b64 s[48:49], vcc
	s_xor_b64 s[66:67], exec, s[48:49]
	;; [unrolled: 6-line block ×3, first 2 shown]
	s_cbranch_execz .LBB166_6219
; %bb.6218:
	v_trunc_f32_e32 v6, v6
	s_mov_b32 s48, 0x2f800000
	v_mul_f32_e64 v7, |v6|, s48
	v_floor_f32_e32 v7, v7
	s_mov_b32 s48, 0xcf800000
	v_cvt_u32_f32_e32 v36, v7
	v_fma_f32 v7, v7, s48, |v6|
	v_cvt_u32_f32_e32 v7, v7
	v_ashrrev_i32_e32 v37, 31, v6
	v_xor_b32_e32 v36, v36, v37
	v_xor_b32_e32 v6, v7, v37
	v_sub_co_u32_e32 v6, vcc, v6, v37
	v_subb_co_u32_e32 v7, vcc, v36, v37, vcc
	flat_store_dwordx2 v[4:5], v[6:7]
                                        ; implicit-def: $vgpr6
                                        ; implicit-def: $vgpr4_vgpr5
.LBB166_6219:
	s_andn2_saveexec_b64 vcc, s[54:55]
	s_cbranch_execz .LBB166_6221
; %bb.6220:
	v_cvt_i32_f32_e32 v6, v6
	flat_store_dword v[4:5], v6
.LBB166_6221:
	s_or_b64 exec, exec, vcc
                                        ; implicit-def: $vgpr6
                                        ; implicit-def: $vgpr4_vgpr5
.LBB166_6222:
	s_andn2_saveexec_b64 vcc, s[66:67]
	s_cbranch_execz .LBB166_6224
; %bb.6223:
	v_cvt_i32_f32_e32 v6, v6
	flat_store_short v[4:5], v6
.LBB166_6224:
	s_or_b64 exec, exec, vcc
                                        ; implicit-def: $vgpr6
                                        ; implicit-def: $vgpr4_vgpr5
.LBB166_6225:
	s_andn2_saveexec_b64 vcc, s[64:65]
	s_cbranch_execz .LBB166_6231
; %bb.6226:
	v_mov_b32_e32 v7, 0
	v_cmp_gt_i16_sdwa s[48:49], v13, v7 src0_sel:BYTE_0 src1_sel:DWORD
	s_and_saveexec_b64 s[50:51], s[48:49]
	s_xor_b64 s[50:51], exec, s[50:51]
	s_cbranch_execz .LBB166_6228
; %bb.6227:
	v_cvt_i32_f32_e32 v6, v6
	flat_store_byte v[4:5], v6
                                        ; implicit-def: $vgpr6
                                        ; implicit-def: $vgpr4_vgpr5
.LBB166_6228:
	s_andn2_saveexec_b64 s[54:55], s[50:51]
	s_cbranch_execz .LBB166_6230
; %bb.6229:
	v_trunc_f32_e32 v6, v6
	s_mov_b32 s48, 0x2f800000
	v_mul_f32_e64 v7, |v6|, s48
	v_floor_f32_e32 v7, v7
	s_mov_b32 s48, 0xcf800000
	v_fma_f32 v7, v7, s48, |v6|
	v_cvt_u32_f32_e32 v7, v7
	v_ashrrev_i32_e32 v6, 31, v6
	v_xor_b32_e32 v7, v7, v6
	v_sub_u32_e32 v6, v7, v6
	flat_store_byte v[4:5], v6
.LBB166_6230:
	s_or_b64 exec, exec, s[54:55]
.LBB166_6231:
	s_or_b64 exec, exec, vcc
.LBB166_6232:
	s_or_b64 exec, exec, s[70:71]
	s_or_b64 s[4:5], s[4:5], exec
.LBB166_6233:
	s_or_b64 exec, exec, s[80:81]
	s_mov_b64 s[54:55], 0
	s_mov_b64 vcc, 0
	s_and_saveexec_b64 s[52:53], s[4:5]
; %bb.6234:
	v_add_u32_e32 v17, 0x200, v17
	v_cmp_lt_i32_e32 vcc, v17, v8
	s_mov_b64 s[54:55], exec
	s_and_b64 vcc, vcc, exec
; %bb.6235:
	s_or_b64 exec, exec, s[52:53]
	s_and_b64 s[4:5], vcc, exec
	v_readlane_b32 vcc_lo, v41, 16
	v_readlane_b32 vcc_hi, v41, 17
	s_andn2_b64 vcc, vcc, exec
	s_and_b64 s[48:49], s[84:85], exec
	s_or_b64 vcc, vcc, s[48:49]
	v_writelane_b32 v41, vcc_lo, 14
	v_writelane_b32 v41, vcc_hi, 15
	s_orn2_b64 s[64:65], s[54:55], exec
.LBB166_6236:
	s_or_b64 exec, exec, s[82:83]
	s_mov_b64 vcc, 0
	s_mov_b64 s[54:55], 0
                                        ; implicit-def: $vgpr4
                                        ; implicit-def: $vgpr112
                                        ; implicit-def: $vgpr6_vgpr7
	s_mov_b64 s[48:49], exec
	v_writelane_b32 v41, s48, 18
	v_writelane_b32 v41, s49, 19
	s_and_b64 s[48:49], s[48:49], s[64:65]
	s_mov_b64 exec, s[48:49]
	s_cbranch_execz .LBB166_7748
; %bb.6237:
	v_readlane_b32 vcc_lo, v41, 14
	v_readlane_b32 vcc_hi, v41, 15
	v_writelane_b32 v41, vcc_lo, 22
	s_mov_b64 s[64:65], -1
	s_mov_b64 s[96:97], 0
	v_writelane_b32 v41, vcc_hi, 23
	s_mov_b64 vcc, 0
	s_and_saveexec_b64 s[86:87], s[4:5]
	s_cbranch_execz .LBB166_6365
; %bb.6238:
	v_readlane_b32 s4, v41, 2
	v_add_u32_e32 v4, s4, v17
	v_mul_lo_u32 v4, v4, v14
	v_mov_b32_e32 v7, 10
	v_readlane_b32 s80, v41, 14
	s_mov_b64 s[4:5], 0
	v_add_co_u32_e32 v4, vcc, v2, v4
	v_addc_co_u32_e32 v5, vcc, 0, v3, vcc
	s_waitcnt vmcnt(0)
	v_cmp_nle_f32_e32 vcc, v35, v0
	v_cndmask_b32_e32 v6, v1, v34, vcc
	v_cmp_gt_i16_sdwa vcc, v13, v7 src0_sel:BYTE_0 src1_sel:DWORD
	v_readlane_b32 s81, v41, 15
	s_and_saveexec_b64 s[48:49], vcc
	s_xor_b64 s[84:85], exec, s[48:49]
	s_cbranch_execz .LBB166_6320
; %bb.6239:
	v_mov_b32_e32 v7, 25
	v_readlane_b32 s80, v41, 14
	v_cmp_gt_i16_sdwa vcc, v13, v7 src0_sel:BYTE_0 src1_sel:DWORD
	v_readlane_b32 s81, v41, 15
	s_and_saveexec_b64 s[48:49], vcc
	s_xor_b64 s[82:83], exec, s[48:49]
	s_cbranch_execz .LBB166_6275
; %bb.6240:
	v_mov_b32_e32 v7, 28
	v_readlane_b32 s80, v41, 14
	v_cmp_gt_i16_sdwa vcc, v13, v7 src0_sel:BYTE_0 src1_sel:DWORD
	v_readlane_b32 s81, v41, 15
	s_and_saveexec_b64 s[48:49], vcc
	s_xor_b64 s[70:71], exec, s[48:49]
	s_cbranch_execz .LBB166_6258
; %bb.6241:
	v_mov_b32_e32 v7, 43
	v_readlane_b32 vcc_lo, v41, 14
	v_cmp_gt_i16_sdwa s[48:49], v13, v7 src0_sel:BYTE_0 src1_sel:DWORD
	v_readlane_b32 vcc_hi, v41, 15
	s_and_saveexec_b64 s[50:51], s[48:49]
	s_xor_b64 s[80:81], exec, s[50:51]
	s_cbranch_execz .LBB166_6253
; %bb.6242:
	v_mov_b32_e32 v7, 45
	v_readlane_b32 s64, v41, 14
	v_cmp_gt_i16_sdwa s[4:5], v13, v7 src0_sel:BYTE_0 src1_sel:DWORD
	s_mov_b64 s[68:69], 0
	v_readlane_b32 s65, v41, 15
	s_and_saveexec_b64 vcc, s[4:5]
	s_xor_b64 s[4:5], exec, vcc
	s_cbranch_execz .LBB166_6246
; %bb.6243:
	v_mov_b32_e32 v7, 46
	v_cmp_eq_u16_sdwa s[48:49], v13, v7 src0_sel:BYTE_0 src1_sel:DWORD
	s_mov_b64 vcc, -1
	s_and_saveexec_b64 s[64:65], s[48:49]
	s_cbranch_execz .LBB166_6245
; %bb.6244:
	v_bfe_u32 v7, v6, 16, 1
	s_movk_i32 vcc_lo, 0x7fff
	v_add3_u32 v7, v6, v7, vcc_lo
	v_cmp_o_f32_e32 vcc, v6, v6
	v_mov_b32_e32 v6, 0x7fc0
	v_cndmask_b32_sdwa v6, v6, v7, vcc dst_sel:DWORD dst_unused:UNUSED_PAD src0_sel:DWORD src1_sel:WORD_1
	s_mov_b64 s[54:55], exec
	flat_store_dword v[4:5], v6
	s_xor_b64 vcc, exec, -1
.LBB166_6245:
	s_or_b64 exec, exec, s[64:65]
	v_readlane_b32 s48, v41, 14
	v_readlane_b32 s49, v41, 15
	s_andn2_b64 s[48:49], s[48:49], exec
	s_and_b64 vcc, vcc, exec
	s_or_b64 s[64:65], s[48:49], vcc
	s_and_b64 s[68:69], s[54:55], exec
                                        ; implicit-def: $vgpr4_vgpr5
                                        ; implicit-def: $vgpr6
.LBB166_6246:
	s_andn2_saveexec_b64 s[66:67], s[4:5]
	s_cbranch_execz .LBB166_6252
; %bb.6247:
	v_mov_b32_e32 v7, 44
	v_cmp_eq_u16_sdwa s[48:49], v13, v7 src0_sel:BYTE_0 src1_sel:DWORD
	s_mov_b64 vcc, -1
	s_mov_b64 s[4:5], s[68:69]
	s_and_saveexec_b64 s[54:55], s[48:49]
	s_cbranch_execz .LBB166_6251
; %bb.6248:
	v_bfe_u32 v7, v6, 23, 8
	s_movk_i32 s4, 0xff
	v_cmp_ne_u32_e32 vcc, s4, v7
	v_mov_b32_e32 v34, 0xff
	s_and_saveexec_b64 s[52:53], vcc
; %bb.6249:
	s_mov_b32 s4, 0x3fffff
	v_lshrrev_b32_e32 v34, 23, v6
	v_and_b32_e32 v35, 0x400000, v6
	v_and_or_b32 v6, v6, s4, v7
	v_cmp_ne_u32_e32 vcc, 0, v35
	v_cmp_ne_u32_e64 s[4:5], 0, v6
	s_and_b64 s[4:5], vcc, s[4:5]
	v_cndmask_b32_e64 v6, 0, 1, s[4:5]
	v_add_u32_e32 v34, v34, v6
; %bb.6250:
	s_or_b64 exec, exec, s[52:53]
	s_xor_b64 vcc, exec, -1
	s_or_b64 s[4:5], s[68:69], exec
	flat_store_byte v[4:5], v34
.LBB166_6251:
	s_or_b64 exec, exec, s[54:55]
	s_andn2_b64 s[48:49], s[64:65], exec
	s_and_b64 vcc, vcc, exec
	s_or_b64 s[64:65], s[48:49], vcc
	s_andn2_b64 vcc, s[68:69], exec
	s_and_b64 s[4:5], s[4:5], exec
	s_or_b64 s[68:69], vcc, s[4:5]
.LBB166_6252:
	s_or_b64 exec, exec, s[66:67]
	v_readlane_b32 s4, v41, 14
	v_readlane_b32 s5, v41, 15
	s_andn2_b64 s[4:5], s[4:5], exec
	s_and_b64 vcc, s[64:65], exec
	s_or_b64 vcc, s[4:5], vcc
	s_and_b64 s[4:5], s[68:69], exec
                                        ; implicit-def: $vgpr6
                                        ; implicit-def: $vgpr4_vgpr5
.LBB166_6253:
	s_andn2_saveexec_b64 s[64:65], s[80:81]
	s_cbranch_execz .LBB166_6257
; %bb.6254:
	v_mov_b32_e32 v7, 29
	v_cmp_eq_u16_sdwa s[48:49], v13, v7 src0_sel:BYTE_0 src1_sel:DWORD
	s_mov_b64 s[66:67], -1
	s_mov_b64 s[52:53], s[4:5]
	s_and_saveexec_b64 s[54:55], s[48:49]
	s_cbranch_execz .LBB166_6256
; %bb.6255:
	v_trunc_f32_e32 v6, v6
	v_mul_f32_e32 v7, 0x2f800000, v6
	v_floor_f32_e32 v34, v7
	v_fmac_f32_e32 v6, 0xcf800000, v34
	v_cvt_u32_f32_e32 v7, v34
	v_cvt_u32_f32_e32 v6, v6
	s_xor_b64 s[66:67], exec, -1
	s_or_b64 s[52:53], s[4:5], exec
	flat_store_dwordx2 v[4:5], v[6:7]
.LBB166_6256:
	s_or_b64 exec, exec, s[54:55]
	s_andn2_b64 vcc, vcc, exec
	s_and_b64 s[48:49], s[66:67], exec
	s_or_b64 vcc, vcc, s[48:49]
	s_andn2_b64 s[4:5], s[4:5], exec
	s_and_b64 s[48:49], s[52:53], exec
	s_or_b64 s[4:5], s[4:5], s[48:49]
.LBB166_6257:
	s_or_b64 exec, exec, s[64:65]
	v_readlane_b32 s48, v41, 14
	v_readlane_b32 s49, v41, 15
	s_andn2_b64 s[48:49], s[48:49], exec
	s_and_b64 vcc, vcc, exec
	s_or_b64 s[80:81], s[48:49], vcc
	s_and_b64 s[4:5], s[4:5], exec
                                        ; implicit-def: $vgpr4_vgpr5
                                        ; implicit-def: $vgpr6
.LBB166_6258:
	s_andn2_saveexec_b64 s[70:71], s[70:71]
	s_cbranch_execz .LBB166_6274
; %bb.6259:
	v_mov_b32_e32 v7, 26
	v_cmp_gt_i16_sdwa vcc, v13, v7 src0_sel:BYTE_0 src1_sel:DWORD
	s_and_saveexec_b64 s[48:49], vcc
	s_xor_b64 vcc, exec, s[48:49]
	s_cbranch_execz .LBB166_6265
; %bb.6260:
	v_cvt_u32_f32_e32 v6, v6
	v_mov_b32_e32 v7, 27
	v_cmp_gt_i16_sdwa s[48:49], v13, v7 src0_sel:BYTE_0 src1_sel:DWORD
	s_and_saveexec_b64 s[50:51], s[48:49]
	s_xor_b64 s[50:51], exec, s[50:51]
	s_cbranch_execz .LBB166_6262
; %bb.6261:
	flat_store_dword v[4:5], v6
                                        ; implicit-def: $vgpr4_vgpr5
                                        ; implicit-def: $vgpr6
.LBB166_6262:
	s_andn2_saveexec_b64 s[50:51], s[50:51]
	s_cbranch_execz .LBB166_6264
; %bb.6263:
	flat_store_short v[4:5], v6
.LBB166_6264:
	s_or_b64 exec, exec, s[50:51]
                                        ; implicit-def: $vgpr4_vgpr5
                                        ; implicit-def: $vgpr6
.LBB166_6265:
	s_andn2_saveexec_b64 s[64:65], vcc
	s_cbranch_execz .LBB166_6273
; %bb.6266:
	v_and_b32_e32 v7, 0x7fffffff, v6
	s_mov_b32 vcc_lo, 0x43800000
	v_cmp_gt_u32_e32 vcc, vcc_lo, v7
	v_mov_b32_e32 v34, 0x80
	s_and_saveexec_b64 s[66:67], vcc
	s_cbranch_execz .LBB166_6272
; %bb.6267:
	s_mov_b32 vcc_lo, 0x3bffffff
	v_cmp_lt_u32_e32 vcc, vcc_lo, v7
	s_mov_b64 s[54:55], 0
                                        ; implicit-def: $vgpr7
	s_and_saveexec_b64 s[48:49], vcc
	s_xor_b64 vcc, exec, s[48:49]
	s_cbranch_execnz .LBB166_7895
; %bb.6268:
	s_andn2_saveexec_b64 s[68:69], vcc
	s_cbranch_execnz .LBB166_7896
.LBB166_6269:
	s_or_b64 exec, exec, s[68:69]
	v_mov_b32_e32 v34, 0
	s_and_saveexec_b64 vcc, s[54:55]
.LBB166_6270:
	v_lshrrev_b32_e32 v6, 24, v6
	s_movk_i32 s48, 0x80
	v_and_or_b32 v34, v6, s48, v7
.LBB166_6271:
	s_or_b64 exec, exec, vcc
.LBB166_6272:
	s_or_b64 exec, exec, s[66:67]
	flat_store_byte v[4:5], v34
.LBB166_6273:
	s_or_b64 exec, exec, s[64:65]
	s_or_b64 s[4:5], s[4:5], exec
.LBB166_6274:
	s_or_b64 exec, exec, s[70:71]
	v_readlane_b32 vcc_lo, v41, 14
	v_readlane_b32 vcc_hi, v41, 15
	s_andn2_b64 vcc, vcc, exec
	s_and_b64 s[48:49], s[80:81], exec
	s_or_b64 s[80:81], vcc, s[48:49]
	s_and_b64 s[4:5], s[4:5], exec
                                        ; implicit-def: $vgpr6
                                        ; implicit-def: $vgpr4_vgpr5
.LBB166_6275:
	s_andn2_saveexec_b64 s[82:83], s[82:83]
	s_cbranch_execz .LBB166_6319
; %bb.6276:
	v_mov_b32_e32 v7, 22
	v_cmp_gt_i16_sdwa vcc, v13, v7 src0_sel:BYTE_0 src1_sel:DWORD
	s_mov_b64 s[68:69], s[4:5]
	s_and_saveexec_b64 s[48:49], vcc
	s_xor_b64 s[70:71], exec, s[48:49]
	s_cbranch_execz .LBB166_6308
; %bb.6277:
	v_mov_b32_e32 v7, 23
	v_cmp_gt_i16_sdwa vcc, v13, v7 src0_sel:BYTE_0 src1_sel:DWORD
	s_and_saveexec_b64 s[48:49], vcc
	s_xor_b64 s[48:49], exec, s[48:49]
	v_writelane_b32 v41, s48, 22
	v_writelane_b32 v41, s49, 23
	s_cbranch_execz .LBB166_6297
; %bb.6278:
	v_mov_b32_e32 v7, 24
	v_cmp_gt_i16_sdwa vcc, v13, v7 src0_sel:BYTE_0 src1_sel:DWORD
	s_and_saveexec_b64 s[48:49], vcc
	s_xor_b64 s[64:65], exec, s[48:49]
	s_cbranch_execz .LBB166_6286
; %bb.6279:
	v_and_b32_e32 v7, 0x7fffffff, v6
	s_mov_b32 vcc_lo, 0x47800000
	v_cmp_gt_u32_e32 vcc, vcc_lo, v7
	v_mov_b32_e32 v34, 0x80
	s_and_saveexec_b64 s[66:67], vcc
	s_cbranch_execz .LBB166_6285
; %bb.6280:
	s_mov_b32 vcc_lo, 0x37ffffff
	v_cmp_lt_u32_e32 vcc, vcc_lo, v7
	s_mov_b64 s[54:55], 0
                                        ; implicit-def: $vgpr7
	s_and_saveexec_b64 s[48:49], vcc
	s_xor_b64 vcc, exec, s[48:49]
	s_cbranch_execnz .LBB166_7897
; %bb.6281:
	s_andn2_saveexec_b64 s[68:69], vcc
	s_cbranch_execnz .LBB166_7898
.LBB166_6282:
	s_or_b64 exec, exec, s[68:69]
	v_mov_b32_e32 v34, 0
	s_and_saveexec_b64 vcc, s[54:55]
.LBB166_6283:
	v_lshrrev_b32_e32 v6, 24, v6
	s_movk_i32 s48, 0x80
	v_and_or_b32 v34, v6, s48, v7
.LBB166_6284:
	s_or_b64 exec, exec, vcc
.LBB166_6285:
	s_or_b64 exec, exec, s[66:67]
	flat_store_byte v[4:5], v34
                                        ; implicit-def: $vgpr6
                                        ; implicit-def: $vgpr4_vgpr5
.LBB166_6286:
	s_andn2_saveexec_b64 s[64:65], s[64:65]
	s_cbranch_execz .LBB166_6296
; %bb.6287:
	v_and_b32_e32 v34, 0x7fffffff, v6
	s_mov_b32 vcc_lo, 0x43f00000
	v_cmp_gt_u32_e32 vcc, vcc_lo, v34
                                        ; implicit-def: $vgpr7
	s_and_saveexec_b64 s[48:49], vcc
	s_xor_b64 s[66:67], exec, s[48:49]
	s_cbranch_execz .LBB166_6293
; %bb.6288:
	s_mov_b32 vcc_lo, 0x3c7fffff
	v_cmp_lt_u32_e32 vcc, vcc_lo, v34
                                        ; implicit-def: $vgpr7
	s_and_saveexec_b64 s[48:49], vcc
	s_xor_b64 s[52:53], exec, s[48:49]
; %bb.6289:
	v_bfe_u32 v7, v6, 20, 1
	s_mov_b32 vcc_lo, 0x407ffff
	v_add3_u32 v7, v6, v7, vcc_lo
	v_lshrrev_b32_e32 v34, 20, v7
	v_and_b32_e32 v7, 0xff00000, v7
	s_mov_b32 vcc_lo, 0x7f00000
	v_mov_b32_e32 v35, 0x7e
	v_cmp_ne_u32_e32 vcc, vcc_lo, v7
	v_cndmask_b32_e32 v7, v35, v34, vcc
; %bb.6290:
	s_andn2_saveexec_b64 vcc, s[52:53]
; %bb.6291:
	s_mov_b32 s48, 0x46800000
	v_add_f32_e64 v7, |v6|, s48
; %bb.6292:
	s_or_b64 exec, exec, vcc
                                        ; implicit-def: $vgpr34
.LBB166_6293:
	s_andn2_saveexec_b64 s[52:53], s[66:67]
; %bb.6294:
	s_mov_b32 vcc_lo, 0x7f800000
	v_mov_b32_e32 v7, 0x7e
	v_mov_b32_e32 v35, 0x7f
	v_cmp_lt_u32_e32 vcc, vcc_lo, v34
	v_cndmask_b32_e32 v7, v7, v35, vcc
; %bb.6295:
	s_or_b64 exec, exec, s[52:53]
	v_lshrrev_b32_e32 v6, 24, v6
	s_movk_i32 vcc_lo, 0x80
	v_and_or_b32 v6, v6, vcc_lo, v7
	flat_store_byte v[4:5], v6
.LBB166_6296:
	s_or_b64 exec, exec, s[64:65]
                                        ; implicit-def: $vgpr6
                                        ; implicit-def: $vgpr4_vgpr5
.LBB166_6297:
	v_readlane_b32 vcc_lo, v41, 22
	v_readlane_b32 vcc_hi, v41, 23
	s_andn2_saveexec_b64 s[64:65], vcc
	s_cbranch_execz .LBB166_6307
; %bb.6298:
	v_and_b32_e32 v34, 0x7fffffff, v6
	s_mov_b32 vcc_lo, 0x47800000
	v_cmp_gt_u32_e32 vcc, vcc_lo, v34
                                        ; implicit-def: $vgpr7
	s_and_saveexec_b64 s[48:49], vcc
	s_xor_b64 s[54:55], exec, s[48:49]
	s_cbranch_execz .LBB166_6304
; %bb.6299:
	s_mov_b32 vcc_lo, 0x387fffff
	v_cmp_lt_u32_e32 vcc, vcc_lo, v34
                                        ; implicit-def: $vgpr7
	s_and_saveexec_b64 s[48:49], vcc
	s_xor_b64 vcc, exec, s[48:49]
; %bb.6300:
	v_bfe_u32 v7, v6, 21, 1
	s_mov_b32 s48, 0x80fffff
	v_add3_u32 v7, v6, v7, s48
	v_lshrrev_b32_e32 v7, 21, v7
; %bb.6301:
	s_andn2_saveexec_b64 vcc, vcc
; %bb.6302:
	s_mov_b32 s48, 0x43000000
	v_add_f32_e64 v7, |v6|, s48
; %bb.6303:
	s_or_b64 exec, exec, vcc
                                        ; implicit-def: $vgpr34
.LBB166_6304:
	s_andn2_saveexec_b64 s[52:53], s[54:55]
; %bb.6305:
	s_mov_b32 vcc_lo, 0x7f800000
	v_mov_b32_e32 v7, 0x7c
	v_mov_b32_e32 v35, 0x7f
	v_cmp_lt_u32_e32 vcc, vcc_lo, v34
	v_cndmask_b32_e32 v7, v7, v35, vcc
; %bb.6306:
	s_or_b64 exec, exec, s[52:53]
	v_lshrrev_b32_e32 v6, 24, v6
	s_movk_i32 vcc_lo, 0x80
	v_and_or_b32 v6, v6, vcc_lo, v7
	flat_store_byte v[4:5], v6
.LBB166_6307:
	s_or_b64 exec, exec, s[64:65]
	s_or_b64 s[68:69], s[4:5], exec
                                        ; implicit-def: $vgpr6
                                        ; implicit-def: $vgpr4_vgpr5
.LBB166_6308:
	s_or_saveexec_b64 s[70:71], s[70:71]
	s_mov_b64 vcc, s[80:81]
	s_xor_b64 exec, exec, s[70:71]
	s_cbranch_execz .LBB166_6318
; %bb.6309:
	v_mov_b32_e32 v7, 14
	v_cmp_gt_i16_sdwa vcc, v13, v7 src0_sel:BYTE_0 src1_sel:DWORD
	s_mov_b64 s[64:65], s[68:69]
	s_mov_b64 s[66:67], s[80:81]
	s_and_saveexec_b64 s[48:49], vcc
	s_xor_b64 s[54:55], exec, s[48:49]
	s_cbranch_execz .LBB166_6313
; %bb.6310:
	v_mov_b32_e32 v7, 15
	v_cmp_eq_u16_sdwa s[48:49], v13, v7 src0_sel:BYTE_0 src1_sel:DWORD
	s_mov_b64 s[52:53], -1
	s_mov_b64 vcc, s[68:69]
	s_and_saveexec_b64 s[64:65], s[48:49]
	s_cbranch_execz .LBB166_6312
; %bb.6311:
	v_bfe_u32 v7, v6, 16, 1
	s_movk_i32 vcc_lo, 0x7fff
	v_add3_u32 v7, v6, v7, vcc_lo
	v_cmp_o_f32_e32 vcc, v6, v6
	v_mov_b32_e32 v6, 0x7fc0
	v_cndmask_b32_sdwa v6, v6, v7, vcc dst_sel:DWORD dst_unused:UNUSED_PAD src0_sel:DWORD src1_sel:WORD_1
	flat_store_short v[4:5], v6
	s_xor_b64 s[52:53], exec, -1
	s_or_b64 vcc, s[68:69], exec
.LBB166_6312:
	s_or_b64 exec, exec, s[64:65]
	s_andn2_b64 s[48:49], s[80:81], exec
	s_and_b64 s[50:51], s[52:53], exec
	s_or_b64 s[66:67], s[48:49], s[50:51]
	s_andn2_b64 s[48:49], s[68:69], exec
	s_and_b64 vcc, vcc, exec
	s_or_b64 s[64:65], s[48:49], vcc
                                        ; implicit-def: $vgpr6
                                        ; implicit-def: $vgpr4_vgpr5
.LBB166_6313:
	s_andn2_saveexec_b64 s[54:55], s[54:55]
	s_cbranch_execz .LBB166_6317
; %bb.6314:
	v_mov_b32_e32 v7, 11
	v_cmp_eq_u16_sdwa s[48:49], v13, v7 src0_sel:BYTE_0 src1_sel:DWORD
	s_mov_b64 s[52:53], -1
	s_mov_b64 vcc, s[64:65]
	s_and_saveexec_b64 s[50:51], s[48:49]
	s_cbranch_execz .LBB166_6316
; %bb.6315:
	v_cmp_neq_f32_e32 vcc, 0, v6
	v_cndmask_b32_e64 v6, 0, 1, vcc
	flat_store_byte v[4:5], v6
	s_xor_b64 s[52:53], exec, -1
	s_or_b64 vcc, s[64:65], exec
.LBB166_6316:
	s_or_b64 exec, exec, s[50:51]
	s_andn2_b64 s[48:49], s[66:67], exec
	s_and_b64 s[50:51], s[52:53], exec
	s_or_b64 s[66:67], s[48:49], s[50:51]
	s_andn2_b64 s[48:49], s[64:65], exec
	s_and_b64 vcc, vcc, exec
	s_or_b64 s[64:65], s[48:49], vcc
.LBB166_6317:
	s_or_b64 exec, exec, s[54:55]
	s_andn2_b64 vcc, s[80:81], exec
	s_and_b64 s[48:49], s[66:67], exec
	s_or_b64 vcc, vcc, s[48:49]
	s_andn2_b64 s[48:49], s[68:69], exec
	s_and_b64 s[50:51], s[64:65], exec
	s_or_b64 s[68:69], s[48:49], s[50:51]
.LBB166_6318:
	s_or_b64 exec, exec, s[70:71]
	s_andn2_b64 s[48:49], s[80:81], exec
	s_and_b64 vcc, vcc, exec
	s_or_b64 s[80:81], s[48:49], vcc
	s_andn2_b64 s[4:5], s[4:5], exec
	s_and_b64 vcc, s[68:69], exec
	s_or_b64 s[4:5], s[4:5], vcc
.LBB166_6319:
	s_or_b64 exec, exec, s[82:83]
	v_readlane_b32 vcc_lo, v41, 14
	v_readlane_b32 vcc_hi, v41, 15
	s_andn2_b64 vcc, vcc, exec
	s_and_b64 s[48:49], s[80:81], exec
	s_or_b64 s[80:81], vcc, s[48:49]
	s_and_b64 s[4:5], s[4:5], exec
                                        ; implicit-def: $vgpr6
                                        ; implicit-def: $vgpr4_vgpr5
.LBB166_6320:
	s_andn2_saveexec_b64 s[82:83], s[84:85]
	s_cbranch_execz .LBB166_6362
; %bb.6321:
	v_mov_b32_e32 v7, 4
	v_cmp_gt_i16_sdwa vcc, v13, v7 src0_sel:BYTE_0 src1_sel:DWORD
	s_and_saveexec_b64 s[48:49], vcc
	s_xor_b64 vcc, exec, s[48:49]
	s_cbranch_execz .LBB166_6343
; %bb.6322:
	v_mov_b32_e32 v7, 7
	v_cmp_gt_i16_sdwa s[48:49], v13, v7 src0_sel:BYTE_0 src1_sel:DWORD
	s_and_saveexec_b64 s[50:51], s[48:49]
	s_xor_b64 s[64:65], exec, s[50:51]
	s_cbranch_execz .LBB166_6332
; %bb.6323:
	v_mov_b32_e32 v7, 8
	v_cmp_gt_i16_sdwa s[48:49], v13, v7 src0_sel:BYTE_0 src1_sel:DWORD
	s_and_saveexec_b64 s[50:51], s[48:49]
	s_xor_b64 s[54:55], exec, s[50:51]
	;; [unrolled: 6-line block ×3, first 2 shown]
	s_cbranch_execz .LBB166_6326
; %bb.6325:
	v_cvt_f64_f32_e32 v[34:35], v6
	v_mov_b32_e32 v36, 0
	v_mov_b32_e32 v37, v36
                                        ; implicit-def: $vgpr6
	flat_store_dwordx4 v[4:5], v[34:37]
                                        ; implicit-def: $vgpr4_vgpr5
.LBB166_6326:
	s_andn2_saveexec_b64 s[50:51], s[50:51]
	s_cbranch_execz .LBB166_6328
; %bb.6327:
	v_mov_b32_e32 v7, 0
	flat_store_dwordx2 v[4:5], v[6:7]
.LBB166_6328:
	s_or_b64 exec, exec, s[50:51]
                                        ; implicit-def: $vgpr6
                                        ; implicit-def: $vgpr4_vgpr5
.LBB166_6329:
	s_andn2_saveexec_b64 s[50:51], s[54:55]
	s_cbranch_execz .LBB166_6331
; %bb.6330:
	v_cvt_f16_f32_e32 v6, v6
	flat_store_dword v[4:5], v6
.LBB166_6331:
	s_or_b64 exec, exec, s[50:51]
                                        ; implicit-def: $vgpr6
                                        ; implicit-def: $vgpr4_vgpr5
.LBB166_6332:
	s_andn2_saveexec_b64 s[64:65], s[64:65]
	s_cbranch_execz .LBB166_6342
; %bb.6333:
	v_mov_b32_e32 v7, 5
	v_cmp_gt_i16_sdwa s[48:49], v13, v7 src0_sel:BYTE_0 src1_sel:DWORD
	s_and_saveexec_b64 s[50:51], s[48:49]
	s_xor_b64 s[54:55], exec, s[50:51]
	s_cbranch_execz .LBB166_6339
; %bb.6334:
	v_mov_b32_e32 v7, 6
	v_cmp_gt_i16_sdwa s[48:49], v13, v7 src0_sel:BYTE_0 src1_sel:DWORD
	s_and_saveexec_b64 s[50:51], s[48:49]
	s_xor_b64 s[50:51], exec, s[50:51]
	s_cbranch_execz .LBB166_6336
; %bb.6335:
	v_cvt_f64_f32_e32 v[6:7], v6
	flat_store_dwordx2 v[4:5], v[6:7]
                                        ; implicit-def: $vgpr4_vgpr5
                                        ; implicit-def: $vgpr6
.LBB166_6336:
	s_andn2_saveexec_b64 s[50:51], s[50:51]
	s_cbranch_execz .LBB166_6338
; %bb.6337:
	flat_store_dword v[4:5], v6
.LBB166_6338:
	s_or_b64 exec, exec, s[50:51]
                                        ; implicit-def: $vgpr6
                                        ; implicit-def: $vgpr4_vgpr5
.LBB166_6339:
	s_andn2_saveexec_b64 s[50:51], s[54:55]
	s_cbranch_execz .LBB166_6341
; %bb.6340:
	v_cvt_f16_f32_e32 v6, v6
	flat_store_short v[4:5], v6
.LBB166_6341:
	s_or_b64 exec, exec, s[50:51]
.LBB166_6342:
	s_or_b64 exec, exec, s[64:65]
                                        ; implicit-def: $vgpr6
                                        ; implicit-def: $vgpr4_vgpr5
.LBB166_6343:
	s_andn2_saveexec_b64 s[70:71], vcc
	s_cbranch_execz .LBB166_6361
; %bb.6344:
	v_mov_b32_e32 v7, 1
	v_cmp_gt_i16_sdwa vcc, v13, v7 src0_sel:BYTE_0 src1_sel:DWORD
	s_and_saveexec_b64 s[48:49], vcc
	s_xor_b64 s[64:65], exec, s[48:49]
	s_cbranch_execz .LBB166_6354
; %bb.6345:
	v_mov_b32_e32 v7, 2
	v_cmp_gt_i16_sdwa vcc, v13, v7 src0_sel:BYTE_0 src1_sel:DWORD
	s_and_saveexec_b64 s[48:49], vcc
	s_xor_b64 s[66:67], exec, s[48:49]
	;; [unrolled: 6-line block ×3, first 2 shown]
	s_cbranch_execz .LBB166_6348
; %bb.6347:
	v_trunc_f32_e32 v6, v6
	s_mov_b32 s48, 0x2f800000
	v_mul_f32_e64 v7, |v6|, s48
	v_floor_f32_e32 v7, v7
	s_mov_b32 s48, 0xcf800000
	v_cvt_u32_f32_e32 v34, v7
	v_fma_f32 v7, v7, s48, |v6|
	v_cvt_u32_f32_e32 v7, v7
	v_ashrrev_i32_e32 v35, 31, v6
	v_xor_b32_e32 v34, v34, v35
	v_xor_b32_e32 v6, v7, v35
	v_sub_co_u32_e32 v6, vcc, v6, v35
	v_subb_co_u32_e32 v7, vcc, v34, v35, vcc
	flat_store_dwordx2 v[4:5], v[6:7]
                                        ; implicit-def: $vgpr6
                                        ; implicit-def: $vgpr4_vgpr5
.LBB166_6348:
	s_andn2_saveexec_b64 vcc, s[54:55]
	s_cbranch_execz .LBB166_6350
; %bb.6349:
	v_cvt_i32_f32_e32 v6, v6
	flat_store_dword v[4:5], v6
.LBB166_6350:
	s_or_b64 exec, exec, vcc
                                        ; implicit-def: $vgpr6
                                        ; implicit-def: $vgpr4_vgpr5
.LBB166_6351:
	s_andn2_saveexec_b64 vcc, s[66:67]
	s_cbranch_execz .LBB166_6353
; %bb.6352:
	v_cvt_i32_f32_e32 v6, v6
	flat_store_short v[4:5], v6
.LBB166_6353:
	s_or_b64 exec, exec, vcc
                                        ; implicit-def: $vgpr6
                                        ; implicit-def: $vgpr4_vgpr5
.LBB166_6354:
	s_andn2_saveexec_b64 vcc, s[64:65]
	s_cbranch_execz .LBB166_6360
; %bb.6355:
	v_mov_b32_e32 v7, 0
	v_cmp_gt_i16_sdwa s[48:49], v13, v7 src0_sel:BYTE_0 src1_sel:DWORD
	s_and_saveexec_b64 s[50:51], s[48:49]
	s_xor_b64 s[50:51], exec, s[50:51]
	s_cbranch_execz .LBB166_6357
; %bb.6356:
	v_cvt_i32_f32_e32 v6, v6
	flat_store_byte v[4:5], v6
                                        ; implicit-def: $vgpr6
                                        ; implicit-def: $vgpr4_vgpr5
.LBB166_6357:
	s_andn2_saveexec_b64 s[54:55], s[50:51]
	s_cbranch_execz .LBB166_6359
; %bb.6358:
	v_trunc_f32_e32 v6, v6
	s_mov_b32 s48, 0x2f800000
	v_mul_f32_e64 v7, |v6|, s48
	v_floor_f32_e32 v7, v7
	s_mov_b32 s48, 0xcf800000
	v_fma_f32 v7, v7, s48, |v6|
	v_cvt_u32_f32_e32 v7, v7
	v_ashrrev_i32_e32 v6, 31, v6
	v_xor_b32_e32 v7, v7, v6
	v_sub_u32_e32 v6, v7, v6
	flat_store_byte v[4:5], v6
.LBB166_6359:
	s_or_b64 exec, exec, s[54:55]
.LBB166_6360:
	s_or_b64 exec, exec, vcc
.LBB166_6361:
	s_or_b64 exec, exec, s[70:71]
	s_or_b64 s[4:5], s[4:5], exec
.LBB166_6362:
	s_or_b64 exec, exec, s[82:83]
	s_mov_b64 s[54:55], 0
	s_mov_b64 vcc, 0
	s_and_saveexec_b64 s[52:53], s[4:5]
; %bb.6363:
	v_add_u32_e32 v17, 0x200, v17
	v_cmp_lt_i32_e32 vcc, v17, v8
	s_mov_b64 s[54:55], exec
	s_and_b64 vcc, vcc, exec
; %bb.6364:
	s_or_b64 exec, exec, s[52:53]
	v_readlane_b32 s4, v41, 14
	v_readlane_b32 s5, v41, 15
	s_andn2_b64 s[4:5], s[4:5], exec
	s_and_b64 s[48:49], s[80:81], exec
	s_or_b64 s[4:5], s[4:5], s[48:49]
	v_writelane_b32 v41, s4, 22
	s_and_b64 vcc, vcc, exec
	v_writelane_b32 v41, s5, 23
	s_orn2_b64 s[64:65], s[54:55], exec
.LBB166_6365:
	s_or_b64 exec, exec, s[86:87]
	s_mov_b64 s[4:5], 0
	s_mov_b64 s[54:55], 0
                                        ; implicit-def: $vgpr4
                                        ; implicit-def: $vgpr112
                                        ; implicit-def: $vgpr6_vgpr7
	s_mov_b64 s[48:49], exec
	v_writelane_b32 v41, s48, 24
	v_writelane_b32 v41, s49, 25
	s_and_b64 s[48:49], s[48:49], s[64:65]
	s_mov_b64 exec, s[48:49]
	s_cbranch_execz .LBB166_7747
; %bb.6366:
	v_readlane_b32 s4, v41, 22
	v_readlane_b32 s5, v41, 23
	v_writelane_b32 v41, s4, 26
	s_mov_b64 s[64:65], -1
	v_writelane_b32 v41, s5, 27
	s_mov_b64 s[4:5], 0
	s_and_saveexec_b64 s[86:87], vcc
	s_cbranch_execz .LBB166_6494
; %bb.6367:
	v_readlane_b32 s4, v41, 2
	v_add_u32_e32 v4, s4, v17
	v_mul_lo_u32 v4, v4, v14
	v_mov_b32_e32 v7, 10
	v_readlane_b32 s80, v41, 22
	s_mov_b64 s[4:5], 0
	v_add_co_u32_e32 v4, vcc, v2, v4
	v_addc_co_u32_e32 v5, vcc, 0, v3, vcc
	s_waitcnt vmcnt(0)
	v_cmp_nle_f32_e32 vcc, v33, v0
	v_cndmask_b32_e32 v6, v1, v32, vcc
	v_cmp_gt_i16_sdwa vcc, v13, v7 src0_sel:BYTE_0 src1_sel:DWORD
	v_readlane_b32 s81, v41, 23
	s_and_saveexec_b64 s[48:49], vcc
	s_xor_b64 s[84:85], exec, s[48:49]
	s_cbranch_execz .LBB166_6449
; %bb.6368:
	v_mov_b32_e32 v7, 25
	v_readlane_b32 s80, v41, 22
	v_cmp_gt_i16_sdwa vcc, v13, v7 src0_sel:BYTE_0 src1_sel:DWORD
	v_readlane_b32 s81, v41, 23
	s_and_saveexec_b64 s[48:49], vcc
	s_xor_b64 s[82:83], exec, s[48:49]
	s_cbranch_execz .LBB166_6404
; %bb.6369:
	v_mov_b32_e32 v7, 28
	v_readlane_b32 s80, v41, 22
	v_cmp_gt_i16_sdwa vcc, v13, v7 src0_sel:BYTE_0 src1_sel:DWORD
	v_readlane_b32 s81, v41, 23
	s_and_saveexec_b64 s[48:49], vcc
	s_xor_b64 s[70:71], exec, s[48:49]
	s_cbranch_execz .LBB166_6387
; %bb.6370:
	v_mov_b32_e32 v7, 43
	v_readlane_b32 vcc_lo, v41, 22
	v_cmp_gt_i16_sdwa s[48:49], v13, v7 src0_sel:BYTE_0 src1_sel:DWORD
	v_readlane_b32 vcc_hi, v41, 23
	s_and_saveexec_b64 s[50:51], s[48:49]
	s_xor_b64 s[80:81], exec, s[50:51]
	s_cbranch_execz .LBB166_6382
; %bb.6371:
	v_mov_b32_e32 v7, 45
	v_readlane_b32 s64, v41, 22
	v_cmp_gt_i16_sdwa s[4:5], v13, v7 src0_sel:BYTE_0 src1_sel:DWORD
	s_mov_b64 s[68:69], 0
	v_readlane_b32 s65, v41, 23
	s_and_saveexec_b64 vcc, s[4:5]
	s_xor_b64 s[4:5], exec, vcc
	s_cbranch_execz .LBB166_6375
; %bb.6372:
	v_mov_b32_e32 v7, 46
	v_cmp_eq_u16_sdwa s[48:49], v13, v7 src0_sel:BYTE_0 src1_sel:DWORD
	s_mov_b64 vcc, -1
	s_and_saveexec_b64 s[64:65], s[48:49]
	s_cbranch_execz .LBB166_6374
; %bb.6373:
	v_bfe_u32 v7, v6, 16, 1
	s_movk_i32 vcc_lo, 0x7fff
	v_add3_u32 v7, v6, v7, vcc_lo
	v_cmp_o_f32_e32 vcc, v6, v6
	v_mov_b32_e32 v6, 0x7fc0
	v_cndmask_b32_sdwa v6, v6, v7, vcc dst_sel:DWORD dst_unused:UNUSED_PAD src0_sel:DWORD src1_sel:WORD_1
	s_mov_b64 s[54:55], exec
	flat_store_dword v[4:5], v6
	s_xor_b64 vcc, exec, -1
.LBB166_6374:
	s_or_b64 exec, exec, s[64:65]
	v_readlane_b32 s48, v41, 22
	v_readlane_b32 s49, v41, 23
	s_andn2_b64 s[48:49], s[48:49], exec
	s_and_b64 vcc, vcc, exec
	s_or_b64 s[64:65], s[48:49], vcc
	s_and_b64 s[68:69], s[54:55], exec
                                        ; implicit-def: $vgpr4_vgpr5
                                        ; implicit-def: $vgpr6
.LBB166_6375:
	s_andn2_saveexec_b64 s[66:67], s[4:5]
	s_cbranch_execz .LBB166_6381
; %bb.6376:
	v_mov_b32_e32 v7, 44
	v_cmp_eq_u16_sdwa s[48:49], v13, v7 src0_sel:BYTE_0 src1_sel:DWORD
	s_mov_b64 vcc, -1
	s_mov_b64 s[4:5], s[68:69]
	s_and_saveexec_b64 s[54:55], s[48:49]
	s_cbranch_execz .LBB166_6380
; %bb.6377:
	v_bfe_u32 v7, v6, 23, 8
	s_movk_i32 s4, 0xff
	v_cmp_ne_u32_e32 vcc, s4, v7
	v_mov_b32_e32 v32, 0xff
	s_and_saveexec_b64 s[52:53], vcc
; %bb.6378:
	s_mov_b32 s4, 0x3fffff
	v_lshrrev_b32_e32 v32, 23, v6
	v_and_b32_e32 v33, 0x400000, v6
	v_and_or_b32 v6, v6, s4, v7
	v_cmp_ne_u32_e32 vcc, 0, v33
	v_cmp_ne_u32_e64 s[4:5], 0, v6
	s_and_b64 s[4:5], vcc, s[4:5]
	v_cndmask_b32_e64 v6, 0, 1, s[4:5]
	v_add_u32_e32 v32, v32, v6
; %bb.6379:
	s_or_b64 exec, exec, s[52:53]
	s_xor_b64 vcc, exec, -1
	s_or_b64 s[4:5], s[68:69], exec
	flat_store_byte v[4:5], v32
.LBB166_6380:
	s_or_b64 exec, exec, s[54:55]
	s_andn2_b64 s[48:49], s[64:65], exec
	s_and_b64 vcc, vcc, exec
	s_or_b64 s[64:65], s[48:49], vcc
	s_andn2_b64 vcc, s[68:69], exec
	s_and_b64 s[4:5], s[4:5], exec
	s_or_b64 s[68:69], vcc, s[4:5]
.LBB166_6381:
	s_or_b64 exec, exec, s[66:67]
	v_readlane_b32 s4, v41, 22
	v_readlane_b32 s5, v41, 23
	s_andn2_b64 s[4:5], s[4:5], exec
	s_and_b64 vcc, s[64:65], exec
	s_or_b64 vcc, s[4:5], vcc
	s_and_b64 s[4:5], s[68:69], exec
                                        ; implicit-def: $vgpr6
                                        ; implicit-def: $vgpr4_vgpr5
.LBB166_6382:
	s_andn2_saveexec_b64 s[64:65], s[80:81]
	s_cbranch_execz .LBB166_6386
; %bb.6383:
	v_mov_b32_e32 v7, 29
	v_cmp_eq_u16_sdwa s[48:49], v13, v7 src0_sel:BYTE_0 src1_sel:DWORD
	s_mov_b64 s[66:67], -1
	s_mov_b64 s[52:53], s[4:5]
	s_and_saveexec_b64 s[54:55], s[48:49]
	s_cbranch_execz .LBB166_6385
; %bb.6384:
	v_trunc_f32_e32 v6, v6
	v_mul_f32_e32 v7, 0x2f800000, v6
	v_floor_f32_e32 v32, v7
	v_fmac_f32_e32 v6, 0xcf800000, v32
	v_cvt_u32_f32_e32 v7, v32
	v_cvt_u32_f32_e32 v6, v6
	s_xor_b64 s[66:67], exec, -1
	s_or_b64 s[52:53], s[4:5], exec
	flat_store_dwordx2 v[4:5], v[6:7]
.LBB166_6385:
	s_or_b64 exec, exec, s[54:55]
	s_andn2_b64 vcc, vcc, exec
	s_and_b64 s[48:49], s[66:67], exec
	s_or_b64 vcc, vcc, s[48:49]
	s_andn2_b64 s[4:5], s[4:5], exec
	s_and_b64 s[48:49], s[52:53], exec
	s_or_b64 s[4:5], s[4:5], s[48:49]
.LBB166_6386:
	s_or_b64 exec, exec, s[64:65]
	v_readlane_b32 s48, v41, 22
	v_readlane_b32 s49, v41, 23
	s_andn2_b64 s[48:49], s[48:49], exec
	s_and_b64 vcc, vcc, exec
	s_or_b64 s[80:81], s[48:49], vcc
	s_and_b64 s[4:5], s[4:5], exec
                                        ; implicit-def: $vgpr4_vgpr5
                                        ; implicit-def: $vgpr6
.LBB166_6387:
	s_andn2_saveexec_b64 s[70:71], s[70:71]
	s_cbranch_execz .LBB166_6403
; %bb.6388:
	v_mov_b32_e32 v7, 26
	v_cmp_gt_i16_sdwa vcc, v13, v7 src0_sel:BYTE_0 src1_sel:DWORD
	s_and_saveexec_b64 s[48:49], vcc
	s_xor_b64 vcc, exec, s[48:49]
	s_cbranch_execz .LBB166_6394
; %bb.6389:
	v_cvt_u32_f32_e32 v6, v6
	v_mov_b32_e32 v7, 27
	v_cmp_gt_i16_sdwa s[48:49], v13, v7 src0_sel:BYTE_0 src1_sel:DWORD
	s_and_saveexec_b64 s[50:51], s[48:49]
	s_xor_b64 s[50:51], exec, s[50:51]
	s_cbranch_execz .LBB166_6391
; %bb.6390:
	flat_store_dword v[4:5], v6
                                        ; implicit-def: $vgpr4_vgpr5
                                        ; implicit-def: $vgpr6
.LBB166_6391:
	s_andn2_saveexec_b64 s[50:51], s[50:51]
	s_cbranch_execz .LBB166_6393
; %bb.6392:
	flat_store_short v[4:5], v6
.LBB166_6393:
	s_or_b64 exec, exec, s[50:51]
                                        ; implicit-def: $vgpr4_vgpr5
                                        ; implicit-def: $vgpr6
.LBB166_6394:
	s_andn2_saveexec_b64 s[64:65], vcc
	s_cbranch_execz .LBB166_6402
; %bb.6395:
	v_and_b32_e32 v7, 0x7fffffff, v6
	s_mov_b32 vcc_lo, 0x43800000
	v_cmp_gt_u32_e32 vcc, vcc_lo, v7
	v_mov_b32_e32 v32, 0x80
	s_and_saveexec_b64 s[66:67], vcc
	s_cbranch_execz .LBB166_6401
; %bb.6396:
	s_mov_b32 vcc_lo, 0x3bffffff
	v_cmp_lt_u32_e32 vcc, vcc_lo, v7
	s_mov_b64 s[54:55], 0
                                        ; implicit-def: $vgpr7
	s_and_saveexec_b64 s[48:49], vcc
	s_xor_b64 vcc, exec, s[48:49]
	s_cbranch_execnz .LBB166_7899
; %bb.6397:
	s_andn2_saveexec_b64 s[68:69], vcc
	s_cbranch_execnz .LBB166_7900
.LBB166_6398:
	s_or_b64 exec, exec, s[68:69]
	v_mov_b32_e32 v32, 0
	s_and_saveexec_b64 vcc, s[54:55]
.LBB166_6399:
	v_lshrrev_b32_e32 v6, 24, v6
	s_movk_i32 s48, 0x80
	v_and_or_b32 v32, v6, s48, v7
.LBB166_6400:
	s_or_b64 exec, exec, vcc
.LBB166_6401:
	s_or_b64 exec, exec, s[66:67]
	flat_store_byte v[4:5], v32
.LBB166_6402:
	s_or_b64 exec, exec, s[64:65]
	s_or_b64 s[4:5], s[4:5], exec
.LBB166_6403:
	s_or_b64 exec, exec, s[70:71]
	v_readlane_b32 vcc_lo, v41, 22
	v_readlane_b32 vcc_hi, v41, 23
	s_andn2_b64 vcc, vcc, exec
	s_and_b64 s[48:49], s[80:81], exec
	s_or_b64 s[80:81], vcc, s[48:49]
	s_and_b64 s[4:5], s[4:5], exec
                                        ; implicit-def: $vgpr6
                                        ; implicit-def: $vgpr4_vgpr5
.LBB166_6404:
	s_andn2_saveexec_b64 s[82:83], s[82:83]
	s_cbranch_execz .LBB166_6448
; %bb.6405:
	v_mov_b32_e32 v7, 22
	v_cmp_gt_i16_sdwa vcc, v13, v7 src0_sel:BYTE_0 src1_sel:DWORD
	s_mov_b64 s[68:69], s[4:5]
	s_and_saveexec_b64 s[48:49], vcc
	s_xor_b64 s[70:71], exec, s[48:49]
	s_cbranch_execz .LBB166_6437
; %bb.6406:
	v_mov_b32_e32 v7, 23
	v_cmp_gt_i16_sdwa vcc, v13, v7 src0_sel:BYTE_0 src1_sel:DWORD
	s_and_saveexec_b64 s[48:49], vcc
	s_xor_b64 s[48:49], exec, s[48:49]
	v_writelane_b32 v41, s48, 26
	v_writelane_b32 v41, s49, 27
	s_cbranch_execz .LBB166_6426
; %bb.6407:
	v_mov_b32_e32 v7, 24
	v_cmp_gt_i16_sdwa vcc, v13, v7 src0_sel:BYTE_0 src1_sel:DWORD
	s_and_saveexec_b64 s[48:49], vcc
	s_xor_b64 s[64:65], exec, s[48:49]
	s_cbranch_execz .LBB166_6415
; %bb.6408:
	v_and_b32_e32 v7, 0x7fffffff, v6
	s_mov_b32 vcc_lo, 0x47800000
	v_cmp_gt_u32_e32 vcc, vcc_lo, v7
	v_mov_b32_e32 v32, 0x80
	s_and_saveexec_b64 s[66:67], vcc
	s_cbranch_execz .LBB166_6414
; %bb.6409:
	s_mov_b32 vcc_lo, 0x37ffffff
	v_cmp_lt_u32_e32 vcc, vcc_lo, v7
	s_mov_b64 s[54:55], 0
                                        ; implicit-def: $vgpr7
	s_and_saveexec_b64 s[48:49], vcc
	s_xor_b64 vcc, exec, s[48:49]
	s_cbranch_execnz .LBB166_7901
; %bb.6410:
	s_andn2_saveexec_b64 s[68:69], vcc
	s_cbranch_execnz .LBB166_7902
.LBB166_6411:
	s_or_b64 exec, exec, s[68:69]
	v_mov_b32_e32 v32, 0
	s_and_saveexec_b64 vcc, s[54:55]
.LBB166_6412:
	v_lshrrev_b32_e32 v6, 24, v6
	s_movk_i32 s48, 0x80
	v_and_or_b32 v32, v6, s48, v7
.LBB166_6413:
	s_or_b64 exec, exec, vcc
.LBB166_6414:
	s_or_b64 exec, exec, s[66:67]
	flat_store_byte v[4:5], v32
                                        ; implicit-def: $vgpr6
                                        ; implicit-def: $vgpr4_vgpr5
.LBB166_6415:
	s_andn2_saveexec_b64 s[64:65], s[64:65]
	s_cbranch_execz .LBB166_6425
; %bb.6416:
	v_and_b32_e32 v32, 0x7fffffff, v6
	s_mov_b32 vcc_lo, 0x43f00000
	v_cmp_gt_u32_e32 vcc, vcc_lo, v32
                                        ; implicit-def: $vgpr7
	s_and_saveexec_b64 s[48:49], vcc
	s_xor_b64 s[66:67], exec, s[48:49]
	s_cbranch_execz .LBB166_6422
; %bb.6417:
	s_mov_b32 vcc_lo, 0x3c7fffff
	v_cmp_lt_u32_e32 vcc, vcc_lo, v32
                                        ; implicit-def: $vgpr7
	s_and_saveexec_b64 s[48:49], vcc
	s_xor_b64 s[52:53], exec, s[48:49]
; %bb.6418:
	v_bfe_u32 v7, v6, 20, 1
	s_mov_b32 vcc_lo, 0x407ffff
	v_add3_u32 v7, v6, v7, vcc_lo
	v_lshrrev_b32_e32 v32, 20, v7
	v_and_b32_e32 v7, 0xff00000, v7
	s_mov_b32 vcc_lo, 0x7f00000
	v_mov_b32_e32 v33, 0x7e
	v_cmp_ne_u32_e32 vcc, vcc_lo, v7
	v_cndmask_b32_e32 v7, v33, v32, vcc
; %bb.6419:
	s_andn2_saveexec_b64 vcc, s[52:53]
; %bb.6420:
	s_mov_b32 s48, 0x46800000
	v_add_f32_e64 v7, |v6|, s48
; %bb.6421:
	s_or_b64 exec, exec, vcc
                                        ; implicit-def: $vgpr32
.LBB166_6422:
	s_andn2_saveexec_b64 s[52:53], s[66:67]
; %bb.6423:
	s_mov_b32 vcc_lo, 0x7f800000
	v_mov_b32_e32 v7, 0x7e
	v_mov_b32_e32 v33, 0x7f
	v_cmp_lt_u32_e32 vcc, vcc_lo, v32
	v_cndmask_b32_e32 v7, v7, v33, vcc
; %bb.6424:
	s_or_b64 exec, exec, s[52:53]
	v_lshrrev_b32_e32 v6, 24, v6
	s_movk_i32 vcc_lo, 0x80
	v_and_or_b32 v6, v6, vcc_lo, v7
	flat_store_byte v[4:5], v6
.LBB166_6425:
	s_or_b64 exec, exec, s[64:65]
                                        ; implicit-def: $vgpr6
                                        ; implicit-def: $vgpr4_vgpr5
.LBB166_6426:
	v_readlane_b32 vcc_lo, v41, 26
	v_readlane_b32 vcc_hi, v41, 27
	s_andn2_saveexec_b64 s[64:65], vcc
	s_cbranch_execz .LBB166_6436
; %bb.6427:
	v_and_b32_e32 v32, 0x7fffffff, v6
	s_mov_b32 vcc_lo, 0x47800000
	v_cmp_gt_u32_e32 vcc, vcc_lo, v32
                                        ; implicit-def: $vgpr7
	s_and_saveexec_b64 s[48:49], vcc
	s_xor_b64 s[54:55], exec, s[48:49]
	s_cbranch_execz .LBB166_6433
; %bb.6428:
	s_mov_b32 vcc_lo, 0x387fffff
	v_cmp_lt_u32_e32 vcc, vcc_lo, v32
                                        ; implicit-def: $vgpr7
	s_and_saveexec_b64 s[48:49], vcc
	s_xor_b64 vcc, exec, s[48:49]
; %bb.6429:
	v_bfe_u32 v7, v6, 21, 1
	s_mov_b32 s48, 0x80fffff
	v_add3_u32 v7, v6, v7, s48
	v_lshrrev_b32_e32 v7, 21, v7
; %bb.6430:
	s_andn2_saveexec_b64 vcc, vcc
; %bb.6431:
	s_mov_b32 s48, 0x43000000
	v_add_f32_e64 v7, |v6|, s48
; %bb.6432:
	s_or_b64 exec, exec, vcc
                                        ; implicit-def: $vgpr32
.LBB166_6433:
	s_andn2_saveexec_b64 s[52:53], s[54:55]
; %bb.6434:
	s_mov_b32 vcc_lo, 0x7f800000
	v_mov_b32_e32 v7, 0x7c
	v_mov_b32_e32 v33, 0x7f
	v_cmp_lt_u32_e32 vcc, vcc_lo, v32
	v_cndmask_b32_e32 v7, v7, v33, vcc
; %bb.6435:
	s_or_b64 exec, exec, s[52:53]
	v_lshrrev_b32_e32 v6, 24, v6
	s_movk_i32 vcc_lo, 0x80
	v_and_or_b32 v6, v6, vcc_lo, v7
	flat_store_byte v[4:5], v6
.LBB166_6436:
	s_or_b64 exec, exec, s[64:65]
	s_or_b64 s[68:69], s[4:5], exec
                                        ; implicit-def: $vgpr6
                                        ; implicit-def: $vgpr4_vgpr5
.LBB166_6437:
	s_or_saveexec_b64 s[70:71], s[70:71]
	s_mov_b64 vcc, s[80:81]
	s_xor_b64 exec, exec, s[70:71]
	s_cbranch_execz .LBB166_6447
; %bb.6438:
	v_mov_b32_e32 v7, 14
	v_cmp_gt_i16_sdwa vcc, v13, v7 src0_sel:BYTE_0 src1_sel:DWORD
	s_mov_b64 s[64:65], s[68:69]
	s_mov_b64 s[66:67], s[80:81]
	s_and_saveexec_b64 s[48:49], vcc
	s_xor_b64 s[54:55], exec, s[48:49]
	s_cbranch_execz .LBB166_6442
; %bb.6439:
	v_mov_b32_e32 v7, 15
	v_cmp_eq_u16_sdwa s[48:49], v13, v7 src0_sel:BYTE_0 src1_sel:DWORD
	s_mov_b64 s[52:53], -1
	s_mov_b64 vcc, s[68:69]
	s_and_saveexec_b64 s[64:65], s[48:49]
	s_cbranch_execz .LBB166_6441
; %bb.6440:
	v_bfe_u32 v7, v6, 16, 1
	s_movk_i32 vcc_lo, 0x7fff
	v_add3_u32 v7, v6, v7, vcc_lo
	v_cmp_o_f32_e32 vcc, v6, v6
	v_mov_b32_e32 v6, 0x7fc0
	v_cndmask_b32_sdwa v6, v6, v7, vcc dst_sel:DWORD dst_unused:UNUSED_PAD src0_sel:DWORD src1_sel:WORD_1
	flat_store_short v[4:5], v6
	s_xor_b64 s[52:53], exec, -1
	s_or_b64 vcc, s[68:69], exec
.LBB166_6441:
	s_or_b64 exec, exec, s[64:65]
	s_andn2_b64 s[48:49], s[80:81], exec
	s_and_b64 s[50:51], s[52:53], exec
	s_or_b64 s[66:67], s[48:49], s[50:51]
	s_andn2_b64 s[48:49], s[68:69], exec
	s_and_b64 vcc, vcc, exec
	s_or_b64 s[64:65], s[48:49], vcc
                                        ; implicit-def: $vgpr6
                                        ; implicit-def: $vgpr4_vgpr5
.LBB166_6442:
	s_andn2_saveexec_b64 s[54:55], s[54:55]
	s_cbranch_execz .LBB166_6446
; %bb.6443:
	v_mov_b32_e32 v7, 11
	v_cmp_eq_u16_sdwa s[48:49], v13, v7 src0_sel:BYTE_0 src1_sel:DWORD
	s_mov_b64 s[52:53], -1
	s_mov_b64 vcc, s[64:65]
	s_and_saveexec_b64 s[50:51], s[48:49]
	s_cbranch_execz .LBB166_6445
; %bb.6444:
	v_cmp_neq_f32_e32 vcc, 0, v6
	v_cndmask_b32_e64 v6, 0, 1, vcc
	flat_store_byte v[4:5], v6
	s_xor_b64 s[52:53], exec, -1
	s_or_b64 vcc, s[64:65], exec
.LBB166_6445:
	s_or_b64 exec, exec, s[50:51]
	s_andn2_b64 s[48:49], s[66:67], exec
	s_and_b64 s[50:51], s[52:53], exec
	s_or_b64 s[66:67], s[48:49], s[50:51]
	s_andn2_b64 s[48:49], s[64:65], exec
	s_and_b64 vcc, vcc, exec
	s_or_b64 s[64:65], s[48:49], vcc
.LBB166_6446:
	s_or_b64 exec, exec, s[54:55]
	s_andn2_b64 vcc, s[80:81], exec
	s_and_b64 s[48:49], s[66:67], exec
	s_or_b64 vcc, vcc, s[48:49]
	s_andn2_b64 s[48:49], s[68:69], exec
	s_and_b64 s[50:51], s[64:65], exec
	s_or_b64 s[68:69], s[48:49], s[50:51]
.LBB166_6447:
	s_or_b64 exec, exec, s[70:71]
	s_andn2_b64 s[48:49], s[80:81], exec
	s_and_b64 vcc, vcc, exec
	s_or_b64 s[80:81], s[48:49], vcc
	s_andn2_b64 s[4:5], s[4:5], exec
	s_and_b64 vcc, s[68:69], exec
	s_or_b64 s[4:5], s[4:5], vcc
.LBB166_6448:
	s_or_b64 exec, exec, s[82:83]
	v_readlane_b32 vcc_lo, v41, 22
	v_readlane_b32 vcc_hi, v41, 23
	s_andn2_b64 vcc, vcc, exec
	s_and_b64 s[48:49], s[80:81], exec
	s_or_b64 s[80:81], vcc, s[48:49]
	s_and_b64 s[4:5], s[4:5], exec
                                        ; implicit-def: $vgpr6
                                        ; implicit-def: $vgpr4_vgpr5
.LBB166_6449:
	s_andn2_saveexec_b64 s[82:83], s[84:85]
	s_cbranch_execz .LBB166_6491
; %bb.6450:
	v_mov_b32_e32 v7, 4
	v_cmp_gt_i16_sdwa vcc, v13, v7 src0_sel:BYTE_0 src1_sel:DWORD
	s_and_saveexec_b64 s[48:49], vcc
	s_xor_b64 vcc, exec, s[48:49]
	s_cbranch_execz .LBB166_6472
; %bb.6451:
	v_mov_b32_e32 v7, 7
	v_cmp_gt_i16_sdwa s[48:49], v13, v7 src0_sel:BYTE_0 src1_sel:DWORD
	s_and_saveexec_b64 s[50:51], s[48:49]
	s_xor_b64 s[64:65], exec, s[50:51]
	s_cbranch_execz .LBB166_6461
; %bb.6452:
	v_mov_b32_e32 v7, 8
	v_cmp_gt_i16_sdwa s[48:49], v13, v7 src0_sel:BYTE_0 src1_sel:DWORD
	s_and_saveexec_b64 s[50:51], s[48:49]
	s_xor_b64 s[54:55], exec, s[50:51]
	;; [unrolled: 6-line block ×3, first 2 shown]
	s_cbranch_execz .LBB166_6455
; %bb.6454:
	v_cvt_f64_f32_e32 v[32:33], v6
	v_mov_b32_e32 v34, 0
	v_mov_b32_e32 v35, v34
                                        ; implicit-def: $vgpr6
	flat_store_dwordx4 v[4:5], v[32:35]
                                        ; implicit-def: $vgpr4_vgpr5
.LBB166_6455:
	s_andn2_saveexec_b64 s[50:51], s[50:51]
	s_cbranch_execz .LBB166_6457
; %bb.6456:
	v_mov_b32_e32 v7, 0
	flat_store_dwordx2 v[4:5], v[6:7]
.LBB166_6457:
	s_or_b64 exec, exec, s[50:51]
                                        ; implicit-def: $vgpr6
                                        ; implicit-def: $vgpr4_vgpr5
.LBB166_6458:
	s_andn2_saveexec_b64 s[50:51], s[54:55]
	s_cbranch_execz .LBB166_6460
; %bb.6459:
	v_cvt_f16_f32_e32 v6, v6
	flat_store_dword v[4:5], v6
.LBB166_6460:
	s_or_b64 exec, exec, s[50:51]
                                        ; implicit-def: $vgpr6
                                        ; implicit-def: $vgpr4_vgpr5
.LBB166_6461:
	s_andn2_saveexec_b64 s[64:65], s[64:65]
	s_cbranch_execz .LBB166_6471
; %bb.6462:
	v_mov_b32_e32 v7, 5
	v_cmp_gt_i16_sdwa s[48:49], v13, v7 src0_sel:BYTE_0 src1_sel:DWORD
	s_and_saveexec_b64 s[50:51], s[48:49]
	s_xor_b64 s[54:55], exec, s[50:51]
	s_cbranch_execz .LBB166_6468
; %bb.6463:
	v_mov_b32_e32 v7, 6
	v_cmp_gt_i16_sdwa s[48:49], v13, v7 src0_sel:BYTE_0 src1_sel:DWORD
	s_and_saveexec_b64 s[50:51], s[48:49]
	s_xor_b64 s[50:51], exec, s[50:51]
	s_cbranch_execz .LBB166_6465
; %bb.6464:
	v_cvt_f64_f32_e32 v[6:7], v6
	flat_store_dwordx2 v[4:5], v[6:7]
                                        ; implicit-def: $vgpr4_vgpr5
                                        ; implicit-def: $vgpr6
.LBB166_6465:
	s_andn2_saveexec_b64 s[50:51], s[50:51]
	s_cbranch_execz .LBB166_6467
; %bb.6466:
	flat_store_dword v[4:5], v6
.LBB166_6467:
	s_or_b64 exec, exec, s[50:51]
                                        ; implicit-def: $vgpr6
                                        ; implicit-def: $vgpr4_vgpr5
.LBB166_6468:
	s_andn2_saveexec_b64 s[50:51], s[54:55]
	s_cbranch_execz .LBB166_6470
; %bb.6469:
	v_cvt_f16_f32_e32 v6, v6
	flat_store_short v[4:5], v6
.LBB166_6470:
	s_or_b64 exec, exec, s[50:51]
.LBB166_6471:
	s_or_b64 exec, exec, s[64:65]
                                        ; implicit-def: $vgpr6
                                        ; implicit-def: $vgpr4_vgpr5
.LBB166_6472:
	s_andn2_saveexec_b64 s[70:71], vcc
	s_cbranch_execz .LBB166_6490
; %bb.6473:
	v_mov_b32_e32 v7, 1
	v_cmp_gt_i16_sdwa vcc, v13, v7 src0_sel:BYTE_0 src1_sel:DWORD
	s_and_saveexec_b64 s[48:49], vcc
	s_xor_b64 s[64:65], exec, s[48:49]
	s_cbranch_execz .LBB166_6483
; %bb.6474:
	v_mov_b32_e32 v7, 2
	v_cmp_gt_i16_sdwa vcc, v13, v7 src0_sel:BYTE_0 src1_sel:DWORD
	s_and_saveexec_b64 s[48:49], vcc
	s_xor_b64 s[66:67], exec, s[48:49]
	;; [unrolled: 6-line block ×3, first 2 shown]
	s_cbranch_execz .LBB166_6477
; %bb.6476:
	v_trunc_f32_e32 v6, v6
	s_mov_b32 s48, 0x2f800000
	v_mul_f32_e64 v7, |v6|, s48
	v_floor_f32_e32 v7, v7
	s_mov_b32 s48, 0xcf800000
	v_cvt_u32_f32_e32 v32, v7
	v_fma_f32 v7, v7, s48, |v6|
	v_cvt_u32_f32_e32 v7, v7
	v_ashrrev_i32_e32 v33, 31, v6
	v_xor_b32_e32 v32, v32, v33
	v_xor_b32_e32 v6, v7, v33
	v_sub_co_u32_e32 v6, vcc, v6, v33
	v_subb_co_u32_e32 v7, vcc, v32, v33, vcc
	flat_store_dwordx2 v[4:5], v[6:7]
                                        ; implicit-def: $vgpr6
                                        ; implicit-def: $vgpr4_vgpr5
.LBB166_6477:
	s_andn2_saveexec_b64 vcc, s[54:55]
	s_cbranch_execz .LBB166_6479
; %bb.6478:
	v_cvt_i32_f32_e32 v6, v6
	flat_store_dword v[4:5], v6
.LBB166_6479:
	s_or_b64 exec, exec, vcc
                                        ; implicit-def: $vgpr6
                                        ; implicit-def: $vgpr4_vgpr5
.LBB166_6480:
	s_andn2_saveexec_b64 vcc, s[66:67]
	s_cbranch_execz .LBB166_6482
; %bb.6481:
	v_cvt_i32_f32_e32 v6, v6
	flat_store_short v[4:5], v6
.LBB166_6482:
	s_or_b64 exec, exec, vcc
                                        ; implicit-def: $vgpr6
                                        ; implicit-def: $vgpr4_vgpr5
.LBB166_6483:
	s_andn2_saveexec_b64 vcc, s[64:65]
	s_cbranch_execz .LBB166_6489
; %bb.6484:
	v_mov_b32_e32 v7, 0
	v_cmp_gt_i16_sdwa s[48:49], v13, v7 src0_sel:BYTE_0 src1_sel:DWORD
	s_and_saveexec_b64 s[50:51], s[48:49]
	s_xor_b64 s[50:51], exec, s[50:51]
	s_cbranch_execz .LBB166_6486
; %bb.6485:
	v_cvt_i32_f32_e32 v6, v6
	flat_store_byte v[4:5], v6
                                        ; implicit-def: $vgpr6
                                        ; implicit-def: $vgpr4_vgpr5
.LBB166_6486:
	s_andn2_saveexec_b64 s[54:55], s[50:51]
	s_cbranch_execz .LBB166_6488
; %bb.6487:
	v_trunc_f32_e32 v6, v6
	s_mov_b32 s48, 0x2f800000
	v_mul_f32_e64 v7, |v6|, s48
	v_floor_f32_e32 v7, v7
	s_mov_b32 s48, 0xcf800000
	v_fma_f32 v7, v7, s48, |v6|
	v_cvt_u32_f32_e32 v7, v7
	v_ashrrev_i32_e32 v6, 31, v6
	v_xor_b32_e32 v7, v7, v6
	v_sub_u32_e32 v6, v7, v6
	flat_store_byte v[4:5], v6
.LBB166_6488:
	s_or_b64 exec, exec, s[54:55]
.LBB166_6489:
	s_or_b64 exec, exec, vcc
.LBB166_6490:
	s_or_b64 exec, exec, s[70:71]
	s_or_b64 s[4:5], s[4:5], exec
.LBB166_6491:
	s_or_b64 exec, exec, s[82:83]
	s_mov_b64 s[54:55], 0
	s_mov_b64 vcc, 0
	s_and_saveexec_b64 s[52:53], s[4:5]
; %bb.6492:
	v_add_u32_e32 v17, 0x200, v17
	v_cmp_lt_i32_e32 vcc, v17, v8
	s_mov_b64 s[54:55], exec
	s_and_b64 vcc, vcc, exec
; %bb.6493:
	s_or_b64 exec, exec, s[52:53]
	s_and_b64 s[4:5], vcc, exec
	v_readlane_b32 vcc_lo, v41, 22
	v_readlane_b32 vcc_hi, v41, 23
	s_andn2_b64 vcc, vcc, exec
	s_and_b64 s[48:49], s[80:81], exec
	s_or_b64 vcc, vcc, s[48:49]
	v_writelane_b32 v41, vcc_lo, 26
	v_writelane_b32 v41, vcc_hi, 27
	s_orn2_b64 s[64:65], s[54:55], exec
.LBB166_6494:
	s_or_b64 exec, exec, s[86:87]
	s_mov_b64 vcc, 0
	s_mov_b64 s[54:55], 0
                                        ; implicit-def: $vgpr4
                                        ; implicit-def: $vgpr112
                                        ; implicit-def: $vgpr6_vgpr7
	s_mov_b64 s[48:49], exec
	v_writelane_b32 v41, s48, 30
	v_writelane_b32 v41, s49, 31
	s_and_b64 s[48:49], s[48:49], s[64:65]
	s_mov_b64 exec, s[48:49]
	s_cbranch_execz .LBB166_7746
; %bb.6495:
	v_readlane_b32 vcc_lo, v41, 26
	v_readlane_b32 vcc_hi, v41, 27
	v_writelane_b32 v41, vcc_lo, 28
	s_mov_b64 s[64:65], -1
	v_writelane_b32 v41, vcc_hi, 29
	s_mov_b64 vcc, 0
	s_and_saveexec_b64 s[86:87], s[4:5]
	s_cbranch_execz .LBB166_6623
; %bb.6496:
	v_readlane_b32 s4, v41, 2
	v_add_u32_e32 v4, s4, v17
	v_mul_lo_u32 v4, v4, v14
	v_mov_b32_e32 v7, 10
	v_readlane_b32 s80, v41, 26
	s_mov_b64 s[4:5], 0
	v_add_co_u32_e32 v4, vcc, v2, v4
	v_addc_co_u32_e32 v5, vcc, 0, v3, vcc
	s_waitcnt vmcnt(0)
	v_cmp_nle_f32_e32 vcc, v31, v0
	v_cndmask_b32_e32 v6, v1, v30, vcc
	v_cmp_gt_i16_sdwa vcc, v13, v7 src0_sel:BYTE_0 src1_sel:DWORD
	v_readlane_b32 s81, v41, 27
	s_and_saveexec_b64 s[48:49], vcc
	s_xor_b64 s[84:85], exec, s[48:49]
	s_cbranch_execz .LBB166_6578
; %bb.6497:
	v_mov_b32_e32 v7, 25
	v_readlane_b32 s80, v41, 26
	v_cmp_gt_i16_sdwa vcc, v13, v7 src0_sel:BYTE_0 src1_sel:DWORD
	v_readlane_b32 s81, v41, 27
	s_and_saveexec_b64 s[48:49], vcc
	s_xor_b64 s[82:83], exec, s[48:49]
	s_cbranch_execz .LBB166_6533
; %bb.6498:
	v_mov_b32_e32 v7, 28
	v_readlane_b32 s80, v41, 26
	v_cmp_gt_i16_sdwa vcc, v13, v7 src0_sel:BYTE_0 src1_sel:DWORD
	v_readlane_b32 s81, v41, 27
	s_and_saveexec_b64 s[48:49], vcc
	s_xor_b64 s[70:71], exec, s[48:49]
	s_cbranch_execz .LBB166_6516
; %bb.6499:
	v_mov_b32_e32 v7, 43
	v_readlane_b32 vcc_lo, v41, 26
	v_cmp_gt_i16_sdwa s[48:49], v13, v7 src0_sel:BYTE_0 src1_sel:DWORD
	v_readlane_b32 vcc_hi, v41, 27
	s_and_saveexec_b64 s[50:51], s[48:49]
	s_xor_b64 s[80:81], exec, s[50:51]
	s_cbranch_execz .LBB166_6511
; %bb.6500:
	v_mov_b32_e32 v7, 45
	v_readlane_b32 s64, v41, 26
	v_cmp_gt_i16_sdwa s[4:5], v13, v7 src0_sel:BYTE_0 src1_sel:DWORD
	s_mov_b64 s[68:69], 0
	v_readlane_b32 s65, v41, 27
	s_and_saveexec_b64 vcc, s[4:5]
	s_xor_b64 s[4:5], exec, vcc
	s_cbranch_execz .LBB166_6504
; %bb.6501:
	v_mov_b32_e32 v7, 46
	v_cmp_eq_u16_sdwa s[48:49], v13, v7 src0_sel:BYTE_0 src1_sel:DWORD
	s_mov_b64 vcc, -1
	s_and_saveexec_b64 s[64:65], s[48:49]
	s_cbranch_execz .LBB166_6503
; %bb.6502:
	v_bfe_u32 v7, v6, 16, 1
	s_movk_i32 vcc_lo, 0x7fff
	v_add3_u32 v7, v6, v7, vcc_lo
	v_cmp_o_f32_e32 vcc, v6, v6
	v_mov_b32_e32 v6, 0x7fc0
	v_cndmask_b32_sdwa v6, v6, v7, vcc dst_sel:DWORD dst_unused:UNUSED_PAD src0_sel:DWORD src1_sel:WORD_1
	s_mov_b64 s[54:55], exec
	flat_store_dword v[4:5], v6
	s_xor_b64 vcc, exec, -1
.LBB166_6503:
	s_or_b64 exec, exec, s[64:65]
	v_readlane_b32 s48, v41, 26
	v_readlane_b32 s49, v41, 27
	s_andn2_b64 s[48:49], s[48:49], exec
	s_and_b64 vcc, vcc, exec
	s_or_b64 s[64:65], s[48:49], vcc
	s_and_b64 s[68:69], s[54:55], exec
                                        ; implicit-def: $vgpr4_vgpr5
                                        ; implicit-def: $vgpr6
.LBB166_6504:
	s_andn2_saveexec_b64 s[66:67], s[4:5]
	s_cbranch_execz .LBB166_6510
; %bb.6505:
	v_mov_b32_e32 v7, 44
	v_cmp_eq_u16_sdwa s[48:49], v13, v7 src0_sel:BYTE_0 src1_sel:DWORD
	s_mov_b64 vcc, -1
	s_mov_b64 s[4:5], s[68:69]
	s_and_saveexec_b64 s[54:55], s[48:49]
	s_cbranch_execz .LBB166_6509
; %bb.6506:
	v_bfe_u32 v7, v6, 23, 8
	s_movk_i32 s4, 0xff
	v_cmp_ne_u32_e32 vcc, s4, v7
	v_mov_b32_e32 v30, 0xff
	s_and_saveexec_b64 s[52:53], vcc
; %bb.6507:
	s_mov_b32 s4, 0x3fffff
	v_lshrrev_b32_e32 v30, 23, v6
	v_and_b32_e32 v31, 0x400000, v6
	v_and_or_b32 v6, v6, s4, v7
	v_cmp_ne_u32_e32 vcc, 0, v31
	v_cmp_ne_u32_e64 s[4:5], 0, v6
	s_and_b64 s[4:5], vcc, s[4:5]
	v_cndmask_b32_e64 v6, 0, 1, s[4:5]
	v_add_u32_e32 v30, v30, v6
; %bb.6508:
	s_or_b64 exec, exec, s[52:53]
	s_xor_b64 vcc, exec, -1
	s_or_b64 s[4:5], s[68:69], exec
	flat_store_byte v[4:5], v30
.LBB166_6509:
	s_or_b64 exec, exec, s[54:55]
	s_andn2_b64 s[48:49], s[64:65], exec
	s_and_b64 vcc, vcc, exec
	s_or_b64 s[64:65], s[48:49], vcc
	s_andn2_b64 vcc, s[68:69], exec
	s_and_b64 s[4:5], s[4:5], exec
	s_or_b64 s[68:69], vcc, s[4:5]
.LBB166_6510:
	s_or_b64 exec, exec, s[66:67]
	v_readlane_b32 s4, v41, 26
	v_readlane_b32 s5, v41, 27
	s_andn2_b64 s[4:5], s[4:5], exec
	s_and_b64 vcc, s[64:65], exec
	s_or_b64 vcc, s[4:5], vcc
	s_and_b64 s[4:5], s[68:69], exec
                                        ; implicit-def: $vgpr6
                                        ; implicit-def: $vgpr4_vgpr5
.LBB166_6511:
	s_andn2_saveexec_b64 s[64:65], s[80:81]
	s_cbranch_execz .LBB166_6515
; %bb.6512:
	v_mov_b32_e32 v7, 29
	v_cmp_eq_u16_sdwa s[48:49], v13, v7 src0_sel:BYTE_0 src1_sel:DWORD
	s_mov_b64 s[66:67], -1
	s_mov_b64 s[52:53], s[4:5]
	s_and_saveexec_b64 s[54:55], s[48:49]
	s_cbranch_execz .LBB166_6514
; %bb.6513:
	v_trunc_f32_e32 v6, v6
	v_mul_f32_e32 v7, 0x2f800000, v6
	v_floor_f32_e32 v30, v7
	v_fmac_f32_e32 v6, 0xcf800000, v30
	v_cvt_u32_f32_e32 v7, v30
	v_cvt_u32_f32_e32 v6, v6
	s_xor_b64 s[66:67], exec, -1
	s_or_b64 s[52:53], s[4:5], exec
	flat_store_dwordx2 v[4:5], v[6:7]
.LBB166_6514:
	s_or_b64 exec, exec, s[54:55]
	s_andn2_b64 vcc, vcc, exec
	s_and_b64 s[48:49], s[66:67], exec
	s_or_b64 vcc, vcc, s[48:49]
	s_andn2_b64 s[4:5], s[4:5], exec
	s_and_b64 s[48:49], s[52:53], exec
	s_or_b64 s[4:5], s[4:5], s[48:49]
.LBB166_6515:
	s_or_b64 exec, exec, s[64:65]
	v_readlane_b32 s48, v41, 26
	v_readlane_b32 s49, v41, 27
	s_andn2_b64 s[48:49], s[48:49], exec
	s_and_b64 vcc, vcc, exec
	s_or_b64 s[80:81], s[48:49], vcc
	s_and_b64 s[4:5], s[4:5], exec
                                        ; implicit-def: $vgpr4_vgpr5
                                        ; implicit-def: $vgpr6
.LBB166_6516:
	s_andn2_saveexec_b64 s[70:71], s[70:71]
	s_cbranch_execz .LBB166_6532
; %bb.6517:
	v_mov_b32_e32 v7, 26
	v_cmp_gt_i16_sdwa vcc, v13, v7 src0_sel:BYTE_0 src1_sel:DWORD
	s_and_saveexec_b64 s[48:49], vcc
	s_xor_b64 vcc, exec, s[48:49]
	s_cbranch_execz .LBB166_6523
; %bb.6518:
	v_cvt_u32_f32_e32 v6, v6
	v_mov_b32_e32 v7, 27
	v_cmp_gt_i16_sdwa s[48:49], v13, v7 src0_sel:BYTE_0 src1_sel:DWORD
	s_and_saveexec_b64 s[50:51], s[48:49]
	s_xor_b64 s[50:51], exec, s[50:51]
	s_cbranch_execz .LBB166_6520
; %bb.6519:
	flat_store_dword v[4:5], v6
                                        ; implicit-def: $vgpr4_vgpr5
                                        ; implicit-def: $vgpr6
.LBB166_6520:
	s_andn2_saveexec_b64 s[50:51], s[50:51]
	s_cbranch_execz .LBB166_6522
; %bb.6521:
	flat_store_short v[4:5], v6
.LBB166_6522:
	s_or_b64 exec, exec, s[50:51]
                                        ; implicit-def: $vgpr4_vgpr5
                                        ; implicit-def: $vgpr6
.LBB166_6523:
	s_andn2_saveexec_b64 s[64:65], vcc
	s_cbranch_execz .LBB166_6531
; %bb.6524:
	v_and_b32_e32 v7, 0x7fffffff, v6
	s_mov_b32 vcc_lo, 0x43800000
	v_cmp_gt_u32_e32 vcc, vcc_lo, v7
	v_mov_b32_e32 v30, 0x80
	s_and_saveexec_b64 s[66:67], vcc
	s_cbranch_execz .LBB166_6530
; %bb.6525:
	s_mov_b32 vcc_lo, 0x3bffffff
	v_cmp_lt_u32_e32 vcc, vcc_lo, v7
	s_mov_b64 s[54:55], 0
                                        ; implicit-def: $vgpr7
	s_and_saveexec_b64 s[48:49], vcc
	s_xor_b64 vcc, exec, s[48:49]
	s_cbranch_execnz .LBB166_7903
; %bb.6526:
	s_andn2_saveexec_b64 s[68:69], vcc
	s_cbranch_execnz .LBB166_7904
.LBB166_6527:
	s_or_b64 exec, exec, s[68:69]
	v_mov_b32_e32 v30, 0
	s_and_saveexec_b64 vcc, s[54:55]
.LBB166_6528:
	v_lshrrev_b32_e32 v6, 24, v6
	s_movk_i32 s48, 0x80
	v_and_or_b32 v30, v6, s48, v7
.LBB166_6529:
	s_or_b64 exec, exec, vcc
.LBB166_6530:
	s_or_b64 exec, exec, s[66:67]
	flat_store_byte v[4:5], v30
.LBB166_6531:
	s_or_b64 exec, exec, s[64:65]
	s_or_b64 s[4:5], s[4:5], exec
.LBB166_6532:
	s_or_b64 exec, exec, s[70:71]
	v_readlane_b32 vcc_lo, v41, 26
	v_readlane_b32 vcc_hi, v41, 27
	s_andn2_b64 vcc, vcc, exec
	s_and_b64 s[48:49], s[80:81], exec
	s_or_b64 s[80:81], vcc, s[48:49]
	s_and_b64 s[4:5], s[4:5], exec
                                        ; implicit-def: $vgpr6
                                        ; implicit-def: $vgpr4_vgpr5
.LBB166_6533:
	s_andn2_saveexec_b64 s[82:83], s[82:83]
	s_cbranch_execz .LBB166_6577
; %bb.6534:
	v_mov_b32_e32 v7, 22
	v_cmp_gt_i16_sdwa vcc, v13, v7 src0_sel:BYTE_0 src1_sel:DWORD
	s_mov_b64 s[68:69], s[4:5]
	s_and_saveexec_b64 s[48:49], vcc
	s_xor_b64 s[70:71], exec, s[48:49]
	s_cbranch_execz .LBB166_6566
; %bb.6535:
	v_mov_b32_e32 v7, 23
	v_cmp_gt_i16_sdwa vcc, v13, v7 src0_sel:BYTE_0 src1_sel:DWORD
	s_and_saveexec_b64 s[48:49], vcc
	s_xor_b64 s[48:49], exec, s[48:49]
	v_writelane_b32 v41, s48, 28
	v_writelane_b32 v41, s49, 29
	s_cbranch_execz .LBB166_6555
; %bb.6536:
	v_mov_b32_e32 v7, 24
	v_cmp_gt_i16_sdwa vcc, v13, v7 src0_sel:BYTE_0 src1_sel:DWORD
	s_and_saveexec_b64 s[48:49], vcc
	s_xor_b64 s[64:65], exec, s[48:49]
	s_cbranch_execz .LBB166_6544
; %bb.6537:
	v_and_b32_e32 v7, 0x7fffffff, v6
	s_mov_b32 vcc_lo, 0x47800000
	v_cmp_gt_u32_e32 vcc, vcc_lo, v7
	v_mov_b32_e32 v30, 0x80
	s_and_saveexec_b64 s[66:67], vcc
	s_cbranch_execz .LBB166_6543
; %bb.6538:
	s_mov_b32 vcc_lo, 0x37ffffff
	v_cmp_lt_u32_e32 vcc, vcc_lo, v7
	s_mov_b64 s[54:55], 0
                                        ; implicit-def: $vgpr7
	s_and_saveexec_b64 s[48:49], vcc
	s_xor_b64 vcc, exec, s[48:49]
	s_cbranch_execnz .LBB166_7905
; %bb.6539:
	s_andn2_saveexec_b64 s[68:69], vcc
	s_cbranch_execnz .LBB166_7906
.LBB166_6540:
	s_or_b64 exec, exec, s[68:69]
	v_mov_b32_e32 v30, 0
	s_and_saveexec_b64 vcc, s[54:55]
.LBB166_6541:
	v_lshrrev_b32_e32 v6, 24, v6
	s_movk_i32 s48, 0x80
	v_and_or_b32 v30, v6, s48, v7
.LBB166_6542:
	s_or_b64 exec, exec, vcc
.LBB166_6543:
	s_or_b64 exec, exec, s[66:67]
	flat_store_byte v[4:5], v30
                                        ; implicit-def: $vgpr6
                                        ; implicit-def: $vgpr4_vgpr5
.LBB166_6544:
	s_andn2_saveexec_b64 s[64:65], s[64:65]
	s_cbranch_execz .LBB166_6554
; %bb.6545:
	v_and_b32_e32 v30, 0x7fffffff, v6
	s_mov_b32 vcc_lo, 0x43f00000
	v_cmp_gt_u32_e32 vcc, vcc_lo, v30
                                        ; implicit-def: $vgpr7
	s_and_saveexec_b64 s[48:49], vcc
	s_xor_b64 s[66:67], exec, s[48:49]
	s_cbranch_execz .LBB166_6551
; %bb.6546:
	s_mov_b32 vcc_lo, 0x3c7fffff
	v_cmp_lt_u32_e32 vcc, vcc_lo, v30
                                        ; implicit-def: $vgpr7
	s_and_saveexec_b64 s[48:49], vcc
	s_xor_b64 s[52:53], exec, s[48:49]
; %bb.6547:
	v_bfe_u32 v7, v6, 20, 1
	s_mov_b32 vcc_lo, 0x407ffff
	v_add3_u32 v7, v6, v7, vcc_lo
	v_lshrrev_b32_e32 v30, 20, v7
	v_and_b32_e32 v7, 0xff00000, v7
	s_mov_b32 vcc_lo, 0x7f00000
	v_mov_b32_e32 v31, 0x7e
	v_cmp_ne_u32_e32 vcc, vcc_lo, v7
	v_cndmask_b32_e32 v7, v31, v30, vcc
; %bb.6548:
	s_andn2_saveexec_b64 vcc, s[52:53]
; %bb.6549:
	s_mov_b32 s48, 0x46800000
	v_add_f32_e64 v7, |v6|, s48
; %bb.6550:
	s_or_b64 exec, exec, vcc
                                        ; implicit-def: $vgpr30
.LBB166_6551:
	s_andn2_saveexec_b64 s[52:53], s[66:67]
; %bb.6552:
	s_mov_b32 vcc_lo, 0x7f800000
	v_mov_b32_e32 v7, 0x7e
	v_mov_b32_e32 v31, 0x7f
	v_cmp_lt_u32_e32 vcc, vcc_lo, v30
	v_cndmask_b32_e32 v7, v7, v31, vcc
; %bb.6553:
	s_or_b64 exec, exec, s[52:53]
	v_lshrrev_b32_e32 v6, 24, v6
	s_movk_i32 vcc_lo, 0x80
	v_and_or_b32 v6, v6, vcc_lo, v7
	flat_store_byte v[4:5], v6
.LBB166_6554:
	s_or_b64 exec, exec, s[64:65]
                                        ; implicit-def: $vgpr6
                                        ; implicit-def: $vgpr4_vgpr5
.LBB166_6555:
	v_readlane_b32 vcc_lo, v41, 28
	v_readlane_b32 vcc_hi, v41, 29
	s_andn2_saveexec_b64 s[64:65], vcc
	s_cbranch_execz .LBB166_6565
; %bb.6556:
	v_and_b32_e32 v30, 0x7fffffff, v6
	s_mov_b32 vcc_lo, 0x47800000
	v_cmp_gt_u32_e32 vcc, vcc_lo, v30
                                        ; implicit-def: $vgpr7
	s_and_saveexec_b64 s[48:49], vcc
	s_xor_b64 s[54:55], exec, s[48:49]
	s_cbranch_execz .LBB166_6562
; %bb.6557:
	s_mov_b32 vcc_lo, 0x387fffff
	v_cmp_lt_u32_e32 vcc, vcc_lo, v30
                                        ; implicit-def: $vgpr7
	s_and_saveexec_b64 s[48:49], vcc
	s_xor_b64 vcc, exec, s[48:49]
; %bb.6558:
	v_bfe_u32 v7, v6, 21, 1
	s_mov_b32 s48, 0x80fffff
	v_add3_u32 v7, v6, v7, s48
	v_lshrrev_b32_e32 v7, 21, v7
; %bb.6559:
	s_andn2_saveexec_b64 vcc, vcc
; %bb.6560:
	s_mov_b32 s48, 0x43000000
	v_add_f32_e64 v7, |v6|, s48
; %bb.6561:
	s_or_b64 exec, exec, vcc
                                        ; implicit-def: $vgpr30
.LBB166_6562:
	s_andn2_saveexec_b64 s[52:53], s[54:55]
; %bb.6563:
	s_mov_b32 vcc_lo, 0x7f800000
	v_mov_b32_e32 v7, 0x7c
	v_mov_b32_e32 v31, 0x7f
	v_cmp_lt_u32_e32 vcc, vcc_lo, v30
	v_cndmask_b32_e32 v7, v7, v31, vcc
; %bb.6564:
	s_or_b64 exec, exec, s[52:53]
	v_lshrrev_b32_e32 v6, 24, v6
	s_movk_i32 vcc_lo, 0x80
	v_and_or_b32 v6, v6, vcc_lo, v7
	flat_store_byte v[4:5], v6
.LBB166_6565:
	s_or_b64 exec, exec, s[64:65]
	s_or_b64 s[68:69], s[4:5], exec
                                        ; implicit-def: $vgpr6
                                        ; implicit-def: $vgpr4_vgpr5
.LBB166_6566:
	s_or_saveexec_b64 s[70:71], s[70:71]
	s_mov_b64 vcc, s[80:81]
	s_xor_b64 exec, exec, s[70:71]
	s_cbranch_execz .LBB166_6576
; %bb.6567:
	v_mov_b32_e32 v7, 14
	v_cmp_gt_i16_sdwa vcc, v13, v7 src0_sel:BYTE_0 src1_sel:DWORD
	s_mov_b64 s[64:65], s[68:69]
	s_mov_b64 s[66:67], s[80:81]
	s_and_saveexec_b64 s[48:49], vcc
	s_xor_b64 s[54:55], exec, s[48:49]
	s_cbranch_execz .LBB166_6571
; %bb.6568:
	v_mov_b32_e32 v7, 15
	v_cmp_eq_u16_sdwa s[48:49], v13, v7 src0_sel:BYTE_0 src1_sel:DWORD
	s_mov_b64 s[52:53], -1
	s_mov_b64 vcc, s[68:69]
	s_and_saveexec_b64 s[64:65], s[48:49]
	s_cbranch_execz .LBB166_6570
; %bb.6569:
	v_bfe_u32 v7, v6, 16, 1
	s_movk_i32 vcc_lo, 0x7fff
	v_add3_u32 v7, v6, v7, vcc_lo
	v_cmp_o_f32_e32 vcc, v6, v6
	v_mov_b32_e32 v6, 0x7fc0
	v_cndmask_b32_sdwa v6, v6, v7, vcc dst_sel:DWORD dst_unused:UNUSED_PAD src0_sel:DWORD src1_sel:WORD_1
	flat_store_short v[4:5], v6
	s_xor_b64 s[52:53], exec, -1
	s_or_b64 vcc, s[68:69], exec
.LBB166_6570:
	s_or_b64 exec, exec, s[64:65]
	s_andn2_b64 s[48:49], s[80:81], exec
	s_and_b64 s[50:51], s[52:53], exec
	s_or_b64 s[66:67], s[48:49], s[50:51]
	s_andn2_b64 s[48:49], s[68:69], exec
	s_and_b64 vcc, vcc, exec
	s_or_b64 s[64:65], s[48:49], vcc
                                        ; implicit-def: $vgpr6
                                        ; implicit-def: $vgpr4_vgpr5
.LBB166_6571:
	s_andn2_saveexec_b64 s[54:55], s[54:55]
	s_cbranch_execz .LBB166_6575
; %bb.6572:
	v_mov_b32_e32 v7, 11
	v_cmp_eq_u16_sdwa s[48:49], v13, v7 src0_sel:BYTE_0 src1_sel:DWORD
	s_mov_b64 s[52:53], -1
	s_mov_b64 vcc, s[64:65]
	s_and_saveexec_b64 s[50:51], s[48:49]
	s_cbranch_execz .LBB166_6574
; %bb.6573:
	v_cmp_neq_f32_e32 vcc, 0, v6
	v_cndmask_b32_e64 v6, 0, 1, vcc
	flat_store_byte v[4:5], v6
	s_xor_b64 s[52:53], exec, -1
	s_or_b64 vcc, s[64:65], exec
.LBB166_6574:
	s_or_b64 exec, exec, s[50:51]
	s_andn2_b64 s[48:49], s[66:67], exec
	s_and_b64 s[50:51], s[52:53], exec
	s_or_b64 s[66:67], s[48:49], s[50:51]
	s_andn2_b64 s[48:49], s[64:65], exec
	s_and_b64 vcc, vcc, exec
	s_or_b64 s[64:65], s[48:49], vcc
.LBB166_6575:
	s_or_b64 exec, exec, s[54:55]
	s_andn2_b64 vcc, s[80:81], exec
	s_and_b64 s[48:49], s[66:67], exec
	s_or_b64 vcc, vcc, s[48:49]
	s_andn2_b64 s[48:49], s[68:69], exec
	s_and_b64 s[50:51], s[64:65], exec
	s_or_b64 s[68:69], s[48:49], s[50:51]
.LBB166_6576:
	s_or_b64 exec, exec, s[70:71]
	s_andn2_b64 s[48:49], s[80:81], exec
	s_and_b64 vcc, vcc, exec
	s_or_b64 s[80:81], s[48:49], vcc
	s_andn2_b64 s[4:5], s[4:5], exec
	s_and_b64 vcc, s[68:69], exec
	s_or_b64 s[4:5], s[4:5], vcc
.LBB166_6577:
	s_or_b64 exec, exec, s[82:83]
	v_readlane_b32 vcc_lo, v41, 26
	v_readlane_b32 vcc_hi, v41, 27
	s_andn2_b64 vcc, vcc, exec
	s_and_b64 s[48:49], s[80:81], exec
	s_or_b64 s[80:81], vcc, s[48:49]
	s_and_b64 s[4:5], s[4:5], exec
                                        ; implicit-def: $vgpr6
                                        ; implicit-def: $vgpr4_vgpr5
.LBB166_6578:
	s_andn2_saveexec_b64 s[82:83], s[84:85]
	s_cbranch_execz .LBB166_6620
; %bb.6579:
	v_mov_b32_e32 v7, 4
	v_cmp_gt_i16_sdwa vcc, v13, v7 src0_sel:BYTE_0 src1_sel:DWORD
	s_and_saveexec_b64 s[48:49], vcc
	s_xor_b64 vcc, exec, s[48:49]
	s_cbranch_execz .LBB166_6601
; %bb.6580:
	v_mov_b32_e32 v7, 7
	v_cmp_gt_i16_sdwa s[48:49], v13, v7 src0_sel:BYTE_0 src1_sel:DWORD
	s_and_saveexec_b64 s[50:51], s[48:49]
	s_xor_b64 s[64:65], exec, s[50:51]
	s_cbranch_execz .LBB166_6590
; %bb.6581:
	v_mov_b32_e32 v7, 8
	v_cmp_gt_i16_sdwa s[48:49], v13, v7 src0_sel:BYTE_0 src1_sel:DWORD
	s_and_saveexec_b64 s[50:51], s[48:49]
	s_xor_b64 s[54:55], exec, s[50:51]
	;; [unrolled: 6-line block ×3, first 2 shown]
	s_cbranch_execz .LBB166_6584
; %bb.6583:
	v_cvt_f64_f32_e32 v[30:31], v6
	v_mov_b32_e32 v32, 0
	v_mov_b32_e32 v33, v32
                                        ; implicit-def: $vgpr6
	flat_store_dwordx4 v[4:5], v[30:33]
                                        ; implicit-def: $vgpr4_vgpr5
.LBB166_6584:
	s_andn2_saveexec_b64 s[50:51], s[50:51]
	s_cbranch_execz .LBB166_6586
; %bb.6585:
	v_mov_b32_e32 v7, 0
	flat_store_dwordx2 v[4:5], v[6:7]
.LBB166_6586:
	s_or_b64 exec, exec, s[50:51]
                                        ; implicit-def: $vgpr6
                                        ; implicit-def: $vgpr4_vgpr5
.LBB166_6587:
	s_andn2_saveexec_b64 s[50:51], s[54:55]
	s_cbranch_execz .LBB166_6589
; %bb.6588:
	v_cvt_f16_f32_e32 v6, v6
	flat_store_dword v[4:5], v6
.LBB166_6589:
	s_or_b64 exec, exec, s[50:51]
                                        ; implicit-def: $vgpr6
                                        ; implicit-def: $vgpr4_vgpr5
.LBB166_6590:
	s_andn2_saveexec_b64 s[64:65], s[64:65]
	s_cbranch_execz .LBB166_6600
; %bb.6591:
	v_mov_b32_e32 v7, 5
	v_cmp_gt_i16_sdwa s[48:49], v13, v7 src0_sel:BYTE_0 src1_sel:DWORD
	s_and_saveexec_b64 s[50:51], s[48:49]
	s_xor_b64 s[54:55], exec, s[50:51]
	s_cbranch_execz .LBB166_6597
; %bb.6592:
	v_mov_b32_e32 v7, 6
	v_cmp_gt_i16_sdwa s[48:49], v13, v7 src0_sel:BYTE_0 src1_sel:DWORD
	s_and_saveexec_b64 s[50:51], s[48:49]
	s_xor_b64 s[50:51], exec, s[50:51]
	s_cbranch_execz .LBB166_6594
; %bb.6593:
	v_cvt_f64_f32_e32 v[6:7], v6
	flat_store_dwordx2 v[4:5], v[6:7]
                                        ; implicit-def: $vgpr4_vgpr5
                                        ; implicit-def: $vgpr6
.LBB166_6594:
	s_andn2_saveexec_b64 s[50:51], s[50:51]
	s_cbranch_execz .LBB166_6596
; %bb.6595:
	flat_store_dword v[4:5], v6
.LBB166_6596:
	s_or_b64 exec, exec, s[50:51]
                                        ; implicit-def: $vgpr6
                                        ; implicit-def: $vgpr4_vgpr5
.LBB166_6597:
	s_andn2_saveexec_b64 s[50:51], s[54:55]
	s_cbranch_execz .LBB166_6599
; %bb.6598:
	v_cvt_f16_f32_e32 v6, v6
	flat_store_short v[4:5], v6
.LBB166_6599:
	s_or_b64 exec, exec, s[50:51]
.LBB166_6600:
	s_or_b64 exec, exec, s[64:65]
                                        ; implicit-def: $vgpr6
                                        ; implicit-def: $vgpr4_vgpr5
.LBB166_6601:
	s_andn2_saveexec_b64 s[70:71], vcc
	s_cbranch_execz .LBB166_6619
; %bb.6602:
	v_mov_b32_e32 v7, 1
	v_cmp_gt_i16_sdwa vcc, v13, v7 src0_sel:BYTE_0 src1_sel:DWORD
	s_and_saveexec_b64 s[48:49], vcc
	s_xor_b64 s[64:65], exec, s[48:49]
	s_cbranch_execz .LBB166_6612
; %bb.6603:
	v_mov_b32_e32 v7, 2
	v_cmp_gt_i16_sdwa vcc, v13, v7 src0_sel:BYTE_0 src1_sel:DWORD
	s_and_saveexec_b64 s[48:49], vcc
	s_xor_b64 s[66:67], exec, s[48:49]
	;; [unrolled: 6-line block ×3, first 2 shown]
	s_cbranch_execz .LBB166_6606
; %bb.6605:
	v_trunc_f32_e32 v6, v6
	s_mov_b32 s48, 0x2f800000
	v_mul_f32_e64 v7, |v6|, s48
	v_floor_f32_e32 v7, v7
	s_mov_b32 s48, 0xcf800000
	v_cvt_u32_f32_e32 v30, v7
	v_fma_f32 v7, v7, s48, |v6|
	v_cvt_u32_f32_e32 v7, v7
	v_ashrrev_i32_e32 v31, 31, v6
	v_xor_b32_e32 v30, v30, v31
	v_xor_b32_e32 v6, v7, v31
	v_sub_co_u32_e32 v6, vcc, v6, v31
	v_subb_co_u32_e32 v7, vcc, v30, v31, vcc
	flat_store_dwordx2 v[4:5], v[6:7]
                                        ; implicit-def: $vgpr6
                                        ; implicit-def: $vgpr4_vgpr5
.LBB166_6606:
	s_andn2_saveexec_b64 vcc, s[54:55]
	s_cbranch_execz .LBB166_6608
; %bb.6607:
	v_cvt_i32_f32_e32 v6, v6
	flat_store_dword v[4:5], v6
.LBB166_6608:
	s_or_b64 exec, exec, vcc
                                        ; implicit-def: $vgpr6
                                        ; implicit-def: $vgpr4_vgpr5
.LBB166_6609:
	s_andn2_saveexec_b64 vcc, s[66:67]
	s_cbranch_execz .LBB166_6611
; %bb.6610:
	v_cvt_i32_f32_e32 v6, v6
	flat_store_short v[4:5], v6
.LBB166_6611:
	s_or_b64 exec, exec, vcc
                                        ; implicit-def: $vgpr6
                                        ; implicit-def: $vgpr4_vgpr5
.LBB166_6612:
	s_andn2_saveexec_b64 vcc, s[64:65]
	s_cbranch_execz .LBB166_6618
; %bb.6613:
	v_mov_b32_e32 v7, 0
	v_cmp_gt_i16_sdwa s[48:49], v13, v7 src0_sel:BYTE_0 src1_sel:DWORD
	s_and_saveexec_b64 s[50:51], s[48:49]
	s_xor_b64 s[50:51], exec, s[50:51]
	s_cbranch_execz .LBB166_6615
; %bb.6614:
	v_cvt_i32_f32_e32 v6, v6
	flat_store_byte v[4:5], v6
                                        ; implicit-def: $vgpr6
                                        ; implicit-def: $vgpr4_vgpr5
.LBB166_6615:
	s_andn2_saveexec_b64 s[54:55], s[50:51]
	s_cbranch_execz .LBB166_6617
; %bb.6616:
	v_trunc_f32_e32 v6, v6
	s_mov_b32 s48, 0x2f800000
	v_mul_f32_e64 v7, |v6|, s48
	v_floor_f32_e32 v7, v7
	s_mov_b32 s48, 0xcf800000
	v_fma_f32 v7, v7, s48, |v6|
	v_cvt_u32_f32_e32 v7, v7
	v_ashrrev_i32_e32 v6, 31, v6
	v_xor_b32_e32 v7, v7, v6
	v_sub_u32_e32 v6, v7, v6
	flat_store_byte v[4:5], v6
.LBB166_6617:
	s_or_b64 exec, exec, s[54:55]
.LBB166_6618:
	s_or_b64 exec, exec, vcc
.LBB166_6619:
	s_or_b64 exec, exec, s[70:71]
	s_or_b64 s[4:5], s[4:5], exec
.LBB166_6620:
	s_or_b64 exec, exec, s[82:83]
	s_mov_b64 s[54:55], 0
	s_mov_b64 vcc, 0
	s_and_saveexec_b64 s[52:53], s[4:5]
; %bb.6621:
	v_add_u32_e32 v17, 0x200, v17
	v_cmp_lt_i32_e32 vcc, v17, v8
	s_mov_b64 s[54:55], exec
	s_and_b64 vcc, vcc, exec
; %bb.6622:
	s_or_b64 exec, exec, s[52:53]
	v_readlane_b32 s4, v41, 26
	v_readlane_b32 s5, v41, 27
	s_andn2_b64 s[4:5], s[4:5], exec
	s_and_b64 s[48:49], s[80:81], exec
	s_or_b64 s[4:5], s[4:5], s[48:49]
	v_writelane_b32 v41, s4, 28
	s_and_b64 vcc, vcc, exec
	v_writelane_b32 v41, s5, 29
	s_orn2_b64 s[64:65], s[54:55], exec
.LBB166_6623:
	s_or_b64 exec, exec, s[86:87]
	s_mov_b64 s[4:5], 0
	s_mov_b64 s[54:55], 0
                                        ; implicit-def: $vgpr4
                                        ; implicit-def: $vgpr112
                                        ; implicit-def: $vgpr6_vgpr7
	s_mov_b64 s[48:49], exec
	v_writelane_b32 v41, s48, 34
	v_writelane_b32 v41, s49, 35
	s_and_b64 s[48:49], s[48:49], s[64:65]
	s_mov_b64 exec, s[48:49]
	s_cbranch_execz .LBB166_7745
; %bb.6624:
	v_readlane_b32 s4, v41, 28
	v_readlane_b32 s5, v41, 29
	v_writelane_b32 v41, s4, 32
	s_mov_b64 s[64:65], -1
	v_writelane_b32 v41, s5, 33
	s_mov_b64 s[4:5], 0
	s_and_saveexec_b64 s[86:87], vcc
	s_cbranch_execz .LBB166_6752
; %bb.6625:
	v_readlane_b32 s4, v41, 2
	v_add_u32_e32 v4, s4, v17
	v_mul_lo_u32 v4, v4, v14
	v_mov_b32_e32 v7, 10
	v_readlane_b32 s80, v41, 28
	s_mov_b64 s[4:5], 0
	v_add_co_u32_e32 v4, vcc, v2, v4
	v_addc_co_u32_e32 v5, vcc, 0, v3, vcc
	s_waitcnt vmcnt(0)
	v_cmp_nle_f32_e32 vcc, v29, v0
	v_cndmask_b32_e32 v6, v1, v28, vcc
	v_cmp_gt_i16_sdwa vcc, v13, v7 src0_sel:BYTE_0 src1_sel:DWORD
	v_readlane_b32 s81, v41, 29
	s_and_saveexec_b64 s[48:49], vcc
	s_xor_b64 s[84:85], exec, s[48:49]
	s_cbranch_execz .LBB166_6707
; %bb.6626:
	v_mov_b32_e32 v7, 25
	v_readlane_b32 s80, v41, 28
	v_cmp_gt_i16_sdwa vcc, v13, v7 src0_sel:BYTE_0 src1_sel:DWORD
	v_readlane_b32 s81, v41, 29
	s_and_saveexec_b64 s[48:49], vcc
	s_xor_b64 s[82:83], exec, s[48:49]
	s_cbranch_execz .LBB166_6662
; %bb.6627:
	v_mov_b32_e32 v7, 28
	v_readlane_b32 s80, v41, 28
	v_cmp_gt_i16_sdwa vcc, v13, v7 src0_sel:BYTE_0 src1_sel:DWORD
	v_readlane_b32 s81, v41, 29
	s_and_saveexec_b64 s[48:49], vcc
	s_xor_b64 s[70:71], exec, s[48:49]
	s_cbranch_execz .LBB166_6645
; %bb.6628:
	v_mov_b32_e32 v7, 43
	v_readlane_b32 vcc_lo, v41, 28
	v_cmp_gt_i16_sdwa s[48:49], v13, v7 src0_sel:BYTE_0 src1_sel:DWORD
	v_readlane_b32 vcc_hi, v41, 29
	s_and_saveexec_b64 s[50:51], s[48:49]
	s_xor_b64 s[80:81], exec, s[50:51]
	s_cbranch_execz .LBB166_6640
; %bb.6629:
	v_mov_b32_e32 v7, 45
	v_readlane_b32 s64, v41, 28
	v_cmp_gt_i16_sdwa s[4:5], v13, v7 src0_sel:BYTE_0 src1_sel:DWORD
	s_mov_b64 s[68:69], 0
	v_readlane_b32 s65, v41, 29
	s_and_saveexec_b64 vcc, s[4:5]
	s_xor_b64 s[4:5], exec, vcc
	s_cbranch_execz .LBB166_6633
; %bb.6630:
	v_mov_b32_e32 v7, 46
	v_cmp_eq_u16_sdwa s[48:49], v13, v7 src0_sel:BYTE_0 src1_sel:DWORD
	s_mov_b64 vcc, -1
	s_and_saveexec_b64 s[64:65], s[48:49]
	s_cbranch_execz .LBB166_6632
; %bb.6631:
	v_bfe_u32 v7, v6, 16, 1
	s_movk_i32 vcc_lo, 0x7fff
	v_add3_u32 v7, v6, v7, vcc_lo
	v_cmp_o_f32_e32 vcc, v6, v6
	v_mov_b32_e32 v6, 0x7fc0
	v_cndmask_b32_sdwa v6, v6, v7, vcc dst_sel:DWORD dst_unused:UNUSED_PAD src0_sel:DWORD src1_sel:WORD_1
	s_mov_b64 s[54:55], exec
	flat_store_dword v[4:5], v6
	s_xor_b64 vcc, exec, -1
.LBB166_6632:
	s_or_b64 exec, exec, s[64:65]
	v_readlane_b32 s48, v41, 28
	v_readlane_b32 s49, v41, 29
	s_andn2_b64 s[48:49], s[48:49], exec
	s_and_b64 vcc, vcc, exec
	s_or_b64 s[64:65], s[48:49], vcc
	s_and_b64 s[68:69], s[54:55], exec
                                        ; implicit-def: $vgpr4_vgpr5
                                        ; implicit-def: $vgpr6
.LBB166_6633:
	s_andn2_saveexec_b64 s[66:67], s[4:5]
	s_cbranch_execz .LBB166_6639
; %bb.6634:
	v_mov_b32_e32 v7, 44
	v_cmp_eq_u16_sdwa s[48:49], v13, v7 src0_sel:BYTE_0 src1_sel:DWORD
	s_mov_b64 vcc, -1
	s_mov_b64 s[4:5], s[68:69]
	s_and_saveexec_b64 s[54:55], s[48:49]
	s_cbranch_execz .LBB166_6638
; %bb.6635:
	v_bfe_u32 v7, v6, 23, 8
	s_movk_i32 s4, 0xff
	v_cmp_ne_u32_e32 vcc, s4, v7
	v_mov_b32_e32 v28, 0xff
	s_and_saveexec_b64 s[52:53], vcc
; %bb.6636:
	s_mov_b32 s4, 0x3fffff
	v_lshrrev_b32_e32 v28, 23, v6
	v_and_b32_e32 v29, 0x400000, v6
	v_and_or_b32 v6, v6, s4, v7
	v_cmp_ne_u32_e32 vcc, 0, v29
	v_cmp_ne_u32_e64 s[4:5], 0, v6
	s_and_b64 s[4:5], vcc, s[4:5]
	v_cndmask_b32_e64 v6, 0, 1, s[4:5]
	v_add_u32_e32 v28, v28, v6
; %bb.6637:
	s_or_b64 exec, exec, s[52:53]
	s_xor_b64 vcc, exec, -1
	s_or_b64 s[4:5], s[68:69], exec
	flat_store_byte v[4:5], v28
.LBB166_6638:
	s_or_b64 exec, exec, s[54:55]
	s_andn2_b64 s[48:49], s[64:65], exec
	s_and_b64 vcc, vcc, exec
	s_or_b64 s[64:65], s[48:49], vcc
	s_andn2_b64 vcc, s[68:69], exec
	s_and_b64 s[4:5], s[4:5], exec
	s_or_b64 s[68:69], vcc, s[4:5]
.LBB166_6639:
	s_or_b64 exec, exec, s[66:67]
	v_readlane_b32 s4, v41, 28
	v_readlane_b32 s5, v41, 29
	s_andn2_b64 s[4:5], s[4:5], exec
	s_and_b64 vcc, s[64:65], exec
	s_or_b64 vcc, s[4:5], vcc
	s_and_b64 s[4:5], s[68:69], exec
                                        ; implicit-def: $vgpr6
                                        ; implicit-def: $vgpr4_vgpr5
.LBB166_6640:
	s_andn2_saveexec_b64 s[64:65], s[80:81]
	s_cbranch_execz .LBB166_6644
; %bb.6641:
	v_mov_b32_e32 v7, 29
	v_cmp_eq_u16_sdwa s[48:49], v13, v7 src0_sel:BYTE_0 src1_sel:DWORD
	s_mov_b64 s[66:67], -1
	s_mov_b64 s[52:53], s[4:5]
	s_and_saveexec_b64 s[54:55], s[48:49]
	s_cbranch_execz .LBB166_6643
; %bb.6642:
	v_trunc_f32_e32 v6, v6
	v_mul_f32_e32 v7, 0x2f800000, v6
	v_floor_f32_e32 v28, v7
	v_fmac_f32_e32 v6, 0xcf800000, v28
	v_cvt_u32_f32_e32 v7, v28
	v_cvt_u32_f32_e32 v6, v6
	s_xor_b64 s[66:67], exec, -1
	s_or_b64 s[52:53], s[4:5], exec
	flat_store_dwordx2 v[4:5], v[6:7]
.LBB166_6643:
	s_or_b64 exec, exec, s[54:55]
	s_andn2_b64 vcc, vcc, exec
	s_and_b64 s[48:49], s[66:67], exec
	s_or_b64 vcc, vcc, s[48:49]
	s_andn2_b64 s[4:5], s[4:5], exec
	s_and_b64 s[48:49], s[52:53], exec
	s_or_b64 s[4:5], s[4:5], s[48:49]
.LBB166_6644:
	s_or_b64 exec, exec, s[64:65]
	v_readlane_b32 s48, v41, 28
	v_readlane_b32 s49, v41, 29
	s_andn2_b64 s[48:49], s[48:49], exec
	s_and_b64 vcc, vcc, exec
	s_or_b64 s[80:81], s[48:49], vcc
	s_and_b64 s[4:5], s[4:5], exec
                                        ; implicit-def: $vgpr4_vgpr5
                                        ; implicit-def: $vgpr6
.LBB166_6645:
	s_andn2_saveexec_b64 s[70:71], s[70:71]
	s_cbranch_execz .LBB166_6661
; %bb.6646:
	v_mov_b32_e32 v7, 26
	v_cmp_gt_i16_sdwa vcc, v13, v7 src0_sel:BYTE_0 src1_sel:DWORD
	s_and_saveexec_b64 s[48:49], vcc
	s_xor_b64 vcc, exec, s[48:49]
	s_cbranch_execz .LBB166_6652
; %bb.6647:
	v_cvt_u32_f32_e32 v6, v6
	v_mov_b32_e32 v7, 27
	v_cmp_gt_i16_sdwa s[48:49], v13, v7 src0_sel:BYTE_0 src1_sel:DWORD
	s_and_saveexec_b64 s[50:51], s[48:49]
	s_xor_b64 s[50:51], exec, s[50:51]
	s_cbranch_execz .LBB166_6649
; %bb.6648:
	flat_store_dword v[4:5], v6
                                        ; implicit-def: $vgpr4_vgpr5
                                        ; implicit-def: $vgpr6
.LBB166_6649:
	s_andn2_saveexec_b64 s[50:51], s[50:51]
	s_cbranch_execz .LBB166_6651
; %bb.6650:
	flat_store_short v[4:5], v6
.LBB166_6651:
	s_or_b64 exec, exec, s[50:51]
                                        ; implicit-def: $vgpr4_vgpr5
                                        ; implicit-def: $vgpr6
.LBB166_6652:
	s_andn2_saveexec_b64 s[64:65], vcc
	s_cbranch_execz .LBB166_6660
; %bb.6653:
	v_and_b32_e32 v7, 0x7fffffff, v6
	s_mov_b32 vcc_lo, 0x43800000
	v_cmp_gt_u32_e32 vcc, vcc_lo, v7
	v_mov_b32_e32 v28, 0x80
	s_and_saveexec_b64 s[66:67], vcc
	s_cbranch_execz .LBB166_6659
; %bb.6654:
	s_mov_b32 vcc_lo, 0x3bffffff
	v_cmp_lt_u32_e32 vcc, vcc_lo, v7
	s_mov_b64 s[54:55], 0
                                        ; implicit-def: $vgpr7
	s_and_saveexec_b64 s[48:49], vcc
	s_xor_b64 vcc, exec, s[48:49]
	s_cbranch_execnz .LBB166_7907
; %bb.6655:
	s_andn2_saveexec_b64 s[68:69], vcc
	s_cbranch_execnz .LBB166_7908
.LBB166_6656:
	s_or_b64 exec, exec, s[68:69]
	v_mov_b32_e32 v28, 0
	s_and_saveexec_b64 vcc, s[54:55]
.LBB166_6657:
	v_lshrrev_b32_e32 v6, 24, v6
	s_movk_i32 s48, 0x80
	v_and_or_b32 v28, v6, s48, v7
.LBB166_6658:
	s_or_b64 exec, exec, vcc
.LBB166_6659:
	s_or_b64 exec, exec, s[66:67]
	flat_store_byte v[4:5], v28
.LBB166_6660:
	s_or_b64 exec, exec, s[64:65]
	s_or_b64 s[4:5], s[4:5], exec
.LBB166_6661:
	s_or_b64 exec, exec, s[70:71]
	v_readlane_b32 vcc_lo, v41, 28
	v_readlane_b32 vcc_hi, v41, 29
	s_andn2_b64 vcc, vcc, exec
	s_and_b64 s[48:49], s[80:81], exec
	s_or_b64 s[80:81], vcc, s[48:49]
	s_and_b64 s[4:5], s[4:5], exec
                                        ; implicit-def: $vgpr6
                                        ; implicit-def: $vgpr4_vgpr5
.LBB166_6662:
	s_andn2_saveexec_b64 s[82:83], s[82:83]
	s_cbranch_execz .LBB166_6706
; %bb.6663:
	v_mov_b32_e32 v7, 22
	v_cmp_gt_i16_sdwa vcc, v13, v7 src0_sel:BYTE_0 src1_sel:DWORD
	s_mov_b64 s[68:69], s[4:5]
	s_and_saveexec_b64 s[48:49], vcc
	s_xor_b64 s[70:71], exec, s[48:49]
	s_cbranch_execz .LBB166_6695
; %bb.6664:
	v_mov_b32_e32 v7, 23
	v_cmp_gt_i16_sdwa vcc, v13, v7 src0_sel:BYTE_0 src1_sel:DWORD
	s_and_saveexec_b64 s[48:49], vcc
	s_xor_b64 s[48:49], exec, s[48:49]
	v_writelane_b32 v41, s48, 32
	v_writelane_b32 v41, s49, 33
	s_cbranch_execz .LBB166_6684
; %bb.6665:
	v_mov_b32_e32 v7, 24
	v_cmp_gt_i16_sdwa vcc, v13, v7 src0_sel:BYTE_0 src1_sel:DWORD
	s_and_saveexec_b64 s[48:49], vcc
	s_xor_b64 s[64:65], exec, s[48:49]
	s_cbranch_execz .LBB166_6673
; %bb.6666:
	v_and_b32_e32 v7, 0x7fffffff, v6
	s_mov_b32 vcc_lo, 0x47800000
	v_cmp_gt_u32_e32 vcc, vcc_lo, v7
	v_mov_b32_e32 v28, 0x80
	s_and_saveexec_b64 s[66:67], vcc
	s_cbranch_execz .LBB166_6672
; %bb.6667:
	s_mov_b32 vcc_lo, 0x37ffffff
	v_cmp_lt_u32_e32 vcc, vcc_lo, v7
	s_mov_b64 s[54:55], 0
                                        ; implicit-def: $vgpr7
	s_and_saveexec_b64 s[48:49], vcc
	s_xor_b64 vcc, exec, s[48:49]
	s_cbranch_execnz .LBB166_7909
; %bb.6668:
	s_andn2_saveexec_b64 s[68:69], vcc
	s_cbranch_execnz .LBB166_7910
.LBB166_6669:
	s_or_b64 exec, exec, s[68:69]
	v_mov_b32_e32 v28, 0
	s_and_saveexec_b64 vcc, s[54:55]
.LBB166_6670:
	v_lshrrev_b32_e32 v6, 24, v6
	s_movk_i32 s48, 0x80
	v_and_or_b32 v28, v6, s48, v7
.LBB166_6671:
	s_or_b64 exec, exec, vcc
.LBB166_6672:
	s_or_b64 exec, exec, s[66:67]
	flat_store_byte v[4:5], v28
                                        ; implicit-def: $vgpr6
                                        ; implicit-def: $vgpr4_vgpr5
.LBB166_6673:
	s_andn2_saveexec_b64 s[64:65], s[64:65]
	s_cbranch_execz .LBB166_6683
; %bb.6674:
	v_and_b32_e32 v28, 0x7fffffff, v6
	s_mov_b32 vcc_lo, 0x43f00000
	v_cmp_gt_u32_e32 vcc, vcc_lo, v28
                                        ; implicit-def: $vgpr7
	s_and_saveexec_b64 s[48:49], vcc
	s_xor_b64 s[66:67], exec, s[48:49]
	s_cbranch_execz .LBB166_6680
; %bb.6675:
	s_mov_b32 vcc_lo, 0x3c7fffff
	v_cmp_lt_u32_e32 vcc, vcc_lo, v28
                                        ; implicit-def: $vgpr7
	s_and_saveexec_b64 s[48:49], vcc
	s_xor_b64 s[52:53], exec, s[48:49]
; %bb.6676:
	v_bfe_u32 v7, v6, 20, 1
	s_mov_b32 vcc_lo, 0x407ffff
	v_add3_u32 v7, v6, v7, vcc_lo
	v_lshrrev_b32_e32 v28, 20, v7
	v_and_b32_e32 v7, 0xff00000, v7
	s_mov_b32 vcc_lo, 0x7f00000
	v_mov_b32_e32 v29, 0x7e
	v_cmp_ne_u32_e32 vcc, vcc_lo, v7
	v_cndmask_b32_e32 v7, v29, v28, vcc
; %bb.6677:
	s_andn2_saveexec_b64 vcc, s[52:53]
; %bb.6678:
	s_mov_b32 s48, 0x46800000
	v_add_f32_e64 v7, |v6|, s48
; %bb.6679:
	s_or_b64 exec, exec, vcc
                                        ; implicit-def: $vgpr28
.LBB166_6680:
	s_andn2_saveexec_b64 s[52:53], s[66:67]
; %bb.6681:
	s_mov_b32 vcc_lo, 0x7f800000
	v_mov_b32_e32 v7, 0x7e
	v_mov_b32_e32 v29, 0x7f
	v_cmp_lt_u32_e32 vcc, vcc_lo, v28
	v_cndmask_b32_e32 v7, v7, v29, vcc
; %bb.6682:
	s_or_b64 exec, exec, s[52:53]
	v_lshrrev_b32_e32 v6, 24, v6
	s_movk_i32 vcc_lo, 0x80
	v_and_or_b32 v6, v6, vcc_lo, v7
	flat_store_byte v[4:5], v6
.LBB166_6683:
	s_or_b64 exec, exec, s[64:65]
                                        ; implicit-def: $vgpr6
                                        ; implicit-def: $vgpr4_vgpr5
.LBB166_6684:
	v_readlane_b32 vcc_lo, v41, 32
	v_readlane_b32 vcc_hi, v41, 33
	s_andn2_saveexec_b64 s[64:65], vcc
	s_cbranch_execz .LBB166_6694
; %bb.6685:
	v_and_b32_e32 v28, 0x7fffffff, v6
	s_mov_b32 vcc_lo, 0x47800000
	v_cmp_gt_u32_e32 vcc, vcc_lo, v28
                                        ; implicit-def: $vgpr7
	s_and_saveexec_b64 s[48:49], vcc
	s_xor_b64 s[54:55], exec, s[48:49]
	s_cbranch_execz .LBB166_6691
; %bb.6686:
	s_mov_b32 vcc_lo, 0x387fffff
	v_cmp_lt_u32_e32 vcc, vcc_lo, v28
                                        ; implicit-def: $vgpr7
	s_and_saveexec_b64 s[48:49], vcc
	s_xor_b64 vcc, exec, s[48:49]
; %bb.6687:
	v_bfe_u32 v7, v6, 21, 1
	s_mov_b32 s48, 0x80fffff
	v_add3_u32 v7, v6, v7, s48
	v_lshrrev_b32_e32 v7, 21, v7
; %bb.6688:
	s_andn2_saveexec_b64 vcc, vcc
; %bb.6689:
	s_mov_b32 s48, 0x43000000
	v_add_f32_e64 v7, |v6|, s48
; %bb.6690:
	s_or_b64 exec, exec, vcc
                                        ; implicit-def: $vgpr28
.LBB166_6691:
	s_andn2_saveexec_b64 s[52:53], s[54:55]
; %bb.6692:
	s_mov_b32 vcc_lo, 0x7f800000
	v_mov_b32_e32 v7, 0x7c
	v_mov_b32_e32 v29, 0x7f
	v_cmp_lt_u32_e32 vcc, vcc_lo, v28
	v_cndmask_b32_e32 v7, v7, v29, vcc
; %bb.6693:
	s_or_b64 exec, exec, s[52:53]
	v_lshrrev_b32_e32 v6, 24, v6
	s_movk_i32 vcc_lo, 0x80
	v_and_or_b32 v6, v6, vcc_lo, v7
	flat_store_byte v[4:5], v6
.LBB166_6694:
	s_or_b64 exec, exec, s[64:65]
	s_or_b64 s[68:69], s[4:5], exec
                                        ; implicit-def: $vgpr6
                                        ; implicit-def: $vgpr4_vgpr5
.LBB166_6695:
	s_or_saveexec_b64 s[70:71], s[70:71]
	s_mov_b64 vcc, s[80:81]
	s_xor_b64 exec, exec, s[70:71]
	s_cbranch_execz .LBB166_6705
; %bb.6696:
	v_mov_b32_e32 v7, 14
	v_cmp_gt_i16_sdwa vcc, v13, v7 src0_sel:BYTE_0 src1_sel:DWORD
	s_mov_b64 s[64:65], s[68:69]
	s_mov_b64 s[66:67], s[80:81]
	s_and_saveexec_b64 s[48:49], vcc
	s_xor_b64 s[54:55], exec, s[48:49]
	s_cbranch_execz .LBB166_6700
; %bb.6697:
	v_mov_b32_e32 v7, 15
	v_cmp_eq_u16_sdwa s[48:49], v13, v7 src0_sel:BYTE_0 src1_sel:DWORD
	s_mov_b64 s[52:53], -1
	s_mov_b64 vcc, s[68:69]
	s_and_saveexec_b64 s[64:65], s[48:49]
	s_cbranch_execz .LBB166_6699
; %bb.6698:
	v_bfe_u32 v7, v6, 16, 1
	s_movk_i32 vcc_lo, 0x7fff
	v_add3_u32 v7, v6, v7, vcc_lo
	v_cmp_o_f32_e32 vcc, v6, v6
	v_mov_b32_e32 v6, 0x7fc0
	v_cndmask_b32_sdwa v6, v6, v7, vcc dst_sel:DWORD dst_unused:UNUSED_PAD src0_sel:DWORD src1_sel:WORD_1
	flat_store_short v[4:5], v6
	s_xor_b64 s[52:53], exec, -1
	s_or_b64 vcc, s[68:69], exec
.LBB166_6699:
	s_or_b64 exec, exec, s[64:65]
	s_andn2_b64 s[48:49], s[80:81], exec
	s_and_b64 s[50:51], s[52:53], exec
	s_or_b64 s[66:67], s[48:49], s[50:51]
	s_andn2_b64 s[48:49], s[68:69], exec
	s_and_b64 vcc, vcc, exec
	s_or_b64 s[64:65], s[48:49], vcc
                                        ; implicit-def: $vgpr6
                                        ; implicit-def: $vgpr4_vgpr5
.LBB166_6700:
	s_andn2_saveexec_b64 s[54:55], s[54:55]
	s_cbranch_execz .LBB166_6704
; %bb.6701:
	v_mov_b32_e32 v7, 11
	v_cmp_eq_u16_sdwa s[48:49], v13, v7 src0_sel:BYTE_0 src1_sel:DWORD
	s_mov_b64 s[52:53], -1
	s_mov_b64 vcc, s[64:65]
	s_and_saveexec_b64 s[50:51], s[48:49]
	s_cbranch_execz .LBB166_6703
; %bb.6702:
	v_cmp_neq_f32_e32 vcc, 0, v6
	v_cndmask_b32_e64 v6, 0, 1, vcc
	flat_store_byte v[4:5], v6
	s_xor_b64 s[52:53], exec, -1
	s_or_b64 vcc, s[64:65], exec
.LBB166_6703:
	s_or_b64 exec, exec, s[50:51]
	s_andn2_b64 s[48:49], s[66:67], exec
	s_and_b64 s[50:51], s[52:53], exec
	s_or_b64 s[66:67], s[48:49], s[50:51]
	s_andn2_b64 s[48:49], s[64:65], exec
	s_and_b64 vcc, vcc, exec
	s_or_b64 s[64:65], s[48:49], vcc
.LBB166_6704:
	s_or_b64 exec, exec, s[54:55]
	s_andn2_b64 vcc, s[80:81], exec
	s_and_b64 s[48:49], s[66:67], exec
	s_or_b64 vcc, vcc, s[48:49]
	s_andn2_b64 s[48:49], s[68:69], exec
	s_and_b64 s[50:51], s[64:65], exec
	s_or_b64 s[68:69], s[48:49], s[50:51]
.LBB166_6705:
	s_or_b64 exec, exec, s[70:71]
	s_andn2_b64 s[48:49], s[80:81], exec
	s_and_b64 vcc, vcc, exec
	s_or_b64 s[80:81], s[48:49], vcc
	s_andn2_b64 s[4:5], s[4:5], exec
	s_and_b64 vcc, s[68:69], exec
	s_or_b64 s[4:5], s[4:5], vcc
.LBB166_6706:
	s_or_b64 exec, exec, s[82:83]
	v_readlane_b32 vcc_lo, v41, 28
	v_readlane_b32 vcc_hi, v41, 29
	s_andn2_b64 vcc, vcc, exec
	s_and_b64 s[48:49], s[80:81], exec
	s_or_b64 s[80:81], vcc, s[48:49]
	s_and_b64 s[4:5], s[4:5], exec
                                        ; implicit-def: $vgpr6
                                        ; implicit-def: $vgpr4_vgpr5
.LBB166_6707:
	s_andn2_saveexec_b64 s[82:83], s[84:85]
	s_cbranch_execz .LBB166_6749
; %bb.6708:
	v_mov_b32_e32 v7, 4
	v_cmp_gt_i16_sdwa vcc, v13, v7 src0_sel:BYTE_0 src1_sel:DWORD
	s_and_saveexec_b64 s[48:49], vcc
	s_xor_b64 vcc, exec, s[48:49]
	s_cbranch_execz .LBB166_6730
; %bb.6709:
	v_mov_b32_e32 v7, 7
	v_cmp_gt_i16_sdwa s[48:49], v13, v7 src0_sel:BYTE_0 src1_sel:DWORD
	s_and_saveexec_b64 s[50:51], s[48:49]
	s_xor_b64 s[64:65], exec, s[50:51]
	s_cbranch_execz .LBB166_6719
; %bb.6710:
	v_mov_b32_e32 v7, 8
	v_cmp_gt_i16_sdwa s[48:49], v13, v7 src0_sel:BYTE_0 src1_sel:DWORD
	s_and_saveexec_b64 s[50:51], s[48:49]
	s_xor_b64 s[54:55], exec, s[50:51]
	;; [unrolled: 6-line block ×3, first 2 shown]
	s_cbranch_execz .LBB166_6713
; %bb.6712:
	v_cvt_f64_f32_e32 v[28:29], v6
	v_mov_b32_e32 v30, 0
	v_mov_b32_e32 v31, v30
                                        ; implicit-def: $vgpr6
	flat_store_dwordx4 v[4:5], v[28:31]
                                        ; implicit-def: $vgpr4_vgpr5
.LBB166_6713:
	s_andn2_saveexec_b64 s[50:51], s[50:51]
	s_cbranch_execz .LBB166_6715
; %bb.6714:
	v_mov_b32_e32 v7, 0
	flat_store_dwordx2 v[4:5], v[6:7]
.LBB166_6715:
	s_or_b64 exec, exec, s[50:51]
                                        ; implicit-def: $vgpr6
                                        ; implicit-def: $vgpr4_vgpr5
.LBB166_6716:
	s_andn2_saveexec_b64 s[50:51], s[54:55]
	s_cbranch_execz .LBB166_6718
; %bb.6717:
	v_cvt_f16_f32_e32 v6, v6
	flat_store_dword v[4:5], v6
.LBB166_6718:
	s_or_b64 exec, exec, s[50:51]
                                        ; implicit-def: $vgpr6
                                        ; implicit-def: $vgpr4_vgpr5
.LBB166_6719:
	s_andn2_saveexec_b64 s[64:65], s[64:65]
	s_cbranch_execz .LBB166_6729
; %bb.6720:
	v_mov_b32_e32 v7, 5
	v_cmp_gt_i16_sdwa s[48:49], v13, v7 src0_sel:BYTE_0 src1_sel:DWORD
	s_and_saveexec_b64 s[50:51], s[48:49]
	s_xor_b64 s[54:55], exec, s[50:51]
	s_cbranch_execz .LBB166_6726
; %bb.6721:
	v_mov_b32_e32 v7, 6
	v_cmp_gt_i16_sdwa s[48:49], v13, v7 src0_sel:BYTE_0 src1_sel:DWORD
	s_and_saveexec_b64 s[50:51], s[48:49]
	s_xor_b64 s[50:51], exec, s[50:51]
	s_cbranch_execz .LBB166_6723
; %bb.6722:
	v_cvt_f64_f32_e32 v[6:7], v6
	flat_store_dwordx2 v[4:5], v[6:7]
                                        ; implicit-def: $vgpr4_vgpr5
                                        ; implicit-def: $vgpr6
.LBB166_6723:
	s_andn2_saveexec_b64 s[50:51], s[50:51]
	s_cbranch_execz .LBB166_6725
; %bb.6724:
	flat_store_dword v[4:5], v6
.LBB166_6725:
	s_or_b64 exec, exec, s[50:51]
                                        ; implicit-def: $vgpr6
                                        ; implicit-def: $vgpr4_vgpr5
.LBB166_6726:
	s_andn2_saveexec_b64 s[50:51], s[54:55]
	s_cbranch_execz .LBB166_6728
; %bb.6727:
	v_cvt_f16_f32_e32 v6, v6
	flat_store_short v[4:5], v6
.LBB166_6728:
	s_or_b64 exec, exec, s[50:51]
.LBB166_6729:
	s_or_b64 exec, exec, s[64:65]
                                        ; implicit-def: $vgpr6
                                        ; implicit-def: $vgpr4_vgpr5
.LBB166_6730:
	s_andn2_saveexec_b64 s[70:71], vcc
	s_cbranch_execz .LBB166_6748
; %bb.6731:
	v_mov_b32_e32 v7, 1
	v_cmp_gt_i16_sdwa vcc, v13, v7 src0_sel:BYTE_0 src1_sel:DWORD
	s_and_saveexec_b64 s[48:49], vcc
	s_xor_b64 s[64:65], exec, s[48:49]
	s_cbranch_execz .LBB166_6741
; %bb.6732:
	v_mov_b32_e32 v7, 2
	v_cmp_gt_i16_sdwa vcc, v13, v7 src0_sel:BYTE_0 src1_sel:DWORD
	s_and_saveexec_b64 s[48:49], vcc
	s_xor_b64 s[66:67], exec, s[48:49]
	;; [unrolled: 6-line block ×3, first 2 shown]
	s_cbranch_execz .LBB166_6735
; %bb.6734:
	v_trunc_f32_e32 v6, v6
	s_mov_b32 s48, 0x2f800000
	v_mul_f32_e64 v7, |v6|, s48
	v_floor_f32_e32 v7, v7
	s_mov_b32 s48, 0xcf800000
	v_cvt_u32_f32_e32 v28, v7
	v_fma_f32 v7, v7, s48, |v6|
	v_cvt_u32_f32_e32 v7, v7
	v_ashrrev_i32_e32 v29, 31, v6
	v_xor_b32_e32 v28, v28, v29
	v_xor_b32_e32 v6, v7, v29
	v_sub_co_u32_e32 v6, vcc, v6, v29
	v_subb_co_u32_e32 v7, vcc, v28, v29, vcc
	flat_store_dwordx2 v[4:5], v[6:7]
                                        ; implicit-def: $vgpr6
                                        ; implicit-def: $vgpr4_vgpr5
.LBB166_6735:
	s_andn2_saveexec_b64 vcc, s[54:55]
	s_cbranch_execz .LBB166_6737
; %bb.6736:
	v_cvt_i32_f32_e32 v6, v6
	flat_store_dword v[4:5], v6
.LBB166_6737:
	s_or_b64 exec, exec, vcc
                                        ; implicit-def: $vgpr6
                                        ; implicit-def: $vgpr4_vgpr5
.LBB166_6738:
	s_andn2_saveexec_b64 vcc, s[66:67]
	s_cbranch_execz .LBB166_6740
; %bb.6739:
	v_cvt_i32_f32_e32 v6, v6
	flat_store_short v[4:5], v6
.LBB166_6740:
	s_or_b64 exec, exec, vcc
                                        ; implicit-def: $vgpr6
                                        ; implicit-def: $vgpr4_vgpr5
.LBB166_6741:
	s_andn2_saveexec_b64 vcc, s[64:65]
	s_cbranch_execz .LBB166_6747
; %bb.6742:
	v_mov_b32_e32 v7, 0
	v_cmp_gt_i16_sdwa s[48:49], v13, v7 src0_sel:BYTE_0 src1_sel:DWORD
	s_and_saveexec_b64 s[50:51], s[48:49]
	s_xor_b64 s[50:51], exec, s[50:51]
	s_cbranch_execz .LBB166_6744
; %bb.6743:
	v_cvt_i32_f32_e32 v6, v6
	flat_store_byte v[4:5], v6
                                        ; implicit-def: $vgpr6
                                        ; implicit-def: $vgpr4_vgpr5
.LBB166_6744:
	s_andn2_saveexec_b64 s[54:55], s[50:51]
	s_cbranch_execz .LBB166_6746
; %bb.6745:
	v_trunc_f32_e32 v6, v6
	s_mov_b32 s48, 0x2f800000
	v_mul_f32_e64 v7, |v6|, s48
	v_floor_f32_e32 v7, v7
	s_mov_b32 s48, 0xcf800000
	v_fma_f32 v7, v7, s48, |v6|
	v_cvt_u32_f32_e32 v7, v7
	v_ashrrev_i32_e32 v6, 31, v6
	v_xor_b32_e32 v7, v7, v6
	v_sub_u32_e32 v6, v7, v6
	flat_store_byte v[4:5], v6
.LBB166_6746:
	s_or_b64 exec, exec, s[54:55]
.LBB166_6747:
	s_or_b64 exec, exec, vcc
.LBB166_6748:
	s_or_b64 exec, exec, s[70:71]
	s_or_b64 s[4:5], s[4:5], exec
.LBB166_6749:
	s_or_b64 exec, exec, s[82:83]
	s_mov_b64 s[54:55], 0
	s_mov_b64 vcc, 0
	s_and_saveexec_b64 s[52:53], s[4:5]
; %bb.6750:
	v_add_u32_e32 v17, 0x200, v17
	v_cmp_lt_i32_e32 vcc, v17, v8
	s_mov_b64 s[54:55], exec
	s_and_b64 vcc, vcc, exec
; %bb.6751:
	s_or_b64 exec, exec, s[52:53]
	s_and_b64 s[4:5], vcc, exec
	v_readlane_b32 vcc_lo, v41, 28
	v_readlane_b32 vcc_hi, v41, 29
	s_andn2_b64 vcc, vcc, exec
	s_and_b64 s[48:49], s[80:81], exec
	s_or_b64 vcc, vcc, s[48:49]
	v_writelane_b32 v41, vcc_lo, 32
	v_writelane_b32 v41, vcc_hi, 33
	s_orn2_b64 s[64:65], s[54:55], exec
.LBB166_6752:
	s_or_b64 exec, exec, s[86:87]
	s_mov_b64 vcc, 0
	s_mov_b64 s[54:55], 0
                                        ; implicit-def: $vgpr4
                                        ; implicit-def: $vgpr112
                                        ; implicit-def: $vgpr6_vgpr7
	s_mov_b64 s[48:49], exec
	v_writelane_b32 v41, s48, 36
	v_writelane_b32 v41, s49, 37
	s_and_b64 s[48:49], s[48:49], s[64:65]
	s_mov_b64 exec, s[48:49]
	s_cbranch_execz .LBB166_7744
; %bb.6753:
	v_readlane_b32 vcc_lo, v41, 32
	v_readlane_b32 vcc_hi, v41, 33
	v_writelane_b32 v41, vcc_lo, 38
	s_mov_b64 s[64:65], -1
	v_writelane_b32 v41, vcc_hi, 39
	s_mov_b64 vcc, 0
	s_and_saveexec_b64 s[86:87], s[4:5]
	s_cbranch_execz .LBB166_6881
; %bb.6754:
	v_readlane_b32 s4, v41, 2
	v_add_u32_e32 v4, s4, v17
	v_mul_lo_u32 v4, v4, v14
	v_mov_b32_e32 v7, 10
	v_readlane_b32 s80, v41, 32
	s_mov_b64 s[4:5], 0
	v_add_co_u32_e32 v4, vcc, v2, v4
	v_addc_co_u32_e32 v5, vcc, 0, v3, vcc
	s_waitcnt vmcnt(0)
	v_cmp_nle_f32_e32 vcc, v27, v0
	v_cndmask_b32_e32 v6, v1, v26, vcc
	v_cmp_gt_i16_sdwa vcc, v13, v7 src0_sel:BYTE_0 src1_sel:DWORD
	v_readlane_b32 s81, v41, 33
	s_and_saveexec_b64 s[48:49], vcc
	s_xor_b64 s[84:85], exec, s[48:49]
	s_cbranch_execz .LBB166_6836
; %bb.6755:
	v_mov_b32_e32 v7, 25
	v_readlane_b32 s80, v41, 32
	v_cmp_gt_i16_sdwa vcc, v13, v7 src0_sel:BYTE_0 src1_sel:DWORD
	v_readlane_b32 s81, v41, 33
	s_and_saveexec_b64 s[48:49], vcc
	s_xor_b64 s[82:83], exec, s[48:49]
	s_cbranch_execz .LBB166_6791
; %bb.6756:
	v_mov_b32_e32 v7, 28
	v_readlane_b32 s80, v41, 32
	v_cmp_gt_i16_sdwa vcc, v13, v7 src0_sel:BYTE_0 src1_sel:DWORD
	v_readlane_b32 s81, v41, 33
	s_and_saveexec_b64 s[48:49], vcc
	s_xor_b64 s[70:71], exec, s[48:49]
	s_cbranch_execz .LBB166_6774
; %bb.6757:
	v_mov_b32_e32 v7, 43
	v_readlane_b32 vcc_lo, v41, 32
	v_cmp_gt_i16_sdwa s[48:49], v13, v7 src0_sel:BYTE_0 src1_sel:DWORD
	v_readlane_b32 vcc_hi, v41, 33
	s_and_saveexec_b64 s[50:51], s[48:49]
	s_xor_b64 s[80:81], exec, s[50:51]
	s_cbranch_execz .LBB166_6769
; %bb.6758:
	v_mov_b32_e32 v7, 45
	v_readlane_b32 s64, v41, 32
	v_cmp_gt_i16_sdwa s[4:5], v13, v7 src0_sel:BYTE_0 src1_sel:DWORD
	s_mov_b64 s[68:69], 0
	v_readlane_b32 s65, v41, 33
	s_and_saveexec_b64 vcc, s[4:5]
	s_xor_b64 s[4:5], exec, vcc
	s_cbranch_execz .LBB166_6762
; %bb.6759:
	v_mov_b32_e32 v7, 46
	v_cmp_eq_u16_sdwa s[48:49], v13, v7 src0_sel:BYTE_0 src1_sel:DWORD
	s_mov_b64 vcc, -1
	s_and_saveexec_b64 s[64:65], s[48:49]
	s_cbranch_execz .LBB166_6761
; %bb.6760:
	v_bfe_u32 v7, v6, 16, 1
	s_movk_i32 vcc_lo, 0x7fff
	v_add3_u32 v7, v6, v7, vcc_lo
	v_cmp_o_f32_e32 vcc, v6, v6
	v_mov_b32_e32 v6, 0x7fc0
	v_cndmask_b32_sdwa v6, v6, v7, vcc dst_sel:DWORD dst_unused:UNUSED_PAD src0_sel:DWORD src1_sel:WORD_1
	s_mov_b64 s[54:55], exec
	flat_store_dword v[4:5], v6
	s_xor_b64 vcc, exec, -1
.LBB166_6761:
	s_or_b64 exec, exec, s[64:65]
	v_readlane_b32 s48, v41, 32
	v_readlane_b32 s49, v41, 33
	s_andn2_b64 s[48:49], s[48:49], exec
	s_and_b64 vcc, vcc, exec
	s_or_b64 s[64:65], s[48:49], vcc
	s_and_b64 s[68:69], s[54:55], exec
                                        ; implicit-def: $vgpr4_vgpr5
                                        ; implicit-def: $vgpr6
.LBB166_6762:
	s_andn2_saveexec_b64 s[66:67], s[4:5]
	s_cbranch_execz .LBB166_6768
; %bb.6763:
	v_mov_b32_e32 v7, 44
	v_cmp_eq_u16_sdwa s[48:49], v13, v7 src0_sel:BYTE_0 src1_sel:DWORD
	s_mov_b64 vcc, -1
	s_mov_b64 s[4:5], s[68:69]
	s_and_saveexec_b64 s[54:55], s[48:49]
	s_cbranch_execz .LBB166_6767
; %bb.6764:
	v_bfe_u32 v7, v6, 23, 8
	s_movk_i32 s4, 0xff
	v_cmp_ne_u32_e32 vcc, s4, v7
	v_mov_b32_e32 v26, 0xff
	s_and_saveexec_b64 s[52:53], vcc
; %bb.6765:
	s_mov_b32 s4, 0x3fffff
	v_lshrrev_b32_e32 v26, 23, v6
	v_and_b32_e32 v27, 0x400000, v6
	v_and_or_b32 v6, v6, s4, v7
	v_cmp_ne_u32_e32 vcc, 0, v27
	v_cmp_ne_u32_e64 s[4:5], 0, v6
	s_and_b64 s[4:5], vcc, s[4:5]
	v_cndmask_b32_e64 v6, 0, 1, s[4:5]
	v_add_u32_e32 v26, v26, v6
; %bb.6766:
	s_or_b64 exec, exec, s[52:53]
	s_xor_b64 vcc, exec, -1
	s_or_b64 s[4:5], s[68:69], exec
	flat_store_byte v[4:5], v26
.LBB166_6767:
	s_or_b64 exec, exec, s[54:55]
	s_andn2_b64 s[48:49], s[64:65], exec
	s_and_b64 vcc, vcc, exec
	s_or_b64 s[64:65], s[48:49], vcc
	s_andn2_b64 vcc, s[68:69], exec
	s_and_b64 s[4:5], s[4:5], exec
	s_or_b64 s[68:69], vcc, s[4:5]
.LBB166_6768:
	s_or_b64 exec, exec, s[66:67]
	v_readlane_b32 s4, v41, 32
	v_readlane_b32 s5, v41, 33
	s_andn2_b64 s[4:5], s[4:5], exec
	s_and_b64 vcc, s[64:65], exec
	s_or_b64 vcc, s[4:5], vcc
	s_and_b64 s[4:5], s[68:69], exec
                                        ; implicit-def: $vgpr6
                                        ; implicit-def: $vgpr4_vgpr5
.LBB166_6769:
	s_andn2_saveexec_b64 s[64:65], s[80:81]
	s_cbranch_execz .LBB166_6773
; %bb.6770:
	v_mov_b32_e32 v7, 29
	v_cmp_eq_u16_sdwa s[48:49], v13, v7 src0_sel:BYTE_0 src1_sel:DWORD
	s_mov_b64 s[66:67], -1
	s_mov_b64 s[52:53], s[4:5]
	s_and_saveexec_b64 s[54:55], s[48:49]
	s_cbranch_execz .LBB166_6772
; %bb.6771:
	v_trunc_f32_e32 v6, v6
	v_mul_f32_e32 v7, 0x2f800000, v6
	v_floor_f32_e32 v26, v7
	v_fmac_f32_e32 v6, 0xcf800000, v26
	v_cvt_u32_f32_e32 v7, v26
	v_cvt_u32_f32_e32 v6, v6
	s_xor_b64 s[66:67], exec, -1
	s_or_b64 s[52:53], s[4:5], exec
	flat_store_dwordx2 v[4:5], v[6:7]
.LBB166_6772:
	s_or_b64 exec, exec, s[54:55]
	s_andn2_b64 vcc, vcc, exec
	s_and_b64 s[48:49], s[66:67], exec
	s_or_b64 vcc, vcc, s[48:49]
	s_andn2_b64 s[4:5], s[4:5], exec
	s_and_b64 s[48:49], s[52:53], exec
	s_or_b64 s[4:5], s[4:5], s[48:49]
.LBB166_6773:
	s_or_b64 exec, exec, s[64:65]
	v_readlane_b32 s48, v41, 32
	v_readlane_b32 s49, v41, 33
	s_andn2_b64 s[48:49], s[48:49], exec
	s_and_b64 vcc, vcc, exec
	s_or_b64 s[80:81], s[48:49], vcc
	s_and_b64 s[4:5], s[4:5], exec
                                        ; implicit-def: $vgpr4_vgpr5
                                        ; implicit-def: $vgpr6
.LBB166_6774:
	s_andn2_saveexec_b64 s[70:71], s[70:71]
	s_cbranch_execz .LBB166_6790
; %bb.6775:
	v_mov_b32_e32 v7, 26
	v_cmp_gt_i16_sdwa vcc, v13, v7 src0_sel:BYTE_0 src1_sel:DWORD
	s_and_saveexec_b64 s[48:49], vcc
	s_xor_b64 vcc, exec, s[48:49]
	s_cbranch_execz .LBB166_6781
; %bb.6776:
	v_cvt_u32_f32_e32 v6, v6
	v_mov_b32_e32 v7, 27
	v_cmp_gt_i16_sdwa s[48:49], v13, v7 src0_sel:BYTE_0 src1_sel:DWORD
	s_and_saveexec_b64 s[50:51], s[48:49]
	s_xor_b64 s[50:51], exec, s[50:51]
	s_cbranch_execz .LBB166_6778
; %bb.6777:
	flat_store_dword v[4:5], v6
                                        ; implicit-def: $vgpr4_vgpr5
                                        ; implicit-def: $vgpr6
.LBB166_6778:
	s_andn2_saveexec_b64 s[50:51], s[50:51]
	s_cbranch_execz .LBB166_6780
; %bb.6779:
	flat_store_short v[4:5], v6
.LBB166_6780:
	s_or_b64 exec, exec, s[50:51]
                                        ; implicit-def: $vgpr4_vgpr5
                                        ; implicit-def: $vgpr6
.LBB166_6781:
	s_andn2_saveexec_b64 s[64:65], vcc
	s_cbranch_execz .LBB166_6789
; %bb.6782:
	v_and_b32_e32 v7, 0x7fffffff, v6
	s_mov_b32 vcc_lo, 0x43800000
	v_cmp_gt_u32_e32 vcc, vcc_lo, v7
	v_mov_b32_e32 v26, 0x80
	s_and_saveexec_b64 s[66:67], vcc
	s_cbranch_execz .LBB166_6788
; %bb.6783:
	s_mov_b32 vcc_lo, 0x3bffffff
	v_cmp_lt_u32_e32 vcc, vcc_lo, v7
	s_mov_b64 s[54:55], 0
                                        ; implicit-def: $vgpr7
	s_and_saveexec_b64 s[48:49], vcc
	s_xor_b64 vcc, exec, s[48:49]
	s_cbranch_execnz .LBB166_7911
; %bb.6784:
	s_andn2_saveexec_b64 s[68:69], vcc
	s_cbranch_execnz .LBB166_7912
.LBB166_6785:
	s_or_b64 exec, exec, s[68:69]
	v_mov_b32_e32 v26, 0
	s_and_saveexec_b64 vcc, s[54:55]
.LBB166_6786:
	v_lshrrev_b32_e32 v6, 24, v6
	s_movk_i32 s48, 0x80
	v_and_or_b32 v26, v6, s48, v7
.LBB166_6787:
	s_or_b64 exec, exec, vcc
.LBB166_6788:
	s_or_b64 exec, exec, s[66:67]
	flat_store_byte v[4:5], v26
.LBB166_6789:
	s_or_b64 exec, exec, s[64:65]
	s_or_b64 s[4:5], s[4:5], exec
.LBB166_6790:
	s_or_b64 exec, exec, s[70:71]
	v_readlane_b32 vcc_lo, v41, 32
	v_readlane_b32 vcc_hi, v41, 33
	s_andn2_b64 vcc, vcc, exec
	s_and_b64 s[48:49], s[80:81], exec
	s_or_b64 s[80:81], vcc, s[48:49]
	s_and_b64 s[4:5], s[4:5], exec
                                        ; implicit-def: $vgpr6
                                        ; implicit-def: $vgpr4_vgpr5
.LBB166_6791:
	s_andn2_saveexec_b64 s[82:83], s[82:83]
	s_cbranch_execz .LBB166_6835
; %bb.6792:
	v_mov_b32_e32 v7, 22
	v_cmp_gt_i16_sdwa vcc, v13, v7 src0_sel:BYTE_0 src1_sel:DWORD
	s_mov_b64 s[68:69], s[4:5]
	s_and_saveexec_b64 s[48:49], vcc
	s_xor_b64 s[70:71], exec, s[48:49]
	s_cbranch_execz .LBB166_6824
; %bb.6793:
	v_mov_b32_e32 v7, 23
	v_cmp_gt_i16_sdwa vcc, v13, v7 src0_sel:BYTE_0 src1_sel:DWORD
	s_and_saveexec_b64 s[48:49], vcc
	s_xor_b64 s[48:49], exec, s[48:49]
	v_writelane_b32 v41, s48, 38
	v_writelane_b32 v41, s49, 39
	s_cbranch_execz .LBB166_6813
; %bb.6794:
	v_mov_b32_e32 v7, 24
	v_cmp_gt_i16_sdwa vcc, v13, v7 src0_sel:BYTE_0 src1_sel:DWORD
	s_and_saveexec_b64 s[48:49], vcc
	s_xor_b64 s[64:65], exec, s[48:49]
	s_cbranch_execz .LBB166_6802
; %bb.6795:
	v_and_b32_e32 v7, 0x7fffffff, v6
	s_mov_b32 vcc_lo, 0x47800000
	v_cmp_gt_u32_e32 vcc, vcc_lo, v7
	v_mov_b32_e32 v26, 0x80
	s_and_saveexec_b64 s[66:67], vcc
	s_cbranch_execz .LBB166_6801
; %bb.6796:
	s_mov_b32 vcc_lo, 0x37ffffff
	v_cmp_lt_u32_e32 vcc, vcc_lo, v7
	s_mov_b64 s[54:55], 0
                                        ; implicit-def: $vgpr7
	s_and_saveexec_b64 s[48:49], vcc
	s_xor_b64 vcc, exec, s[48:49]
	s_cbranch_execnz .LBB166_7913
; %bb.6797:
	s_andn2_saveexec_b64 s[68:69], vcc
	s_cbranch_execnz .LBB166_7914
.LBB166_6798:
	s_or_b64 exec, exec, s[68:69]
	v_mov_b32_e32 v26, 0
	s_and_saveexec_b64 vcc, s[54:55]
.LBB166_6799:
	v_lshrrev_b32_e32 v6, 24, v6
	s_movk_i32 s48, 0x80
	v_and_or_b32 v26, v6, s48, v7
.LBB166_6800:
	s_or_b64 exec, exec, vcc
.LBB166_6801:
	s_or_b64 exec, exec, s[66:67]
	flat_store_byte v[4:5], v26
                                        ; implicit-def: $vgpr6
                                        ; implicit-def: $vgpr4_vgpr5
.LBB166_6802:
	s_andn2_saveexec_b64 s[64:65], s[64:65]
	s_cbranch_execz .LBB166_6812
; %bb.6803:
	v_and_b32_e32 v26, 0x7fffffff, v6
	s_mov_b32 vcc_lo, 0x43f00000
	v_cmp_gt_u32_e32 vcc, vcc_lo, v26
                                        ; implicit-def: $vgpr7
	s_and_saveexec_b64 s[48:49], vcc
	s_xor_b64 s[66:67], exec, s[48:49]
	s_cbranch_execz .LBB166_6809
; %bb.6804:
	s_mov_b32 vcc_lo, 0x3c7fffff
	v_cmp_lt_u32_e32 vcc, vcc_lo, v26
                                        ; implicit-def: $vgpr7
	s_and_saveexec_b64 s[48:49], vcc
	s_xor_b64 s[52:53], exec, s[48:49]
; %bb.6805:
	v_bfe_u32 v7, v6, 20, 1
	s_mov_b32 vcc_lo, 0x407ffff
	v_add3_u32 v7, v6, v7, vcc_lo
	v_lshrrev_b32_e32 v26, 20, v7
	v_and_b32_e32 v7, 0xff00000, v7
	s_mov_b32 vcc_lo, 0x7f00000
	v_mov_b32_e32 v27, 0x7e
	v_cmp_ne_u32_e32 vcc, vcc_lo, v7
	v_cndmask_b32_e32 v7, v27, v26, vcc
; %bb.6806:
	s_andn2_saveexec_b64 vcc, s[52:53]
; %bb.6807:
	s_mov_b32 s48, 0x46800000
	v_add_f32_e64 v7, |v6|, s48
; %bb.6808:
	s_or_b64 exec, exec, vcc
                                        ; implicit-def: $vgpr26
.LBB166_6809:
	s_andn2_saveexec_b64 s[52:53], s[66:67]
; %bb.6810:
	s_mov_b32 vcc_lo, 0x7f800000
	v_mov_b32_e32 v7, 0x7e
	v_mov_b32_e32 v27, 0x7f
	v_cmp_lt_u32_e32 vcc, vcc_lo, v26
	v_cndmask_b32_e32 v7, v7, v27, vcc
; %bb.6811:
	s_or_b64 exec, exec, s[52:53]
	v_lshrrev_b32_e32 v6, 24, v6
	s_movk_i32 vcc_lo, 0x80
	v_and_or_b32 v6, v6, vcc_lo, v7
	flat_store_byte v[4:5], v6
.LBB166_6812:
	s_or_b64 exec, exec, s[64:65]
                                        ; implicit-def: $vgpr6
                                        ; implicit-def: $vgpr4_vgpr5
.LBB166_6813:
	v_readlane_b32 vcc_lo, v41, 38
	v_readlane_b32 vcc_hi, v41, 39
	s_andn2_saveexec_b64 s[64:65], vcc
	s_cbranch_execz .LBB166_6823
; %bb.6814:
	v_and_b32_e32 v26, 0x7fffffff, v6
	s_mov_b32 vcc_lo, 0x47800000
	v_cmp_gt_u32_e32 vcc, vcc_lo, v26
                                        ; implicit-def: $vgpr7
	s_and_saveexec_b64 s[48:49], vcc
	s_xor_b64 s[54:55], exec, s[48:49]
	s_cbranch_execz .LBB166_6820
; %bb.6815:
	s_mov_b32 vcc_lo, 0x387fffff
	v_cmp_lt_u32_e32 vcc, vcc_lo, v26
                                        ; implicit-def: $vgpr7
	s_and_saveexec_b64 s[48:49], vcc
	s_xor_b64 vcc, exec, s[48:49]
; %bb.6816:
	v_bfe_u32 v7, v6, 21, 1
	s_mov_b32 s48, 0x80fffff
	v_add3_u32 v7, v6, v7, s48
	v_lshrrev_b32_e32 v7, 21, v7
; %bb.6817:
	s_andn2_saveexec_b64 vcc, vcc
; %bb.6818:
	s_mov_b32 s48, 0x43000000
	v_add_f32_e64 v7, |v6|, s48
; %bb.6819:
	s_or_b64 exec, exec, vcc
                                        ; implicit-def: $vgpr26
.LBB166_6820:
	s_andn2_saveexec_b64 s[52:53], s[54:55]
; %bb.6821:
	s_mov_b32 vcc_lo, 0x7f800000
	v_mov_b32_e32 v7, 0x7c
	v_mov_b32_e32 v27, 0x7f
	v_cmp_lt_u32_e32 vcc, vcc_lo, v26
	v_cndmask_b32_e32 v7, v7, v27, vcc
; %bb.6822:
	s_or_b64 exec, exec, s[52:53]
	v_lshrrev_b32_e32 v6, 24, v6
	s_movk_i32 vcc_lo, 0x80
	v_and_or_b32 v6, v6, vcc_lo, v7
	flat_store_byte v[4:5], v6
.LBB166_6823:
	s_or_b64 exec, exec, s[64:65]
	s_or_b64 s[68:69], s[4:5], exec
                                        ; implicit-def: $vgpr6
                                        ; implicit-def: $vgpr4_vgpr5
.LBB166_6824:
	s_or_saveexec_b64 s[70:71], s[70:71]
	s_mov_b64 vcc, s[80:81]
	s_xor_b64 exec, exec, s[70:71]
	s_cbranch_execz .LBB166_6834
; %bb.6825:
	v_mov_b32_e32 v7, 14
	v_cmp_gt_i16_sdwa vcc, v13, v7 src0_sel:BYTE_0 src1_sel:DWORD
	s_mov_b64 s[64:65], s[68:69]
	s_mov_b64 s[66:67], s[80:81]
	s_and_saveexec_b64 s[48:49], vcc
	s_xor_b64 s[54:55], exec, s[48:49]
	s_cbranch_execz .LBB166_6829
; %bb.6826:
	v_mov_b32_e32 v7, 15
	v_cmp_eq_u16_sdwa s[48:49], v13, v7 src0_sel:BYTE_0 src1_sel:DWORD
	s_mov_b64 s[52:53], -1
	s_mov_b64 vcc, s[68:69]
	s_and_saveexec_b64 s[64:65], s[48:49]
	s_cbranch_execz .LBB166_6828
; %bb.6827:
	v_bfe_u32 v7, v6, 16, 1
	s_movk_i32 vcc_lo, 0x7fff
	v_add3_u32 v7, v6, v7, vcc_lo
	v_cmp_o_f32_e32 vcc, v6, v6
	v_mov_b32_e32 v6, 0x7fc0
	v_cndmask_b32_sdwa v6, v6, v7, vcc dst_sel:DWORD dst_unused:UNUSED_PAD src0_sel:DWORD src1_sel:WORD_1
	flat_store_short v[4:5], v6
	s_xor_b64 s[52:53], exec, -1
	s_or_b64 vcc, s[68:69], exec
.LBB166_6828:
	s_or_b64 exec, exec, s[64:65]
	s_andn2_b64 s[48:49], s[80:81], exec
	s_and_b64 s[50:51], s[52:53], exec
	s_or_b64 s[66:67], s[48:49], s[50:51]
	s_andn2_b64 s[48:49], s[68:69], exec
	s_and_b64 vcc, vcc, exec
	s_or_b64 s[64:65], s[48:49], vcc
                                        ; implicit-def: $vgpr6
                                        ; implicit-def: $vgpr4_vgpr5
.LBB166_6829:
	s_andn2_saveexec_b64 s[54:55], s[54:55]
	s_cbranch_execz .LBB166_6833
; %bb.6830:
	v_mov_b32_e32 v7, 11
	v_cmp_eq_u16_sdwa s[48:49], v13, v7 src0_sel:BYTE_0 src1_sel:DWORD
	s_mov_b64 s[52:53], -1
	s_mov_b64 vcc, s[64:65]
	s_and_saveexec_b64 s[50:51], s[48:49]
	s_cbranch_execz .LBB166_6832
; %bb.6831:
	v_cmp_neq_f32_e32 vcc, 0, v6
	v_cndmask_b32_e64 v6, 0, 1, vcc
	flat_store_byte v[4:5], v6
	s_xor_b64 s[52:53], exec, -1
	s_or_b64 vcc, s[64:65], exec
.LBB166_6832:
	s_or_b64 exec, exec, s[50:51]
	s_andn2_b64 s[48:49], s[66:67], exec
	s_and_b64 s[50:51], s[52:53], exec
	s_or_b64 s[66:67], s[48:49], s[50:51]
	s_andn2_b64 s[48:49], s[64:65], exec
	s_and_b64 vcc, vcc, exec
	s_or_b64 s[64:65], s[48:49], vcc
.LBB166_6833:
	s_or_b64 exec, exec, s[54:55]
	s_andn2_b64 vcc, s[80:81], exec
	s_and_b64 s[48:49], s[66:67], exec
	s_or_b64 vcc, vcc, s[48:49]
	s_andn2_b64 s[48:49], s[68:69], exec
	s_and_b64 s[50:51], s[64:65], exec
	s_or_b64 s[68:69], s[48:49], s[50:51]
.LBB166_6834:
	s_or_b64 exec, exec, s[70:71]
	s_andn2_b64 s[48:49], s[80:81], exec
	s_and_b64 vcc, vcc, exec
	s_or_b64 s[80:81], s[48:49], vcc
	s_andn2_b64 s[4:5], s[4:5], exec
	s_and_b64 vcc, s[68:69], exec
	s_or_b64 s[4:5], s[4:5], vcc
.LBB166_6835:
	s_or_b64 exec, exec, s[82:83]
	v_readlane_b32 vcc_lo, v41, 32
	v_readlane_b32 vcc_hi, v41, 33
	s_andn2_b64 vcc, vcc, exec
	s_and_b64 s[48:49], s[80:81], exec
	s_or_b64 s[80:81], vcc, s[48:49]
	s_and_b64 s[4:5], s[4:5], exec
                                        ; implicit-def: $vgpr6
                                        ; implicit-def: $vgpr4_vgpr5
.LBB166_6836:
	s_andn2_saveexec_b64 s[82:83], s[84:85]
	s_cbranch_execz .LBB166_6878
; %bb.6837:
	v_mov_b32_e32 v7, 4
	v_cmp_gt_i16_sdwa vcc, v13, v7 src0_sel:BYTE_0 src1_sel:DWORD
	s_and_saveexec_b64 s[48:49], vcc
	s_xor_b64 vcc, exec, s[48:49]
	s_cbranch_execz .LBB166_6859
; %bb.6838:
	v_mov_b32_e32 v7, 7
	v_cmp_gt_i16_sdwa s[48:49], v13, v7 src0_sel:BYTE_0 src1_sel:DWORD
	s_and_saveexec_b64 s[50:51], s[48:49]
	s_xor_b64 s[64:65], exec, s[50:51]
	s_cbranch_execz .LBB166_6848
; %bb.6839:
	v_mov_b32_e32 v7, 8
	v_cmp_gt_i16_sdwa s[48:49], v13, v7 src0_sel:BYTE_0 src1_sel:DWORD
	s_and_saveexec_b64 s[50:51], s[48:49]
	s_xor_b64 s[54:55], exec, s[50:51]
	;; [unrolled: 6-line block ×3, first 2 shown]
	s_cbranch_execz .LBB166_6842
; %bb.6841:
	v_cvt_f64_f32_e32 v[26:27], v6
	v_mov_b32_e32 v28, 0
	v_mov_b32_e32 v29, v28
                                        ; implicit-def: $vgpr6
	flat_store_dwordx4 v[4:5], v[26:29]
                                        ; implicit-def: $vgpr4_vgpr5
.LBB166_6842:
	s_andn2_saveexec_b64 s[50:51], s[50:51]
	s_cbranch_execz .LBB166_6844
; %bb.6843:
	v_mov_b32_e32 v7, 0
	flat_store_dwordx2 v[4:5], v[6:7]
.LBB166_6844:
	s_or_b64 exec, exec, s[50:51]
                                        ; implicit-def: $vgpr6
                                        ; implicit-def: $vgpr4_vgpr5
.LBB166_6845:
	s_andn2_saveexec_b64 s[50:51], s[54:55]
	s_cbranch_execz .LBB166_6847
; %bb.6846:
	v_cvt_f16_f32_e32 v6, v6
	flat_store_dword v[4:5], v6
.LBB166_6847:
	s_or_b64 exec, exec, s[50:51]
                                        ; implicit-def: $vgpr6
                                        ; implicit-def: $vgpr4_vgpr5
.LBB166_6848:
	s_andn2_saveexec_b64 s[64:65], s[64:65]
	s_cbranch_execz .LBB166_6858
; %bb.6849:
	v_mov_b32_e32 v7, 5
	v_cmp_gt_i16_sdwa s[48:49], v13, v7 src0_sel:BYTE_0 src1_sel:DWORD
	s_and_saveexec_b64 s[50:51], s[48:49]
	s_xor_b64 s[54:55], exec, s[50:51]
	s_cbranch_execz .LBB166_6855
; %bb.6850:
	v_mov_b32_e32 v7, 6
	v_cmp_gt_i16_sdwa s[48:49], v13, v7 src0_sel:BYTE_0 src1_sel:DWORD
	s_and_saveexec_b64 s[50:51], s[48:49]
	s_xor_b64 s[50:51], exec, s[50:51]
	s_cbranch_execz .LBB166_6852
; %bb.6851:
	v_cvt_f64_f32_e32 v[6:7], v6
	flat_store_dwordx2 v[4:5], v[6:7]
                                        ; implicit-def: $vgpr4_vgpr5
                                        ; implicit-def: $vgpr6
.LBB166_6852:
	s_andn2_saveexec_b64 s[50:51], s[50:51]
	s_cbranch_execz .LBB166_6854
; %bb.6853:
	flat_store_dword v[4:5], v6
.LBB166_6854:
	s_or_b64 exec, exec, s[50:51]
                                        ; implicit-def: $vgpr6
                                        ; implicit-def: $vgpr4_vgpr5
.LBB166_6855:
	s_andn2_saveexec_b64 s[50:51], s[54:55]
	s_cbranch_execz .LBB166_6857
; %bb.6856:
	v_cvt_f16_f32_e32 v6, v6
	flat_store_short v[4:5], v6
.LBB166_6857:
	s_or_b64 exec, exec, s[50:51]
.LBB166_6858:
	s_or_b64 exec, exec, s[64:65]
                                        ; implicit-def: $vgpr6
                                        ; implicit-def: $vgpr4_vgpr5
.LBB166_6859:
	s_andn2_saveexec_b64 s[70:71], vcc
	s_cbranch_execz .LBB166_6877
; %bb.6860:
	v_mov_b32_e32 v7, 1
	v_cmp_gt_i16_sdwa vcc, v13, v7 src0_sel:BYTE_0 src1_sel:DWORD
	s_and_saveexec_b64 s[48:49], vcc
	s_xor_b64 s[64:65], exec, s[48:49]
	s_cbranch_execz .LBB166_6870
; %bb.6861:
	v_mov_b32_e32 v7, 2
	v_cmp_gt_i16_sdwa vcc, v13, v7 src0_sel:BYTE_0 src1_sel:DWORD
	s_and_saveexec_b64 s[48:49], vcc
	s_xor_b64 s[66:67], exec, s[48:49]
	;; [unrolled: 6-line block ×3, first 2 shown]
	s_cbranch_execz .LBB166_6864
; %bb.6863:
	v_trunc_f32_e32 v6, v6
	s_mov_b32 s48, 0x2f800000
	v_mul_f32_e64 v7, |v6|, s48
	v_floor_f32_e32 v7, v7
	s_mov_b32 s48, 0xcf800000
	v_cvt_u32_f32_e32 v26, v7
	v_fma_f32 v7, v7, s48, |v6|
	v_cvt_u32_f32_e32 v7, v7
	v_ashrrev_i32_e32 v27, 31, v6
	v_xor_b32_e32 v26, v26, v27
	v_xor_b32_e32 v6, v7, v27
	v_sub_co_u32_e32 v6, vcc, v6, v27
	v_subb_co_u32_e32 v7, vcc, v26, v27, vcc
	flat_store_dwordx2 v[4:5], v[6:7]
                                        ; implicit-def: $vgpr6
                                        ; implicit-def: $vgpr4_vgpr5
.LBB166_6864:
	s_andn2_saveexec_b64 vcc, s[54:55]
	s_cbranch_execz .LBB166_6866
; %bb.6865:
	v_cvt_i32_f32_e32 v6, v6
	flat_store_dword v[4:5], v6
.LBB166_6866:
	s_or_b64 exec, exec, vcc
                                        ; implicit-def: $vgpr6
                                        ; implicit-def: $vgpr4_vgpr5
.LBB166_6867:
	s_andn2_saveexec_b64 vcc, s[66:67]
	s_cbranch_execz .LBB166_6869
; %bb.6868:
	v_cvt_i32_f32_e32 v6, v6
	flat_store_short v[4:5], v6
.LBB166_6869:
	s_or_b64 exec, exec, vcc
                                        ; implicit-def: $vgpr6
                                        ; implicit-def: $vgpr4_vgpr5
.LBB166_6870:
	s_andn2_saveexec_b64 vcc, s[64:65]
	s_cbranch_execz .LBB166_6876
; %bb.6871:
	v_mov_b32_e32 v7, 0
	v_cmp_gt_i16_sdwa s[48:49], v13, v7 src0_sel:BYTE_0 src1_sel:DWORD
	s_and_saveexec_b64 s[50:51], s[48:49]
	s_xor_b64 s[50:51], exec, s[50:51]
	s_cbranch_execz .LBB166_6873
; %bb.6872:
	v_cvt_i32_f32_e32 v6, v6
	flat_store_byte v[4:5], v6
                                        ; implicit-def: $vgpr6
                                        ; implicit-def: $vgpr4_vgpr5
.LBB166_6873:
	s_andn2_saveexec_b64 s[54:55], s[50:51]
	s_cbranch_execz .LBB166_6875
; %bb.6874:
	v_trunc_f32_e32 v6, v6
	s_mov_b32 s48, 0x2f800000
	v_mul_f32_e64 v7, |v6|, s48
	v_floor_f32_e32 v7, v7
	s_mov_b32 s48, 0xcf800000
	v_fma_f32 v7, v7, s48, |v6|
	v_cvt_u32_f32_e32 v7, v7
	v_ashrrev_i32_e32 v6, 31, v6
	v_xor_b32_e32 v7, v7, v6
	v_sub_u32_e32 v6, v7, v6
	flat_store_byte v[4:5], v6
.LBB166_6875:
	s_or_b64 exec, exec, s[54:55]
.LBB166_6876:
	s_or_b64 exec, exec, vcc
.LBB166_6877:
	s_or_b64 exec, exec, s[70:71]
	s_or_b64 s[4:5], s[4:5], exec
.LBB166_6878:
	s_or_b64 exec, exec, s[82:83]
	s_mov_b64 s[54:55], 0
	s_mov_b64 vcc, 0
	s_and_saveexec_b64 s[52:53], s[4:5]
; %bb.6879:
	v_add_u32_e32 v17, 0x200, v17
	v_cmp_lt_i32_e32 vcc, v17, v8
	s_mov_b64 s[54:55], exec
	s_and_b64 vcc, vcc, exec
; %bb.6880:
	s_or_b64 exec, exec, s[52:53]
	v_readlane_b32 s4, v41, 32
	v_readlane_b32 s5, v41, 33
	s_andn2_b64 s[4:5], s[4:5], exec
	s_and_b64 s[48:49], s[80:81], exec
	s_or_b64 s[4:5], s[4:5], s[48:49]
	v_writelane_b32 v41, s4, 38
	s_and_b64 vcc, vcc, exec
	v_writelane_b32 v41, s5, 39
	s_orn2_b64 s[64:65], s[54:55], exec
.LBB166_6881:
	s_or_b64 exec, exec, s[86:87]
	s_mov_b64 s[4:5], 0
	s_mov_b64 s[54:55], 0
                                        ; implicit-def: $vgpr4
                                        ; implicit-def: $vgpr112
                                        ; implicit-def: $vgpr6_vgpr7
	s_mov_b64 s[48:49], exec
	v_writelane_b32 v41, s48, 40
	v_writelane_b32 v41, s49, 41
	s_and_b64 s[48:49], s[48:49], s[64:65]
	s_mov_b64 exec, s[48:49]
	s_cbranch_execz .LBB166_7743
; %bb.6882:
	v_readlane_b32 s4, v41, 38
	v_readlane_b32 s5, v41, 39
	v_writelane_b32 v41, s4, 42
	s_mov_b64 s[64:65], -1
	v_writelane_b32 v41, s5, 43
	s_mov_b64 s[4:5], 0
	s_and_saveexec_b64 s[86:87], vcc
	s_cbranch_execz .LBB166_7010
; %bb.6883:
	v_readlane_b32 s4, v41, 2
	v_add_u32_e32 v4, s4, v17
	v_mul_lo_u32 v4, v4, v14
	v_mov_b32_e32 v7, 10
	v_readlane_b32 s80, v41, 38
	s_mov_b64 s[4:5], 0
	v_add_co_u32_e32 v4, vcc, v2, v4
	v_addc_co_u32_e32 v5, vcc, 0, v3, vcc
	s_waitcnt vmcnt(0)
	v_cmp_nle_f32_e32 vcc, v25, v0
	v_cndmask_b32_e32 v6, v1, v24, vcc
	v_cmp_gt_i16_sdwa vcc, v13, v7 src0_sel:BYTE_0 src1_sel:DWORD
	v_readlane_b32 s81, v41, 39
	s_and_saveexec_b64 s[48:49], vcc
	s_xor_b64 s[84:85], exec, s[48:49]
	s_cbranch_execz .LBB166_6965
; %bb.6884:
	v_mov_b32_e32 v7, 25
	v_readlane_b32 s80, v41, 38
	v_cmp_gt_i16_sdwa vcc, v13, v7 src0_sel:BYTE_0 src1_sel:DWORD
	v_readlane_b32 s81, v41, 39
	s_and_saveexec_b64 s[48:49], vcc
	s_xor_b64 s[82:83], exec, s[48:49]
	s_cbranch_execz .LBB166_6920
; %bb.6885:
	v_mov_b32_e32 v7, 28
	v_readlane_b32 s80, v41, 38
	v_cmp_gt_i16_sdwa vcc, v13, v7 src0_sel:BYTE_0 src1_sel:DWORD
	v_readlane_b32 s81, v41, 39
	s_and_saveexec_b64 s[48:49], vcc
	s_xor_b64 s[70:71], exec, s[48:49]
	s_cbranch_execz .LBB166_6903
; %bb.6886:
	v_mov_b32_e32 v7, 43
	v_readlane_b32 vcc_lo, v41, 38
	v_cmp_gt_i16_sdwa s[48:49], v13, v7 src0_sel:BYTE_0 src1_sel:DWORD
	v_readlane_b32 vcc_hi, v41, 39
	s_and_saveexec_b64 s[50:51], s[48:49]
	s_xor_b64 s[80:81], exec, s[50:51]
	s_cbranch_execz .LBB166_6898
; %bb.6887:
	v_mov_b32_e32 v7, 45
	v_readlane_b32 s64, v41, 38
	v_cmp_gt_i16_sdwa s[4:5], v13, v7 src0_sel:BYTE_0 src1_sel:DWORD
	s_mov_b64 s[68:69], 0
	v_readlane_b32 s65, v41, 39
	s_and_saveexec_b64 vcc, s[4:5]
	s_xor_b64 s[4:5], exec, vcc
	s_cbranch_execz .LBB166_6891
; %bb.6888:
	v_mov_b32_e32 v7, 46
	v_cmp_eq_u16_sdwa s[48:49], v13, v7 src0_sel:BYTE_0 src1_sel:DWORD
	s_mov_b64 vcc, -1
	s_and_saveexec_b64 s[64:65], s[48:49]
	s_cbranch_execz .LBB166_6890
; %bb.6889:
	v_bfe_u32 v7, v6, 16, 1
	s_movk_i32 vcc_lo, 0x7fff
	v_add3_u32 v7, v6, v7, vcc_lo
	v_cmp_o_f32_e32 vcc, v6, v6
	v_mov_b32_e32 v6, 0x7fc0
	v_cndmask_b32_sdwa v6, v6, v7, vcc dst_sel:DWORD dst_unused:UNUSED_PAD src0_sel:DWORD src1_sel:WORD_1
	s_mov_b64 s[54:55], exec
	flat_store_dword v[4:5], v6
	s_xor_b64 vcc, exec, -1
.LBB166_6890:
	s_or_b64 exec, exec, s[64:65]
	v_readlane_b32 s48, v41, 38
	v_readlane_b32 s49, v41, 39
	s_andn2_b64 s[48:49], s[48:49], exec
	s_and_b64 vcc, vcc, exec
	s_or_b64 s[64:65], s[48:49], vcc
	s_and_b64 s[68:69], s[54:55], exec
                                        ; implicit-def: $vgpr4_vgpr5
                                        ; implicit-def: $vgpr6
.LBB166_6891:
	s_andn2_saveexec_b64 s[66:67], s[4:5]
	s_cbranch_execz .LBB166_6897
; %bb.6892:
	v_mov_b32_e32 v7, 44
	v_cmp_eq_u16_sdwa s[48:49], v13, v7 src0_sel:BYTE_0 src1_sel:DWORD
	s_mov_b64 vcc, -1
	s_mov_b64 s[4:5], s[68:69]
	s_and_saveexec_b64 s[54:55], s[48:49]
	s_cbranch_execz .LBB166_6896
; %bb.6893:
	v_bfe_u32 v7, v6, 23, 8
	s_movk_i32 s4, 0xff
	v_cmp_ne_u32_e32 vcc, s4, v7
	v_mov_b32_e32 v24, 0xff
	s_and_saveexec_b64 s[52:53], vcc
; %bb.6894:
	s_mov_b32 s4, 0x3fffff
	v_lshrrev_b32_e32 v24, 23, v6
	v_and_b32_e32 v25, 0x400000, v6
	v_and_or_b32 v6, v6, s4, v7
	v_cmp_ne_u32_e32 vcc, 0, v25
	v_cmp_ne_u32_e64 s[4:5], 0, v6
	s_and_b64 s[4:5], vcc, s[4:5]
	v_cndmask_b32_e64 v6, 0, 1, s[4:5]
	v_add_u32_e32 v24, v24, v6
; %bb.6895:
	s_or_b64 exec, exec, s[52:53]
	s_xor_b64 vcc, exec, -1
	s_or_b64 s[4:5], s[68:69], exec
	flat_store_byte v[4:5], v24
.LBB166_6896:
	s_or_b64 exec, exec, s[54:55]
	s_andn2_b64 s[48:49], s[64:65], exec
	s_and_b64 vcc, vcc, exec
	s_or_b64 s[64:65], s[48:49], vcc
	s_andn2_b64 vcc, s[68:69], exec
	s_and_b64 s[4:5], s[4:5], exec
	s_or_b64 s[68:69], vcc, s[4:5]
.LBB166_6897:
	s_or_b64 exec, exec, s[66:67]
	v_readlane_b32 s4, v41, 38
	v_readlane_b32 s5, v41, 39
	s_andn2_b64 s[4:5], s[4:5], exec
	s_and_b64 vcc, s[64:65], exec
	s_or_b64 vcc, s[4:5], vcc
	s_and_b64 s[4:5], s[68:69], exec
                                        ; implicit-def: $vgpr6
                                        ; implicit-def: $vgpr4_vgpr5
.LBB166_6898:
	s_andn2_saveexec_b64 s[64:65], s[80:81]
	s_cbranch_execz .LBB166_6902
; %bb.6899:
	v_mov_b32_e32 v7, 29
	v_cmp_eq_u16_sdwa s[48:49], v13, v7 src0_sel:BYTE_0 src1_sel:DWORD
	s_mov_b64 s[66:67], -1
	s_mov_b64 s[52:53], s[4:5]
	s_and_saveexec_b64 s[54:55], s[48:49]
	s_cbranch_execz .LBB166_6901
; %bb.6900:
	v_trunc_f32_e32 v6, v6
	v_mul_f32_e32 v7, 0x2f800000, v6
	v_floor_f32_e32 v24, v7
	v_fmac_f32_e32 v6, 0xcf800000, v24
	v_cvt_u32_f32_e32 v7, v24
	v_cvt_u32_f32_e32 v6, v6
	s_xor_b64 s[66:67], exec, -1
	s_or_b64 s[52:53], s[4:5], exec
	flat_store_dwordx2 v[4:5], v[6:7]
.LBB166_6901:
	s_or_b64 exec, exec, s[54:55]
	s_andn2_b64 vcc, vcc, exec
	s_and_b64 s[48:49], s[66:67], exec
	s_or_b64 vcc, vcc, s[48:49]
	s_andn2_b64 s[4:5], s[4:5], exec
	s_and_b64 s[48:49], s[52:53], exec
	s_or_b64 s[4:5], s[4:5], s[48:49]
.LBB166_6902:
	s_or_b64 exec, exec, s[64:65]
	v_readlane_b32 s48, v41, 38
	v_readlane_b32 s49, v41, 39
	s_andn2_b64 s[48:49], s[48:49], exec
	s_and_b64 vcc, vcc, exec
	s_or_b64 s[80:81], s[48:49], vcc
	s_and_b64 s[4:5], s[4:5], exec
                                        ; implicit-def: $vgpr4_vgpr5
                                        ; implicit-def: $vgpr6
.LBB166_6903:
	s_andn2_saveexec_b64 s[70:71], s[70:71]
	s_cbranch_execz .LBB166_6919
; %bb.6904:
	v_mov_b32_e32 v7, 26
	v_cmp_gt_i16_sdwa vcc, v13, v7 src0_sel:BYTE_0 src1_sel:DWORD
	s_and_saveexec_b64 s[48:49], vcc
	s_xor_b64 vcc, exec, s[48:49]
	s_cbranch_execz .LBB166_6910
; %bb.6905:
	v_cvt_u32_f32_e32 v6, v6
	v_mov_b32_e32 v7, 27
	v_cmp_gt_i16_sdwa s[48:49], v13, v7 src0_sel:BYTE_0 src1_sel:DWORD
	s_and_saveexec_b64 s[50:51], s[48:49]
	s_xor_b64 s[50:51], exec, s[50:51]
	s_cbranch_execz .LBB166_6907
; %bb.6906:
	flat_store_dword v[4:5], v6
                                        ; implicit-def: $vgpr4_vgpr5
                                        ; implicit-def: $vgpr6
.LBB166_6907:
	s_andn2_saveexec_b64 s[50:51], s[50:51]
	s_cbranch_execz .LBB166_6909
; %bb.6908:
	flat_store_short v[4:5], v6
.LBB166_6909:
	s_or_b64 exec, exec, s[50:51]
                                        ; implicit-def: $vgpr4_vgpr5
                                        ; implicit-def: $vgpr6
.LBB166_6910:
	s_andn2_saveexec_b64 s[64:65], vcc
	s_cbranch_execz .LBB166_6918
; %bb.6911:
	v_and_b32_e32 v7, 0x7fffffff, v6
	s_mov_b32 vcc_lo, 0x43800000
	v_cmp_gt_u32_e32 vcc, vcc_lo, v7
	v_mov_b32_e32 v24, 0x80
	s_and_saveexec_b64 s[66:67], vcc
	s_cbranch_execz .LBB166_6917
; %bb.6912:
	s_mov_b32 vcc_lo, 0x3bffffff
	v_cmp_lt_u32_e32 vcc, vcc_lo, v7
	s_mov_b64 s[54:55], 0
                                        ; implicit-def: $vgpr7
	s_and_saveexec_b64 s[48:49], vcc
	s_xor_b64 vcc, exec, s[48:49]
	s_cbranch_execnz .LBB166_7915
; %bb.6913:
	s_andn2_saveexec_b64 s[68:69], vcc
	s_cbranch_execnz .LBB166_7916
.LBB166_6914:
	s_or_b64 exec, exec, s[68:69]
	v_mov_b32_e32 v24, 0
	s_and_saveexec_b64 vcc, s[54:55]
.LBB166_6915:
	v_lshrrev_b32_e32 v6, 24, v6
	s_movk_i32 s48, 0x80
	v_and_or_b32 v24, v6, s48, v7
.LBB166_6916:
	s_or_b64 exec, exec, vcc
.LBB166_6917:
	s_or_b64 exec, exec, s[66:67]
	flat_store_byte v[4:5], v24
.LBB166_6918:
	s_or_b64 exec, exec, s[64:65]
	s_or_b64 s[4:5], s[4:5], exec
.LBB166_6919:
	s_or_b64 exec, exec, s[70:71]
	v_readlane_b32 vcc_lo, v41, 38
	v_readlane_b32 vcc_hi, v41, 39
	s_andn2_b64 vcc, vcc, exec
	s_and_b64 s[48:49], s[80:81], exec
	s_or_b64 s[80:81], vcc, s[48:49]
	s_and_b64 s[4:5], s[4:5], exec
                                        ; implicit-def: $vgpr6
                                        ; implicit-def: $vgpr4_vgpr5
.LBB166_6920:
	s_andn2_saveexec_b64 s[82:83], s[82:83]
	s_cbranch_execz .LBB166_6964
; %bb.6921:
	v_mov_b32_e32 v7, 22
	v_cmp_gt_i16_sdwa vcc, v13, v7 src0_sel:BYTE_0 src1_sel:DWORD
	s_mov_b64 s[68:69], s[4:5]
	s_and_saveexec_b64 s[48:49], vcc
	s_xor_b64 s[70:71], exec, s[48:49]
	s_cbranch_execz .LBB166_6953
; %bb.6922:
	v_mov_b32_e32 v7, 23
	v_cmp_gt_i16_sdwa vcc, v13, v7 src0_sel:BYTE_0 src1_sel:DWORD
	s_and_saveexec_b64 s[48:49], vcc
	s_xor_b64 s[48:49], exec, s[48:49]
	v_writelane_b32 v41, s48, 42
	v_writelane_b32 v41, s49, 43
	s_cbranch_execz .LBB166_6942
; %bb.6923:
	v_mov_b32_e32 v7, 24
	v_cmp_gt_i16_sdwa vcc, v13, v7 src0_sel:BYTE_0 src1_sel:DWORD
	s_and_saveexec_b64 s[48:49], vcc
	s_xor_b64 s[64:65], exec, s[48:49]
	s_cbranch_execz .LBB166_6931
; %bb.6924:
	v_and_b32_e32 v7, 0x7fffffff, v6
	s_mov_b32 vcc_lo, 0x47800000
	v_cmp_gt_u32_e32 vcc, vcc_lo, v7
	v_mov_b32_e32 v24, 0x80
	s_and_saveexec_b64 s[66:67], vcc
	s_cbranch_execz .LBB166_6930
; %bb.6925:
	s_mov_b32 vcc_lo, 0x37ffffff
	v_cmp_lt_u32_e32 vcc, vcc_lo, v7
	s_mov_b64 s[54:55], 0
                                        ; implicit-def: $vgpr7
	s_and_saveexec_b64 s[48:49], vcc
	s_xor_b64 vcc, exec, s[48:49]
	s_cbranch_execnz .LBB166_7917
; %bb.6926:
	s_andn2_saveexec_b64 s[68:69], vcc
	s_cbranch_execnz .LBB166_7918
.LBB166_6927:
	s_or_b64 exec, exec, s[68:69]
	v_mov_b32_e32 v24, 0
	s_and_saveexec_b64 vcc, s[54:55]
.LBB166_6928:
	v_lshrrev_b32_e32 v6, 24, v6
	s_movk_i32 s48, 0x80
	v_and_or_b32 v24, v6, s48, v7
.LBB166_6929:
	s_or_b64 exec, exec, vcc
.LBB166_6930:
	s_or_b64 exec, exec, s[66:67]
	flat_store_byte v[4:5], v24
                                        ; implicit-def: $vgpr6
                                        ; implicit-def: $vgpr4_vgpr5
.LBB166_6931:
	s_andn2_saveexec_b64 s[64:65], s[64:65]
	s_cbranch_execz .LBB166_6941
; %bb.6932:
	v_and_b32_e32 v24, 0x7fffffff, v6
	s_mov_b32 vcc_lo, 0x43f00000
	v_cmp_gt_u32_e32 vcc, vcc_lo, v24
                                        ; implicit-def: $vgpr7
	s_and_saveexec_b64 s[48:49], vcc
	s_xor_b64 s[66:67], exec, s[48:49]
	s_cbranch_execz .LBB166_6938
; %bb.6933:
	s_mov_b32 vcc_lo, 0x3c7fffff
	v_cmp_lt_u32_e32 vcc, vcc_lo, v24
                                        ; implicit-def: $vgpr7
	s_and_saveexec_b64 s[48:49], vcc
	s_xor_b64 s[52:53], exec, s[48:49]
; %bb.6934:
	v_bfe_u32 v7, v6, 20, 1
	s_mov_b32 vcc_lo, 0x407ffff
	v_add3_u32 v7, v6, v7, vcc_lo
	v_lshrrev_b32_e32 v24, 20, v7
	v_and_b32_e32 v7, 0xff00000, v7
	s_mov_b32 vcc_lo, 0x7f00000
	v_mov_b32_e32 v25, 0x7e
	v_cmp_ne_u32_e32 vcc, vcc_lo, v7
	v_cndmask_b32_e32 v7, v25, v24, vcc
; %bb.6935:
	s_andn2_saveexec_b64 vcc, s[52:53]
; %bb.6936:
	s_mov_b32 s48, 0x46800000
	v_add_f32_e64 v7, |v6|, s48
; %bb.6937:
	s_or_b64 exec, exec, vcc
                                        ; implicit-def: $vgpr24
.LBB166_6938:
	s_andn2_saveexec_b64 s[52:53], s[66:67]
; %bb.6939:
	s_mov_b32 vcc_lo, 0x7f800000
	v_mov_b32_e32 v7, 0x7e
	v_mov_b32_e32 v25, 0x7f
	v_cmp_lt_u32_e32 vcc, vcc_lo, v24
	v_cndmask_b32_e32 v7, v7, v25, vcc
; %bb.6940:
	s_or_b64 exec, exec, s[52:53]
	v_lshrrev_b32_e32 v6, 24, v6
	s_movk_i32 vcc_lo, 0x80
	v_and_or_b32 v6, v6, vcc_lo, v7
	flat_store_byte v[4:5], v6
.LBB166_6941:
	s_or_b64 exec, exec, s[64:65]
                                        ; implicit-def: $vgpr6
                                        ; implicit-def: $vgpr4_vgpr5
.LBB166_6942:
	v_readlane_b32 vcc_lo, v41, 42
	v_readlane_b32 vcc_hi, v41, 43
	s_andn2_saveexec_b64 s[64:65], vcc
	s_cbranch_execz .LBB166_6952
; %bb.6943:
	v_and_b32_e32 v24, 0x7fffffff, v6
	s_mov_b32 vcc_lo, 0x47800000
	v_cmp_gt_u32_e32 vcc, vcc_lo, v24
                                        ; implicit-def: $vgpr7
	s_and_saveexec_b64 s[48:49], vcc
	s_xor_b64 s[54:55], exec, s[48:49]
	s_cbranch_execz .LBB166_6949
; %bb.6944:
	s_mov_b32 vcc_lo, 0x387fffff
	v_cmp_lt_u32_e32 vcc, vcc_lo, v24
                                        ; implicit-def: $vgpr7
	s_and_saveexec_b64 s[48:49], vcc
	s_xor_b64 vcc, exec, s[48:49]
; %bb.6945:
	v_bfe_u32 v7, v6, 21, 1
	s_mov_b32 s48, 0x80fffff
	v_add3_u32 v7, v6, v7, s48
	v_lshrrev_b32_e32 v7, 21, v7
; %bb.6946:
	s_andn2_saveexec_b64 vcc, vcc
; %bb.6947:
	s_mov_b32 s48, 0x43000000
	v_add_f32_e64 v7, |v6|, s48
; %bb.6948:
	s_or_b64 exec, exec, vcc
                                        ; implicit-def: $vgpr24
.LBB166_6949:
	s_andn2_saveexec_b64 s[52:53], s[54:55]
; %bb.6950:
	s_mov_b32 vcc_lo, 0x7f800000
	v_mov_b32_e32 v7, 0x7c
	v_mov_b32_e32 v25, 0x7f
	v_cmp_lt_u32_e32 vcc, vcc_lo, v24
	v_cndmask_b32_e32 v7, v7, v25, vcc
; %bb.6951:
	s_or_b64 exec, exec, s[52:53]
	v_lshrrev_b32_e32 v6, 24, v6
	s_movk_i32 vcc_lo, 0x80
	v_and_or_b32 v6, v6, vcc_lo, v7
	flat_store_byte v[4:5], v6
.LBB166_6952:
	s_or_b64 exec, exec, s[64:65]
	s_or_b64 s[68:69], s[4:5], exec
                                        ; implicit-def: $vgpr6
                                        ; implicit-def: $vgpr4_vgpr5
.LBB166_6953:
	s_or_saveexec_b64 s[70:71], s[70:71]
	s_mov_b64 vcc, s[80:81]
	s_xor_b64 exec, exec, s[70:71]
	s_cbranch_execz .LBB166_6963
; %bb.6954:
	v_mov_b32_e32 v7, 14
	v_cmp_gt_i16_sdwa vcc, v13, v7 src0_sel:BYTE_0 src1_sel:DWORD
	s_mov_b64 s[64:65], s[68:69]
	s_mov_b64 s[66:67], s[80:81]
	s_and_saveexec_b64 s[48:49], vcc
	s_xor_b64 s[54:55], exec, s[48:49]
	s_cbranch_execz .LBB166_6958
; %bb.6955:
	v_mov_b32_e32 v7, 15
	v_cmp_eq_u16_sdwa s[48:49], v13, v7 src0_sel:BYTE_0 src1_sel:DWORD
	s_mov_b64 s[52:53], -1
	s_mov_b64 vcc, s[68:69]
	s_and_saveexec_b64 s[64:65], s[48:49]
	s_cbranch_execz .LBB166_6957
; %bb.6956:
	v_bfe_u32 v7, v6, 16, 1
	s_movk_i32 vcc_lo, 0x7fff
	v_add3_u32 v7, v6, v7, vcc_lo
	v_cmp_o_f32_e32 vcc, v6, v6
	v_mov_b32_e32 v6, 0x7fc0
	v_cndmask_b32_sdwa v6, v6, v7, vcc dst_sel:DWORD dst_unused:UNUSED_PAD src0_sel:DWORD src1_sel:WORD_1
	flat_store_short v[4:5], v6
	s_xor_b64 s[52:53], exec, -1
	s_or_b64 vcc, s[68:69], exec
.LBB166_6957:
	s_or_b64 exec, exec, s[64:65]
	s_andn2_b64 s[48:49], s[80:81], exec
	s_and_b64 s[50:51], s[52:53], exec
	s_or_b64 s[66:67], s[48:49], s[50:51]
	s_andn2_b64 s[48:49], s[68:69], exec
	s_and_b64 vcc, vcc, exec
	s_or_b64 s[64:65], s[48:49], vcc
                                        ; implicit-def: $vgpr6
                                        ; implicit-def: $vgpr4_vgpr5
.LBB166_6958:
	s_andn2_saveexec_b64 s[54:55], s[54:55]
	s_cbranch_execz .LBB166_6962
; %bb.6959:
	v_mov_b32_e32 v7, 11
	v_cmp_eq_u16_sdwa s[48:49], v13, v7 src0_sel:BYTE_0 src1_sel:DWORD
	s_mov_b64 s[52:53], -1
	s_mov_b64 vcc, s[64:65]
	s_and_saveexec_b64 s[50:51], s[48:49]
	s_cbranch_execz .LBB166_6961
; %bb.6960:
	v_cmp_neq_f32_e32 vcc, 0, v6
	v_cndmask_b32_e64 v6, 0, 1, vcc
	flat_store_byte v[4:5], v6
	s_xor_b64 s[52:53], exec, -1
	s_or_b64 vcc, s[64:65], exec
.LBB166_6961:
	s_or_b64 exec, exec, s[50:51]
	s_andn2_b64 s[48:49], s[66:67], exec
	s_and_b64 s[50:51], s[52:53], exec
	s_or_b64 s[66:67], s[48:49], s[50:51]
	s_andn2_b64 s[48:49], s[64:65], exec
	s_and_b64 vcc, vcc, exec
	s_or_b64 s[64:65], s[48:49], vcc
.LBB166_6962:
	s_or_b64 exec, exec, s[54:55]
	s_andn2_b64 vcc, s[80:81], exec
	s_and_b64 s[48:49], s[66:67], exec
	s_or_b64 vcc, vcc, s[48:49]
	s_andn2_b64 s[48:49], s[68:69], exec
	s_and_b64 s[50:51], s[64:65], exec
	s_or_b64 s[68:69], s[48:49], s[50:51]
.LBB166_6963:
	s_or_b64 exec, exec, s[70:71]
	s_andn2_b64 s[48:49], s[80:81], exec
	s_and_b64 vcc, vcc, exec
	s_or_b64 s[80:81], s[48:49], vcc
	s_andn2_b64 s[4:5], s[4:5], exec
	s_and_b64 vcc, s[68:69], exec
	s_or_b64 s[4:5], s[4:5], vcc
.LBB166_6964:
	s_or_b64 exec, exec, s[82:83]
	v_readlane_b32 vcc_lo, v41, 38
	v_readlane_b32 vcc_hi, v41, 39
	s_andn2_b64 vcc, vcc, exec
	s_and_b64 s[48:49], s[80:81], exec
	s_or_b64 s[80:81], vcc, s[48:49]
	s_and_b64 s[4:5], s[4:5], exec
                                        ; implicit-def: $vgpr6
                                        ; implicit-def: $vgpr4_vgpr5
.LBB166_6965:
	s_andn2_saveexec_b64 s[82:83], s[84:85]
	s_cbranch_execz .LBB166_7007
; %bb.6966:
	v_mov_b32_e32 v7, 4
	v_cmp_gt_i16_sdwa vcc, v13, v7 src0_sel:BYTE_0 src1_sel:DWORD
	s_and_saveexec_b64 s[48:49], vcc
	s_xor_b64 vcc, exec, s[48:49]
	s_cbranch_execz .LBB166_6988
; %bb.6967:
	v_mov_b32_e32 v7, 7
	v_cmp_gt_i16_sdwa s[48:49], v13, v7 src0_sel:BYTE_0 src1_sel:DWORD
	s_and_saveexec_b64 s[50:51], s[48:49]
	s_xor_b64 s[64:65], exec, s[50:51]
	s_cbranch_execz .LBB166_6977
; %bb.6968:
	v_mov_b32_e32 v7, 8
	v_cmp_gt_i16_sdwa s[48:49], v13, v7 src0_sel:BYTE_0 src1_sel:DWORD
	s_and_saveexec_b64 s[50:51], s[48:49]
	s_xor_b64 s[54:55], exec, s[50:51]
	;; [unrolled: 6-line block ×3, first 2 shown]
	s_cbranch_execz .LBB166_6971
; %bb.6970:
	v_cvt_f64_f32_e32 v[24:25], v6
	v_mov_b32_e32 v26, 0
	v_mov_b32_e32 v27, v26
                                        ; implicit-def: $vgpr6
	flat_store_dwordx4 v[4:5], v[24:27]
                                        ; implicit-def: $vgpr4_vgpr5
.LBB166_6971:
	s_andn2_saveexec_b64 s[50:51], s[50:51]
	s_cbranch_execz .LBB166_6973
; %bb.6972:
	v_mov_b32_e32 v7, 0
	flat_store_dwordx2 v[4:5], v[6:7]
.LBB166_6973:
	s_or_b64 exec, exec, s[50:51]
                                        ; implicit-def: $vgpr6
                                        ; implicit-def: $vgpr4_vgpr5
.LBB166_6974:
	s_andn2_saveexec_b64 s[50:51], s[54:55]
	s_cbranch_execz .LBB166_6976
; %bb.6975:
	v_cvt_f16_f32_e32 v6, v6
	flat_store_dword v[4:5], v6
.LBB166_6976:
	s_or_b64 exec, exec, s[50:51]
                                        ; implicit-def: $vgpr6
                                        ; implicit-def: $vgpr4_vgpr5
.LBB166_6977:
	s_andn2_saveexec_b64 s[64:65], s[64:65]
	s_cbranch_execz .LBB166_6987
; %bb.6978:
	v_mov_b32_e32 v7, 5
	v_cmp_gt_i16_sdwa s[48:49], v13, v7 src0_sel:BYTE_0 src1_sel:DWORD
	s_and_saveexec_b64 s[50:51], s[48:49]
	s_xor_b64 s[54:55], exec, s[50:51]
	s_cbranch_execz .LBB166_6984
; %bb.6979:
	v_mov_b32_e32 v7, 6
	v_cmp_gt_i16_sdwa s[48:49], v13, v7 src0_sel:BYTE_0 src1_sel:DWORD
	s_and_saveexec_b64 s[50:51], s[48:49]
	s_xor_b64 s[50:51], exec, s[50:51]
	s_cbranch_execz .LBB166_6981
; %bb.6980:
	v_cvt_f64_f32_e32 v[6:7], v6
	flat_store_dwordx2 v[4:5], v[6:7]
                                        ; implicit-def: $vgpr4_vgpr5
                                        ; implicit-def: $vgpr6
.LBB166_6981:
	s_andn2_saveexec_b64 s[50:51], s[50:51]
	s_cbranch_execz .LBB166_6983
; %bb.6982:
	flat_store_dword v[4:5], v6
.LBB166_6983:
	s_or_b64 exec, exec, s[50:51]
                                        ; implicit-def: $vgpr6
                                        ; implicit-def: $vgpr4_vgpr5
.LBB166_6984:
	s_andn2_saveexec_b64 s[50:51], s[54:55]
	s_cbranch_execz .LBB166_6986
; %bb.6985:
	v_cvt_f16_f32_e32 v6, v6
	flat_store_short v[4:5], v6
.LBB166_6986:
	s_or_b64 exec, exec, s[50:51]
.LBB166_6987:
	s_or_b64 exec, exec, s[64:65]
                                        ; implicit-def: $vgpr6
                                        ; implicit-def: $vgpr4_vgpr5
.LBB166_6988:
	s_andn2_saveexec_b64 s[70:71], vcc
	s_cbranch_execz .LBB166_7006
; %bb.6989:
	v_mov_b32_e32 v7, 1
	v_cmp_gt_i16_sdwa vcc, v13, v7 src0_sel:BYTE_0 src1_sel:DWORD
	s_and_saveexec_b64 s[48:49], vcc
	s_xor_b64 s[64:65], exec, s[48:49]
	s_cbranch_execz .LBB166_6999
; %bb.6990:
	v_mov_b32_e32 v7, 2
	v_cmp_gt_i16_sdwa vcc, v13, v7 src0_sel:BYTE_0 src1_sel:DWORD
	s_and_saveexec_b64 s[48:49], vcc
	s_xor_b64 s[66:67], exec, s[48:49]
	;; [unrolled: 6-line block ×3, first 2 shown]
	s_cbranch_execz .LBB166_6993
; %bb.6992:
	v_trunc_f32_e32 v6, v6
	s_mov_b32 s48, 0x2f800000
	v_mul_f32_e64 v7, |v6|, s48
	v_floor_f32_e32 v7, v7
	s_mov_b32 s48, 0xcf800000
	v_cvt_u32_f32_e32 v24, v7
	v_fma_f32 v7, v7, s48, |v6|
	v_cvt_u32_f32_e32 v7, v7
	v_ashrrev_i32_e32 v25, 31, v6
	v_xor_b32_e32 v24, v24, v25
	v_xor_b32_e32 v6, v7, v25
	v_sub_co_u32_e32 v6, vcc, v6, v25
	v_subb_co_u32_e32 v7, vcc, v24, v25, vcc
	flat_store_dwordx2 v[4:5], v[6:7]
                                        ; implicit-def: $vgpr6
                                        ; implicit-def: $vgpr4_vgpr5
.LBB166_6993:
	s_andn2_saveexec_b64 vcc, s[54:55]
	s_cbranch_execz .LBB166_6995
; %bb.6994:
	v_cvt_i32_f32_e32 v6, v6
	flat_store_dword v[4:5], v6
.LBB166_6995:
	s_or_b64 exec, exec, vcc
                                        ; implicit-def: $vgpr6
                                        ; implicit-def: $vgpr4_vgpr5
.LBB166_6996:
	s_andn2_saveexec_b64 vcc, s[66:67]
	s_cbranch_execz .LBB166_6998
; %bb.6997:
	v_cvt_i32_f32_e32 v6, v6
	flat_store_short v[4:5], v6
.LBB166_6998:
	s_or_b64 exec, exec, vcc
                                        ; implicit-def: $vgpr6
                                        ; implicit-def: $vgpr4_vgpr5
.LBB166_6999:
	s_andn2_saveexec_b64 vcc, s[64:65]
	s_cbranch_execz .LBB166_7005
; %bb.7000:
	v_mov_b32_e32 v7, 0
	v_cmp_gt_i16_sdwa s[48:49], v13, v7 src0_sel:BYTE_0 src1_sel:DWORD
	s_and_saveexec_b64 s[50:51], s[48:49]
	s_xor_b64 s[50:51], exec, s[50:51]
	s_cbranch_execz .LBB166_7002
; %bb.7001:
	v_cvt_i32_f32_e32 v6, v6
	flat_store_byte v[4:5], v6
                                        ; implicit-def: $vgpr6
                                        ; implicit-def: $vgpr4_vgpr5
.LBB166_7002:
	s_andn2_saveexec_b64 s[54:55], s[50:51]
	s_cbranch_execz .LBB166_7004
; %bb.7003:
	v_trunc_f32_e32 v6, v6
	s_mov_b32 s48, 0x2f800000
	v_mul_f32_e64 v7, |v6|, s48
	v_floor_f32_e32 v7, v7
	s_mov_b32 s48, 0xcf800000
	v_fma_f32 v7, v7, s48, |v6|
	v_cvt_u32_f32_e32 v7, v7
	v_ashrrev_i32_e32 v6, 31, v6
	v_xor_b32_e32 v7, v7, v6
	v_sub_u32_e32 v6, v7, v6
	flat_store_byte v[4:5], v6
.LBB166_7004:
	s_or_b64 exec, exec, s[54:55]
.LBB166_7005:
	s_or_b64 exec, exec, vcc
.LBB166_7006:
	s_or_b64 exec, exec, s[70:71]
	s_or_b64 s[4:5], s[4:5], exec
.LBB166_7007:
	s_or_b64 exec, exec, s[82:83]
	s_mov_b64 s[54:55], 0
	s_mov_b64 vcc, 0
	s_and_saveexec_b64 s[52:53], s[4:5]
; %bb.7008:
	v_add_u32_e32 v17, 0x200, v17
	v_cmp_lt_i32_e32 vcc, v17, v8
	s_mov_b64 s[54:55], exec
	s_and_b64 vcc, vcc, exec
; %bb.7009:
	s_or_b64 exec, exec, s[52:53]
	s_and_b64 s[4:5], vcc, exec
	v_readlane_b32 vcc_lo, v41, 38
	v_readlane_b32 vcc_hi, v41, 39
	s_andn2_b64 vcc, vcc, exec
	s_and_b64 s[48:49], s[80:81], exec
	s_or_b64 vcc, vcc, s[48:49]
	v_writelane_b32 v41, vcc_lo, 42
	v_writelane_b32 v41, vcc_hi, 43
	s_orn2_b64 s[64:65], s[54:55], exec
.LBB166_7010:
	s_or_b64 exec, exec, s[86:87]
	s_mov_b64 vcc, 0
	s_mov_b64 s[54:55], 0
                                        ; implicit-def: $vgpr4
                                        ; implicit-def: $vgpr112
                                        ; implicit-def: $vgpr6_vgpr7
	s_mov_b64 s[48:49], exec
	v_writelane_b32 v41, s48, 44
	v_writelane_b32 v41, s49, 45
	s_and_b64 s[48:49], s[48:49], s[64:65]
	s_mov_b64 exec, s[48:49]
	s_cbranch_execz .LBB166_7742
; %bb.7011:
	v_readlane_b32 vcc_lo, v41, 42
	v_readlane_b32 vcc_hi, v41, 43
	v_writelane_b32 v41, vcc_lo, 46
	s_mov_b64 s[64:65], -1
	v_writelane_b32 v41, vcc_hi, 47
	s_mov_b64 vcc, 0
	s_and_saveexec_b64 s[86:87], s[4:5]
	s_cbranch_execz .LBB166_7139
; %bb.7012:
	v_readlane_b32 s4, v41, 2
	v_add_u32_e32 v4, s4, v17
	v_mul_lo_u32 v4, v4, v14
	v_mov_b32_e32 v7, 10
	v_readlane_b32 s80, v41, 42
	s_mov_b64 s[4:5], 0
	v_add_co_u32_e32 v4, vcc, v2, v4
	v_addc_co_u32_e32 v5, vcc, 0, v3, vcc
	s_waitcnt vmcnt(0)
	v_cmp_nle_f32_e32 vcc, v23, v0
	v_cndmask_b32_e32 v6, v1, v22, vcc
	v_cmp_gt_i16_sdwa vcc, v13, v7 src0_sel:BYTE_0 src1_sel:DWORD
	v_readlane_b32 s81, v41, 43
	s_and_saveexec_b64 s[48:49], vcc
	s_xor_b64 s[84:85], exec, s[48:49]
	s_cbranch_execz .LBB166_7094
; %bb.7013:
	v_mov_b32_e32 v7, 25
	v_readlane_b32 s80, v41, 42
	v_cmp_gt_i16_sdwa vcc, v13, v7 src0_sel:BYTE_0 src1_sel:DWORD
	v_readlane_b32 s81, v41, 43
	s_and_saveexec_b64 s[48:49], vcc
	s_xor_b64 s[82:83], exec, s[48:49]
	s_cbranch_execz .LBB166_7049
; %bb.7014:
	v_mov_b32_e32 v7, 28
	v_readlane_b32 s80, v41, 42
	v_cmp_gt_i16_sdwa vcc, v13, v7 src0_sel:BYTE_0 src1_sel:DWORD
	v_readlane_b32 s81, v41, 43
	s_and_saveexec_b64 s[48:49], vcc
	s_xor_b64 s[70:71], exec, s[48:49]
	s_cbranch_execz .LBB166_7032
; %bb.7015:
	v_mov_b32_e32 v7, 43
	v_readlane_b32 vcc_lo, v41, 42
	v_cmp_gt_i16_sdwa s[48:49], v13, v7 src0_sel:BYTE_0 src1_sel:DWORD
	v_readlane_b32 vcc_hi, v41, 43
	s_and_saveexec_b64 s[50:51], s[48:49]
	s_xor_b64 s[80:81], exec, s[50:51]
	s_cbranch_execz .LBB166_7027
; %bb.7016:
	v_mov_b32_e32 v7, 45
	v_readlane_b32 s64, v41, 42
	v_cmp_gt_i16_sdwa s[4:5], v13, v7 src0_sel:BYTE_0 src1_sel:DWORD
	s_mov_b64 s[68:69], 0
	v_readlane_b32 s65, v41, 43
	s_and_saveexec_b64 vcc, s[4:5]
	s_xor_b64 s[4:5], exec, vcc
	s_cbranch_execz .LBB166_7020
; %bb.7017:
	v_mov_b32_e32 v7, 46
	v_cmp_eq_u16_sdwa s[48:49], v13, v7 src0_sel:BYTE_0 src1_sel:DWORD
	s_mov_b64 vcc, -1
	s_and_saveexec_b64 s[64:65], s[48:49]
	s_cbranch_execz .LBB166_7019
; %bb.7018:
	v_bfe_u32 v7, v6, 16, 1
	s_movk_i32 vcc_lo, 0x7fff
	v_add3_u32 v7, v6, v7, vcc_lo
	v_cmp_o_f32_e32 vcc, v6, v6
	v_mov_b32_e32 v6, 0x7fc0
	v_cndmask_b32_sdwa v6, v6, v7, vcc dst_sel:DWORD dst_unused:UNUSED_PAD src0_sel:DWORD src1_sel:WORD_1
	s_mov_b64 s[54:55], exec
	flat_store_dword v[4:5], v6
	s_xor_b64 vcc, exec, -1
.LBB166_7019:
	s_or_b64 exec, exec, s[64:65]
	v_readlane_b32 s48, v41, 42
	v_readlane_b32 s49, v41, 43
	s_andn2_b64 s[48:49], s[48:49], exec
	s_and_b64 vcc, vcc, exec
	s_or_b64 s[64:65], s[48:49], vcc
	s_and_b64 s[68:69], s[54:55], exec
                                        ; implicit-def: $vgpr4_vgpr5
                                        ; implicit-def: $vgpr6
.LBB166_7020:
	s_andn2_saveexec_b64 s[66:67], s[4:5]
	s_cbranch_execz .LBB166_7026
; %bb.7021:
	v_mov_b32_e32 v7, 44
	v_cmp_eq_u16_sdwa s[48:49], v13, v7 src0_sel:BYTE_0 src1_sel:DWORD
	s_mov_b64 vcc, -1
	s_mov_b64 s[4:5], s[68:69]
	s_and_saveexec_b64 s[54:55], s[48:49]
	s_cbranch_execz .LBB166_7025
; %bb.7022:
	v_bfe_u32 v7, v6, 23, 8
	s_movk_i32 s4, 0xff
	v_cmp_ne_u32_e32 vcc, s4, v7
	v_mov_b32_e32 v22, 0xff
	s_and_saveexec_b64 s[52:53], vcc
; %bb.7023:
	s_mov_b32 s4, 0x3fffff
	v_lshrrev_b32_e32 v22, 23, v6
	v_and_b32_e32 v23, 0x400000, v6
	v_and_or_b32 v6, v6, s4, v7
	v_cmp_ne_u32_e32 vcc, 0, v23
	v_cmp_ne_u32_e64 s[4:5], 0, v6
	s_and_b64 s[4:5], vcc, s[4:5]
	v_cndmask_b32_e64 v6, 0, 1, s[4:5]
	v_add_u32_e32 v22, v22, v6
; %bb.7024:
	s_or_b64 exec, exec, s[52:53]
	s_xor_b64 vcc, exec, -1
	s_or_b64 s[4:5], s[68:69], exec
	flat_store_byte v[4:5], v22
.LBB166_7025:
	s_or_b64 exec, exec, s[54:55]
	s_andn2_b64 s[48:49], s[64:65], exec
	s_and_b64 vcc, vcc, exec
	s_or_b64 s[64:65], s[48:49], vcc
	s_andn2_b64 vcc, s[68:69], exec
	s_and_b64 s[4:5], s[4:5], exec
	s_or_b64 s[68:69], vcc, s[4:5]
.LBB166_7026:
	s_or_b64 exec, exec, s[66:67]
	v_readlane_b32 s4, v41, 42
	v_readlane_b32 s5, v41, 43
	s_andn2_b64 s[4:5], s[4:5], exec
	s_and_b64 vcc, s[64:65], exec
	s_or_b64 vcc, s[4:5], vcc
	s_and_b64 s[4:5], s[68:69], exec
                                        ; implicit-def: $vgpr6
                                        ; implicit-def: $vgpr4_vgpr5
.LBB166_7027:
	s_andn2_saveexec_b64 s[64:65], s[80:81]
	s_cbranch_execz .LBB166_7031
; %bb.7028:
	v_mov_b32_e32 v7, 29
	v_cmp_eq_u16_sdwa s[48:49], v13, v7 src0_sel:BYTE_0 src1_sel:DWORD
	s_mov_b64 s[66:67], -1
	s_mov_b64 s[52:53], s[4:5]
	s_and_saveexec_b64 s[54:55], s[48:49]
	s_cbranch_execz .LBB166_7030
; %bb.7029:
	v_trunc_f32_e32 v6, v6
	v_mul_f32_e32 v7, 0x2f800000, v6
	v_floor_f32_e32 v22, v7
	v_fmac_f32_e32 v6, 0xcf800000, v22
	v_cvt_u32_f32_e32 v7, v22
	v_cvt_u32_f32_e32 v6, v6
	s_xor_b64 s[66:67], exec, -1
	s_or_b64 s[52:53], s[4:5], exec
	flat_store_dwordx2 v[4:5], v[6:7]
.LBB166_7030:
	s_or_b64 exec, exec, s[54:55]
	s_andn2_b64 vcc, vcc, exec
	s_and_b64 s[48:49], s[66:67], exec
	s_or_b64 vcc, vcc, s[48:49]
	s_andn2_b64 s[4:5], s[4:5], exec
	s_and_b64 s[48:49], s[52:53], exec
	s_or_b64 s[4:5], s[4:5], s[48:49]
.LBB166_7031:
	s_or_b64 exec, exec, s[64:65]
	v_readlane_b32 s48, v41, 42
	v_readlane_b32 s49, v41, 43
	s_andn2_b64 s[48:49], s[48:49], exec
	s_and_b64 vcc, vcc, exec
	s_or_b64 s[80:81], s[48:49], vcc
	s_and_b64 s[4:5], s[4:5], exec
                                        ; implicit-def: $vgpr4_vgpr5
                                        ; implicit-def: $vgpr6
.LBB166_7032:
	s_andn2_saveexec_b64 s[70:71], s[70:71]
	s_cbranch_execz .LBB166_7048
; %bb.7033:
	v_mov_b32_e32 v7, 26
	v_cmp_gt_i16_sdwa vcc, v13, v7 src0_sel:BYTE_0 src1_sel:DWORD
	s_and_saveexec_b64 s[48:49], vcc
	s_xor_b64 vcc, exec, s[48:49]
	s_cbranch_execz .LBB166_7039
; %bb.7034:
	v_cvt_u32_f32_e32 v6, v6
	v_mov_b32_e32 v7, 27
	v_cmp_gt_i16_sdwa s[48:49], v13, v7 src0_sel:BYTE_0 src1_sel:DWORD
	s_and_saveexec_b64 s[50:51], s[48:49]
	s_xor_b64 s[50:51], exec, s[50:51]
	s_cbranch_execz .LBB166_7036
; %bb.7035:
	flat_store_dword v[4:5], v6
                                        ; implicit-def: $vgpr4_vgpr5
                                        ; implicit-def: $vgpr6
.LBB166_7036:
	s_andn2_saveexec_b64 s[50:51], s[50:51]
	s_cbranch_execz .LBB166_7038
; %bb.7037:
	flat_store_short v[4:5], v6
.LBB166_7038:
	s_or_b64 exec, exec, s[50:51]
                                        ; implicit-def: $vgpr4_vgpr5
                                        ; implicit-def: $vgpr6
.LBB166_7039:
	s_andn2_saveexec_b64 s[64:65], vcc
	s_cbranch_execz .LBB166_7047
; %bb.7040:
	v_and_b32_e32 v7, 0x7fffffff, v6
	s_mov_b32 vcc_lo, 0x43800000
	v_cmp_gt_u32_e32 vcc, vcc_lo, v7
	v_mov_b32_e32 v22, 0x80
	s_and_saveexec_b64 s[66:67], vcc
	s_cbranch_execz .LBB166_7046
; %bb.7041:
	s_mov_b32 vcc_lo, 0x3bffffff
	v_cmp_lt_u32_e32 vcc, vcc_lo, v7
	s_mov_b64 s[54:55], 0
                                        ; implicit-def: $vgpr7
	s_and_saveexec_b64 s[48:49], vcc
	s_xor_b64 vcc, exec, s[48:49]
	s_cbranch_execnz .LBB166_7919
; %bb.7042:
	s_andn2_saveexec_b64 s[68:69], vcc
	s_cbranch_execnz .LBB166_7920
.LBB166_7043:
	s_or_b64 exec, exec, s[68:69]
	v_mov_b32_e32 v22, 0
	s_and_saveexec_b64 vcc, s[54:55]
.LBB166_7044:
	v_lshrrev_b32_e32 v6, 24, v6
	s_movk_i32 s48, 0x80
	v_and_or_b32 v22, v6, s48, v7
.LBB166_7045:
	s_or_b64 exec, exec, vcc
.LBB166_7046:
	s_or_b64 exec, exec, s[66:67]
	flat_store_byte v[4:5], v22
.LBB166_7047:
	s_or_b64 exec, exec, s[64:65]
	s_or_b64 s[4:5], s[4:5], exec
.LBB166_7048:
	s_or_b64 exec, exec, s[70:71]
	v_readlane_b32 vcc_lo, v41, 42
	v_readlane_b32 vcc_hi, v41, 43
	s_andn2_b64 vcc, vcc, exec
	s_and_b64 s[48:49], s[80:81], exec
	s_or_b64 s[80:81], vcc, s[48:49]
	s_and_b64 s[4:5], s[4:5], exec
                                        ; implicit-def: $vgpr6
                                        ; implicit-def: $vgpr4_vgpr5
.LBB166_7049:
	s_andn2_saveexec_b64 s[82:83], s[82:83]
	s_cbranch_execz .LBB166_7093
; %bb.7050:
	v_mov_b32_e32 v7, 22
	v_cmp_gt_i16_sdwa vcc, v13, v7 src0_sel:BYTE_0 src1_sel:DWORD
	s_mov_b64 s[68:69], s[4:5]
	s_and_saveexec_b64 s[48:49], vcc
	s_xor_b64 s[70:71], exec, s[48:49]
	s_cbranch_execz .LBB166_7082
; %bb.7051:
	v_mov_b32_e32 v7, 23
	v_cmp_gt_i16_sdwa vcc, v13, v7 src0_sel:BYTE_0 src1_sel:DWORD
	s_and_saveexec_b64 s[48:49], vcc
	s_xor_b64 s[48:49], exec, s[48:49]
	v_writelane_b32 v41, s48, 46
	v_writelane_b32 v41, s49, 47
	s_cbranch_execz .LBB166_7071
; %bb.7052:
	v_mov_b32_e32 v7, 24
	v_cmp_gt_i16_sdwa vcc, v13, v7 src0_sel:BYTE_0 src1_sel:DWORD
	s_and_saveexec_b64 s[48:49], vcc
	s_xor_b64 s[64:65], exec, s[48:49]
	s_cbranch_execz .LBB166_7060
; %bb.7053:
	v_and_b32_e32 v7, 0x7fffffff, v6
	s_mov_b32 vcc_lo, 0x47800000
	v_cmp_gt_u32_e32 vcc, vcc_lo, v7
	v_mov_b32_e32 v22, 0x80
	s_and_saveexec_b64 s[66:67], vcc
	s_cbranch_execz .LBB166_7059
; %bb.7054:
	s_mov_b32 vcc_lo, 0x37ffffff
	v_cmp_lt_u32_e32 vcc, vcc_lo, v7
	s_mov_b64 s[54:55], 0
                                        ; implicit-def: $vgpr7
	s_and_saveexec_b64 s[48:49], vcc
	s_xor_b64 vcc, exec, s[48:49]
	s_cbranch_execnz .LBB166_7921
; %bb.7055:
	s_andn2_saveexec_b64 s[68:69], vcc
	s_cbranch_execnz .LBB166_7922
.LBB166_7056:
	s_or_b64 exec, exec, s[68:69]
	v_mov_b32_e32 v22, 0
	s_and_saveexec_b64 vcc, s[54:55]
.LBB166_7057:
	v_lshrrev_b32_e32 v6, 24, v6
	s_movk_i32 s48, 0x80
	v_and_or_b32 v22, v6, s48, v7
.LBB166_7058:
	s_or_b64 exec, exec, vcc
.LBB166_7059:
	s_or_b64 exec, exec, s[66:67]
	flat_store_byte v[4:5], v22
                                        ; implicit-def: $vgpr6
                                        ; implicit-def: $vgpr4_vgpr5
.LBB166_7060:
	s_andn2_saveexec_b64 s[64:65], s[64:65]
	s_cbranch_execz .LBB166_7070
; %bb.7061:
	v_and_b32_e32 v22, 0x7fffffff, v6
	s_mov_b32 vcc_lo, 0x43f00000
	v_cmp_gt_u32_e32 vcc, vcc_lo, v22
                                        ; implicit-def: $vgpr7
	s_and_saveexec_b64 s[48:49], vcc
	s_xor_b64 s[66:67], exec, s[48:49]
	s_cbranch_execz .LBB166_7067
; %bb.7062:
	s_mov_b32 vcc_lo, 0x3c7fffff
	v_cmp_lt_u32_e32 vcc, vcc_lo, v22
                                        ; implicit-def: $vgpr7
	s_and_saveexec_b64 s[48:49], vcc
	s_xor_b64 s[52:53], exec, s[48:49]
; %bb.7063:
	v_bfe_u32 v7, v6, 20, 1
	s_mov_b32 vcc_lo, 0x407ffff
	v_add3_u32 v7, v6, v7, vcc_lo
	v_lshrrev_b32_e32 v22, 20, v7
	v_and_b32_e32 v7, 0xff00000, v7
	s_mov_b32 vcc_lo, 0x7f00000
	v_mov_b32_e32 v23, 0x7e
	v_cmp_ne_u32_e32 vcc, vcc_lo, v7
	v_cndmask_b32_e32 v7, v23, v22, vcc
; %bb.7064:
	s_andn2_saveexec_b64 vcc, s[52:53]
; %bb.7065:
	s_mov_b32 s48, 0x46800000
	v_add_f32_e64 v7, |v6|, s48
; %bb.7066:
	s_or_b64 exec, exec, vcc
                                        ; implicit-def: $vgpr22
.LBB166_7067:
	s_andn2_saveexec_b64 s[52:53], s[66:67]
; %bb.7068:
	s_mov_b32 vcc_lo, 0x7f800000
	v_mov_b32_e32 v7, 0x7e
	v_mov_b32_e32 v23, 0x7f
	v_cmp_lt_u32_e32 vcc, vcc_lo, v22
	v_cndmask_b32_e32 v7, v7, v23, vcc
; %bb.7069:
	s_or_b64 exec, exec, s[52:53]
	v_lshrrev_b32_e32 v6, 24, v6
	s_movk_i32 vcc_lo, 0x80
	v_and_or_b32 v6, v6, vcc_lo, v7
	flat_store_byte v[4:5], v6
.LBB166_7070:
	s_or_b64 exec, exec, s[64:65]
                                        ; implicit-def: $vgpr6
                                        ; implicit-def: $vgpr4_vgpr5
.LBB166_7071:
	v_readlane_b32 vcc_lo, v41, 46
	v_readlane_b32 vcc_hi, v41, 47
	s_andn2_saveexec_b64 s[64:65], vcc
	s_cbranch_execz .LBB166_7081
; %bb.7072:
	v_and_b32_e32 v22, 0x7fffffff, v6
	s_mov_b32 vcc_lo, 0x47800000
	v_cmp_gt_u32_e32 vcc, vcc_lo, v22
                                        ; implicit-def: $vgpr7
	s_and_saveexec_b64 s[48:49], vcc
	s_xor_b64 s[54:55], exec, s[48:49]
	s_cbranch_execz .LBB166_7078
; %bb.7073:
	s_mov_b32 vcc_lo, 0x387fffff
	v_cmp_lt_u32_e32 vcc, vcc_lo, v22
                                        ; implicit-def: $vgpr7
	s_and_saveexec_b64 s[48:49], vcc
	s_xor_b64 vcc, exec, s[48:49]
; %bb.7074:
	v_bfe_u32 v7, v6, 21, 1
	s_mov_b32 s48, 0x80fffff
	v_add3_u32 v7, v6, v7, s48
	v_lshrrev_b32_e32 v7, 21, v7
; %bb.7075:
	s_andn2_saveexec_b64 vcc, vcc
; %bb.7076:
	s_mov_b32 s48, 0x43000000
	v_add_f32_e64 v7, |v6|, s48
; %bb.7077:
	s_or_b64 exec, exec, vcc
                                        ; implicit-def: $vgpr22
.LBB166_7078:
	s_andn2_saveexec_b64 s[52:53], s[54:55]
; %bb.7079:
	s_mov_b32 vcc_lo, 0x7f800000
	v_mov_b32_e32 v7, 0x7c
	v_mov_b32_e32 v23, 0x7f
	v_cmp_lt_u32_e32 vcc, vcc_lo, v22
	v_cndmask_b32_e32 v7, v7, v23, vcc
; %bb.7080:
	s_or_b64 exec, exec, s[52:53]
	v_lshrrev_b32_e32 v6, 24, v6
	s_movk_i32 vcc_lo, 0x80
	v_and_or_b32 v6, v6, vcc_lo, v7
	flat_store_byte v[4:5], v6
.LBB166_7081:
	s_or_b64 exec, exec, s[64:65]
	s_or_b64 s[68:69], s[4:5], exec
                                        ; implicit-def: $vgpr6
                                        ; implicit-def: $vgpr4_vgpr5
.LBB166_7082:
	s_or_saveexec_b64 s[70:71], s[70:71]
	s_mov_b64 vcc, s[80:81]
	s_xor_b64 exec, exec, s[70:71]
	s_cbranch_execz .LBB166_7092
; %bb.7083:
	v_mov_b32_e32 v7, 14
	v_cmp_gt_i16_sdwa vcc, v13, v7 src0_sel:BYTE_0 src1_sel:DWORD
	s_mov_b64 s[64:65], s[68:69]
	s_mov_b64 s[66:67], s[80:81]
	s_and_saveexec_b64 s[48:49], vcc
	s_xor_b64 s[54:55], exec, s[48:49]
	s_cbranch_execz .LBB166_7087
; %bb.7084:
	v_mov_b32_e32 v7, 15
	v_cmp_eq_u16_sdwa s[48:49], v13, v7 src0_sel:BYTE_0 src1_sel:DWORD
	s_mov_b64 s[52:53], -1
	s_mov_b64 vcc, s[68:69]
	s_and_saveexec_b64 s[64:65], s[48:49]
	s_cbranch_execz .LBB166_7086
; %bb.7085:
	v_bfe_u32 v7, v6, 16, 1
	s_movk_i32 vcc_lo, 0x7fff
	v_add3_u32 v7, v6, v7, vcc_lo
	v_cmp_o_f32_e32 vcc, v6, v6
	v_mov_b32_e32 v6, 0x7fc0
	v_cndmask_b32_sdwa v6, v6, v7, vcc dst_sel:DWORD dst_unused:UNUSED_PAD src0_sel:DWORD src1_sel:WORD_1
	flat_store_short v[4:5], v6
	s_xor_b64 s[52:53], exec, -1
	s_or_b64 vcc, s[68:69], exec
.LBB166_7086:
	s_or_b64 exec, exec, s[64:65]
	s_andn2_b64 s[48:49], s[80:81], exec
	s_and_b64 s[50:51], s[52:53], exec
	s_or_b64 s[66:67], s[48:49], s[50:51]
	s_andn2_b64 s[48:49], s[68:69], exec
	s_and_b64 vcc, vcc, exec
	s_or_b64 s[64:65], s[48:49], vcc
                                        ; implicit-def: $vgpr6
                                        ; implicit-def: $vgpr4_vgpr5
.LBB166_7087:
	s_andn2_saveexec_b64 s[54:55], s[54:55]
	s_cbranch_execz .LBB166_7091
; %bb.7088:
	v_mov_b32_e32 v7, 11
	v_cmp_eq_u16_sdwa s[48:49], v13, v7 src0_sel:BYTE_0 src1_sel:DWORD
	s_mov_b64 s[52:53], -1
	s_mov_b64 vcc, s[64:65]
	s_and_saveexec_b64 s[50:51], s[48:49]
	s_cbranch_execz .LBB166_7090
; %bb.7089:
	v_cmp_neq_f32_e32 vcc, 0, v6
	v_cndmask_b32_e64 v6, 0, 1, vcc
	flat_store_byte v[4:5], v6
	s_xor_b64 s[52:53], exec, -1
	s_or_b64 vcc, s[64:65], exec
.LBB166_7090:
	s_or_b64 exec, exec, s[50:51]
	s_andn2_b64 s[48:49], s[66:67], exec
	s_and_b64 s[50:51], s[52:53], exec
	s_or_b64 s[66:67], s[48:49], s[50:51]
	s_andn2_b64 s[48:49], s[64:65], exec
	s_and_b64 vcc, vcc, exec
	s_or_b64 s[64:65], s[48:49], vcc
.LBB166_7091:
	s_or_b64 exec, exec, s[54:55]
	s_andn2_b64 vcc, s[80:81], exec
	s_and_b64 s[48:49], s[66:67], exec
	s_or_b64 vcc, vcc, s[48:49]
	s_andn2_b64 s[48:49], s[68:69], exec
	s_and_b64 s[50:51], s[64:65], exec
	s_or_b64 s[68:69], s[48:49], s[50:51]
.LBB166_7092:
	s_or_b64 exec, exec, s[70:71]
	s_andn2_b64 s[48:49], s[80:81], exec
	s_and_b64 vcc, vcc, exec
	s_or_b64 s[80:81], s[48:49], vcc
	s_andn2_b64 s[4:5], s[4:5], exec
	s_and_b64 vcc, s[68:69], exec
	s_or_b64 s[4:5], s[4:5], vcc
.LBB166_7093:
	s_or_b64 exec, exec, s[82:83]
	v_readlane_b32 vcc_lo, v41, 42
	v_readlane_b32 vcc_hi, v41, 43
	s_andn2_b64 vcc, vcc, exec
	s_and_b64 s[48:49], s[80:81], exec
	s_or_b64 s[80:81], vcc, s[48:49]
	s_and_b64 s[4:5], s[4:5], exec
                                        ; implicit-def: $vgpr6
                                        ; implicit-def: $vgpr4_vgpr5
.LBB166_7094:
	s_andn2_saveexec_b64 s[82:83], s[84:85]
	s_cbranch_execz .LBB166_7136
; %bb.7095:
	v_mov_b32_e32 v7, 4
	v_cmp_gt_i16_sdwa vcc, v13, v7 src0_sel:BYTE_0 src1_sel:DWORD
	s_and_saveexec_b64 s[48:49], vcc
	s_xor_b64 vcc, exec, s[48:49]
	s_cbranch_execz .LBB166_7117
; %bb.7096:
	v_mov_b32_e32 v7, 7
	v_cmp_gt_i16_sdwa s[48:49], v13, v7 src0_sel:BYTE_0 src1_sel:DWORD
	s_and_saveexec_b64 s[50:51], s[48:49]
	s_xor_b64 s[64:65], exec, s[50:51]
	s_cbranch_execz .LBB166_7106
; %bb.7097:
	v_mov_b32_e32 v7, 8
	v_cmp_gt_i16_sdwa s[48:49], v13, v7 src0_sel:BYTE_0 src1_sel:DWORD
	s_and_saveexec_b64 s[50:51], s[48:49]
	s_xor_b64 s[54:55], exec, s[50:51]
	;; [unrolled: 6-line block ×3, first 2 shown]
	s_cbranch_execz .LBB166_7100
; %bb.7099:
	v_cvt_f64_f32_e32 v[22:23], v6
	v_mov_b32_e32 v24, 0
	v_mov_b32_e32 v25, v24
                                        ; implicit-def: $vgpr6
	flat_store_dwordx4 v[4:5], v[22:25]
                                        ; implicit-def: $vgpr4_vgpr5
.LBB166_7100:
	s_andn2_saveexec_b64 s[50:51], s[50:51]
	s_cbranch_execz .LBB166_7102
; %bb.7101:
	v_mov_b32_e32 v7, 0
	flat_store_dwordx2 v[4:5], v[6:7]
.LBB166_7102:
	s_or_b64 exec, exec, s[50:51]
                                        ; implicit-def: $vgpr6
                                        ; implicit-def: $vgpr4_vgpr5
.LBB166_7103:
	s_andn2_saveexec_b64 s[50:51], s[54:55]
	s_cbranch_execz .LBB166_7105
; %bb.7104:
	v_cvt_f16_f32_e32 v6, v6
	flat_store_dword v[4:5], v6
.LBB166_7105:
	s_or_b64 exec, exec, s[50:51]
                                        ; implicit-def: $vgpr6
                                        ; implicit-def: $vgpr4_vgpr5
.LBB166_7106:
	s_andn2_saveexec_b64 s[64:65], s[64:65]
	s_cbranch_execz .LBB166_7116
; %bb.7107:
	v_mov_b32_e32 v7, 5
	v_cmp_gt_i16_sdwa s[48:49], v13, v7 src0_sel:BYTE_0 src1_sel:DWORD
	s_and_saveexec_b64 s[50:51], s[48:49]
	s_xor_b64 s[54:55], exec, s[50:51]
	s_cbranch_execz .LBB166_7113
; %bb.7108:
	v_mov_b32_e32 v7, 6
	v_cmp_gt_i16_sdwa s[48:49], v13, v7 src0_sel:BYTE_0 src1_sel:DWORD
	s_and_saveexec_b64 s[50:51], s[48:49]
	s_xor_b64 s[50:51], exec, s[50:51]
	s_cbranch_execz .LBB166_7110
; %bb.7109:
	v_cvt_f64_f32_e32 v[6:7], v6
	flat_store_dwordx2 v[4:5], v[6:7]
                                        ; implicit-def: $vgpr4_vgpr5
                                        ; implicit-def: $vgpr6
.LBB166_7110:
	s_andn2_saveexec_b64 s[50:51], s[50:51]
	s_cbranch_execz .LBB166_7112
; %bb.7111:
	flat_store_dword v[4:5], v6
.LBB166_7112:
	s_or_b64 exec, exec, s[50:51]
                                        ; implicit-def: $vgpr6
                                        ; implicit-def: $vgpr4_vgpr5
.LBB166_7113:
	s_andn2_saveexec_b64 s[50:51], s[54:55]
	s_cbranch_execz .LBB166_7115
; %bb.7114:
	v_cvt_f16_f32_e32 v6, v6
	flat_store_short v[4:5], v6
.LBB166_7115:
	s_or_b64 exec, exec, s[50:51]
.LBB166_7116:
	s_or_b64 exec, exec, s[64:65]
                                        ; implicit-def: $vgpr6
                                        ; implicit-def: $vgpr4_vgpr5
.LBB166_7117:
	s_andn2_saveexec_b64 s[70:71], vcc
	s_cbranch_execz .LBB166_7135
; %bb.7118:
	v_mov_b32_e32 v7, 1
	v_cmp_gt_i16_sdwa vcc, v13, v7 src0_sel:BYTE_0 src1_sel:DWORD
	s_and_saveexec_b64 s[48:49], vcc
	s_xor_b64 s[64:65], exec, s[48:49]
	s_cbranch_execz .LBB166_7128
; %bb.7119:
	v_mov_b32_e32 v7, 2
	v_cmp_gt_i16_sdwa vcc, v13, v7 src0_sel:BYTE_0 src1_sel:DWORD
	s_and_saveexec_b64 s[48:49], vcc
	s_xor_b64 s[66:67], exec, s[48:49]
	;; [unrolled: 6-line block ×3, first 2 shown]
	s_cbranch_execz .LBB166_7122
; %bb.7121:
	v_trunc_f32_e32 v6, v6
	s_mov_b32 s48, 0x2f800000
	v_mul_f32_e64 v7, |v6|, s48
	v_floor_f32_e32 v7, v7
	s_mov_b32 s48, 0xcf800000
	v_cvt_u32_f32_e32 v22, v7
	v_fma_f32 v7, v7, s48, |v6|
	v_cvt_u32_f32_e32 v7, v7
	v_ashrrev_i32_e32 v23, 31, v6
	v_xor_b32_e32 v22, v22, v23
	v_xor_b32_e32 v6, v7, v23
	v_sub_co_u32_e32 v6, vcc, v6, v23
	v_subb_co_u32_e32 v7, vcc, v22, v23, vcc
	flat_store_dwordx2 v[4:5], v[6:7]
                                        ; implicit-def: $vgpr6
                                        ; implicit-def: $vgpr4_vgpr5
.LBB166_7122:
	s_andn2_saveexec_b64 vcc, s[54:55]
	s_cbranch_execz .LBB166_7124
; %bb.7123:
	v_cvt_i32_f32_e32 v6, v6
	flat_store_dword v[4:5], v6
.LBB166_7124:
	s_or_b64 exec, exec, vcc
                                        ; implicit-def: $vgpr6
                                        ; implicit-def: $vgpr4_vgpr5
.LBB166_7125:
	s_andn2_saveexec_b64 vcc, s[66:67]
	s_cbranch_execz .LBB166_7127
; %bb.7126:
	v_cvt_i32_f32_e32 v6, v6
	flat_store_short v[4:5], v6
.LBB166_7127:
	s_or_b64 exec, exec, vcc
                                        ; implicit-def: $vgpr6
                                        ; implicit-def: $vgpr4_vgpr5
.LBB166_7128:
	s_andn2_saveexec_b64 vcc, s[64:65]
	s_cbranch_execz .LBB166_7134
; %bb.7129:
	v_mov_b32_e32 v7, 0
	v_cmp_gt_i16_sdwa s[48:49], v13, v7 src0_sel:BYTE_0 src1_sel:DWORD
	s_and_saveexec_b64 s[50:51], s[48:49]
	s_xor_b64 s[50:51], exec, s[50:51]
	s_cbranch_execz .LBB166_7131
; %bb.7130:
	v_cvt_i32_f32_e32 v6, v6
	flat_store_byte v[4:5], v6
                                        ; implicit-def: $vgpr6
                                        ; implicit-def: $vgpr4_vgpr5
.LBB166_7131:
	s_andn2_saveexec_b64 s[54:55], s[50:51]
	s_cbranch_execz .LBB166_7133
; %bb.7132:
	v_trunc_f32_e32 v6, v6
	s_mov_b32 s48, 0x2f800000
	v_mul_f32_e64 v7, |v6|, s48
	v_floor_f32_e32 v7, v7
	s_mov_b32 s48, 0xcf800000
	v_fma_f32 v7, v7, s48, |v6|
	v_cvt_u32_f32_e32 v7, v7
	v_ashrrev_i32_e32 v6, 31, v6
	v_xor_b32_e32 v7, v7, v6
	v_sub_u32_e32 v6, v7, v6
	flat_store_byte v[4:5], v6
.LBB166_7133:
	s_or_b64 exec, exec, s[54:55]
.LBB166_7134:
	s_or_b64 exec, exec, vcc
.LBB166_7135:
	s_or_b64 exec, exec, s[70:71]
	s_or_b64 s[4:5], s[4:5], exec
.LBB166_7136:
	s_or_b64 exec, exec, s[82:83]
	s_mov_b64 s[54:55], 0
	s_mov_b64 vcc, 0
	s_and_saveexec_b64 s[52:53], s[4:5]
; %bb.7137:
	v_add_u32_e32 v17, 0x200, v17
	v_cmp_lt_i32_e32 vcc, v17, v8
	s_mov_b64 s[54:55], exec
	s_and_b64 vcc, vcc, exec
; %bb.7138:
	s_or_b64 exec, exec, s[52:53]
	v_readlane_b32 s4, v41, 42
	v_readlane_b32 s5, v41, 43
	s_andn2_b64 s[4:5], s[4:5], exec
	s_and_b64 s[48:49], s[80:81], exec
	s_or_b64 s[4:5], s[4:5], s[48:49]
	v_writelane_b32 v41, s4, 46
	s_and_b64 vcc, vcc, exec
	v_writelane_b32 v41, s5, 47
	s_orn2_b64 s[64:65], s[54:55], exec
.LBB166_7139:
	s_or_b64 exec, exec, s[86:87]
	s_mov_b64 s[4:5], 0
	s_mov_b64 s[54:55], 0
                                        ; implicit-def: $vgpr4
                                        ; implicit-def: $vgpr112
                                        ; implicit-def: $vgpr6_vgpr7
	s_mov_b64 s[48:49], exec
	v_writelane_b32 v41, s48, 48
	v_writelane_b32 v41, s49, 49
	s_and_b64 s[48:49], s[48:49], s[64:65]
	s_mov_b64 exec, s[48:49]
	s_cbranch_execz .LBB166_7741
; %bb.7140:
	v_readlane_b32 s4, v41, 46
	v_readlane_b32 s5, v41, 47
	v_writelane_b32 v41, s4, 50
	s_mov_b64 s[64:65], -1
	v_writelane_b32 v41, s5, 51
	s_mov_b64 s[4:5], 0
	s_and_saveexec_b64 s[86:87], vcc
	s_cbranch_execz .LBB166_7268
; %bb.7141:
	v_readlane_b32 s4, v41, 2
	v_add_u32_e32 v4, s4, v17
	v_mul_lo_u32 v4, v4, v14
	v_mov_b32_e32 v7, 10
	v_readlane_b32 s80, v41, 46
	s_mov_b64 s[4:5], 0
	v_add_co_u32_e32 v4, vcc, v2, v4
	v_addc_co_u32_e32 v5, vcc, 0, v3, vcc
	s_waitcnt vmcnt(0)
	v_cmp_nle_f32_e32 vcc, v21, v0
	v_cndmask_b32_e32 v6, v1, v20, vcc
	v_cmp_gt_i16_sdwa vcc, v13, v7 src0_sel:BYTE_0 src1_sel:DWORD
	v_readlane_b32 s81, v41, 47
	s_and_saveexec_b64 s[48:49], vcc
	s_xor_b64 s[84:85], exec, s[48:49]
	s_cbranch_execz .LBB166_7223
; %bb.7142:
	v_mov_b32_e32 v7, 25
	v_readlane_b32 s80, v41, 46
	v_cmp_gt_i16_sdwa vcc, v13, v7 src0_sel:BYTE_0 src1_sel:DWORD
	v_readlane_b32 s81, v41, 47
	s_and_saveexec_b64 s[48:49], vcc
	s_xor_b64 s[82:83], exec, s[48:49]
	s_cbranch_execz .LBB166_7178
; %bb.7143:
	v_mov_b32_e32 v7, 28
	v_readlane_b32 s80, v41, 46
	v_cmp_gt_i16_sdwa vcc, v13, v7 src0_sel:BYTE_0 src1_sel:DWORD
	v_readlane_b32 s81, v41, 47
	s_and_saveexec_b64 s[48:49], vcc
	s_xor_b64 s[70:71], exec, s[48:49]
	s_cbranch_execz .LBB166_7161
; %bb.7144:
	v_mov_b32_e32 v7, 43
	v_readlane_b32 vcc_lo, v41, 46
	v_cmp_gt_i16_sdwa s[48:49], v13, v7 src0_sel:BYTE_0 src1_sel:DWORD
	v_readlane_b32 vcc_hi, v41, 47
	s_and_saveexec_b64 s[50:51], s[48:49]
	s_xor_b64 s[80:81], exec, s[50:51]
	s_cbranch_execz .LBB166_7156
; %bb.7145:
	v_mov_b32_e32 v7, 45
	v_readlane_b32 s64, v41, 46
	v_cmp_gt_i16_sdwa s[4:5], v13, v7 src0_sel:BYTE_0 src1_sel:DWORD
	s_mov_b64 s[68:69], 0
	v_readlane_b32 s65, v41, 47
	s_and_saveexec_b64 vcc, s[4:5]
	s_xor_b64 s[4:5], exec, vcc
	s_cbranch_execz .LBB166_7149
; %bb.7146:
	v_mov_b32_e32 v7, 46
	v_cmp_eq_u16_sdwa s[48:49], v13, v7 src0_sel:BYTE_0 src1_sel:DWORD
	s_mov_b64 vcc, -1
	s_and_saveexec_b64 s[64:65], s[48:49]
	s_cbranch_execz .LBB166_7148
; %bb.7147:
	v_bfe_u32 v7, v6, 16, 1
	s_movk_i32 vcc_lo, 0x7fff
	v_add3_u32 v7, v6, v7, vcc_lo
	v_cmp_o_f32_e32 vcc, v6, v6
	v_mov_b32_e32 v6, 0x7fc0
	v_cndmask_b32_sdwa v6, v6, v7, vcc dst_sel:DWORD dst_unused:UNUSED_PAD src0_sel:DWORD src1_sel:WORD_1
	s_mov_b64 s[54:55], exec
	flat_store_dword v[4:5], v6
	s_xor_b64 vcc, exec, -1
.LBB166_7148:
	s_or_b64 exec, exec, s[64:65]
	v_readlane_b32 s48, v41, 46
	v_readlane_b32 s49, v41, 47
	s_andn2_b64 s[48:49], s[48:49], exec
	s_and_b64 vcc, vcc, exec
	s_or_b64 s[64:65], s[48:49], vcc
	s_and_b64 s[68:69], s[54:55], exec
                                        ; implicit-def: $vgpr4_vgpr5
                                        ; implicit-def: $vgpr6
.LBB166_7149:
	s_andn2_saveexec_b64 s[66:67], s[4:5]
	s_cbranch_execz .LBB166_7155
; %bb.7150:
	v_mov_b32_e32 v7, 44
	v_cmp_eq_u16_sdwa s[48:49], v13, v7 src0_sel:BYTE_0 src1_sel:DWORD
	s_mov_b64 vcc, -1
	s_mov_b64 s[4:5], s[68:69]
	s_and_saveexec_b64 s[54:55], s[48:49]
	s_cbranch_execz .LBB166_7154
; %bb.7151:
	v_bfe_u32 v7, v6, 23, 8
	s_movk_i32 s4, 0xff
	v_cmp_ne_u32_e32 vcc, s4, v7
	v_mov_b32_e32 v20, 0xff
	s_and_saveexec_b64 s[52:53], vcc
; %bb.7152:
	s_mov_b32 s4, 0x3fffff
	v_lshrrev_b32_e32 v20, 23, v6
	v_and_b32_e32 v21, 0x400000, v6
	v_and_or_b32 v6, v6, s4, v7
	v_cmp_ne_u32_e32 vcc, 0, v21
	v_cmp_ne_u32_e64 s[4:5], 0, v6
	s_and_b64 s[4:5], vcc, s[4:5]
	v_cndmask_b32_e64 v6, 0, 1, s[4:5]
	v_add_u32_e32 v20, v20, v6
; %bb.7153:
	s_or_b64 exec, exec, s[52:53]
	s_xor_b64 vcc, exec, -1
	s_or_b64 s[4:5], s[68:69], exec
	flat_store_byte v[4:5], v20
.LBB166_7154:
	s_or_b64 exec, exec, s[54:55]
	s_andn2_b64 s[48:49], s[64:65], exec
	s_and_b64 vcc, vcc, exec
	s_or_b64 s[64:65], s[48:49], vcc
	s_andn2_b64 vcc, s[68:69], exec
	s_and_b64 s[4:5], s[4:5], exec
	s_or_b64 s[68:69], vcc, s[4:5]
.LBB166_7155:
	s_or_b64 exec, exec, s[66:67]
	v_readlane_b32 s4, v41, 46
	v_readlane_b32 s5, v41, 47
	s_andn2_b64 s[4:5], s[4:5], exec
	s_and_b64 vcc, s[64:65], exec
	s_or_b64 vcc, s[4:5], vcc
	s_and_b64 s[4:5], s[68:69], exec
                                        ; implicit-def: $vgpr6
                                        ; implicit-def: $vgpr4_vgpr5
.LBB166_7156:
	s_andn2_saveexec_b64 s[64:65], s[80:81]
	s_cbranch_execz .LBB166_7160
; %bb.7157:
	v_mov_b32_e32 v7, 29
	v_cmp_eq_u16_sdwa s[48:49], v13, v7 src0_sel:BYTE_0 src1_sel:DWORD
	s_mov_b64 s[66:67], -1
	s_mov_b64 s[52:53], s[4:5]
	s_and_saveexec_b64 s[54:55], s[48:49]
	s_cbranch_execz .LBB166_7159
; %bb.7158:
	v_trunc_f32_e32 v6, v6
	v_mul_f32_e32 v7, 0x2f800000, v6
	v_floor_f32_e32 v20, v7
	v_fmac_f32_e32 v6, 0xcf800000, v20
	v_cvt_u32_f32_e32 v7, v20
	v_cvt_u32_f32_e32 v6, v6
	s_xor_b64 s[66:67], exec, -1
	s_or_b64 s[52:53], s[4:5], exec
	flat_store_dwordx2 v[4:5], v[6:7]
.LBB166_7159:
	s_or_b64 exec, exec, s[54:55]
	s_andn2_b64 vcc, vcc, exec
	s_and_b64 s[48:49], s[66:67], exec
	s_or_b64 vcc, vcc, s[48:49]
	s_andn2_b64 s[4:5], s[4:5], exec
	s_and_b64 s[48:49], s[52:53], exec
	s_or_b64 s[4:5], s[4:5], s[48:49]
.LBB166_7160:
	s_or_b64 exec, exec, s[64:65]
	v_readlane_b32 s48, v41, 46
	v_readlane_b32 s49, v41, 47
	s_andn2_b64 s[48:49], s[48:49], exec
	s_and_b64 vcc, vcc, exec
	s_or_b64 s[80:81], s[48:49], vcc
	s_and_b64 s[4:5], s[4:5], exec
                                        ; implicit-def: $vgpr4_vgpr5
                                        ; implicit-def: $vgpr6
.LBB166_7161:
	s_andn2_saveexec_b64 s[70:71], s[70:71]
	s_cbranch_execz .LBB166_7177
; %bb.7162:
	v_mov_b32_e32 v7, 26
	v_cmp_gt_i16_sdwa vcc, v13, v7 src0_sel:BYTE_0 src1_sel:DWORD
	s_and_saveexec_b64 s[48:49], vcc
	s_xor_b64 vcc, exec, s[48:49]
	s_cbranch_execz .LBB166_7168
; %bb.7163:
	v_cvt_u32_f32_e32 v6, v6
	v_mov_b32_e32 v7, 27
	v_cmp_gt_i16_sdwa s[48:49], v13, v7 src0_sel:BYTE_0 src1_sel:DWORD
	s_and_saveexec_b64 s[50:51], s[48:49]
	s_xor_b64 s[50:51], exec, s[50:51]
	s_cbranch_execz .LBB166_7165
; %bb.7164:
	flat_store_dword v[4:5], v6
                                        ; implicit-def: $vgpr4_vgpr5
                                        ; implicit-def: $vgpr6
.LBB166_7165:
	s_andn2_saveexec_b64 s[50:51], s[50:51]
	s_cbranch_execz .LBB166_7167
; %bb.7166:
	flat_store_short v[4:5], v6
.LBB166_7167:
	s_or_b64 exec, exec, s[50:51]
                                        ; implicit-def: $vgpr4_vgpr5
                                        ; implicit-def: $vgpr6
.LBB166_7168:
	s_andn2_saveexec_b64 s[64:65], vcc
	s_cbranch_execz .LBB166_7176
; %bb.7169:
	v_and_b32_e32 v7, 0x7fffffff, v6
	s_mov_b32 vcc_lo, 0x43800000
	v_cmp_gt_u32_e32 vcc, vcc_lo, v7
	v_mov_b32_e32 v20, 0x80
	s_and_saveexec_b64 s[66:67], vcc
	s_cbranch_execz .LBB166_7175
; %bb.7170:
	s_mov_b32 vcc_lo, 0x3bffffff
	v_cmp_lt_u32_e32 vcc, vcc_lo, v7
	s_mov_b64 s[54:55], 0
                                        ; implicit-def: $vgpr7
	s_and_saveexec_b64 s[48:49], vcc
	s_xor_b64 vcc, exec, s[48:49]
	s_cbranch_execnz .LBB166_7923
; %bb.7171:
	s_andn2_saveexec_b64 s[68:69], vcc
	s_cbranch_execnz .LBB166_7924
.LBB166_7172:
	s_or_b64 exec, exec, s[68:69]
	v_mov_b32_e32 v20, 0
	s_and_saveexec_b64 vcc, s[54:55]
.LBB166_7173:
	v_lshrrev_b32_e32 v6, 24, v6
	s_movk_i32 s48, 0x80
	v_and_or_b32 v20, v6, s48, v7
.LBB166_7174:
	s_or_b64 exec, exec, vcc
.LBB166_7175:
	s_or_b64 exec, exec, s[66:67]
	flat_store_byte v[4:5], v20
.LBB166_7176:
	s_or_b64 exec, exec, s[64:65]
	s_or_b64 s[4:5], s[4:5], exec
.LBB166_7177:
	s_or_b64 exec, exec, s[70:71]
	v_readlane_b32 vcc_lo, v41, 46
	v_readlane_b32 vcc_hi, v41, 47
	s_andn2_b64 vcc, vcc, exec
	s_and_b64 s[48:49], s[80:81], exec
	s_or_b64 s[80:81], vcc, s[48:49]
	s_and_b64 s[4:5], s[4:5], exec
                                        ; implicit-def: $vgpr6
                                        ; implicit-def: $vgpr4_vgpr5
.LBB166_7178:
	s_andn2_saveexec_b64 s[82:83], s[82:83]
	s_cbranch_execz .LBB166_7222
; %bb.7179:
	v_mov_b32_e32 v7, 22
	v_cmp_gt_i16_sdwa vcc, v13, v7 src0_sel:BYTE_0 src1_sel:DWORD
	s_mov_b64 s[68:69], s[4:5]
	s_and_saveexec_b64 s[48:49], vcc
	s_xor_b64 s[70:71], exec, s[48:49]
	s_cbranch_execz .LBB166_7211
; %bb.7180:
	v_mov_b32_e32 v7, 23
	v_cmp_gt_i16_sdwa vcc, v13, v7 src0_sel:BYTE_0 src1_sel:DWORD
	s_and_saveexec_b64 s[48:49], vcc
	s_xor_b64 s[48:49], exec, s[48:49]
	v_writelane_b32 v41, s48, 50
	v_writelane_b32 v41, s49, 51
	s_cbranch_execz .LBB166_7200
; %bb.7181:
	v_mov_b32_e32 v7, 24
	v_cmp_gt_i16_sdwa vcc, v13, v7 src0_sel:BYTE_0 src1_sel:DWORD
	s_and_saveexec_b64 s[48:49], vcc
	s_xor_b64 s[64:65], exec, s[48:49]
	s_cbranch_execz .LBB166_7189
; %bb.7182:
	v_and_b32_e32 v7, 0x7fffffff, v6
	s_mov_b32 vcc_lo, 0x47800000
	v_cmp_gt_u32_e32 vcc, vcc_lo, v7
	v_mov_b32_e32 v20, 0x80
	s_and_saveexec_b64 s[66:67], vcc
	s_cbranch_execz .LBB166_7188
; %bb.7183:
	s_mov_b32 vcc_lo, 0x37ffffff
	v_cmp_lt_u32_e32 vcc, vcc_lo, v7
	s_mov_b64 s[54:55], 0
                                        ; implicit-def: $vgpr7
	s_and_saveexec_b64 s[48:49], vcc
	s_xor_b64 vcc, exec, s[48:49]
	s_cbranch_execnz .LBB166_7925
; %bb.7184:
	s_andn2_saveexec_b64 s[68:69], vcc
	s_cbranch_execnz .LBB166_7926
.LBB166_7185:
	s_or_b64 exec, exec, s[68:69]
	v_mov_b32_e32 v20, 0
	s_and_saveexec_b64 vcc, s[54:55]
.LBB166_7186:
	v_lshrrev_b32_e32 v6, 24, v6
	s_movk_i32 s48, 0x80
	v_and_or_b32 v20, v6, s48, v7
.LBB166_7187:
	s_or_b64 exec, exec, vcc
.LBB166_7188:
	s_or_b64 exec, exec, s[66:67]
	flat_store_byte v[4:5], v20
                                        ; implicit-def: $vgpr6
                                        ; implicit-def: $vgpr4_vgpr5
.LBB166_7189:
	s_andn2_saveexec_b64 s[64:65], s[64:65]
	s_cbranch_execz .LBB166_7199
; %bb.7190:
	v_and_b32_e32 v20, 0x7fffffff, v6
	s_mov_b32 vcc_lo, 0x43f00000
	v_cmp_gt_u32_e32 vcc, vcc_lo, v20
                                        ; implicit-def: $vgpr7
	s_and_saveexec_b64 s[48:49], vcc
	s_xor_b64 s[66:67], exec, s[48:49]
	s_cbranch_execz .LBB166_7196
; %bb.7191:
	s_mov_b32 vcc_lo, 0x3c7fffff
	v_cmp_lt_u32_e32 vcc, vcc_lo, v20
                                        ; implicit-def: $vgpr7
	s_and_saveexec_b64 s[48:49], vcc
	s_xor_b64 s[52:53], exec, s[48:49]
; %bb.7192:
	v_bfe_u32 v7, v6, 20, 1
	s_mov_b32 vcc_lo, 0x407ffff
	v_add3_u32 v7, v6, v7, vcc_lo
	v_lshrrev_b32_e32 v20, 20, v7
	v_and_b32_e32 v7, 0xff00000, v7
	s_mov_b32 vcc_lo, 0x7f00000
	v_mov_b32_e32 v21, 0x7e
	v_cmp_ne_u32_e32 vcc, vcc_lo, v7
	v_cndmask_b32_e32 v7, v21, v20, vcc
; %bb.7193:
	s_andn2_saveexec_b64 vcc, s[52:53]
; %bb.7194:
	s_mov_b32 s48, 0x46800000
	v_add_f32_e64 v7, |v6|, s48
; %bb.7195:
	s_or_b64 exec, exec, vcc
                                        ; implicit-def: $vgpr20
.LBB166_7196:
	s_andn2_saveexec_b64 s[52:53], s[66:67]
; %bb.7197:
	s_mov_b32 vcc_lo, 0x7f800000
	v_mov_b32_e32 v7, 0x7e
	v_mov_b32_e32 v21, 0x7f
	v_cmp_lt_u32_e32 vcc, vcc_lo, v20
	v_cndmask_b32_e32 v7, v7, v21, vcc
; %bb.7198:
	s_or_b64 exec, exec, s[52:53]
	v_lshrrev_b32_e32 v6, 24, v6
	s_movk_i32 vcc_lo, 0x80
	v_and_or_b32 v6, v6, vcc_lo, v7
	flat_store_byte v[4:5], v6
.LBB166_7199:
	s_or_b64 exec, exec, s[64:65]
                                        ; implicit-def: $vgpr6
                                        ; implicit-def: $vgpr4_vgpr5
.LBB166_7200:
	v_readlane_b32 vcc_lo, v41, 50
	v_readlane_b32 vcc_hi, v41, 51
	s_andn2_saveexec_b64 s[64:65], vcc
	s_cbranch_execz .LBB166_7210
; %bb.7201:
	v_and_b32_e32 v20, 0x7fffffff, v6
	s_mov_b32 vcc_lo, 0x47800000
	v_cmp_gt_u32_e32 vcc, vcc_lo, v20
                                        ; implicit-def: $vgpr7
	s_and_saveexec_b64 s[48:49], vcc
	s_xor_b64 s[54:55], exec, s[48:49]
	s_cbranch_execz .LBB166_7207
; %bb.7202:
	s_mov_b32 vcc_lo, 0x387fffff
	v_cmp_lt_u32_e32 vcc, vcc_lo, v20
                                        ; implicit-def: $vgpr7
	s_and_saveexec_b64 s[48:49], vcc
	s_xor_b64 vcc, exec, s[48:49]
; %bb.7203:
	v_bfe_u32 v7, v6, 21, 1
	s_mov_b32 s48, 0x80fffff
	v_add3_u32 v7, v6, v7, s48
	v_lshrrev_b32_e32 v7, 21, v7
; %bb.7204:
	s_andn2_saveexec_b64 vcc, vcc
; %bb.7205:
	s_mov_b32 s48, 0x43000000
	v_add_f32_e64 v7, |v6|, s48
; %bb.7206:
	s_or_b64 exec, exec, vcc
                                        ; implicit-def: $vgpr20
.LBB166_7207:
	s_andn2_saveexec_b64 s[52:53], s[54:55]
; %bb.7208:
	s_mov_b32 vcc_lo, 0x7f800000
	v_mov_b32_e32 v7, 0x7c
	v_mov_b32_e32 v21, 0x7f
	v_cmp_lt_u32_e32 vcc, vcc_lo, v20
	v_cndmask_b32_e32 v7, v7, v21, vcc
; %bb.7209:
	s_or_b64 exec, exec, s[52:53]
	v_lshrrev_b32_e32 v6, 24, v6
	s_movk_i32 vcc_lo, 0x80
	v_and_or_b32 v6, v6, vcc_lo, v7
	flat_store_byte v[4:5], v6
.LBB166_7210:
	s_or_b64 exec, exec, s[64:65]
	s_or_b64 s[68:69], s[4:5], exec
                                        ; implicit-def: $vgpr6
                                        ; implicit-def: $vgpr4_vgpr5
.LBB166_7211:
	s_or_saveexec_b64 s[70:71], s[70:71]
	s_mov_b64 vcc, s[80:81]
	s_xor_b64 exec, exec, s[70:71]
	s_cbranch_execz .LBB166_7221
; %bb.7212:
	v_mov_b32_e32 v7, 14
	v_cmp_gt_i16_sdwa vcc, v13, v7 src0_sel:BYTE_0 src1_sel:DWORD
	s_mov_b64 s[64:65], s[68:69]
	s_mov_b64 s[66:67], s[80:81]
	s_and_saveexec_b64 s[48:49], vcc
	s_xor_b64 s[54:55], exec, s[48:49]
	s_cbranch_execz .LBB166_7216
; %bb.7213:
	v_mov_b32_e32 v7, 15
	v_cmp_eq_u16_sdwa s[48:49], v13, v7 src0_sel:BYTE_0 src1_sel:DWORD
	s_mov_b64 s[52:53], -1
	s_mov_b64 vcc, s[68:69]
	s_and_saveexec_b64 s[64:65], s[48:49]
	s_cbranch_execz .LBB166_7215
; %bb.7214:
	v_bfe_u32 v7, v6, 16, 1
	s_movk_i32 vcc_lo, 0x7fff
	v_add3_u32 v7, v6, v7, vcc_lo
	v_cmp_o_f32_e32 vcc, v6, v6
	v_mov_b32_e32 v6, 0x7fc0
	v_cndmask_b32_sdwa v6, v6, v7, vcc dst_sel:DWORD dst_unused:UNUSED_PAD src0_sel:DWORD src1_sel:WORD_1
	flat_store_short v[4:5], v6
	s_xor_b64 s[52:53], exec, -1
	s_or_b64 vcc, s[68:69], exec
.LBB166_7215:
	s_or_b64 exec, exec, s[64:65]
	s_andn2_b64 s[48:49], s[80:81], exec
	s_and_b64 s[50:51], s[52:53], exec
	s_or_b64 s[66:67], s[48:49], s[50:51]
	s_andn2_b64 s[48:49], s[68:69], exec
	s_and_b64 vcc, vcc, exec
	s_or_b64 s[64:65], s[48:49], vcc
                                        ; implicit-def: $vgpr6
                                        ; implicit-def: $vgpr4_vgpr5
.LBB166_7216:
	s_andn2_saveexec_b64 s[54:55], s[54:55]
	s_cbranch_execz .LBB166_7220
; %bb.7217:
	v_mov_b32_e32 v7, 11
	v_cmp_eq_u16_sdwa s[48:49], v13, v7 src0_sel:BYTE_0 src1_sel:DWORD
	s_mov_b64 s[52:53], -1
	s_mov_b64 vcc, s[64:65]
	s_and_saveexec_b64 s[50:51], s[48:49]
	s_cbranch_execz .LBB166_7219
; %bb.7218:
	v_cmp_neq_f32_e32 vcc, 0, v6
	v_cndmask_b32_e64 v6, 0, 1, vcc
	flat_store_byte v[4:5], v6
	s_xor_b64 s[52:53], exec, -1
	s_or_b64 vcc, s[64:65], exec
.LBB166_7219:
	s_or_b64 exec, exec, s[50:51]
	s_andn2_b64 s[48:49], s[66:67], exec
	s_and_b64 s[50:51], s[52:53], exec
	s_or_b64 s[66:67], s[48:49], s[50:51]
	s_andn2_b64 s[48:49], s[64:65], exec
	s_and_b64 vcc, vcc, exec
	s_or_b64 s[64:65], s[48:49], vcc
.LBB166_7220:
	s_or_b64 exec, exec, s[54:55]
	s_andn2_b64 vcc, s[80:81], exec
	s_and_b64 s[48:49], s[66:67], exec
	s_or_b64 vcc, vcc, s[48:49]
	s_andn2_b64 s[48:49], s[68:69], exec
	s_and_b64 s[50:51], s[64:65], exec
	s_or_b64 s[68:69], s[48:49], s[50:51]
.LBB166_7221:
	s_or_b64 exec, exec, s[70:71]
	s_andn2_b64 s[48:49], s[80:81], exec
	s_and_b64 vcc, vcc, exec
	s_or_b64 s[80:81], s[48:49], vcc
	s_andn2_b64 s[4:5], s[4:5], exec
	s_and_b64 vcc, s[68:69], exec
	s_or_b64 s[4:5], s[4:5], vcc
.LBB166_7222:
	s_or_b64 exec, exec, s[82:83]
	v_readlane_b32 vcc_lo, v41, 46
	v_readlane_b32 vcc_hi, v41, 47
	s_andn2_b64 vcc, vcc, exec
	s_and_b64 s[48:49], s[80:81], exec
	s_or_b64 s[80:81], vcc, s[48:49]
	s_and_b64 s[4:5], s[4:5], exec
                                        ; implicit-def: $vgpr6
                                        ; implicit-def: $vgpr4_vgpr5
.LBB166_7223:
	s_andn2_saveexec_b64 s[82:83], s[84:85]
	s_cbranch_execz .LBB166_7265
; %bb.7224:
	v_mov_b32_e32 v7, 4
	v_cmp_gt_i16_sdwa vcc, v13, v7 src0_sel:BYTE_0 src1_sel:DWORD
	s_and_saveexec_b64 s[48:49], vcc
	s_xor_b64 vcc, exec, s[48:49]
	s_cbranch_execz .LBB166_7246
; %bb.7225:
	v_mov_b32_e32 v7, 7
	v_cmp_gt_i16_sdwa s[48:49], v13, v7 src0_sel:BYTE_0 src1_sel:DWORD
	s_and_saveexec_b64 s[50:51], s[48:49]
	s_xor_b64 s[64:65], exec, s[50:51]
	s_cbranch_execz .LBB166_7235
; %bb.7226:
	v_mov_b32_e32 v7, 8
	v_cmp_gt_i16_sdwa s[48:49], v13, v7 src0_sel:BYTE_0 src1_sel:DWORD
	s_and_saveexec_b64 s[50:51], s[48:49]
	s_xor_b64 s[54:55], exec, s[50:51]
	;; [unrolled: 6-line block ×3, first 2 shown]
	s_cbranch_execz .LBB166_7229
; %bb.7228:
	v_cvt_f64_f32_e32 v[20:21], v6
	v_mov_b32_e32 v22, 0
	v_mov_b32_e32 v23, v22
                                        ; implicit-def: $vgpr6
	flat_store_dwordx4 v[4:5], v[20:23]
                                        ; implicit-def: $vgpr4_vgpr5
.LBB166_7229:
	s_andn2_saveexec_b64 s[50:51], s[50:51]
	s_cbranch_execz .LBB166_7231
; %bb.7230:
	v_mov_b32_e32 v7, 0
	flat_store_dwordx2 v[4:5], v[6:7]
.LBB166_7231:
	s_or_b64 exec, exec, s[50:51]
                                        ; implicit-def: $vgpr6
                                        ; implicit-def: $vgpr4_vgpr5
.LBB166_7232:
	s_andn2_saveexec_b64 s[50:51], s[54:55]
	s_cbranch_execz .LBB166_7234
; %bb.7233:
	v_cvt_f16_f32_e32 v6, v6
	flat_store_dword v[4:5], v6
.LBB166_7234:
	s_or_b64 exec, exec, s[50:51]
                                        ; implicit-def: $vgpr6
                                        ; implicit-def: $vgpr4_vgpr5
.LBB166_7235:
	s_andn2_saveexec_b64 s[64:65], s[64:65]
	s_cbranch_execz .LBB166_7245
; %bb.7236:
	v_mov_b32_e32 v7, 5
	v_cmp_gt_i16_sdwa s[48:49], v13, v7 src0_sel:BYTE_0 src1_sel:DWORD
	s_and_saveexec_b64 s[50:51], s[48:49]
	s_xor_b64 s[54:55], exec, s[50:51]
	s_cbranch_execz .LBB166_7242
; %bb.7237:
	v_mov_b32_e32 v7, 6
	v_cmp_gt_i16_sdwa s[48:49], v13, v7 src0_sel:BYTE_0 src1_sel:DWORD
	s_and_saveexec_b64 s[50:51], s[48:49]
	s_xor_b64 s[50:51], exec, s[50:51]
	s_cbranch_execz .LBB166_7239
; %bb.7238:
	v_cvt_f64_f32_e32 v[6:7], v6
	flat_store_dwordx2 v[4:5], v[6:7]
                                        ; implicit-def: $vgpr4_vgpr5
                                        ; implicit-def: $vgpr6
.LBB166_7239:
	s_andn2_saveexec_b64 s[50:51], s[50:51]
	s_cbranch_execz .LBB166_7241
; %bb.7240:
	flat_store_dword v[4:5], v6
.LBB166_7241:
	s_or_b64 exec, exec, s[50:51]
                                        ; implicit-def: $vgpr6
                                        ; implicit-def: $vgpr4_vgpr5
.LBB166_7242:
	s_andn2_saveexec_b64 s[50:51], s[54:55]
	s_cbranch_execz .LBB166_7244
; %bb.7243:
	v_cvt_f16_f32_e32 v6, v6
	flat_store_short v[4:5], v6
.LBB166_7244:
	s_or_b64 exec, exec, s[50:51]
.LBB166_7245:
	s_or_b64 exec, exec, s[64:65]
                                        ; implicit-def: $vgpr6
                                        ; implicit-def: $vgpr4_vgpr5
.LBB166_7246:
	s_andn2_saveexec_b64 s[70:71], vcc
	s_cbranch_execz .LBB166_7264
; %bb.7247:
	v_mov_b32_e32 v7, 1
	v_cmp_gt_i16_sdwa vcc, v13, v7 src0_sel:BYTE_0 src1_sel:DWORD
	s_and_saveexec_b64 s[48:49], vcc
	s_xor_b64 s[64:65], exec, s[48:49]
	s_cbranch_execz .LBB166_7257
; %bb.7248:
	v_mov_b32_e32 v7, 2
	v_cmp_gt_i16_sdwa vcc, v13, v7 src0_sel:BYTE_0 src1_sel:DWORD
	s_and_saveexec_b64 s[48:49], vcc
	s_xor_b64 s[66:67], exec, s[48:49]
	;; [unrolled: 6-line block ×3, first 2 shown]
	s_cbranch_execz .LBB166_7251
; %bb.7250:
	v_trunc_f32_e32 v6, v6
	s_mov_b32 s48, 0x2f800000
	v_mul_f32_e64 v7, |v6|, s48
	v_floor_f32_e32 v7, v7
	s_mov_b32 s48, 0xcf800000
	v_cvt_u32_f32_e32 v20, v7
	v_fma_f32 v7, v7, s48, |v6|
	v_cvt_u32_f32_e32 v7, v7
	v_ashrrev_i32_e32 v21, 31, v6
	v_xor_b32_e32 v20, v20, v21
	v_xor_b32_e32 v6, v7, v21
	v_sub_co_u32_e32 v6, vcc, v6, v21
	v_subb_co_u32_e32 v7, vcc, v20, v21, vcc
	flat_store_dwordx2 v[4:5], v[6:7]
                                        ; implicit-def: $vgpr6
                                        ; implicit-def: $vgpr4_vgpr5
.LBB166_7251:
	s_andn2_saveexec_b64 vcc, s[54:55]
	s_cbranch_execz .LBB166_7253
; %bb.7252:
	v_cvt_i32_f32_e32 v6, v6
	flat_store_dword v[4:5], v6
.LBB166_7253:
	s_or_b64 exec, exec, vcc
                                        ; implicit-def: $vgpr6
                                        ; implicit-def: $vgpr4_vgpr5
.LBB166_7254:
	s_andn2_saveexec_b64 vcc, s[66:67]
	s_cbranch_execz .LBB166_7256
; %bb.7255:
	v_cvt_i32_f32_e32 v6, v6
	flat_store_short v[4:5], v6
.LBB166_7256:
	s_or_b64 exec, exec, vcc
                                        ; implicit-def: $vgpr6
                                        ; implicit-def: $vgpr4_vgpr5
.LBB166_7257:
	s_andn2_saveexec_b64 vcc, s[64:65]
	s_cbranch_execz .LBB166_7263
; %bb.7258:
	v_mov_b32_e32 v7, 0
	v_cmp_gt_i16_sdwa s[48:49], v13, v7 src0_sel:BYTE_0 src1_sel:DWORD
	s_and_saveexec_b64 s[50:51], s[48:49]
	s_xor_b64 s[50:51], exec, s[50:51]
	s_cbranch_execz .LBB166_7260
; %bb.7259:
	v_cvt_i32_f32_e32 v6, v6
	flat_store_byte v[4:5], v6
                                        ; implicit-def: $vgpr6
                                        ; implicit-def: $vgpr4_vgpr5
.LBB166_7260:
	s_andn2_saveexec_b64 s[54:55], s[50:51]
	s_cbranch_execz .LBB166_7262
; %bb.7261:
	v_trunc_f32_e32 v6, v6
	s_mov_b32 s48, 0x2f800000
	v_mul_f32_e64 v7, |v6|, s48
	v_floor_f32_e32 v7, v7
	s_mov_b32 s48, 0xcf800000
	v_fma_f32 v7, v7, s48, |v6|
	v_cvt_u32_f32_e32 v7, v7
	v_ashrrev_i32_e32 v6, 31, v6
	v_xor_b32_e32 v7, v7, v6
	v_sub_u32_e32 v6, v7, v6
	flat_store_byte v[4:5], v6
.LBB166_7262:
	s_or_b64 exec, exec, s[54:55]
.LBB166_7263:
	s_or_b64 exec, exec, vcc
.LBB166_7264:
	s_or_b64 exec, exec, s[70:71]
	s_or_b64 s[4:5], s[4:5], exec
.LBB166_7265:
	s_or_b64 exec, exec, s[82:83]
	s_mov_b64 s[54:55], 0
	s_mov_b64 vcc, 0
	s_and_saveexec_b64 s[52:53], s[4:5]
; %bb.7266:
	v_add_u32_e32 v17, 0x200, v17
	v_cmp_lt_i32_e32 vcc, v17, v8
	s_mov_b64 s[54:55], exec
	s_and_b64 vcc, vcc, exec
; %bb.7267:
	s_or_b64 exec, exec, s[52:53]
	s_and_b64 s[4:5], vcc, exec
	v_readlane_b32 vcc_lo, v41, 46
	v_readlane_b32 vcc_hi, v41, 47
	s_andn2_b64 vcc, vcc, exec
	s_and_b64 s[48:49], s[80:81], exec
	s_or_b64 vcc, vcc, s[48:49]
	v_writelane_b32 v41, vcc_lo, 50
	v_writelane_b32 v41, vcc_hi, 51
	s_orn2_b64 s[64:65], s[54:55], exec
.LBB166_7268:
	s_or_b64 exec, exec, s[86:87]
	s_mov_b64 vcc, 0
	s_mov_b64 s[54:55], 0
                                        ; implicit-def: $vgpr4
                                        ; implicit-def: $vgpr112
                                        ; implicit-def: $vgpr6_vgpr7
	s_mov_b64 s[48:49], exec
	v_writelane_b32 v41, s48, 52
	v_writelane_b32 v41, s49, 53
	s_and_b64 s[48:49], s[48:49], s[64:65]
	s_mov_b64 exec, s[48:49]
	s_cbranch_execz .LBB166_7740
; %bb.7269:
	v_readlane_b32 vcc_lo, v41, 50
	v_readlane_b32 vcc_hi, v41, 51
	v_writelane_b32 v41, vcc_lo, 54
	s_mov_b64 s[54:55], -1
	v_writelane_b32 v41, vcc_hi, 55
	s_mov_b64 vcc, 0
	s_and_saveexec_b64 s[86:87], s[4:5]
	s_cbranch_execz .LBB166_7397
; %bb.7270:
	v_readlane_b32 s4, v41, 2
	v_add_u32_e32 v4, s4, v17
	v_mul_lo_u32 v4, v4, v14
	v_mov_b32_e32 v7, 10
	v_readlane_b32 s80, v41, 50
	s_mov_b64 s[4:5], 0
	v_add_co_u32_e32 v4, vcc, v2, v4
	v_addc_co_u32_e32 v5, vcc, 0, v3, vcc
	s_waitcnt vmcnt(0)
	v_cmp_nle_f32_e32 vcc, v19, v0
	v_cndmask_b32_e32 v6, v1, v18, vcc
	v_cmp_gt_i16_sdwa vcc, v13, v7 src0_sel:BYTE_0 src1_sel:DWORD
	v_readlane_b32 s81, v41, 51
	s_and_saveexec_b64 s[48:49], vcc
	s_xor_b64 s[84:85], exec, s[48:49]
	s_cbranch_execz .LBB166_7352
; %bb.7271:
	v_mov_b32_e32 v7, 25
	v_readlane_b32 s80, v41, 50
	v_cmp_gt_i16_sdwa vcc, v13, v7 src0_sel:BYTE_0 src1_sel:DWORD
	v_readlane_b32 s81, v41, 51
	s_and_saveexec_b64 s[48:49], vcc
	s_xor_b64 s[82:83], exec, s[48:49]
	s_cbranch_execz .LBB166_7307
; %bb.7272:
	v_mov_b32_e32 v7, 28
	v_readlane_b32 s80, v41, 50
	v_cmp_gt_i16_sdwa vcc, v13, v7 src0_sel:BYTE_0 src1_sel:DWORD
	v_readlane_b32 s81, v41, 51
	s_and_saveexec_b64 s[48:49], vcc
	s_xor_b64 s[70:71], exec, s[48:49]
	s_cbranch_execz .LBB166_7290
; %bb.7273:
	v_mov_b32_e32 v7, 43
	v_readlane_b32 vcc_lo, v41, 50
	v_cmp_gt_i16_sdwa s[48:49], v13, v7 src0_sel:BYTE_0 src1_sel:DWORD
	v_readlane_b32 vcc_hi, v41, 51
	s_and_saveexec_b64 s[50:51], s[48:49]
	s_xor_b64 s[80:81], exec, s[50:51]
	s_cbranch_execz .LBB166_7285
; %bb.7274:
	v_mov_b32_e32 v7, 45
	v_readlane_b32 s64, v41, 50
	v_cmp_gt_i16_sdwa s[4:5], v13, v7 src0_sel:BYTE_0 src1_sel:DWORD
	s_mov_b64 s[68:69], 0
	v_readlane_b32 s65, v41, 51
	s_and_saveexec_b64 vcc, s[4:5]
	s_xor_b64 s[4:5], exec, vcc
	s_cbranch_execz .LBB166_7278
; %bb.7275:
	v_mov_b32_e32 v7, 46
	v_cmp_eq_u16_sdwa s[48:49], v13, v7 src0_sel:BYTE_0 src1_sel:DWORD
	s_mov_b64 s[54:55], 0
	s_mov_b64 vcc, -1
	s_and_saveexec_b64 s[64:65], s[48:49]
	s_cbranch_execz .LBB166_7277
; %bb.7276:
	v_bfe_u32 v7, v6, 16, 1
	s_movk_i32 vcc_lo, 0x7fff
	v_add3_u32 v7, v6, v7, vcc_lo
	v_cmp_o_f32_e32 vcc, v6, v6
	v_mov_b32_e32 v6, 0x7fc0
	v_cndmask_b32_sdwa v6, v6, v7, vcc dst_sel:DWORD dst_unused:UNUSED_PAD src0_sel:DWORD src1_sel:WORD_1
	s_mov_b64 s[54:55], exec
	flat_store_dword v[4:5], v6
	s_xor_b64 vcc, exec, -1
.LBB166_7277:
	s_or_b64 exec, exec, s[64:65]
	v_readlane_b32 s48, v41, 50
	v_readlane_b32 s49, v41, 51
	s_andn2_b64 s[48:49], s[48:49], exec
	s_and_b64 vcc, vcc, exec
	s_or_b64 s[64:65], s[48:49], vcc
	s_and_b64 s[68:69], s[54:55], exec
                                        ; implicit-def: $vgpr4_vgpr5
                                        ; implicit-def: $vgpr6
.LBB166_7278:
	s_andn2_saveexec_b64 s[66:67], s[4:5]
	s_cbranch_execz .LBB166_7284
; %bb.7279:
	v_mov_b32_e32 v7, 44
	v_cmp_eq_u16_sdwa s[48:49], v13, v7 src0_sel:BYTE_0 src1_sel:DWORD
	s_mov_b64 vcc, -1
	s_mov_b64 s[4:5], s[68:69]
	s_and_saveexec_b64 s[54:55], s[48:49]
	s_cbranch_execz .LBB166_7283
; %bb.7280:
	v_bfe_u32 v7, v6, 23, 8
	s_movk_i32 s4, 0xff
	v_cmp_ne_u32_e32 vcc, s4, v7
	v_mov_b32_e32 v18, 0xff
	s_and_saveexec_b64 s[52:53], vcc
; %bb.7281:
	s_mov_b32 s4, 0x3fffff
	v_lshrrev_b32_e32 v18, 23, v6
	v_and_b32_e32 v19, 0x400000, v6
	v_and_or_b32 v6, v6, s4, v7
	v_cmp_ne_u32_e32 vcc, 0, v19
	v_cmp_ne_u32_e64 s[4:5], 0, v6
	s_and_b64 s[4:5], vcc, s[4:5]
	v_cndmask_b32_e64 v6, 0, 1, s[4:5]
	v_add_u32_e32 v18, v18, v6
; %bb.7282:
	s_or_b64 exec, exec, s[52:53]
	s_xor_b64 vcc, exec, -1
	s_or_b64 s[4:5], s[68:69], exec
	flat_store_byte v[4:5], v18
.LBB166_7283:
	s_or_b64 exec, exec, s[54:55]
	s_andn2_b64 s[48:49], s[64:65], exec
	s_and_b64 vcc, vcc, exec
	s_or_b64 s[64:65], s[48:49], vcc
	s_andn2_b64 vcc, s[68:69], exec
	s_and_b64 s[4:5], s[4:5], exec
	s_or_b64 s[68:69], vcc, s[4:5]
.LBB166_7284:
	s_or_b64 exec, exec, s[66:67]
	v_readlane_b32 s4, v41, 50
	v_readlane_b32 s5, v41, 51
	s_andn2_b64 s[4:5], s[4:5], exec
	s_and_b64 vcc, s[64:65], exec
	s_or_b64 vcc, s[4:5], vcc
	s_and_b64 s[4:5], s[68:69], exec
                                        ; implicit-def: $vgpr6
                                        ; implicit-def: $vgpr4_vgpr5
.LBB166_7285:
	s_andn2_saveexec_b64 s[64:65], s[80:81]
	s_cbranch_execz .LBB166_7289
; %bb.7286:
	v_mov_b32_e32 v7, 29
	v_cmp_eq_u16_sdwa s[48:49], v13, v7 src0_sel:BYTE_0 src1_sel:DWORD
	s_mov_b64 s[66:67], -1
	s_mov_b64 s[52:53], s[4:5]
	s_and_saveexec_b64 s[54:55], s[48:49]
	s_cbranch_execz .LBB166_7288
; %bb.7287:
	v_trunc_f32_e32 v6, v6
	v_mul_f32_e32 v7, 0x2f800000, v6
	v_floor_f32_e32 v18, v7
	v_fmac_f32_e32 v6, 0xcf800000, v18
	v_cvt_u32_f32_e32 v7, v18
	v_cvt_u32_f32_e32 v6, v6
	s_xor_b64 s[66:67], exec, -1
	s_or_b64 s[52:53], s[4:5], exec
	flat_store_dwordx2 v[4:5], v[6:7]
.LBB166_7288:
	s_or_b64 exec, exec, s[54:55]
	s_andn2_b64 vcc, vcc, exec
	s_and_b64 s[48:49], s[66:67], exec
	s_or_b64 vcc, vcc, s[48:49]
	s_andn2_b64 s[4:5], s[4:5], exec
	s_and_b64 s[48:49], s[52:53], exec
	s_or_b64 s[4:5], s[4:5], s[48:49]
.LBB166_7289:
	s_or_b64 exec, exec, s[64:65]
	v_readlane_b32 s48, v41, 50
	v_readlane_b32 s49, v41, 51
	s_andn2_b64 s[48:49], s[48:49], exec
	s_and_b64 vcc, vcc, exec
	s_or_b64 s[80:81], s[48:49], vcc
	s_and_b64 s[4:5], s[4:5], exec
                                        ; implicit-def: $vgpr4_vgpr5
                                        ; implicit-def: $vgpr6
.LBB166_7290:
	s_andn2_saveexec_b64 s[70:71], s[70:71]
	s_cbranch_execz .LBB166_7306
; %bb.7291:
	v_mov_b32_e32 v7, 26
	v_cmp_gt_i16_sdwa vcc, v13, v7 src0_sel:BYTE_0 src1_sel:DWORD
	s_and_saveexec_b64 s[48:49], vcc
	s_xor_b64 vcc, exec, s[48:49]
	s_cbranch_execz .LBB166_7297
; %bb.7292:
	v_cvt_u32_f32_e32 v6, v6
	v_mov_b32_e32 v7, 27
	v_cmp_gt_i16_sdwa s[48:49], v13, v7 src0_sel:BYTE_0 src1_sel:DWORD
	s_and_saveexec_b64 s[50:51], s[48:49]
	s_xor_b64 s[50:51], exec, s[50:51]
	s_cbranch_execz .LBB166_7294
; %bb.7293:
	flat_store_dword v[4:5], v6
                                        ; implicit-def: $vgpr4_vgpr5
                                        ; implicit-def: $vgpr6
.LBB166_7294:
	s_andn2_saveexec_b64 s[50:51], s[50:51]
	s_cbranch_execz .LBB166_7296
; %bb.7295:
	flat_store_short v[4:5], v6
.LBB166_7296:
	s_or_b64 exec, exec, s[50:51]
                                        ; implicit-def: $vgpr4_vgpr5
                                        ; implicit-def: $vgpr6
.LBB166_7297:
	s_andn2_saveexec_b64 s[64:65], vcc
	s_cbranch_execz .LBB166_7305
; %bb.7298:
	v_and_b32_e32 v7, 0x7fffffff, v6
	s_mov_b32 vcc_lo, 0x43800000
	v_cmp_gt_u32_e32 vcc, vcc_lo, v7
	v_mov_b32_e32 v18, 0x80
	s_and_saveexec_b64 s[66:67], vcc
	s_cbranch_execz .LBB166_7304
; %bb.7299:
	s_mov_b32 vcc_lo, 0x3bffffff
	v_cmp_lt_u32_e32 vcc, vcc_lo, v7
	s_mov_b64 s[54:55], 0
                                        ; implicit-def: $vgpr7
	s_and_saveexec_b64 s[48:49], vcc
	s_xor_b64 vcc, exec, s[48:49]
	s_cbranch_execnz .LBB166_7927
; %bb.7300:
	s_andn2_saveexec_b64 s[68:69], vcc
	s_cbranch_execnz .LBB166_7928
.LBB166_7301:
	s_or_b64 exec, exec, s[68:69]
	v_mov_b32_e32 v18, 0
	s_and_saveexec_b64 vcc, s[54:55]
.LBB166_7302:
	v_lshrrev_b32_e32 v6, 24, v6
	s_movk_i32 s48, 0x80
	v_and_or_b32 v18, v6, s48, v7
.LBB166_7303:
	s_or_b64 exec, exec, vcc
.LBB166_7304:
	s_or_b64 exec, exec, s[66:67]
	flat_store_byte v[4:5], v18
.LBB166_7305:
	s_or_b64 exec, exec, s[64:65]
	s_or_b64 s[4:5], s[4:5], exec
.LBB166_7306:
	s_or_b64 exec, exec, s[70:71]
	v_readlane_b32 vcc_lo, v41, 50
	v_readlane_b32 vcc_hi, v41, 51
	s_andn2_b64 vcc, vcc, exec
	s_and_b64 s[48:49], s[80:81], exec
	s_or_b64 s[80:81], vcc, s[48:49]
	s_and_b64 s[4:5], s[4:5], exec
                                        ; implicit-def: $vgpr6
                                        ; implicit-def: $vgpr4_vgpr5
.LBB166_7307:
	s_andn2_saveexec_b64 s[82:83], s[82:83]
	s_cbranch_execz .LBB166_7351
; %bb.7308:
	v_mov_b32_e32 v7, 22
	v_cmp_gt_i16_sdwa vcc, v13, v7 src0_sel:BYTE_0 src1_sel:DWORD
	s_mov_b64 s[68:69], s[4:5]
	s_and_saveexec_b64 s[48:49], vcc
	s_xor_b64 s[70:71], exec, s[48:49]
	s_cbranch_execz .LBB166_7340
; %bb.7309:
	v_mov_b32_e32 v7, 23
	v_cmp_gt_i16_sdwa vcc, v13, v7 src0_sel:BYTE_0 src1_sel:DWORD
	s_and_saveexec_b64 s[48:49], vcc
	s_xor_b64 s[48:49], exec, s[48:49]
	v_writelane_b32 v41, s48, 54
	v_writelane_b32 v41, s49, 55
	s_cbranch_execz .LBB166_7329
; %bb.7310:
	v_mov_b32_e32 v7, 24
	v_cmp_gt_i16_sdwa vcc, v13, v7 src0_sel:BYTE_0 src1_sel:DWORD
	s_and_saveexec_b64 s[48:49], vcc
	s_xor_b64 s[64:65], exec, s[48:49]
	s_cbranch_execz .LBB166_7318
; %bb.7311:
	v_and_b32_e32 v7, 0x7fffffff, v6
	s_mov_b32 vcc_lo, 0x47800000
	v_cmp_gt_u32_e32 vcc, vcc_lo, v7
	v_mov_b32_e32 v18, 0x80
	s_and_saveexec_b64 s[66:67], vcc
	s_cbranch_execz .LBB166_7317
; %bb.7312:
	s_mov_b32 vcc_lo, 0x37ffffff
	v_cmp_lt_u32_e32 vcc, vcc_lo, v7
	s_mov_b64 s[54:55], 0
                                        ; implicit-def: $vgpr7
	s_and_saveexec_b64 s[48:49], vcc
	s_xor_b64 vcc, exec, s[48:49]
	s_cbranch_execnz .LBB166_7929
; %bb.7313:
	s_andn2_saveexec_b64 s[68:69], vcc
	s_cbranch_execnz .LBB166_7930
.LBB166_7314:
	s_or_b64 exec, exec, s[68:69]
	v_mov_b32_e32 v18, 0
	s_and_saveexec_b64 vcc, s[54:55]
.LBB166_7315:
	v_lshrrev_b32_e32 v6, 24, v6
	s_movk_i32 s48, 0x80
	v_and_or_b32 v18, v6, s48, v7
.LBB166_7316:
	s_or_b64 exec, exec, vcc
.LBB166_7317:
	s_or_b64 exec, exec, s[66:67]
	flat_store_byte v[4:5], v18
                                        ; implicit-def: $vgpr6
                                        ; implicit-def: $vgpr4_vgpr5
.LBB166_7318:
	s_andn2_saveexec_b64 s[64:65], s[64:65]
	s_cbranch_execz .LBB166_7328
; %bb.7319:
	v_and_b32_e32 v18, 0x7fffffff, v6
	s_mov_b32 vcc_lo, 0x43f00000
	v_cmp_gt_u32_e32 vcc, vcc_lo, v18
                                        ; implicit-def: $vgpr7
	s_and_saveexec_b64 s[48:49], vcc
	s_xor_b64 s[66:67], exec, s[48:49]
	s_cbranch_execz .LBB166_7325
; %bb.7320:
	s_mov_b32 vcc_lo, 0x3c7fffff
	v_cmp_lt_u32_e32 vcc, vcc_lo, v18
                                        ; implicit-def: $vgpr7
	s_and_saveexec_b64 s[48:49], vcc
	s_xor_b64 s[52:53], exec, s[48:49]
; %bb.7321:
	v_bfe_u32 v7, v6, 20, 1
	s_mov_b32 vcc_lo, 0x407ffff
	v_add3_u32 v7, v6, v7, vcc_lo
	v_lshrrev_b32_e32 v18, 20, v7
	v_and_b32_e32 v7, 0xff00000, v7
	s_mov_b32 vcc_lo, 0x7f00000
	v_mov_b32_e32 v19, 0x7e
	v_cmp_ne_u32_e32 vcc, vcc_lo, v7
	v_cndmask_b32_e32 v7, v19, v18, vcc
; %bb.7322:
	s_andn2_saveexec_b64 vcc, s[52:53]
; %bb.7323:
	s_mov_b32 s48, 0x46800000
	v_add_f32_e64 v7, |v6|, s48
; %bb.7324:
	s_or_b64 exec, exec, vcc
                                        ; implicit-def: $vgpr18
.LBB166_7325:
	s_andn2_saveexec_b64 s[52:53], s[66:67]
; %bb.7326:
	s_mov_b32 vcc_lo, 0x7f800000
	v_mov_b32_e32 v7, 0x7e
	v_mov_b32_e32 v19, 0x7f
	v_cmp_lt_u32_e32 vcc, vcc_lo, v18
	v_cndmask_b32_e32 v7, v7, v19, vcc
; %bb.7327:
	s_or_b64 exec, exec, s[52:53]
	v_lshrrev_b32_e32 v6, 24, v6
	s_movk_i32 vcc_lo, 0x80
	v_and_or_b32 v6, v6, vcc_lo, v7
	flat_store_byte v[4:5], v6
.LBB166_7328:
	s_or_b64 exec, exec, s[64:65]
                                        ; implicit-def: $vgpr6
                                        ; implicit-def: $vgpr4_vgpr5
.LBB166_7329:
	v_readlane_b32 vcc_lo, v41, 54
	v_readlane_b32 vcc_hi, v41, 55
	s_andn2_saveexec_b64 s[64:65], vcc
	s_cbranch_execz .LBB166_7339
; %bb.7330:
	v_and_b32_e32 v18, 0x7fffffff, v6
	s_mov_b32 vcc_lo, 0x47800000
	v_cmp_gt_u32_e32 vcc, vcc_lo, v18
                                        ; implicit-def: $vgpr7
	s_and_saveexec_b64 s[48:49], vcc
	s_xor_b64 s[54:55], exec, s[48:49]
	s_cbranch_execz .LBB166_7336
; %bb.7331:
	s_mov_b32 vcc_lo, 0x387fffff
	v_cmp_lt_u32_e32 vcc, vcc_lo, v18
                                        ; implicit-def: $vgpr7
	s_and_saveexec_b64 s[48:49], vcc
	s_xor_b64 vcc, exec, s[48:49]
; %bb.7332:
	v_bfe_u32 v7, v6, 21, 1
	s_mov_b32 s48, 0x80fffff
	v_add3_u32 v7, v6, v7, s48
	v_lshrrev_b32_e32 v7, 21, v7
; %bb.7333:
	s_andn2_saveexec_b64 vcc, vcc
; %bb.7334:
	s_mov_b32 s48, 0x43000000
	v_add_f32_e64 v7, |v6|, s48
; %bb.7335:
	s_or_b64 exec, exec, vcc
                                        ; implicit-def: $vgpr18
.LBB166_7336:
	s_andn2_saveexec_b64 s[52:53], s[54:55]
; %bb.7337:
	s_mov_b32 vcc_lo, 0x7f800000
	v_mov_b32_e32 v7, 0x7c
	v_mov_b32_e32 v19, 0x7f
	v_cmp_lt_u32_e32 vcc, vcc_lo, v18
	v_cndmask_b32_e32 v7, v7, v19, vcc
; %bb.7338:
	s_or_b64 exec, exec, s[52:53]
	v_lshrrev_b32_e32 v6, 24, v6
	s_movk_i32 vcc_lo, 0x80
	v_and_or_b32 v6, v6, vcc_lo, v7
	flat_store_byte v[4:5], v6
.LBB166_7339:
	s_or_b64 exec, exec, s[64:65]
	s_or_b64 s[68:69], s[4:5], exec
                                        ; implicit-def: $vgpr6
                                        ; implicit-def: $vgpr4_vgpr5
.LBB166_7340:
	s_or_saveexec_b64 s[70:71], s[70:71]
	s_mov_b64 vcc, s[80:81]
	s_xor_b64 exec, exec, s[70:71]
	s_cbranch_execz .LBB166_7350
; %bb.7341:
	v_mov_b32_e32 v7, 14
	v_cmp_gt_i16_sdwa vcc, v13, v7 src0_sel:BYTE_0 src1_sel:DWORD
	s_mov_b64 s[64:65], s[68:69]
	s_mov_b64 s[66:67], s[80:81]
	s_and_saveexec_b64 s[48:49], vcc
	s_xor_b64 s[54:55], exec, s[48:49]
	s_cbranch_execz .LBB166_7345
; %bb.7342:
	v_mov_b32_e32 v7, 15
	v_cmp_eq_u16_sdwa s[48:49], v13, v7 src0_sel:BYTE_0 src1_sel:DWORD
	s_mov_b64 s[52:53], -1
	s_mov_b64 vcc, s[68:69]
	s_and_saveexec_b64 s[64:65], s[48:49]
	s_cbranch_execz .LBB166_7344
; %bb.7343:
	v_bfe_u32 v7, v6, 16, 1
	s_movk_i32 vcc_lo, 0x7fff
	v_add3_u32 v7, v6, v7, vcc_lo
	v_cmp_o_f32_e32 vcc, v6, v6
	v_mov_b32_e32 v6, 0x7fc0
	v_cndmask_b32_sdwa v6, v6, v7, vcc dst_sel:DWORD dst_unused:UNUSED_PAD src0_sel:DWORD src1_sel:WORD_1
	flat_store_short v[4:5], v6
	s_xor_b64 s[52:53], exec, -1
	s_or_b64 vcc, s[68:69], exec
.LBB166_7344:
	s_or_b64 exec, exec, s[64:65]
	s_andn2_b64 s[48:49], s[80:81], exec
	s_and_b64 s[50:51], s[52:53], exec
	s_or_b64 s[66:67], s[48:49], s[50:51]
	s_andn2_b64 s[48:49], s[68:69], exec
	s_and_b64 vcc, vcc, exec
	s_or_b64 s[64:65], s[48:49], vcc
                                        ; implicit-def: $vgpr6
                                        ; implicit-def: $vgpr4_vgpr5
.LBB166_7345:
	s_andn2_saveexec_b64 s[54:55], s[54:55]
	s_cbranch_execz .LBB166_7349
; %bb.7346:
	v_mov_b32_e32 v7, 11
	v_cmp_eq_u16_sdwa s[48:49], v13, v7 src0_sel:BYTE_0 src1_sel:DWORD
	s_mov_b64 s[52:53], -1
	s_mov_b64 vcc, s[64:65]
	s_and_saveexec_b64 s[50:51], s[48:49]
	s_cbranch_execz .LBB166_7348
; %bb.7347:
	v_cmp_neq_f32_e32 vcc, 0, v6
	v_cndmask_b32_e64 v6, 0, 1, vcc
	flat_store_byte v[4:5], v6
	s_xor_b64 s[52:53], exec, -1
	s_or_b64 vcc, s[64:65], exec
.LBB166_7348:
	s_or_b64 exec, exec, s[50:51]
	s_andn2_b64 s[48:49], s[66:67], exec
	s_and_b64 s[50:51], s[52:53], exec
	s_or_b64 s[66:67], s[48:49], s[50:51]
	s_andn2_b64 s[48:49], s[64:65], exec
	s_and_b64 vcc, vcc, exec
	s_or_b64 s[64:65], s[48:49], vcc
.LBB166_7349:
	s_or_b64 exec, exec, s[54:55]
	s_andn2_b64 vcc, s[80:81], exec
	s_and_b64 s[48:49], s[66:67], exec
	s_or_b64 vcc, vcc, s[48:49]
	s_andn2_b64 s[48:49], s[68:69], exec
	s_and_b64 s[50:51], s[64:65], exec
	s_or_b64 s[68:69], s[48:49], s[50:51]
.LBB166_7350:
	s_or_b64 exec, exec, s[70:71]
	s_andn2_b64 s[48:49], s[80:81], exec
	s_and_b64 vcc, vcc, exec
	s_or_b64 s[80:81], s[48:49], vcc
	s_andn2_b64 s[4:5], s[4:5], exec
	s_and_b64 vcc, s[68:69], exec
	s_or_b64 s[4:5], s[4:5], vcc
.LBB166_7351:
	s_or_b64 exec, exec, s[82:83]
	v_readlane_b32 vcc_lo, v41, 50
	v_readlane_b32 vcc_hi, v41, 51
	s_andn2_b64 vcc, vcc, exec
	s_and_b64 s[48:49], s[80:81], exec
	s_or_b64 s[80:81], vcc, s[48:49]
	s_and_b64 s[4:5], s[4:5], exec
                                        ; implicit-def: $vgpr6
                                        ; implicit-def: $vgpr4_vgpr5
.LBB166_7352:
	s_andn2_saveexec_b64 s[82:83], s[84:85]
	s_cbranch_execz .LBB166_7394
; %bb.7353:
	v_mov_b32_e32 v7, 4
	v_cmp_gt_i16_sdwa vcc, v13, v7 src0_sel:BYTE_0 src1_sel:DWORD
	s_and_saveexec_b64 s[48:49], vcc
	s_xor_b64 vcc, exec, s[48:49]
	s_cbranch_execz .LBB166_7375
; %bb.7354:
	v_mov_b32_e32 v7, 7
	v_cmp_gt_i16_sdwa s[48:49], v13, v7 src0_sel:BYTE_0 src1_sel:DWORD
	s_and_saveexec_b64 s[50:51], s[48:49]
	s_xor_b64 s[64:65], exec, s[50:51]
	s_cbranch_execz .LBB166_7364
; %bb.7355:
	v_mov_b32_e32 v7, 8
	v_cmp_gt_i16_sdwa s[48:49], v13, v7 src0_sel:BYTE_0 src1_sel:DWORD
	s_and_saveexec_b64 s[50:51], s[48:49]
	s_xor_b64 s[54:55], exec, s[50:51]
	;; [unrolled: 6-line block ×3, first 2 shown]
	s_cbranch_execz .LBB166_7358
; %bb.7357:
	v_cvt_f64_f32_e32 v[18:19], v6
	v_mov_b32_e32 v20, 0
	v_mov_b32_e32 v21, v20
                                        ; implicit-def: $vgpr6
	flat_store_dwordx4 v[4:5], v[18:21]
                                        ; implicit-def: $vgpr4_vgpr5
.LBB166_7358:
	s_andn2_saveexec_b64 s[50:51], s[50:51]
	s_cbranch_execz .LBB166_7360
; %bb.7359:
	v_mov_b32_e32 v7, 0
	flat_store_dwordx2 v[4:5], v[6:7]
.LBB166_7360:
	s_or_b64 exec, exec, s[50:51]
                                        ; implicit-def: $vgpr6
                                        ; implicit-def: $vgpr4_vgpr5
.LBB166_7361:
	s_andn2_saveexec_b64 s[50:51], s[54:55]
	s_cbranch_execz .LBB166_7363
; %bb.7362:
	v_cvt_f16_f32_e32 v6, v6
	flat_store_dword v[4:5], v6
.LBB166_7363:
	s_or_b64 exec, exec, s[50:51]
                                        ; implicit-def: $vgpr6
                                        ; implicit-def: $vgpr4_vgpr5
.LBB166_7364:
	s_andn2_saveexec_b64 s[64:65], s[64:65]
	s_cbranch_execz .LBB166_7374
; %bb.7365:
	v_mov_b32_e32 v7, 5
	v_cmp_gt_i16_sdwa s[48:49], v13, v7 src0_sel:BYTE_0 src1_sel:DWORD
	s_and_saveexec_b64 s[50:51], s[48:49]
	s_xor_b64 s[54:55], exec, s[50:51]
	s_cbranch_execz .LBB166_7371
; %bb.7366:
	v_mov_b32_e32 v7, 6
	v_cmp_gt_i16_sdwa s[48:49], v13, v7 src0_sel:BYTE_0 src1_sel:DWORD
	s_and_saveexec_b64 s[50:51], s[48:49]
	s_xor_b64 s[50:51], exec, s[50:51]
	s_cbranch_execz .LBB166_7368
; %bb.7367:
	v_cvt_f64_f32_e32 v[6:7], v6
	flat_store_dwordx2 v[4:5], v[6:7]
                                        ; implicit-def: $vgpr4_vgpr5
                                        ; implicit-def: $vgpr6
.LBB166_7368:
	s_andn2_saveexec_b64 s[50:51], s[50:51]
	s_cbranch_execz .LBB166_7370
; %bb.7369:
	flat_store_dword v[4:5], v6
.LBB166_7370:
	s_or_b64 exec, exec, s[50:51]
                                        ; implicit-def: $vgpr6
                                        ; implicit-def: $vgpr4_vgpr5
.LBB166_7371:
	s_andn2_saveexec_b64 s[50:51], s[54:55]
	s_cbranch_execz .LBB166_7373
; %bb.7372:
	v_cvt_f16_f32_e32 v6, v6
	flat_store_short v[4:5], v6
.LBB166_7373:
	s_or_b64 exec, exec, s[50:51]
.LBB166_7374:
	s_or_b64 exec, exec, s[64:65]
                                        ; implicit-def: $vgpr6
                                        ; implicit-def: $vgpr4_vgpr5
.LBB166_7375:
	s_andn2_saveexec_b64 s[70:71], vcc
	s_cbranch_execz .LBB166_7393
; %bb.7376:
	v_mov_b32_e32 v7, 1
	v_cmp_gt_i16_sdwa vcc, v13, v7 src0_sel:BYTE_0 src1_sel:DWORD
	s_and_saveexec_b64 s[48:49], vcc
	s_xor_b64 s[64:65], exec, s[48:49]
	s_cbranch_execz .LBB166_7386
; %bb.7377:
	v_mov_b32_e32 v7, 2
	v_cmp_gt_i16_sdwa vcc, v13, v7 src0_sel:BYTE_0 src1_sel:DWORD
	s_and_saveexec_b64 s[48:49], vcc
	s_xor_b64 s[66:67], exec, s[48:49]
	;; [unrolled: 6-line block ×3, first 2 shown]
	s_cbranch_execz .LBB166_7380
; %bb.7379:
	v_trunc_f32_e32 v6, v6
	s_mov_b32 s48, 0x2f800000
	v_mul_f32_e64 v7, |v6|, s48
	v_floor_f32_e32 v7, v7
	s_mov_b32 s48, 0xcf800000
	v_cvt_u32_f32_e32 v18, v7
	v_fma_f32 v7, v7, s48, |v6|
	v_cvt_u32_f32_e32 v7, v7
	v_ashrrev_i32_e32 v19, 31, v6
	v_xor_b32_e32 v18, v18, v19
	v_xor_b32_e32 v6, v7, v19
	v_sub_co_u32_e32 v6, vcc, v6, v19
	v_subb_co_u32_e32 v7, vcc, v18, v19, vcc
	flat_store_dwordx2 v[4:5], v[6:7]
                                        ; implicit-def: $vgpr6
                                        ; implicit-def: $vgpr4_vgpr5
.LBB166_7380:
	s_andn2_saveexec_b64 vcc, s[54:55]
	s_cbranch_execz .LBB166_7382
; %bb.7381:
	v_cvt_i32_f32_e32 v6, v6
	flat_store_dword v[4:5], v6
.LBB166_7382:
	s_or_b64 exec, exec, vcc
                                        ; implicit-def: $vgpr6
                                        ; implicit-def: $vgpr4_vgpr5
.LBB166_7383:
	s_andn2_saveexec_b64 vcc, s[66:67]
	s_cbranch_execz .LBB166_7385
; %bb.7384:
	v_cvt_i32_f32_e32 v6, v6
	flat_store_short v[4:5], v6
.LBB166_7385:
	s_or_b64 exec, exec, vcc
                                        ; implicit-def: $vgpr6
                                        ; implicit-def: $vgpr4_vgpr5
.LBB166_7386:
	s_andn2_saveexec_b64 vcc, s[64:65]
	s_cbranch_execz .LBB166_7392
; %bb.7387:
	v_mov_b32_e32 v7, 0
	v_cmp_gt_i16_sdwa s[48:49], v13, v7 src0_sel:BYTE_0 src1_sel:DWORD
	s_and_saveexec_b64 s[50:51], s[48:49]
	s_xor_b64 s[50:51], exec, s[50:51]
	s_cbranch_execz .LBB166_7389
; %bb.7388:
	v_cvt_i32_f32_e32 v6, v6
	flat_store_byte v[4:5], v6
                                        ; implicit-def: $vgpr6
                                        ; implicit-def: $vgpr4_vgpr5
.LBB166_7389:
	s_andn2_saveexec_b64 s[54:55], s[50:51]
	s_cbranch_execz .LBB166_7391
; %bb.7390:
	v_trunc_f32_e32 v6, v6
	s_mov_b32 s48, 0x2f800000
	v_mul_f32_e64 v7, |v6|, s48
	v_floor_f32_e32 v7, v7
	s_mov_b32 s48, 0xcf800000
	v_fma_f32 v7, v7, s48, |v6|
	v_cvt_u32_f32_e32 v7, v7
	v_ashrrev_i32_e32 v6, 31, v6
	v_xor_b32_e32 v7, v7, v6
	v_sub_u32_e32 v6, v7, v6
	flat_store_byte v[4:5], v6
.LBB166_7391:
	s_or_b64 exec, exec, s[54:55]
.LBB166_7392:
	s_or_b64 exec, exec, vcc
.LBB166_7393:
	s_or_b64 exec, exec, s[70:71]
	s_or_b64 s[4:5], s[4:5], exec
.LBB166_7394:
	s_or_b64 exec, exec, s[82:83]
	s_mov_b64 s[54:55], 0
	s_mov_b64 vcc, 0
	s_and_saveexec_b64 s[52:53], s[4:5]
; %bb.7395:
	v_add_u32_e32 v17, 0x200, v17
	v_cmp_lt_i32_e32 vcc, v17, v8
	s_mov_b64 s[54:55], exec
	s_and_b64 vcc, vcc, exec
; %bb.7396:
	s_or_b64 exec, exec, s[52:53]
	v_readlane_b32 s4, v41, 50
	v_readlane_b32 s5, v41, 51
	s_andn2_b64 s[4:5], s[4:5], exec
	s_and_b64 s[48:49], s[80:81], exec
	s_or_b64 s[4:5], s[4:5], s[48:49]
	v_writelane_b32 v41, s4, 54
	s_and_b64 vcc, vcc, exec
	v_writelane_b32 v41, s5, 55
	s_orn2_b64 s[54:55], s[54:55], exec
.LBB166_7397:
	s_or_b64 exec, exec, s[86:87]
	s_mov_b64 s[4:5], 0
	s_mov_b64 s[64:65], 0
                                        ; implicit-def: $vgpr4
                                        ; implicit-def: $vgpr112
                                        ; implicit-def: $vgpr6_vgpr7
	s_mov_b64 s[48:49], exec
	s_mov_b64 s[84:85], s[48:49]
	s_and_b64 s[48:49], s[48:49], s[54:55]
	s_mov_b64 exec, s[48:49]
	s_cbranch_execz .LBB166_7739
; %bb.7398:
	v_readlane_b32 s4, v41, 54
	v_readlane_b32 s5, v41, 55
	v_writelane_b32 v41, s4, 56
	s_mov_b64 s[64:65], -1
	v_writelane_b32 v41, s5, 57
	s_mov_b64 s[4:5], 0
	s_and_saveexec_b64 s[86:87], vcc
	s_cbranch_execz .LBB166_7526
; %bb.7399:
	v_readlane_b32 s4, v41, 2
	v_add_u32_e32 v4, s4, v17
	v_mul_lo_u32 v4, v4, v14
	v_mov_b32_e32 v7, 10
	v_readlane_b32 s80, v41, 54
	s_mov_b64 s[4:5], 0
	v_add_co_u32_e32 v4, vcc, v2, v4
	v_addc_co_u32_e32 v5, vcc, 0, v3, vcc
	s_waitcnt vmcnt(0)
	v_cmp_nle_f32_e32 vcc, v16, v0
	v_cndmask_b32_e32 v6, v1, v15, vcc
	v_cmp_gt_i16_sdwa vcc, v13, v7 src0_sel:BYTE_0 src1_sel:DWORD
	v_readlane_b32 s81, v41, 55
	s_and_saveexec_b64 s[48:49], vcc
	s_xor_b64 s[48:49], exec, s[48:49]
	v_writelane_b32 v41, s48, 56
	v_writelane_b32 v41, s49, 57
	s_cbranch_execz .LBB166_7481
; %bb.7400:
	v_mov_b32_e32 v7, 25
	v_readlane_b32 s80, v41, 54
	v_cmp_gt_i16_sdwa vcc, v13, v7 src0_sel:BYTE_0 src1_sel:DWORD
	v_readlane_b32 s81, v41, 55
	s_and_saveexec_b64 s[48:49], vcc
	s_xor_b64 s[82:83], exec, s[48:49]
	s_cbranch_execz .LBB166_7436
; %bb.7401:
	v_mov_b32_e32 v7, 28
	v_readlane_b32 s80, v41, 54
	v_cmp_gt_i16_sdwa vcc, v13, v7 src0_sel:BYTE_0 src1_sel:DWORD
	v_readlane_b32 s81, v41, 55
	s_and_saveexec_b64 s[48:49], vcc
	s_xor_b64 s[70:71], exec, s[48:49]
	s_cbranch_execz .LBB166_7419
; %bb.7402:
	v_mov_b32_e32 v7, 43
	v_readlane_b32 vcc_lo, v41, 54
	v_cmp_gt_i16_sdwa s[48:49], v13, v7 src0_sel:BYTE_0 src1_sel:DWORD
	v_readlane_b32 vcc_hi, v41, 55
	s_and_saveexec_b64 s[50:51], s[48:49]
	s_xor_b64 s[80:81], exec, s[50:51]
	s_cbranch_execz .LBB166_7414
; %bb.7403:
	v_mov_b32_e32 v7, 45
	v_readlane_b32 s64, v41, 54
	v_cmp_gt_i16_sdwa s[4:5], v13, v7 src0_sel:BYTE_0 src1_sel:DWORD
	s_mov_b64 s[68:69], 0
	v_readlane_b32 s65, v41, 55
	s_and_saveexec_b64 vcc, s[4:5]
	s_xor_b64 s[4:5], exec, vcc
	s_cbranch_execz .LBB166_7407
; %bb.7404:
	v_mov_b32_e32 v7, 46
	v_cmp_eq_u16_sdwa s[48:49], v13, v7 src0_sel:BYTE_0 src1_sel:DWORD
	s_mov_b64 s[54:55], 0
	s_mov_b64 vcc, -1
	s_and_saveexec_b64 s[64:65], s[48:49]
	s_cbranch_execz .LBB166_7406
; %bb.7405:
	v_bfe_u32 v7, v6, 16, 1
	s_movk_i32 vcc_lo, 0x7fff
	v_add3_u32 v7, v6, v7, vcc_lo
	v_cmp_o_f32_e32 vcc, v6, v6
	v_mov_b32_e32 v6, 0x7fc0
	v_cndmask_b32_sdwa v6, v6, v7, vcc dst_sel:DWORD dst_unused:UNUSED_PAD src0_sel:DWORD src1_sel:WORD_1
	s_mov_b64 s[54:55], exec
	flat_store_dword v[4:5], v6
	s_xor_b64 vcc, exec, -1
.LBB166_7406:
	s_or_b64 exec, exec, s[64:65]
	v_readlane_b32 s48, v41, 54
	v_readlane_b32 s49, v41, 55
	s_andn2_b64 s[48:49], s[48:49], exec
	s_and_b64 vcc, vcc, exec
	s_or_b64 s[64:65], s[48:49], vcc
	s_and_b64 s[68:69], s[54:55], exec
                                        ; implicit-def: $vgpr4_vgpr5
                                        ; implicit-def: $vgpr6
.LBB166_7407:
	s_andn2_saveexec_b64 s[66:67], s[4:5]
	s_cbranch_execz .LBB166_7413
; %bb.7408:
	v_mov_b32_e32 v7, 44
	v_cmp_eq_u16_sdwa s[48:49], v13, v7 src0_sel:BYTE_0 src1_sel:DWORD
	s_mov_b64 vcc, -1
	s_mov_b64 s[4:5], s[68:69]
	s_and_saveexec_b64 s[54:55], s[48:49]
	s_cbranch_execz .LBB166_7412
; %bb.7409:
	v_bfe_u32 v7, v6, 23, 8
	s_movk_i32 s4, 0xff
	v_cmp_ne_u32_e32 vcc, s4, v7
	v_mov_b32_e32 v15, 0xff
	s_and_saveexec_b64 s[52:53], vcc
; %bb.7410:
	s_mov_b32 s4, 0x3fffff
	v_lshrrev_b32_e32 v15, 23, v6
	v_and_b32_e32 v16, 0x400000, v6
	v_and_or_b32 v6, v6, s4, v7
	v_cmp_ne_u32_e32 vcc, 0, v16
	v_cmp_ne_u32_e64 s[4:5], 0, v6
	s_and_b64 s[4:5], vcc, s[4:5]
	v_cndmask_b32_e64 v6, 0, 1, s[4:5]
	v_add_u32_e32 v15, v15, v6
; %bb.7411:
	s_or_b64 exec, exec, s[52:53]
	s_xor_b64 vcc, exec, -1
	s_or_b64 s[4:5], s[68:69], exec
	flat_store_byte v[4:5], v15
.LBB166_7412:
	s_or_b64 exec, exec, s[54:55]
	s_andn2_b64 s[48:49], s[64:65], exec
	s_and_b64 vcc, vcc, exec
	s_or_b64 s[64:65], s[48:49], vcc
	s_andn2_b64 vcc, s[68:69], exec
	s_and_b64 s[4:5], s[4:5], exec
	s_or_b64 s[68:69], vcc, s[4:5]
.LBB166_7413:
	s_or_b64 exec, exec, s[66:67]
	v_readlane_b32 s4, v41, 54
	v_readlane_b32 s5, v41, 55
	s_andn2_b64 s[4:5], s[4:5], exec
	s_and_b64 vcc, s[64:65], exec
	s_or_b64 vcc, s[4:5], vcc
	s_and_b64 s[4:5], s[68:69], exec
                                        ; implicit-def: $vgpr6
                                        ; implicit-def: $vgpr4_vgpr5
.LBB166_7414:
	s_andn2_saveexec_b64 s[64:65], s[80:81]
	s_cbranch_execz .LBB166_7418
; %bb.7415:
	v_mov_b32_e32 v7, 29
	v_cmp_eq_u16_sdwa s[48:49], v13, v7 src0_sel:BYTE_0 src1_sel:DWORD
	s_mov_b64 s[66:67], -1
	s_mov_b64 s[52:53], s[4:5]
	s_and_saveexec_b64 s[54:55], s[48:49]
	s_cbranch_execz .LBB166_7417
; %bb.7416:
	v_trunc_f32_e32 v6, v6
	v_mul_f32_e32 v7, 0x2f800000, v6
	v_floor_f32_e32 v15, v7
	v_fmac_f32_e32 v6, 0xcf800000, v15
	v_cvt_u32_f32_e32 v7, v15
	v_cvt_u32_f32_e32 v6, v6
	s_xor_b64 s[66:67], exec, -1
	s_or_b64 s[52:53], s[4:5], exec
	flat_store_dwordx2 v[4:5], v[6:7]
.LBB166_7417:
	s_or_b64 exec, exec, s[54:55]
	s_andn2_b64 vcc, vcc, exec
	s_and_b64 s[48:49], s[66:67], exec
	s_or_b64 vcc, vcc, s[48:49]
	s_andn2_b64 s[4:5], s[4:5], exec
	s_and_b64 s[48:49], s[52:53], exec
	s_or_b64 s[4:5], s[4:5], s[48:49]
.LBB166_7418:
	s_or_b64 exec, exec, s[64:65]
	v_readlane_b32 s48, v41, 54
	v_readlane_b32 s49, v41, 55
	s_andn2_b64 s[48:49], s[48:49], exec
	s_and_b64 vcc, vcc, exec
	s_or_b64 s[80:81], s[48:49], vcc
	s_and_b64 s[4:5], s[4:5], exec
                                        ; implicit-def: $vgpr4_vgpr5
                                        ; implicit-def: $vgpr6
.LBB166_7419:
	s_andn2_saveexec_b64 s[70:71], s[70:71]
	s_cbranch_execz .LBB166_7435
; %bb.7420:
	v_mov_b32_e32 v7, 26
	v_cmp_gt_i16_sdwa vcc, v13, v7 src0_sel:BYTE_0 src1_sel:DWORD
	s_and_saveexec_b64 s[48:49], vcc
	s_xor_b64 vcc, exec, s[48:49]
	s_cbranch_execz .LBB166_7426
; %bb.7421:
	v_cvt_u32_f32_e32 v6, v6
	v_mov_b32_e32 v7, 27
	v_cmp_gt_i16_sdwa s[48:49], v13, v7 src0_sel:BYTE_0 src1_sel:DWORD
	s_and_saveexec_b64 s[50:51], s[48:49]
	s_xor_b64 s[50:51], exec, s[50:51]
	s_cbranch_execz .LBB166_7423
; %bb.7422:
	flat_store_dword v[4:5], v6
                                        ; implicit-def: $vgpr4_vgpr5
                                        ; implicit-def: $vgpr6
.LBB166_7423:
	s_andn2_saveexec_b64 s[50:51], s[50:51]
	s_cbranch_execz .LBB166_7425
; %bb.7424:
	flat_store_short v[4:5], v6
.LBB166_7425:
	s_or_b64 exec, exec, s[50:51]
                                        ; implicit-def: $vgpr4_vgpr5
                                        ; implicit-def: $vgpr6
.LBB166_7426:
	s_andn2_saveexec_b64 s[64:65], vcc
	s_cbranch_execz .LBB166_7434
; %bb.7427:
	v_and_b32_e32 v7, 0x7fffffff, v6
	s_mov_b32 vcc_lo, 0x43800000
	v_cmp_gt_u32_e32 vcc, vcc_lo, v7
	v_mov_b32_e32 v15, 0x80
	s_and_saveexec_b64 s[66:67], vcc
	s_cbranch_execz .LBB166_7433
; %bb.7428:
	s_mov_b32 vcc_lo, 0x3bffffff
	v_cmp_lt_u32_e32 vcc, vcc_lo, v7
	s_mov_b64 s[54:55], 0
                                        ; implicit-def: $vgpr7
	s_and_saveexec_b64 s[48:49], vcc
	s_xor_b64 vcc, exec, s[48:49]
	s_cbranch_execnz .LBB166_7931
; %bb.7429:
	s_andn2_saveexec_b64 s[68:69], vcc
	s_cbranch_execnz .LBB166_7932
.LBB166_7430:
	s_or_b64 exec, exec, s[68:69]
	v_mov_b32_e32 v15, 0
	s_and_saveexec_b64 vcc, s[54:55]
.LBB166_7431:
	v_lshrrev_b32_e32 v6, 24, v6
	s_movk_i32 s48, 0x80
	v_and_or_b32 v15, v6, s48, v7
.LBB166_7432:
	s_or_b64 exec, exec, vcc
.LBB166_7433:
	s_or_b64 exec, exec, s[66:67]
	flat_store_byte v[4:5], v15
.LBB166_7434:
	s_or_b64 exec, exec, s[64:65]
	s_or_b64 s[4:5], s[4:5], exec
.LBB166_7435:
	s_or_b64 exec, exec, s[70:71]
	v_readlane_b32 vcc_lo, v41, 54
	v_readlane_b32 vcc_hi, v41, 55
	s_andn2_b64 vcc, vcc, exec
	s_and_b64 s[48:49], s[80:81], exec
	s_or_b64 s[80:81], vcc, s[48:49]
	s_and_b64 s[4:5], s[4:5], exec
                                        ; implicit-def: $vgpr6
                                        ; implicit-def: $vgpr4_vgpr5
.LBB166_7436:
	s_andn2_saveexec_b64 s[82:83], s[82:83]
	s_cbranch_execz .LBB166_7480
; %bb.7437:
	v_mov_b32_e32 v7, 22
	v_cmp_gt_i16_sdwa vcc, v13, v7 src0_sel:BYTE_0 src1_sel:DWORD
	s_mov_b64 s[68:69], s[4:5]
	s_and_saveexec_b64 s[48:49], vcc
	s_xor_b64 s[70:71], exec, s[48:49]
	s_cbranch_execz .LBB166_7469
; %bb.7438:
	v_mov_b32_e32 v7, 23
	v_cmp_gt_i16_sdwa vcc, v13, v7 src0_sel:BYTE_0 src1_sel:DWORD
	s_and_saveexec_b64 s[48:49], vcc
	s_xor_b64 s[48:49], exec, s[48:49]
	v_writelane_b32 v41, s48, 58
	v_writelane_b32 v41, s49, 59
	s_cbranch_execz .LBB166_7458
; %bb.7439:
	v_mov_b32_e32 v7, 24
	v_cmp_gt_i16_sdwa vcc, v13, v7 src0_sel:BYTE_0 src1_sel:DWORD
	s_and_saveexec_b64 s[48:49], vcc
	s_xor_b64 s[64:65], exec, s[48:49]
	s_cbranch_execz .LBB166_7447
; %bb.7440:
	v_and_b32_e32 v7, 0x7fffffff, v6
	s_mov_b32 vcc_lo, 0x47800000
	v_cmp_gt_u32_e32 vcc, vcc_lo, v7
	v_mov_b32_e32 v15, 0x80
	s_and_saveexec_b64 s[66:67], vcc
	s_cbranch_execz .LBB166_7446
; %bb.7441:
	s_mov_b32 vcc_lo, 0x37ffffff
	v_cmp_lt_u32_e32 vcc, vcc_lo, v7
	s_mov_b64 s[54:55], 0
                                        ; implicit-def: $vgpr7
	s_and_saveexec_b64 s[48:49], vcc
	s_xor_b64 vcc, exec, s[48:49]
	s_cbranch_execnz .LBB166_7933
; %bb.7442:
	s_andn2_saveexec_b64 s[68:69], vcc
	s_cbranch_execnz .LBB166_7934
.LBB166_7443:
	s_or_b64 exec, exec, s[68:69]
	v_mov_b32_e32 v15, 0
	s_and_saveexec_b64 vcc, s[54:55]
.LBB166_7444:
	v_lshrrev_b32_e32 v6, 24, v6
	s_movk_i32 s48, 0x80
	v_and_or_b32 v15, v6, s48, v7
.LBB166_7445:
	s_or_b64 exec, exec, vcc
.LBB166_7446:
	s_or_b64 exec, exec, s[66:67]
	flat_store_byte v[4:5], v15
                                        ; implicit-def: $vgpr6
                                        ; implicit-def: $vgpr4_vgpr5
.LBB166_7447:
	s_andn2_saveexec_b64 s[64:65], s[64:65]
	s_cbranch_execz .LBB166_7457
; %bb.7448:
	v_and_b32_e32 v15, 0x7fffffff, v6
	s_mov_b32 vcc_lo, 0x43f00000
	v_cmp_gt_u32_e32 vcc, vcc_lo, v15
                                        ; implicit-def: $vgpr7
	s_and_saveexec_b64 s[48:49], vcc
	s_xor_b64 s[66:67], exec, s[48:49]
	s_cbranch_execz .LBB166_7454
; %bb.7449:
	s_mov_b32 vcc_lo, 0x3c7fffff
	v_cmp_lt_u32_e32 vcc, vcc_lo, v15
                                        ; implicit-def: $vgpr7
	s_and_saveexec_b64 s[48:49], vcc
	s_xor_b64 s[52:53], exec, s[48:49]
; %bb.7450:
	v_bfe_u32 v7, v6, 20, 1
	s_mov_b32 vcc_lo, 0x407ffff
	v_add3_u32 v7, v6, v7, vcc_lo
	v_lshrrev_b32_e32 v15, 20, v7
	v_and_b32_e32 v7, 0xff00000, v7
	s_mov_b32 vcc_lo, 0x7f00000
	v_mov_b32_e32 v16, 0x7e
	v_cmp_ne_u32_e32 vcc, vcc_lo, v7
	v_cndmask_b32_e32 v7, v16, v15, vcc
; %bb.7451:
	s_andn2_saveexec_b64 vcc, s[52:53]
; %bb.7452:
	s_mov_b32 s48, 0x46800000
	v_add_f32_e64 v7, |v6|, s48
; %bb.7453:
	s_or_b64 exec, exec, vcc
                                        ; implicit-def: $vgpr15
.LBB166_7454:
	s_andn2_saveexec_b64 s[52:53], s[66:67]
; %bb.7455:
	s_mov_b32 vcc_lo, 0x7f800000
	v_mov_b32_e32 v7, 0x7e
	v_mov_b32_e32 v16, 0x7f
	v_cmp_lt_u32_e32 vcc, vcc_lo, v15
	v_cndmask_b32_e32 v7, v7, v16, vcc
; %bb.7456:
	s_or_b64 exec, exec, s[52:53]
	v_lshrrev_b32_e32 v6, 24, v6
	s_movk_i32 vcc_lo, 0x80
	v_and_or_b32 v6, v6, vcc_lo, v7
	flat_store_byte v[4:5], v6
.LBB166_7457:
	s_or_b64 exec, exec, s[64:65]
                                        ; implicit-def: $vgpr6
                                        ; implicit-def: $vgpr4_vgpr5
.LBB166_7458:
	v_readlane_b32 vcc_lo, v41, 58
	v_readlane_b32 vcc_hi, v41, 59
	s_andn2_saveexec_b64 s[64:65], vcc
	s_cbranch_execz .LBB166_7468
; %bb.7459:
	v_and_b32_e32 v15, 0x7fffffff, v6
	s_mov_b32 vcc_lo, 0x47800000
	v_cmp_gt_u32_e32 vcc, vcc_lo, v15
                                        ; implicit-def: $vgpr7
	s_and_saveexec_b64 s[48:49], vcc
	s_xor_b64 s[54:55], exec, s[48:49]
	s_cbranch_execz .LBB166_7465
; %bb.7460:
	s_mov_b32 vcc_lo, 0x387fffff
	v_cmp_lt_u32_e32 vcc, vcc_lo, v15
                                        ; implicit-def: $vgpr7
	s_and_saveexec_b64 s[48:49], vcc
	s_xor_b64 vcc, exec, s[48:49]
; %bb.7461:
	v_bfe_u32 v7, v6, 21, 1
	s_mov_b32 s48, 0x80fffff
	v_add3_u32 v7, v6, v7, s48
	v_lshrrev_b32_e32 v7, 21, v7
; %bb.7462:
	s_andn2_saveexec_b64 vcc, vcc
; %bb.7463:
	s_mov_b32 s48, 0x43000000
	v_add_f32_e64 v7, |v6|, s48
; %bb.7464:
	s_or_b64 exec, exec, vcc
                                        ; implicit-def: $vgpr15
.LBB166_7465:
	s_andn2_saveexec_b64 s[52:53], s[54:55]
; %bb.7466:
	s_mov_b32 vcc_lo, 0x7f800000
	v_mov_b32_e32 v7, 0x7c
	v_mov_b32_e32 v16, 0x7f
	v_cmp_lt_u32_e32 vcc, vcc_lo, v15
	v_cndmask_b32_e32 v7, v7, v16, vcc
; %bb.7467:
	s_or_b64 exec, exec, s[52:53]
	v_lshrrev_b32_e32 v6, 24, v6
	s_movk_i32 vcc_lo, 0x80
	v_and_or_b32 v6, v6, vcc_lo, v7
	flat_store_byte v[4:5], v6
.LBB166_7468:
	s_or_b64 exec, exec, s[64:65]
	s_or_b64 s[68:69], s[4:5], exec
                                        ; implicit-def: $vgpr6
                                        ; implicit-def: $vgpr4_vgpr5
.LBB166_7469:
	s_or_saveexec_b64 s[70:71], s[70:71]
	s_mov_b64 vcc, s[80:81]
	s_xor_b64 exec, exec, s[70:71]
	s_cbranch_execz .LBB166_7479
; %bb.7470:
	v_mov_b32_e32 v7, 14
	v_cmp_gt_i16_sdwa vcc, v13, v7 src0_sel:BYTE_0 src1_sel:DWORD
	s_mov_b64 s[64:65], s[68:69]
	s_mov_b64 s[66:67], s[80:81]
	s_and_saveexec_b64 s[48:49], vcc
	s_xor_b64 s[54:55], exec, s[48:49]
	s_cbranch_execz .LBB166_7474
; %bb.7471:
	v_mov_b32_e32 v7, 15
	v_cmp_eq_u16_sdwa s[48:49], v13, v7 src0_sel:BYTE_0 src1_sel:DWORD
	s_mov_b64 s[52:53], -1
	s_mov_b64 vcc, s[68:69]
	s_and_saveexec_b64 s[64:65], s[48:49]
	s_cbranch_execz .LBB166_7473
; %bb.7472:
	v_bfe_u32 v7, v6, 16, 1
	s_movk_i32 vcc_lo, 0x7fff
	v_add3_u32 v7, v6, v7, vcc_lo
	v_cmp_o_f32_e32 vcc, v6, v6
	v_mov_b32_e32 v6, 0x7fc0
	v_cndmask_b32_sdwa v6, v6, v7, vcc dst_sel:DWORD dst_unused:UNUSED_PAD src0_sel:DWORD src1_sel:WORD_1
	flat_store_short v[4:5], v6
	s_xor_b64 s[52:53], exec, -1
	s_or_b64 vcc, s[68:69], exec
.LBB166_7473:
	s_or_b64 exec, exec, s[64:65]
	s_andn2_b64 s[48:49], s[80:81], exec
	s_and_b64 s[50:51], s[52:53], exec
	s_or_b64 s[66:67], s[48:49], s[50:51]
	s_andn2_b64 s[48:49], s[68:69], exec
	s_and_b64 vcc, vcc, exec
	s_or_b64 s[64:65], s[48:49], vcc
                                        ; implicit-def: $vgpr6
                                        ; implicit-def: $vgpr4_vgpr5
.LBB166_7474:
	s_andn2_saveexec_b64 s[54:55], s[54:55]
	s_cbranch_execz .LBB166_7478
; %bb.7475:
	v_mov_b32_e32 v7, 11
	v_cmp_eq_u16_sdwa s[48:49], v13, v7 src0_sel:BYTE_0 src1_sel:DWORD
	s_mov_b64 s[52:53], -1
	s_mov_b64 vcc, s[64:65]
	s_and_saveexec_b64 s[50:51], s[48:49]
	s_cbranch_execz .LBB166_7477
; %bb.7476:
	v_cmp_neq_f32_e32 vcc, 0, v6
	v_cndmask_b32_e64 v6, 0, 1, vcc
	flat_store_byte v[4:5], v6
	s_xor_b64 s[52:53], exec, -1
	s_or_b64 vcc, s[64:65], exec
.LBB166_7477:
	s_or_b64 exec, exec, s[50:51]
	s_andn2_b64 s[48:49], s[66:67], exec
	s_and_b64 s[50:51], s[52:53], exec
	s_or_b64 s[66:67], s[48:49], s[50:51]
	s_andn2_b64 s[48:49], s[64:65], exec
	s_and_b64 vcc, vcc, exec
	s_or_b64 s[64:65], s[48:49], vcc
.LBB166_7478:
	s_or_b64 exec, exec, s[54:55]
	s_andn2_b64 vcc, s[80:81], exec
	s_and_b64 s[48:49], s[66:67], exec
	s_or_b64 vcc, vcc, s[48:49]
	s_andn2_b64 s[48:49], s[68:69], exec
	s_and_b64 s[50:51], s[64:65], exec
	s_or_b64 s[68:69], s[48:49], s[50:51]
.LBB166_7479:
	s_or_b64 exec, exec, s[70:71]
	s_andn2_b64 s[48:49], s[80:81], exec
	s_and_b64 vcc, vcc, exec
	s_or_b64 s[80:81], s[48:49], vcc
	s_andn2_b64 s[4:5], s[4:5], exec
	s_and_b64 vcc, s[68:69], exec
	s_or_b64 s[4:5], s[4:5], vcc
.LBB166_7480:
	s_or_b64 exec, exec, s[82:83]
	v_readlane_b32 vcc_lo, v41, 54
	v_readlane_b32 vcc_hi, v41, 55
	s_andn2_b64 vcc, vcc, exec
	s_and_b64 s[48:49], s[80:81], exec
	s_or_b64 s[80:81], vcc, s[48:49]
	s_and_b64 s[4:5], s[4:5], exec
                                        ; implicit-def: $vgpr6
                                        ; implicit-def: $vgpr4_vgpr5
.LBB166_7481:
	v_readlane_b32 vcc_lo, v41, 56
	v_readlane_b32 vcc_hi, v41, 57
	s_andn2_saveexec_b64 s[82:83], vcc
	s_cbranch_execz .LBB166_7523
; %bb.7482:
	v_mov_b32_e32 v7, 4
	v_cmp_gt_i16_sdwa vcc, v13, v7 src0_sel:BYTE_0 src1_sel:DWORD
	s_and_saveexec_b64 s[48:49], vcc
	s_xor_b64 vcc, exec, s[48:49]
	s_cbranch_execz .LBB166_7504
; %bb.7483:
	v_mov_b32_e32 v7, 7
	v_cmp_gt_i16_sdwa s[48:49], v13, v7 src0_sel:BYTE_0 src1_sel:DWORD
	s_and_saveexec_b64 s[50:51], s[48:49]
	s_xor_b64 s[64:65], exec, s[50:51]
	s_cbranch_execz .LBB166_7493
; %bb.7484:
	v_mov_b32_e32 v7, 8
	v_cmp_gt_i16_sdwa s[48:49], v13, v7 src0_sel:BYTE_0 src1_sel:DWORD
	s_and_saveexec_b64 s[50:51], s[48:49]
	s_xor_b64 s[54:55], exec, s[50:51]
	;; [unrolled: 6-line block ×3, first 2 shown]
	s_cbranch_execz .LBB166_7487
; %bb.7486:
	v_cvt_f64_f32_e32 v[18:19], v6
	v_mov_b32_e32 v20, 0
	v_mov_b32_e32 v21, v20
                                        ; implicit-def: $vgpr6
	flat_store_dwordx4 v[4:5], v[18:21]
                                        ; implicit-def: $vgpr4_vgpr5
.LBB166_7487:
	s_andn2_saveexec_b64 s[50:51], s[50:51]
	s_cbranch_execz .LBB166_7489
; %bb.7488:
	v_mov_b32_e32 v7, 0
	flat_store_dwordx2 v[4:5], v[6:7]
.LBB166_7489:
	s_or_b64 exec, exec, s[50:51]
                                        ; implicit-def: $vgpr6
                                        ; implicit-def: $vgpr4_vgpr5
.LBB166_7490:
	s_andn2_saveexec_b64 s[50:51], s[54:55]
	s_cbranch_execz .LBB166_7492
; %bb.7491:
	v_cvt_f16_f32_e32 v6, v6
	flat_store_dword v[4:5], v6
.LBB166_7492:
	s_or_b64 exec, exec, s[50:51]
                                        ; implicit-def: $vgpr6
                                        ; implicit-def: $vgpr4_vgpr5
.LBB166_7493:
	s_andn2_saveexec_b64 s[64:65], s[64:65]
	s_cbranch_execz .LBB166_7503
; %bb.7494:
	v_mov_b32_e32 v7, 5
	v_cmp_gt_i16_sdwa s[48:49], v13, v7 src0_sel:BYTE_0 src1_sel:DWORD
	s_and_saveexec_b64 s[50:51], s[48:49]
	s_xor_b64 s[54:55], exec, s[50:51]
	s_cbranch_execz .LBB166_7500
; %bb.7495:
	v_mov_b32_e32 v7, 6
	v_cmp_gt_i16_sdwa s[48:49], v13, v7 src0_sel:BYTE_0 src1_sel:DWORD
	s_and_saveexec_b64 s[50:51], s[48:49]
	s_xor_b64 s[50:51], exec, s[50:51]
	s_cbranch_execz .LBB166_7497
; %bb.7496:
	v_cvt_f64_f32_e32 v[6:7], v6
	flat_store_dwordx2 v[4:5], v[6:7]
                                        ; implicit-def: $vgpr4_vgpr5
                                        ; implicit-def: $vgpr6
.LBB166_7497:
	s_andn2_saveexec_b64 s[50:51], s[50:51]
	s_cbranch_execz .LBB166_7499
; %bb.7498:
	flat_store_dword v[4:5], v6
.LBB166_7499:
	s_or_b64 exec, exec, s[50:51]
                                        ; implicit-def: $vgpr6
                                        ; implicit-def: $vgpr4_vgpr5
.LBB166_7500:
	s_andn2_saveexec_b64 s[50:51], s[54:55]
	s_cbranch_execz .LBB166_7502
; %bb.7501:
	v_cvt_f16_f32_e32 v6, v6
	flat_store_short v[4:5], v6
.LBB166_7502:
	s_or_b64 exec, exec, s[50:51]
.LBB166_7503:
	s_or_b64 exec, exec, s[64:65]
                                        ; implicit-def: $vgpr6
                                        ; implicit-def: $vgpr4_vgpr5
.LBB166_7504:
	s_andn2_saveexec_b64 s[70:71], vcc
	s_cbranch_execz .LBB166_7522
; %bb.7505:
	v_mov_b32_e32 v7, 1
	v_cmp_gt_i16_sdwa vcc, v13, v7 src0_sel:BYTE_0 src1_sel:DWORD
	s_and_saveexec_b64 s[48:49], vcc
	s_xor_b64 s[64:65], exec, s[48:49]
	s_cbranch_execz .LBB166_7515
; %bb.7506:
	v_mov_b32_e32 v7, 2
	v_cmp_gt_i16_sdwa vcc, v13, v7 src0_sel:BYTE_0 src1_sel:DWORD
	s_and_saveexec_b64 s[48:49], vcc
	s_xor_b64 s[66:67], exec, s[48:49]
	;; [unrolled: 6-line block ×3, first 2 shown]
	s_cbranch_execz .LBB166_7509
; %bb.7508:
	v_trunc_f32_e32 v6, v6
	s_mov_b32 s48, 0x2f800000
	v_mul_f32_e64 v7, |v6|, s48
	v_floor_f32_e32 v7, v7
	s_mov_b32 s48, 0xcf800000
	v_cvt_u32_f32_e32 v15, v7
	v_fma_f32 v7, v7, s48, |v6|
	v_cvt_u32_f32_e32 v7, v7
	v_ashrrev_i32_e32 v16, 31, v6
	v_xor_b32_e32 v15, v15, v16
	v_xor_b32_e32 v6, v7, v16
	v_sub_co_u32_e32 v6, vcc, v6, v16
	v_subb_co_u32_e32 v7, vcc, v15, v16, vcc
	flat_store_dwordx2 v[4:5], v[6:7]
                                        ; implicit-def: $vgpr6
                                        ; implicit-def: $vgpr4_vgpr5
.LBB166_7509:
	s_andn2_saveexec_b64 vcc, s[54:55]
	s_cbranch_execz .LBB166_7511
; %bb.7510:
	v_cvt_i32_f32_e32 v6, v6
	flat_store_dword v[4:5], v6
.LBB166_7511:
	s_or_b64 exec, exec, vcc
                                        ; implicit-def: $vgpr6
                                        ; implicit-def: $vgpr4_vgpr5
.LBB166_7512:
	s_andn2_saveexec_b64 vcc, s[66:67]
	s_cbranch_execz .LBB166_7514
; %bb.7513:
	v_cvt_i32_f32_e32 v6, v6
	flat_store_short v[4:5], v6
.LBB166_7514:
	s_or_b64 exec, exec, vcc
                                        ; implicit-def: $vgpr6
                                        ; implicit-def: $vgpr4_vgpr5
.LBB166_7515:
	s_andn2_saveexec_b64 vcc, s[64:65]
	s_cbranch_execz .LBB166_7521
; %bb.7516:
	v_mov_b32_e32 v7, 0
	v_cmp_gt_i16_sdwa s[48:49], v13, v7 src0_sel:BYTE_0 src1_sel:DWORD
	s_and_saveexec_b64 s[50:51], s[48:49]
	s_xor_b64 s[50:51], exec, s[50:51]
	s_cbranch_execz .LBB166_7518
; %bb.7517:
	v_cvt_i32_f32_e32 v6, v6
	flat_store_byte v[4:5], v6
                                        ; implicit-def: $vgpr6
                                        ; implicit-def: $vgpr4_vgpr5
.LBB166_7518:
	s_andn2_saveexec_b64 s[54:55], s[50:51]
	s_cbranch_execz .LBB166_7520
; %bb.7519:
	v_trunc_f32_e32 v6, v6
	s_mov_b32 s48, 0x2f800000
	v_mul_f32_e64 v7, |v6|, s48
	v_floor_f32_e32 v7, v7
	s_mov_b32 s48, 0xcf800000
	v_fma_f32 v7, v7, s48, |v6|
	v_cvt_u32_f32_e32 v7, v7
	v_ashrrev_i32_e32 v6, 31, v6
	v_xor_b32_e32 v7, v7, v6
	v_sub_u32_e32 v6, v7, v6
	flat_store_byte v[4:5], v6
.LBB166_7520:
	s_or_b64 exec, exec, s[54:55]
.LBB166_7521:
	s_or_b64 exec, exec, vcc
.LBB166_7522:
	s_or_b64 exec, exec, s[70:71]
	s_or_b64 s[4:5], s[4:5], exec
.LBB166_7523:
	s_or_b64 exec, exec, s[82:83]
	s_mov_b64 s[54:55], 0
	s_mov_b64 vcc, 0
	s_and_saveexec_b64 s[52:53], s[4:5]
; %bb.7524:
	v_add_u32_e32 v17, 0x200, v17
	v_cmp_lt_i32_e32 vcc, v17, v8
	s_mov_b64 s[54:55], exec
	s_and_b64 vcc, vcc, exec
; %bb.7525:
	s_or_b64 exec, exec, s[52:53]
	s_and_b64 s[4:5], vcc, exec
	v_readlane_b32 vcc_lo, v41, 54
	v_readlane_b32 vcc_hi, v41, 55
	s_andn2_b64 vcc, vcc, exec
	s_and_b64 s[48:49], s[80:81], exec
	s_or_b64 vcc, vcc, s[48:49]
	v_writelane_b32 v41, vcc_lo, 56
	v_writelane_b32 v41, vcc_hi, 57
	s_orn2_b64 s[64:65], s[54:55], exec
.LBB166_7526:
	s_or_b64 exec, exec, s[86:87]
	s_mov_b64 s[54:55], 0
	s_mov_b64 s[68:69], 0
                                        ; implicit-def: $vgpr4
                                        ; implicit-def: $vgpr112
                                        ; implicit-def: $vgpr6_vgpr7
	s_mov_b64 vcc, exec
	s_mov_b64 s[82:83], vcc
	s_and_b64 vcc, vcc, s[64:65]
	s_mov_b64 exec, vcc
	s_cbranch_execz .LBB166_7738
; %bb.7527:
	v_readlane_b32 s64, v41, 56
	s_mov_b64 vcc, 0
	s_mov_b64 s[54:55], -1
	v_readlane_b32 s65, v41, 57
	s_mov_b64 s[66:67], 0
                                        ; implicit-def: $vgpr4
                                        ; implicit-def: $vgpr112
                                        ; implicit-def: $vgpr6_vgpr7
	s_mov_b64 s[48:49], exec
	v_writelane_b32 v41, s48, 58
	s_and_b64 s[4:5], s[48:49], s[4:5]
	v_writelane_b32 v41, s49, 59
	s_mov_b64 exec, s[4:5]
	s_cbranch_execz .LBB166_7737
; %bb.7528:
	v_readlane_b32 s4, v41, 2
	v_add_u32_e32 v4, s4, v17
	v_mul_lo_u32 v4, v4, v14
	v_mov_b32_e32 v7, 10
	v_readlane_b32 s86, v41, 56
	s_mov_b64 s[4:5], 0
	v_add_co_u32_e32 v4, vcc, v2, v4
	v_addc_co_u32_e32 v5, vcc, 0, v3, vcc
	s_waitcnt vmcnt(0)
	v_cmp_nle_f32_e32 vcc, v12, v0
	v_cndmask_b32_e32 v6, v1, v11, vcc
	v_cmp_gt_i16_sdwa vcc, v13, v7 src0_sel:BYTE_0 src1_sel:DWORD
	v_readlane_b32 s87, v41, 57
	s_and_saveexec_b64 s[48:49], vcc
	s_xor_b64 s[96:97], exec, s[48:49]
	s_cbranch_execz .LBB166_7610
; %bb.7529:
	v_mov_b32_e32 v7, 25
	v_readlane_b32 s80, v41, 56
	v_cmp_gt_i16_sdwa vcc, v13, v7 src0_sel:BYTE_0 src1_sel:DWORD
	v_readlane_b32 s81, v41, 57
	s_and_saveexec_b64 s[48:49], vcc
	s_xor_b64 s[86:87], exec, s[48:49]
	s_cbranch_execz .LBB166_7565
; %bb.7530:
	v_mov_b32_e32 v7, 28
	v_readlane_b32 s80, v41, 56
	v_cmp_gt_i16_sdwa vcc, v13, v7 src0_sel:BYTE_0 src1_sel:DWORD
	v_readlane_b32 s81, v41, 57
	s_and_saveexec_b64 s[48:49], vcc
	s_xor_b64 s[70:71], exec, s[48:49]
	s_cbranch_execz .LBB166_7548
; %bb.7531:
	v_mov_b32_e32 v7, 43
	v_readlane_b32 vcc_lo, v41, 56
	v_cmp_gt_i16_sdwa s[48:49], v13, v7 src0_sel:BYTE_0 src1_sel:DWORD
	v_readlane_b32 vcc_hi, v41, 57
	s_and_saveexec_b64 s[50:51], s[48:49]
	s_xor_b64 s[80:81], exec, s[50:51]
	s_cbranch_execz .LBB166_7543
; %bb.7532:
	v_mov_b32_e32 v7, 45
	v_readlane_b32 s64, v41, 56
	v_cmp_gt_i16_sdwa s[4:5], v13, v7 src0_sel:BYTE_0 src1_sel:DWORD
	v_readlane_b32 s65, v41, 57
	s_and_saveexec_b64 vcc, s[4:5]
	s_xor_b64 s[4:5], exec, vcc
	s_cbranch_execz .LBB166_7536
; %bb.7533:
	v_mov_b32_e32 v7, 46
	v_cmp_eq_u16_sdwa s[48:49], v13, v7 src0_sel:BYTE_0 src1_sel:DWORD
	s_mov_b64 s[54:55], 0
	s_mov_b64 vcc, -1
	s_and_saveexec_b64 s[64:65], s[48:49]
	s_cbranch_execz .LBB166_7535
; %bb.7534:
	v_bfe_u32 v7, v6, 16, 1
	s_movk_i32 vcc_lo, 0x7fff
	v_add3_u32 v7, v6, v7, vcc_lo
	v_cmp_o_f32_e32 vcc, v6, v6
	v_mov_b32_e32 v6, 0x7fc0
	v_cndmask_b32_sdwa v6, v6, v7, vcc dst_sel:DWORD dst_unused:UNUSED_PAD src0_sel:DWORD src1_sel:WORD_1
	s_mov_b64 s[54:55], exec
	flat_store_dword v[4:5], v6
	s_xor_b64 vcc, exec, -1
.LBB166_7535:
	s_or_b64 exec, exec, s[64:65]
	v_readlane_b32 s48, v41, 56
	v_readlane_b32 s49, v41, 57
	s_andn2_b64 s[48:49], s[48:49], exec
	s_and_b64 vcc, vcc, exec
	s_or_b64 s[64:65], s[48:49], vcc
	s_and_b64 s[68:69], s[54:55], exec
                                        ; implicit-def: $vgpr4_vgpr5
                                        ; implicit-def: $vgpr6
.LBB166_7536:
	s_andn2_saveexec_b64 s[66:67], s[4:5]
	s_cbranch_execz .LBB166_7542
; %bb.7537:
	v_mov_b32_e32 v7, 44
	v_cmp_eq_u16_sdwa s[48:49], v13, v7 src0_sel:BYTE_0 src1_sel:DWORD
	s_mov_b64 vcc, -1
	s_mov_b64 s[4:5], s[68:69]
	s_and_saveexec_b64 s[54:55], s[48:49]
	s_cbranch_execz .LBB166_7541
; %bb.7538:
	v_bfe_u32 v7, v6, 23, 8
	s_movk_i32 s4, 0xff
	v_cmp_ne_u32_e32 vcc, s4, v7
	v_mov_b32_e32 v11, 0xff
	s_and_saveexec_b64 s[52:53], vcc
; %bb.7539:
	s_mov_b32 s4, 0x3fffff
	v_lshrrev_b32_e32 v11, 23, v6
	v_and_b32_e32 v12, 0x400000, v6
	v_and_or_b32 v6, v6, s4, v7
	v_cmp_ne_u32_e32 vcc, 0, v12
	v_cmp_ne_u32_e64 s[4:5], 0, v6
	s_and_b64 s[4:5], vcc, s[4:5]
	v_cndmask_b32_e64 v6, 0, 1, s[4:5]
	v_add_u32_e32 v11, v11, v6
; %bb.7540:
	s_or_b64 exec, exec, s[52:53]
	s_xor_b64 vcc, exec, -1
	s_or_b64 s[4:5], s[68:69], exec
	flat_store_byte v[4:5], v11
.LBB166_7541:
	s_or_b64 exec, exec, s[54:55]
	s_andn2_b64 s[48:49], s[64:65], exec
	s_and_b64 vcc, vcc, exec
	s_or_b64 s[64:65], s[48:49], vcc
	s_andn2_b64 vcc, s[68:69], exec
	s_and_b64 s[4:5], s[4:5], exec
	s_or_b64 s[68:69], vcc, s[4:5]
.LBB166_7542:
	s_or_b64 exec, exec, s[66:67]
	v_readlane_b32 s4, v41, 56
	v_readlane_b32 s5, v41, 57
	s_andn2_b64 s[4:5], s[4:5], exec
	s_and_b64 vcc, s[64:65], exec
	s_or_b64 vcc, s[4:5], vcc
	s_and_b64 s[4:5], s[68:69], exec
                                        ; implicit-def: $vgpr6
                                        ; implicit-def: $vgpr4_vgpr5
.LBB166_7543:
	s_andn2_saveexec_b64 s[64:65], s[80:81]
	s_cbranch_execz .LBB166_7547
; %bb.7544:
	v_mov_b32_e32 v7, 29
	v_cmp_eq_u16_sdwa s[48:49], v13, v7 src0_sel:BYTE_0 src1_sel:DWORD
	s_mov_b64 s[66:67], -1
	s_mov_b64 s[52:53], s[4:5]
	s_and_saveexec_b64 s[54:55], s[48:49]
	s_cbranch_execz .LBB166_7546
; %bb.7545:
	v_trunc_f32_e32 v6, v6
	v_mul_f32_e32 v7, 0x2f800000, v6
	v_floor_f32_e32 v11, v7
	v_fmac_f32_e32 v6, 0xcf800000, v11
	v_cvt_u32_f32_e32 v7, v11
	v_cvt_u32_f32_e32 v6, v6
	s_xor_b64 s[66:67], exec, -1
	s_or_b64 s[52:53], s[4:5], exec
	flat_store_dwordx2 v[4:5], v[6:7]
.LBB166_7546:
	s_or_b64 exec, exec, s[54:55]
	s_andn2_b64 vcc, vcc, exec
	s_and_b64 s[48:49], s[66:67], exec
	s_or_b64 vcc, vcc, s[48:49]
	s_andn2_b64 s[4:5], s[4:5], exec
	s_and_b64 s[48:49], s[52:53], exec
	s_or_b64 s[4:5], s[4:5], s[48:49]
.LBB166_7547:
	s_or_b64 exec, exec, s[64:65]
	v_readlane_b32 s48, v41, 56
	v_readlane_b32 s49, v41, 57
	s_andn2_b64 s[48:49], s[48:49], exec
	s_and_b64 vcc, vcc, exec
	s_or_b64 s[80:81], s[48:49], vcc
	s_and_b64 s[4:5], s[4:5], exec
                                        ; implicit-def: $vgpr4_vgpr5
                                        ; implicit-def: $vgpr6
.LBB166_7548:
	s_andn2_saveexec_b64 s[70:71], s[70:71]
	s_cbranch_execz .LBB166_7564
; %bb.7549:
	v_mov_b32_e32 v7, 26
	v_cmp_gt_i16_sdwa vcc, v13, v7 src0_sel:BYTE_0 src1_sel:DWORD
	s_and_saveexec_b64 s[48:49], vcc
	s_xor_b64 vcc, exec, s[48:49]
	s_cbranch_execz .LBB166_7555
; %bb.7550:
	v_cvt_u32_f32_e32 v6, v6
	v_mov_b32_e32 v7, 27
	v_cmp_gt_i16_sdwa s[48:49], v13, v7 src0_sel:BYTE_0 src1_sel:DWORD
	s_and_saveexec_b64 s[50:51], s[48:49]
	s_xor_b64 s[50:51], exec, s[50:51]
	s_cbranch_execz .LBB166_7552
; %bb.7551:
	flat_store_dword v[4:5], v6
                                        ; implicit-def: $vgpr4_vgpr5
                                        ; implicit-def: $vgpr6
.LBB166_7552:
	s_andn2_saveexec_b64 s[50:51], s[50:51]
	s_cbranch_execz .LBB166_7554
; %bb.7553:
	flat_store_short v[4:5], v6
.LBB166_7554:
	s_or_b64 exec, exec, s[50:51]
                                        ; implicit-def: $vgpr4_vgpr5
                                        ; implicit-def: $vgpr6
.LBB166_7555:
	s_andn2_saveexec_b64 s[64:65], vcc
	s_cbranch_execz .LBB166_7563
; %bb.7556:
	v_and_b32_e32 v7, 0x7fffffff, v6
	s_mov_b32 vcc_lo, 0x43800000
	v_cmp_gt_u32_e32 vcc, vcc_lo, v7
	v_mov_b32_e32 v11, 0x80
	s_and_saveexec_b64 s[66:67], vcc
	s_cbranch_execz .LBB166_7562
; %bb.7557:
	s_mov_b32 vcc_lo, 0x3bffffff
	v_cmp_lt_u32_e32 vcc, vcc_lo, v7
	s_mov_b64 s[54:55], 0
                                        ; implicit-def: $vgpr7
	s_and_saveexec_b64 s[48:49], vcc
	s_xor_b64 vcc, exec, s[48:49]
	s_cbranch_execnz .LBB166_7935
; %bb.7558:
	s_andn2_saveexec_b64 s[68:69], vcc
	s_cbranch_execnz .LBB166_7936
.LBB166_7559:
	s_or_b64 exec, exec, s[68:69]
	v_mov_b32_e32 v11, 0
	s_and_saveexec_b64 vcc, s[54:55]
.LBB166_7560:
	v_lshrrev_b32_e32 v6, 24, v6
	s_movk_i32 s48, 0x80
	v_and_or_b32 v11, v6, s48, v7
.LBB166_7561:
	s_or_b64 exec, exec, vcc
.LBB166_7562:
	s_or_b64 exec, exec, s[66:67]
	flat_store_byte v[4:5], v11
.LBB166_7563:
	s_or_b64 exec, exec, s[64:65]
	s_or_b64 s[4:5], s[4:5], exec
.LBB166_7564:
	s_or_b64 exec, exec, s[70:71]
	v_readlane_b32 vcc_lo, v41, 56
	v_readlane_b32 vcc_hi, v41, 57
	s_andn2_b64 vcc, vcc, exec
	s_and_b64 s[48:49], s[80:81], exec
	s_or_b64 s[80:81], vcc, s[48:49]
	s_and_b64 s[4:5], s[4:5], exec
                                        ; implicit-def: $vgpr6
                                        ; implicit-def: $vgpr4_vgpr5
.LBB166_7565:
	s_andn2_saveexec_b64 s[86:87], s[86:87]
	s_cbranch_execz .LBB166_7609
; %bb.7566:
	v_mov_b32_e32 v7, 22
	v_cmp_gt_i16_sdwa vcc, v13, v7 src0_sel:BYTE_0 src1_sel:DWORD
	s_mov_b64 s[68:69], s[4:5]
	s_and_saveexec_b64 s[48:49], vcc
	s_xor_b64 s[70:71], exec, s[48:49]
	s_cbranch_execz .LBB166_7598
; %bb.7567:
	v_mov_b32_e32 v7, 23
	v_cmp_gt_i16_sdwa vcc, v13, v7 src0_sel:BYTE_0 src1_sel:DWORD
	s_and_saveexec_b64 s[48:49], vcc
	s_xor_b64 s[54:55], exec, s[48:49]
	s_cbranch_execz .LBB166_7587
; %bb.7568:
	v_mov_b32_e32 v7, 24
	v_cmp_gt_i16_sdwa vcc, v13, v7 src0_sel:BYTE_0 src1_sel:DWORD
	s_and_saveexec_b64 s[48:49], vcc
	s_xor_b64 s[64:65], exec, s[48:49]
	s_cbranch_execz .LBB166_7576
; %bb.7569:
	v_and_b32_e32 v7, 0x7fffffff, v6
	s_mov_b32 vcc_lo, 0x47800000
	v_cmp_gt_u32_e32 vcc, vcc_lo, v7
	v_mov_b32_e32 v11, 0x80
	s_and_saveexec_b64 s[66:67], vcc
	s_cbranch_execz .LBB166_7575
; %bb.7570:
	s_mov_b32 vcc_lo, 0x37ffffff
	v_cmp_lt_u32_e32 vcc, vcc_lo, v7
	s_mov_b64 s[52:53], 0
                                        ; implicit-def: $vgpr7
	s_and_saveexec_b64 s[48:49], vcc
	s_xor_b64 vcc, exec, s[48:49]
	s_cbranch_execnz .LBB166_7937
; %bb.7571:
	s_andn2_saveexec_b64 s[68:69], vcc
	s_cbranch_execnz .LBB166_7938
.LBB166_7572:
	s_or_b64 exec, exec, s[68:69]
	v_mov_b32_e32 v11, 0
	s_and_saveexec_b64 vcc, s[52:53]
.LBB166_7573:
	v_lshrrev_b32_e32 v6, 24, v6
	s_movk_i32 s48, 0x80
	v_and_or_b32 v11, v6, s48, v7
.LBB166_7574:
	s_or_b64 exec, exec, vcc
.LBB166_7575:
	s_or_b64 exec, exec, s[66:67]
	flat_store_byte v[4:5], v11
                                        ; implicit-def: $vgpr6
                                        ; implicit-def: $vgpr4_vgpr5
.LBB166_7576:
	s_andn2_saveexec_b64 s[64:65], s[64:65]
	s_cbranch_execz .LBB166_7586
; %bb.7577:
	v_and_b32_e32 v11, 0x7fffffff, v6
	s_mov_b32 vcc_lo, 0x43f00000
	v_cmp_gt_u32_e32 vcc, vcc_lo, v11
                                        ; implicit-def: $vgpr7
	s_and_saveexec_b64 s[48:49], vcc
	s_xor_b64 s[66:67], exec, s[48:49]
	s_cbranch_execz .LBB166_7583
; %bb.7578:
	s_mov_b32 vcc_lo, 0x3c7fffff
	v_cmp_lt_u32_e32 vcc, vcc_lo, v11
                                        ; implicit-def: $vgpr7
	s_and_saveexec_b64 s[48:49], vcc
	s_xor_b64 s[52:53], exec, s[48:49]
; %bb.7579:
	v_bfe_u32 v7, v6, 20, 1
	s_mov_b32 vcc_lo, 0x407ffff
	v_add3_u32 v7, v6, v7, vcc_lo
	v_lshrrev_b32_e32 v11, 20, v7
	v_and_b32_e32 v7, 0xff00000, v7
	s_mov_b32 vcc_lo, 0x7f00000
	v_mov_b32_e32 v12, 0x7e
	v_cmp_ne_u32_e32 vcc, vcc_lo, v7
	v_cndmask_b32_e32 v7, v12, v11, vcc
; %bb.7580:
	s_andn2_saveexec_b64 vcc, s[52:53]
; %bb.7581:
	s_mov_b32 s48, 0x46800000
	v_add_f32_e64 v7, |v6|, s48
; %bb.7582:
	s_or_b64 exec, exec, vcc
                                        ; implicit-def: $vgpr11
.LBB166_7583:
	s_andn2_saveexec_b64 s[52:53], s[66:67]
; %bb.7584:
	s_mov_b32 vcc_lo, 0x7f800000
	v_mov_b32_e32 v7, 0x7e
	v_mov_b32_e32 v12, 0x7f
	v_cmp_lt_u32_e32 vcc, vcc_lo, v11
	v_cndmask_b32_e32 v7, v7, v12, vcc
; %bb.7585:
	s_or_b64 exec, exec, s[52:53]
	v_lshrrev_b32_e32 v6, 24, v6
	s_movk_i32 vcc_lo, 0x80
	v_and_or_b32 v6, v6, vcc_lo, v7
	flat_store_byte v[4:5], v6
.LBB166_7586:
	s_or_b64 exec, exec, s[64:65]
                                        ; implicit-def: $vgpr6
                                        ; implicit-def: $vgpr4_vgpr5
.LBB166_7587:
	s_andn2_saveexec_b64 s[64:65], s[54:55]
	s_cbranch_execz .LBB166_7597
; %bb.7588:
	v_and_b32_e32 v11, 0x7fffffff, v6
	s_mov_b32 vcc_lo, 0x47800000
	v_cmp_gt_u32_e32 vcc, vcc_lo, v11
                                        ; implicit-def: $vgpr7
	s_and_saveexec_b64 s[48:49], vcc
	s_xor_b64 s[54:55], exec, s[48:49]
	s_cbranch_execz .LBB166_7594
; %bb.7589:
	s_mov_b32 vcc_lo, 0x387fffff
	v_cmp_lt_u32_e32 vcc, vcc_lo, v11
                                        ; implicit-def: $vgpr7
	s_and_saveexec_b64 s[48:49], vcc
	s_xor_b64 vcc, exec, s[48:49]
; %bb.7590:
	v_bfe_u32 v7, v6, 21, 1
	s_mov_b32 s48, 0x80fffff
	v_add3_u32 v7, v6, v7, s48
	v_lshrrev_b32_e32 v7, 21, v7
; %bb.7591:
	s_andn2_saveexec_b64 vcc, vcc
; %bb.7592:
	s_mov_b32 s48, 0x43000000
	v_add_f32_e64 v7, |v6|, s48
; %bb.7593:
	s_or_b64 exec, exec, vcc
                                        ; implicit-def: $vgpr11
.LBB166_7594:
	s_andn2_saveexec_b64 s[52:53], s[54:55]
; %bb.7595:
	s_mov_b32 vcc_lo, 0x7f800000
	v_mov_b32_e32 v7, 0x7c
	v_mov_b32_e32 v12, 0x7f
	v_cmp_lt_u32_e32 vcc, vcc_lo, v11
	v_cndmask_b32_e32 v7, v7, v12, vcc
; %bb.7596:
	s_or_b64 exec, exec, s[52:53]
	v_lshrrev_b32_e32 v6, 24, v6
	s_movk_i32 vcc_lo, 0x80
	v_and_or_b32 v6, v6, vcc_lo, v7
	flat_store_byte v[4:5], v6
.LBB166_7597:
	s_or_b64 exec, exec, s[64:65]
	s_or_b64 s[68:69], s[4:5], exec
                                        ; implicit-def: $vgpr6
                                        ; implicit-def: $vgpr4_vgpr5
.LBB166_7598:
	s_or_saveexec_b64 s[70:71], s[70:71]
	s_mov_b64 vcc, s[80:81]
	s_xor_b64 exec, exec, s[70:71]
	s_cbranch_execz .LBB166_7608
; %bb.7599:
	v_mov_b32_e32 v7, 14
	v_cmp_gt_i16_sdwa vcc, v13, v7 src0_sel:BYTE_0 src1_sel:DWORD
	s_mov_b64 s[64:65], s[68:69]
	s_mov_b64 s[66:67], s[80:81]
	s_and_saveexec_b64 s[48:49], vcc
	s_xor_b64 s[54:55], exec, s[48:49]
	s_cbranch_execz .LBB166_7603
; %bb.7600:
	v_mov_b32_e32 v7, 15
	v_cmp_eq_u16_sdwa s[48:49], v13, v7 src0_sel:BYTE_0 src1_sel:DWORD
	s_mov_b64 s[52:53], -1
	s_mov_b64 vcc, s[68:69]
	s_and_saveexec_b64 s[64:65], s[48:49]
	s_cbranch_execz .LBB166_7602
; %bb.7601:
	v_bfe_u32 v7, v6, 16, 1
	s_movk_i32 vcc_lo, 0x7fff
	v_add3_u32 v7, v6, v7, vcc_lo
	v_cmp_o_f32_e32 vcc, v6, v6
	v_mov_b32_e32 v6, 0x7fc0
	v_cndmask_b32_sdwa v6, v6, v7, vcc dst_sel:DWORD dst_unused:UNUSED_PAD src0_sel:DWORD src1_sel:WORD_1
	flat_store_short v[4:5], v6
	s_xor_b64 s[52:53], exec, -1
	s_or_b64 vcc, s[68:69], exec
.LBB166_7602:
	s_or_b64 exec, exec, s[64:65]
	s_andn2_b64 s[48:49], s[80:81], exec
	s_and_b64 s[50:51], s[52:53], exec
	s_or_b64 s[66:67], s[48:49], s[50:51]
	s_andn2_b64 s[48:49], s[68:69], exec
	s_and_b64 vcc, vcc, exec
	s_or_b64 s[64:65], s[48:49], vcc
                                        ; implicit-def: $vgpr6
                                        ; implicit-def: $vgpr4_vgpr5
.LBB166_7603:
	s_andn2_saveexec_b64 s[54:55], s[54:55]
	s_cbranch_execz .LBB166_7607
; %bb.7604:
	v_mov_b32_e32 v7, 11
	v_cmp_eq_u16_sdwa s[48:49], v13, v7 src0_sel:BYTE_0 src1_sel:DWORD
	s_mov_b64 s[52:53], -1
	s_mov_b64 vcc, s[64:65]
	s_and_saveexec_b64 s[50:51], s[48:49]
	s_cbranch_execz .LBB166_7606
; %bb.7605:
	v_cmp_neq_f32_e32 vcc, 0, v6
	v_cndmask_b32_e64 v6, 0, 1, vcc
	flat_store_byte v[4:5], v6
	s_xor_b64 s[52:53], exec, -1
	s_or_b64 vcc, s[64:65], exec
.LBB166_7606:
	s_or_b64 exec, exec, s[50:51]
	s_andn2_b64 s[48:49], s[66:67], exec
	s_and_b64 s[50:51], s[52:53], exec
	s_or_b64 s[66:67], s[48:49], s[50:51]
	s_andn2_b64 s[48:49], s[64:65], exec
	s_and_b64 vcc, vcc, exec
	s_or_b64 s[64:65], s[48:49], vcc
.LBB166_7607:
	s_or_b64 exec, exec, s[54:55]
	s_andn2_b64 vcc, s[80:81], exec
	s_and_b64 s[48:49], s[66:67], exec
	s_or_b64 vcc, vcc, s[48:49]
	s_andn2_b64 s[48:49], s[68:69], exec
	s_and_b64 s[50:51], s[64:65], exec
	s_or_b64 s[68:69], s[48:49], s[50:51]
.LBB166_7608:
	s_or_b64 exec, exec, s[70:71]
	s_andn2_b64 s[48:49], s[80:81], exec
	s_and_b64 vcc, vcc, exec
	s_or_b64 s[80:81], s[48:49], vcc
	s_andn2_b64 s[4:5], s[4:5], exec
	s_and_b64 vcc, s[68:69], exec
	s_or_b64 s[4:5], s[4:5], vcc
.LBB166_7609:
	s_or_b64 exec, exec, s[86:87]
	v_readlane_b32 vcc_lo, v41, 56
	v_readlane_b32 vcc_hi, v41, 57
	s_andn2_b64 vcc, vcc, exec
	s_and_b64 s[48:49], s[80:81], exec
	s_or_b64 s[86:87], vcc, s[48:49]
	s_and_b64 s[4:5], s[4:5], exec
                                        ; implicit-def: $vgpr6
                                        ; implicit-def: $vgpr4_vgpr5
.LBB166_7610:
	s_andn2_saveexec_b64 s[80:81], s[96:97]
	s_cbranch_execz .LBB166_7652
; %bb.7611:
	v_mov_b32_e32 v7, 4
	v_cmp_gt_i16_sdwa vcc, v13, v7 src0_sel:BYTE_0 src1_sel:DWORD
	s_and_saveexec_b64 s[48:49], vcc
	s_xor_b64 vcc, exec, s[48:49]
	s_cbranch_execz .LBB166_7633
; %bb.7612:
	v_mov_b32_e32 v7, 7
	v_cmp_gt_i16_sdwa s[48:49], v13, v7 src0_sel:BYTE_0 src1_sel:DWORD
	s_and_saveexec_b64 s[50:51], s[48:49]
	s_xor_b64 s[64:65], exec, s[50:51]
	s_cbranch_execz .LBB166_7622
; %bb.7613:
	v_mov_b32_e32 v7, 8
	v_cmp_gt_i16_sdwa s[48:49], v13, v7 src0_sel:BYTE_0 src1_sel:DWORD
	s_and_saveexec_b64 s[50:51], s[48:49]
	s_xor_b64 s[54:55], exec, s[50:51]
	s_cbranch_execz .LBB166_7619
; %bb.7614:
	v_mov_b32_e32 v7, 9
	v_cmp_gt_i16_sdwa s[48:49], v13, v7 src0_sel:BYTE_0 src1_sel:DWORD
	s_and_saveexec_b64 s[50:51], s[48:49]
	s_xor_b64 s[50:51], exec, s[50:51]
	s_cbranch_execz .LBB166_7616
; %bb.7615:
	v_cvt_f64_f32_e32 v[18:19], v6
	v_mov_b32_e32 v20, 0
	v_mov_b32_e32 v21, v20
                                        ; implicit-def: $vgpr6
	flat_store_dwordx4 v[4:5], v[18:21]
                                        ; implicit-def: $vgpr4_vgpr5
.LBB166_7616:
	s_andn2_saveexec_b64 s[50:51], s[50:51]
	s_cbranch_execz .LBB166_7618
; %bb.7617:
	v_mov_b32_e32 v7, 0
	flat_store_dwordx2 v[4:5], v[6:7]
.LBB166_7618:
	s_or_b64 exec, exec, s[50:51]
                                        ; implicit-def: $vgpr6
                                        ; implicit-def: $vgpr4_vgpr5
.LBB166_7619:
	s_andn2_saveexec_b64 s[50:51], s[54:55]
	s_cbranch_execz .LBB166_7621
; %bb.7620:
	v_cvt_f16_f32_e32 v6, v6
	flat_store_dword v[4:5], v6
.LBB166_7621:
	s_or_b64 exec, exec, s[50:51]
                                        ; implicit-def: $vgpr6
                                        ; implicit-def: $vgpr4_vgpr5
.LBB166_7622:
	s_andn2_saveexec_b64 s[64:65], s[64:65]
	s_cbranch_execz .LBB166_7632
; %bb.7623:
	v_mov_b32_e32 v7, 5
	v_cmp_gt_i16_sdwa s[48:49], v13, v7 src0_sel:BYTE_0 src1_sel:DWORD
	s_and_saveexec_b64 s[50:51], s[48:49]
	s_xor_b64 s[54:55], exec, s[50:51]
	s_cbranch_execz .LBB166_7629
; %bb.7624:
	v_mov_b32_e32 v7, 6
	v_cmp_gt_i16_sdwa s[48:49], v13, v7 src0_sel:BYTE_0 src1_sel:DWORD
	s_and_saveexec_b64 s[50:51], s[48:49]
	s_xor_b64 s[50:51], exec, s[50:51]
	s_cbranch_execz .LBB166_7626
; %bb.7625:
	v_cvt_f64_f32_e32 v[6:7], v6
	flat_store_dwordx2 v[4:5], v[6:7]
                                        ; implicit-def: $vgpr4_vgpr5
                                        ; implicit-def: $vgpr6
.LBB166_7626:
	s_andn2_saveexec_b64 s[50:51], s[50:51]
	s_cbranch_execz .LBB166_7628
; %bb.7627:
	flat_store_dword v[4:5], v6
.LBB166_7628:
	s_or_b64 exec, exec, s[50:51]
                                        ; implicit-def: $vgpr6
                                        ; implicit-def: $vgpr4_vgpr5
.LBB166_7629:
	s_andn2_saveexec_b64 s[50:51], s[54:55]
	s_cbranch_execz .LBB166_7631
; %bb.7630:
	v_cvt_f16_f32_e32 v6, v6
	flat_store_short v[4:5], v6
.LBB166_7631:
	s_or_b64 exec, exec, s[50:51]
.LBB166_7632:
	s_or_b64 exec, exec, s[64:65]
                                        ; implicit-def: $vgpr6
                                        ; implicit-def: $vgpr4_vgpr5
.LBB166_7633:
	s_andn2_saveexec_b64 s[70:71], vcc
	s_cbranch_execz .LBB166_7651
; %bb.7634:
	v_mov_b32_e32 v7, 1
	v_cmp_gt_i16_sdwa vcc, v13, v7 src0_sel:BYTE_0 src1_sel:DWORD
	s_and_saveexec_b64 s[48:49], vcc
	s_xor_b64 s[64:65], exec, s[48:49]
	s_cbranch_execz .LBB166_7644
; %bb.7635:
	v_mov_b32_e32 v7, 2
	v_cmp_gt_i16_sdwa vcc, v13, v7 src0_sel:BYTE_0 src1_sel:DWORD
	s_and_saveexec_b64 s[48:49], vcc
	s_xor_b64 s[66:67], exec, s[48:49]
	;; [unrolled: 6-line block ×3, first 2 shown]
	s_cbranch_execz .LBB166_7638
; %bb.7637:
	v_trunc_f32_e32 v6, v6
	s_mov_b32 s48, 0x2f800000
	v_mul_f32_e64 v7, |v6|, s48
	v_floor_f32_e32 v7, v7
	s_mov_b32 s48, 0xcf800000
	v_cvt_u32_f32_e32 v11, v7
	v_fma_f32 v7, v7, s48, |v6|
	v_cvt_u32_f32_e32 v7, v7
	v_ashrrev_i32_e32 v12, 31, v6
	v_xor_b32_e32 v11, v11, v12
	v_xor_b32_e32 v6, v7, v12
	v_sub_co_u32_e32 v6, vcc, v6, v12
	v_subb_co_u32_e32 v7, vcc, v11, v12, vcc
	flat_store_dwordx2 v[4:5], v[6:7]
                                        ; implicit-def: $vgpr6
                                        ; implicit-def: $vgpr4_vgpr5
.LBB166_7638:
	s_andn2_saveexec_b64 vcc, s[54:55]
	s_cbranch_execz .LBB166_7640
; %bb.7639:
	v_cvt_i32_f32_e32 v6, v6
	flat_store_dword v[4:5], v6
.LBB166_7640:
	s_or_b64 exec, exec, vcc
                                        ; implicit-def: $vgpr6
                                        ; implicit-def: $vgpr4_vgpr5
.LBB166_7641:
	s_andn2_saveexec_b64 vcc, s[66:67]
	s_cbranch_execz .LBB166_7643
; %bb.7642:
	v_cvt_i32_f32_e32 v6, v6
	flat_store_short v[4:5], v6
.LBB166_7643:
	s_or_b64 exec, exec, vcc
                                        ; implicit-def: $vgpr6
                                        ; implicit-def: $vgpr4_vgpr5
.LBB166_7644:
	s_andn2_saveexec_b64 vcc, s[64:65]
	s_cbranch_execz .LBB166_7650
; %bb.7645:
	v_mov_b32_e32 v7, 0
	v_cmp_gt_i16_sdwa s[48:49], v13, v7 src0_sel:BYTE_0 src1_sel:DWORD
	s_and_saveexec_b64 s[50:51], s[48:49]
	s_xor_b64 s[50:51], exec, s[50:51]
	s_cbranch_execz .LBB166_7647
; %bb.7646:
	v_cvt_i32_f32_e32 v6, v6
	flat_store_byte v[4:5], v6
                                        ; implicit-def: $vgpr6
                                        ; implicit-def: $vgpr4_vgpr5
.LBB166_7647:
	s_andn2_saveexec_b64 s[54:55], s[50:51]
	s_cbranch_execz .LBB166_7649
; %bb.7648:
	v_trunc_f32_e32 v6, v6
	s_mov_b32 s48, 0x2f800000
	v_mul_f32_e64 v7, |v6|, s48
	v_floor_f32_e32 v7, v7
	s_mov_b32 s48, 0xcf800000
	v_fma_f32 v7, v7, s48, |v6|
	v_cvt_u32_f32_e32 v7, v7
	v_ashrrev_i32_e32 v6, 31, v6
	v_xor_b32_e32 v7, v7, v6
	v_sub_u32_e32 v6, v7, v6
	flat_store_byte v[4:5], v6
.LBB166_7649:
	s_or_b64 exec, exec, s[54:55]
.LBB166_7650:
	s_or_b64 exec, exec, vcc
.LBB166_7651:
	s_or_b64 exec, exec, s[70:71]
	s_or_b64 s[4:5], s[4:5], exec
.LBB166_7652:
	s_or_b64 exec, exec, s[80:81]
	s_mov_b64 vcc, 0
	s_mov_b64 s[66:67], 0
	s_mov_b64 s[54:55], 0
                                        ; implicit-def: $vgpr4
                                        ; implicit-def: $vgpr112
                                        ; implicit-def: $vgpr6_vgpr7
	s_and_saveexec_b64 s[96:97], s[4:5]
	s_cbranch_execz .LBB166_7736
; %bb.7653:
	v_add_u32_e32 v5, 0x200, v17
	v_cmp_lt_i32_e32 vcc, v5, v8
	s_mov_b64 s[4:5], 0
	s_mov_b64 s[54:55], -1
	s_mov_b64 s[64:65], s[86:87]
                                        ; implicit-def: $vgpr4
                                        ; implicit-def: $vgpr112
                                        ; implicit-def: $vgpr6_vgpr7
	s_and_saveexec_b64 s[80:81], vcc
	s_cbranch_execz .LBB166_7735
; %bb.7654:
	v_readlane_b32 s4, v41, 2
	v_add_u32_e32 v4, s4, v5
	v_mul_lo_u32 v4, v4, v14
	v_and_b32_e32 v112, 0xff, v13
	s_mov_b64 s[66:67], -1
	s_mov_b64 s[64:65], 0
	v_add_co_u32_e32 v6, vcc, v2, v4
	v_addc_co_u32_e32 v7, vcc, 0, v3, vcc
	v_cmp_nle_f32_e32 vcc, v10, v0
	v_cndmask_b32_e32 v4, v1, v9, vcc
	s_mov_b64 s[68:69], s[86:87]
	s_mov_b64 s[54:55], 0
	v_cmp_lt_i16_e32 vcc, 10, v112
	s_mov_b64 s[4:5], exec
	v_writelane_b32 v41, s4, 2
	v_writelane_b32 v41, s5, 3
	s_and_b64 s[4:5], s[4:5], vcc
	s_mov_b64 exec, s[4:5]
	s_cbranch_execz .LBB166_7734
; %bb.7655:
	s_mov_b64 s[4:5], 0
	v_writelane_b32 v41, s4, 60
	v_cmp_lt_i16_e32 vcc, 25, v112
	v_writelane_b32 v41, s5, 61
	s_mov_b64 s[4:5], s[86:87]
	s_mov_b64 s[66:67], 0
	s_and_saveexec_b64 s[48:49], vcc
	s_xor_b64 s[48:49], exec, s[48:49]
	v_writelane_b32 v41, s48, 62
	v_writelane_b32 v41, s49, 63
	s_cbranch_execz .LBB166_7691
; %bb.7656:
	v_cmp_lt_i16_e32 vcc, 28, v112
	s_mov_b64 s[4:5], 0
	s_mov_b64 s[70:71], s[86:87]
	s_and_saveexec_b64 s[48:49], vcc
	s_xor_b64 s[50:51], exec, s[48:49]
	s_cbranch_execz .LBB166_7674
; %bb.7657:
	v_cmp_lt_i16_e32 vcc, 43, v112
	s_mov_b64 s[64:65], s[86:87]
	s_and_saveexec_b64 s[48:49], vcc
	s_xor_b64 s[68:69], exec, s[48:49]
	s_cbranch_execz .LBB166_7669
; %bb.7658:
	v_cmp_lt_i16_e32 vcc, 45, v112
	s_mov_b64 s[64:65], 0
	s_mov_b64 s[70:71], s[86:87]
	s_and_saveexec_b64 s[4:5], vcc
	s_xor_b64 s[4:5], exec, s[4:5]
	s_cbranch_execz .LBB166_7662
; %bb.7659:
	v_cmp_eq_u16_e32 vcc, 46, v112
	s_mov_b64 s[66:67], -1
	s_and_saveexec_b64 s[64:65], vcc
	s_cbranch_execz .LBB166_7661
; %bb.7660:
	v_bfe_u32 v0, v4, 16, 1
	s_movk_i32 vcc_lo, 0x7fff
	v_add3_u32 v0, v4, v0, vcc_lo
	v_cmp_o_f32_e32 vcc, v4, v4
	v_mov_b32_e32 v1, 0x7fc0
	v_cndmask_b32_sdwa v0, v1, v0, vcc dst_sel:DWORD dst_unused:UNUSED_PAD src0_sel:DWORD src1_sel:WORD_1
	s_mov_b64 s[54:55], exec
	flat_store_dword v[6:7], v0
	s_xor_b64 s[66:67], exec, -1
.LBB166_7661:
	s_or_b64 exec, exec, s[64:65]
	s_andn2_b64 vcc, s[86:87], exec
	s_and_b64 s[48:49], s[66:67], exec
	s_and_b64 s[64:65], s[54:55], exec
	s_or_b64 s[70:71], vcc, s[48:49]
.LBB166_7662:
	s_andn2_saveexec_b64 s[66:67], s[4:5]
	s_cbranch_execz .LBB166_7668
; %bb.7663:
	v_cmp_eq_u16_e32 vcc, 44, v112
	s_mov_b64 s[4:5], -1
	s_mov_b64 s[52:53], s[64:65]
	s_and_saveexec_b64 s[54:55], vcc
	s_cbranch_execz .LBB166_7667
; %bb.7664:
	v_bfe_u32 v0, v4, 23, 8
	s_movk_i32 s4, 0xff
	v_cmp_ne_u32_e32 vcc, s4, v0
	v_mov_b32_e32 v1, 0xff
	s_and_saveexec_b64 s[52:53], vcc
; %bb.7665:
	s_mov_b32 s4, 0x3fffff
	v_and_b32_e32 v2, 0x400000, v4
	v_and_or_b32 v0, v4, s4, v0
	v_cmp_ne_u32_e32 vcc, 0, v2
	v_cmp_ne_u32_e64 s[4:5], 0, v0
	s_and_b64 s[4:5], vcc, s[4:5]
	v_lshrrev_b32_e32 v1, 23, v4
	v_cndmask_b32_e64 v0, 0, 1, s[4:5]
	v_add_u32_e32 v1, v1, v0
; %bb.7666:
	s_or_b64 exec, exec, s[52:53]
	s_or_b64 s[52:53], s[64:65], exec
	s_xor_b64 s[4:5], exec, -1
	flat_store_byte v[6:7], v1
.LBB166_7667:
	s_or_b64 exec, exec, s[54:55]
	s_andn2_b64 vcc, s[64:65], exec
	s_and_b64 s[48:49], s[52:53], exec
	s_or_b64 s[64:65], vcc, s[48:49]
	s_andn2_b64 vcc, s[70:71], exec
	s_and_b64 s[4:5], s[4:5], exec
	s_or_b64 s[70:71], vcc, s[4:5]
.LBB166_7668:
	s_or_b64 exec, exec, s[66:67]
	s_andn2_b64 vcc, s[86:87], exec
	s_and_b64 s[48:49], s[70:71], exec
	s_and_b64 s[4:5], s[64:65], exec
	s_or_b64 s[64:65], vcc, s[48:49]
.LBB166_7669:
	s_andn2_saveexec_b64 s[66:67], s[68:69]
	s_cbranch_execz .LBB166_7673
; %bb.7670:
	v_cmp_eq_u16_e32 vcc, 29, v112
	s_mov_b64 s[68:69], -1
	s_mov_b64 s[52:53], s[4:5]
	s_and_saveexec_b64 s[54:55], vcc
	s_cbranch_execz .LBB166_7672
; %bb.7671:
	v_trunc_f32_e32 v0, v4
	v_mul_f32_e32 v1, 0x2f800000, v0
	v_floor_f32_e32 v2, v1
	v_fmac_f32_e32 v0, 0xcf800000, v2
	v_cvt_u32_f32_e32 v1, v2
	v_cvt_u32_f32_e32 v0, v0
	s_or_b64 s[52:53], s[4:5], exec
	s_xor_b64 s[68:69], exec, -1
	flat_store_dwordx2 v[6:7], v[0:1]
.LBB166_7672:
	s_or_b64 exec, exec, s[54:55]
	s_andn2_b64 s[4:5], s[4:5], exec
	s_and_b64 vcc, s[52:53], exec
	s_or_b64 s[4:5], s[4:5], vcc
	s_andn2_b64 vcc, s[64:65], exec
	s_and_b64 s[48:49], s[68:69], exec
	s_or_b64 s[64:65], vcc, s[48:49]
.LBB166_7673:
	s_or_b64 exec, exec, s[66:67]
	s_andn2_b64 vcc, s[86:87], exec
	s_and_b64 s[48:49], s[64:65], exec
	s_and_b64 s[4:5], s[4:5], exec
	s_or_b64 s[70:71], vcc, s[48:49]
.LBB166_7674:
	s_andn2_saveexec_b64 s[68:69], s[50:51]
	s_cbranch_execz .LBB166_7690
; %bb.7675:
	v_cmp_lt_i16_e32 vcc, 26, v112
	s_and_saveexec_b64 s[48:49], vcc
	s_xor_b64 s[54:55], exec, s[48:49]
	s_cbranch_execz .LBB166_7681
; %bb.7676:
	v_cvt_u32_f32_e32 v0, v4
	v_cmp_lt_i16_e32 vcc, 27, v112
	s_and_saveexec_b64 s[48:49], vcc
	s_xor_b64 vcc, exec, s[48:49]
	s_cbranch_execz .LBB166_7678
; %bb.7677:
	flat_store_dword v[6:7], v0
                                        ; implicit-def: $vgpr0
.LBB166_7678:
	s_andn2_saveexec_b64 vcc, vcc
	s_cbranch_execz .LBB166_7680
; %bb.7679:
	flat_store_short v[6:7], v0
.LBB166_7680:
	s_or_b64 exec, exec, vcc
.LBB166_7681:
	s_andn2_saveexec_b64 s[64:65], s[54:55]
	s_cbranch_execz .LBB166_7689
; %bb.7682:
	v_and_b32_e32 v0, 0x7fffffff, v4
	s_mov_b32 vcc_lo, 0x43800000
	v_cmp_gt_u32_e32 vcc, vcc_lo, v0
	v_mov_b32_e32 v1, 0x80
	s_and_saveexec_b64 s[66:67], vcc
	s_cbranch_execz .LBB166_7688
; %bb.7683:
	s_mov_b32 vcc_lo, 0x3bffffff
	v_cmp_lt_u32_e32 vcc, vcc_lo, v0
	s_mov_b64 s[54:55], 0
                                        ; implicit-def: $vgpr0
	s_and_saveexec_b64 s[48:49], vcc
	s_xor_b64 vcc, exec, s[48:49]
	s_cbranch_execnz .LBB166_7939
; %bb.7684:
	s_andn2_saveexec_b64 s[50:51], vcc
	s_cbranch_execnz .LBB166_7940
.LBB166_7685:
	s_or_b64 exec, exec, s[50:51]
	v_mov_b32_e32 v1, 0
	s_and_saveexec_b64 vcc, s[54:55]
.LBB166_7686:
	v_lshrrev_b32_e32 v1, 24, v4
	s_movk_i32 s48, 0x80
	v_and_or_b32 v1, v1, s48, v0
.LBB166_7687:
	s_or_b64 exec, exec, vcc
.LBB166_7688:
	s_or_b64 exec, exec, s[66:67]
	flat_store_byte v[6:7], v1
.LBB166_7689:
	s_or_b64 exec, exec, s[64:65]
	s_or_b64 s[4:5], s[4:5], exec
.LBB166_7690:
	s_or_b64 exec, exec, s[68:69]
	s_and_b64 s[66:67], s[4:5], exec
	s_andn2_b64 s[4:5], s[86:87], exec
	s_and_b64 vcc, s[70:71], exec
	s_or_b64 s[4:5], s[4:5], vcc
.LBB166_7691:
	v_readlane_b32 vcc_lo, v41, 62
	v_readlane_b32 vcc_hi, v41, 63
	s_or_saveexec_b64 vcc, vcc
	v_writelane_b32 v41, vcc_lo, 62
	v_writelane_b32 v41, vcc_hi, 63
	s_xor_b64 exec, exec, vcc
	s_cbranch_execz .LBB166_7733
; %bb.7692:
	v_cmp_lt_i16_e32 vcc, 22, v112
	s_mov_b64 s[68:69], s[66:67]
	s_and_saveexec_b64 s[48:49], vcc
	s_xor_b64 s[70:71], exec, s[48:49]
	s_cbranch_execz .LBB166_7724
; %bb.7693:
	v_cmp_lt_i16_e32 vcc, 23, v112
	s_and_saveexec_b64 s[48:49], vcc
	s_xor_b64 s[48:49], exec, s[48:49]
	v_writelane_b32 v41, s48, 60
	v_writelane_b32 v41, s49, 61
	s_cbranch_execz .LBB166_7713
; %bb.7694:
	v_cmp_lt_i16_e32 vcc, 24, v112
	s_and_saveexec_b64 s[48:49], vcc
	s_xor_b64 s[64:65], exec, s[48:49]
	s_cbranch_execz .LBB166_7702
; %bb.7695:
	v_and_b32_e32 v0, 0x7fffffff, v4
	s_mov_b32 vcc_lo, 0x47800000
	v_cmp_gt_u32_e32 vcc, vcc_lo, v0
	v_mov_b32_e32 v1, 0x80
	s_and_saveexec_b64 s[52:53], vcc
	s_cbranch_execz .LBB166_7701
; %bb.7696:
	s_mov_b32 vcc_lo, 0x37ffffff
	v_cmp_lt_u32_e32 vcc, vcc_lo, v0
	s_mov_b64 s[54:55], 0
                                        ; implicit-def: $vgpr0
	s_and_saveexec_b64 s[48:49], vcc
	s_xor_b64 vcc, exec, s[48:49]
	s_cbranch_execnz .LBB166_7941
; %bb.7697:
	s_andn2_saveexec_b64 s[68:69], vcc
	s_cbranch_execnz .LBB166_7942
.LBB166_7698:
	s_or_b64 exec, exec, s[68:69]
	v_mov_b32_e32 v1, 0
	s_and_saveexec_b64 vcc, s[54:55]
.LBB166_7699:
	v_lshrrev_b32_e32 v1, 24, v4
	s_movk_i32 s48, 0x80
	v_and_or_b32 v1, v1, s48, v0
.LBB166_7700:
	s_or_b64 exec, exec, vcc
.LBB166_7701:
	s_or_b64 exec, exec, s[52:53]
	flat_store_byte v[6:7], v1
.LBB166_7702:
	s_andn2_saveexec_b64 s[64:65], s[64:65]
	s_cbranch_execz .LBB166_7712
; %bb.7703:
	v_and_b32_e32 v1, 0x7fffffff, v4
	s_mov_b32 vcc_lo, 0x43f00000
	v_cmp_gt_u32_e32 vcc, vcc_lo, v1
                                        ; implicit-def: $vgpr0
	s_and_saveexec_b64 s[48:49], vcc
	s_xor_b64 s[50:51], exec, s[48:49]
	s_cbranch_execz .LBB166_7709
; %bb.7704:
	s_mov_b32 vcc_lo, 0x3c7fffff
	v_cmp_lt_u32_e32 vcc, vcc_lo, v1
                                        ; implicit-def: $vgpr0
	s_and_saveexec_b64 s[48:49], vcc
	s_xor_b64 s[52:53], exec, s[48:49]
; %bb.7705:
	v_bfe_u32 v0, v4, 20, 1
	s_mov_b32 vcc_lo, 0x407ffff
	v_add3_u32 v0, v4, v0, vcc_lo
	v_lshrrev_b32_e32 v1, 20, v0
	v_and_b32_e32 v0, 0xff00000, v0
	s_mov_b32 vcc_lo, 0x7f00000
	v_mov_b32_e32 v2, 0x7e
	v_cmp_ne_u32_e32 vcc, vcc_lo, v0
	v_cndmask_b32_e32 v0, v2, v1, vcc
; %bb.7706:
	s_andn2_saveexec_b64 vcc, s[52:53]
; %bb.7707:
	s_mov_b32 s48, 0x46800000
	v_add_f32_e64 v0, |v4|, s48
; %bb.7708:
	s_or_b64 exec, exec, vcc
                                        ; implicit-def: $vgpr1
.LBB166_7709:
	s_andn2_saveexec_b64 s[52:53], s[50:51]
; %bb.7710:
	s_mov_b32 vcc_lo, 0x7f800000
	v_mov_b32_e32 v0, 0x7e
	v_mov_b32_e32 v2, 0x7f
	v_cmp_lt_u32_e32 vcc, vcc_lo, v1
	v_cndmask_b32_e32 v0, v0, v2, vcc
; %bb.7711:
	s_or_b64 exec, exec, s[52:53]
	v_lshrrev_b32_e32 v1, 24, v4
	s_movk_i32 vcc_lo, 0x80
	v_and_or_b32 v0, v1, vcc_lo, v0
	flat_store_byte v[6:7], v0
.LBB166_7712:
	s_or_b64 exec, exec, s[64:65]
.LBB166_7713:
	v_readlane_b32 vcc_lo, v41, 60
	v_readlane_b32 vcc_hi, v41, 61
	s_andn2_saveexec_b64 s[64:65], vcc
	s_cbranch_execz .LBB166_7723
; %bb.7714:
	v_and_b32_e32 v1, 0x7fffffff, v4
	s_mov_b32 vcc_lo, 0x47800000
	v_cmp_gt_u32_e32 vcc, vcc_lo, v1
                                        ; implicit-def: $vgpr0
	s_and_saveexec_b64 s[48:49], vcc
	s_xor_b64 s[54:55], exec, s[48:49]
	s_cbranch_execz .LBB166_7720
; %bb.7715:
	s_mov_b32 vcc_lo, 0x387fffff
	v_cmp_lt_u32_e32 vcc, vcc_lo, v1
                                        ; implicit-def: $vgpr0
	s_and_saveexec_b64 s[48:49], vcc
	s_xor_b64 vcc, exec, s[48:49]
; %bb.7716:
	v_bfe_u32 v0, v4, 21, 1
	s_mov_b32 s48, 0x80fffff
	v_add3_u32 v0, v4, v0, s48
	v_lshrrev_b32_e32 v0, 21, v0
; %bb.7717:
	s_andn2_saveexec_b64 vcc, vcc
; %bb.7718:
	s_mov_b32 s48, 0x43000000
	v_add_f32_e64 v0, |v4|, s48
; %bb.7719:
	s_or_b64 exec, exec, vcc
                                        ; implicit-def: $vgpr1
.LBB166_7720:
	s_andn2_saveexec_b64 s[52:53], s[54:55]
; %bb.7721:
	s_mov_b32 vcc_lo, 0x7f800000
	v_mov_b32_e32 v0, 0x7c
	v_mov_b32_e32 v2, 0x7f
	v_cmp_lt_u32_e32 vcc, vcc_lo, v1
	v_cndmask_b32_e32 v0, v0, v2, vcc
; %bb.7722:
	s_or_b64 exec, exec, s[52:53]
	v_lshrrev_b32_e32 v1, 24, v4
	s_movk_i32 vcc_lo, 0x80
	v_and_or_b32 v0, v1, vcc_lo, v0
	flat_store_byte v[6:7], v0
.LBB166_7723:
	s_or_b64 exec, exec, s[64:65]
	s_or_b64 s[68:69], s[66:67], exec
.LBB166_7724:
	s_or_saveexec_b64 s[70:71], s[70:71]
	s_mov_b64 vcc, 0
	s_mov_b64 s[54:55], s[4:5]
	s_xor_b64 exec, exec, s[70:71]
	s_cbranch_execz .LBB166_7732
; %bb.7725:
	v_cmp_lt_i16_e32 vcc, 14, v112
	s_mov_b64 s[64:65], s[4:5]
	s_mov_b64 s[50:51], s[68:69]
	s_and_saveexec_b64 s[48:49], vcc
	s_xor_b64 s[54:55], exec, s[48:49]
	s_cbranch_execz .LBB166_7729
; %bb.7726:
	s_mov_b64 s[48:49], -1
	v_cmp_eq_u16_e32 vcc, 15, v112
	v_writelane_b32 v41, s48, 60
	s_mov_b64 s[52:53], s[68:69]
	v_writelane_b32 v41, s49, 61
	s_and_saveexec_b64 s[64:65], vcc
	s_cbranch_execz .LBB166_7728
; %bb.7727:
	v_bfe_u32 v0, v4, 16, 1
	s_movk_i32 vcc_lo, 0x7fff
	v_add3_u32 v0, v4, v0, vcc_lo
	v_cmp_o_f32_e32 vcc, v4, v4
	v_mov_b32_e32 v1, 0x7fc0
	v_cndmask_b32_sdwa v0, v1, v0, vcc dst_sel:DWORD dst_unused:UNUSED_PAD src0_sel:DWORD src1_sel:WORD_1
	s_xor_b64 vcc, exec, -1
	v_writelane_b32 v41, vcc_lo, 60
	flat_store_short v[6:7], v0
	s_or_b64 s[52:53], s[68:69], exec
	v_writelane_b32 v41, vcc_hi, 61
.LBB166_7728:
	s_or_b64 exec, exec, s[64:65]
	s_andn2_b64 vcc, s[68:69], exec
	s_and_b64 s[48:49], s[52:53], exec
	s_or_b64 s[50:51], vcc, s[48:49]
	v_readlane_b32 s48, v41, 60
	v_readlane_b32 s49, v41, 61
	s_andn2_b64 vcc, s[4:5], exec
	s_and_b64 s[48:49], s[48:49], exec
	s_or_b64 s[64:65], vcc, s[48:49]
.LBB166_7729:
	s_or_saveexec_b64 s[54:55], s[54:55]
	s_mov_b64 s[52:53], 0
	s_xor_b64 exec, exec, s[54:55]
; %bb.7730:
	v_cmp_ne_u16_e32 vcc, 11, v112
	s_andn2_b64 s[48:49], s[64:65], exec
	s_and_b64 vcc, vcc, exec
	s_mov_b64 s[52:53], exec
	s_or_b64 s[64:65], s[48:49], vcc
; %bb.7731:
	s_or_b64 exec, exec, s[54:55]
	s_andn2_b64 vcc, s[68:69], exec
	s_and_b64 s[50:51], s[50:51], exec
	s_or_b64 s[68:69], vcc, s[50:51]
	s_and_b64 vcc, s[52:53], exec
	s_andn2_b64 s[50:51], s[4:5], exec
	s_and_b64 s[52:53], s[64:65], exec
	s_or_b64 s[54:55], s[50:51], s[52:53]
.LBB166_7732:
	s_or_b64 exec, exec, s[70:71]
	s_and_b64 vcc, vcc, exec
	v_writelane_b32 v41, vcc_lo, 60
	s_andn2_b64 s[48:49], s[66:67], exec
	s_and_b64 s[50:51], s[68:69], exec
	v_writelane_b32 v41, vcc_hi, 61
	s_andn2_b64 s[4:5], s[4:5], exec
	s_and_b64 vcc, s[54:55], exec
	s_or_b64 s[66:67], s[48:49], s[50:51]
	s_or_b64 s[4:5], s[4:5], vcc
.LBB166_7733:
	v_readlane_b32 vcc_lo, v41, 62
	v_readlane_b32 vcc_hi, v41, 63
	s_or_b64 exec, exec, vcc
	v_readlane_b32 vcc_lo, v41, 60
	v_readlane_b32 vcc_hi, v41, 61
	s_and_b64 s[64:65], vcc, exec
	s_andn2_b64 vcc, s[86:87], exec
	s_and_b64 s[4:5], s[4:5], exec
	s_and_b64 s[54:55], s[66:67], exec
	s_xor_b64 s[66:67], exec, -1
	s_or_b64 s[68:69], vcc, s[4:5]
.LBB166_7734:
	v_readlane_b32 s4, v41, 2
	v_readlane_b32 s5, v41, 3
	s_or_b64 exec, exec, s[4:5]
	s_andn2_b64 vcc, s[86:87], exec
	s_and_b64 s[48:49], s[68:69], exec
	s_orn2_b64 s[54:55], s[54:55], exec
	s_and_b64 s[66:67], s[66:67], exec
	s_and_b64 s[4:5], s[64:65], exec
	s_or_b64 s[64:65], vcc, s[48:49]
.LBB166_7735:
	s_or_b64 exec, exec, s[80:81]
	s_and_b64 vcc, s[4:5], exec
	s_andn2_b64 s[4:5], s[86:87], exec
	s_and_b64 s[48:49], s[64:65], exec
	s_and_b64 s[54:55], s[54:55], exec
	;; [unrolled: 1-line block ×3, first 2 shown]
	s_or_b64 s[86:87], s[4:5], s[48:49]
.LBB166_7736:
	s_or_b64 exec, exec, s[96:97]
	v_readlane_b32 s4, v41, 56
	v_readlane_b32 s5, v41, 57
	s_andn2_b64 s[4:5], s[4:5], exec
	s_and_b64 s[48:49], s[86:87], exec
	s_orn2_b64 s[54:55], s[54:55], exec
	s_and_b64 s[66:67], s[66:67], exec
	s_and_b64 vcc, vcc, exec
	s_or_b64 s[64:65], s[4:5], s[48:49]
.LBB166_7737:
	v_readlane_b32 s4, v41, 58
	v_readlane_b32 s5, v41, 59
	s_or_b64 exec, exec, s[4:5]
	v_readlane_b32 s4, v41, 56
	v_readlane_b32 s5, v41, 57
	s_and_b64 s[96:97], vcc, exec
	s_andn2_b64 s[4:5], s[4:5], exec
	s_and_b64 vcc, s[64:65], exec
	s_or_b64 s[4:5], s[4:5], vcc
	s_and_b64 s[68:69], s[54:55], exec
	s_and_b64 s[54:55], s[66:67], exec
	v_writelane_b32 v41, s4, 56
	v_writelane_b32 v41, s5, 57
.LBB166_7738:
	s_or_b64 exec, exec, s[82:83]
	v_readlane_b32 vcc_lo, v41, 54
	v_readlane_b32 s48, v41, 56
	v_readlane_b32 vcc_hi, v41, 55
	v_readlane_b32 s49, v41, 57
	s_andn2_b64 vcc, vcc, exec
	s_and_b64 s[48:49], s[48:49], exec
	s_or_b64 vcc, vcc, s[48:49]
	s_and_b64 s[64:65], s[68:69], exec
	s_and_b64 s[4:5], s[54:55], exec
	;; [unrolled: 1-line block ×3, first 2 shown]
	v_writelane_b32 v41, vcc_lo, 54
	v_writelane_b32 v41, vcc_hi, 55
.LBB166_7739:
	s_or_b64 exec, exec, s[84:85]
	s_and_b64 vcc, s[4:5], exec
	v_readlane_b32 s4, v41, 50
	v_readlane_b32 s48, v41, 54
	;; [unrolled: 1-line block ×4, first 2 shown]
	s_andn2_b64 s[4:5], s[4:5], exec
	s_and_b64 s[48:49], s[48:49], exec
	s_or_b64 s[4:5], s[4:5], s[48:49]
	s_and_b64 s[54:55], s[64:65], exec
	s_and_b64 s[96:97], s[96:97], exec
	v_writelane_b32 v41, s4, 50
	v_writelane_b32 v41, s5, 51
.LBB166_7740:
	v_readlane_b32 s4, v41, 52
	v_readlane_b32 s5, v41, 53
	s_or_b64 exec, exec, s[4:5]
	s_and_b64 s[4:5], vcc, exec
	v_readlane_b32 vcc_lo, v41, 46
	v_readlane_b32 s48, v41, 50
	v_readlane_b32 vcc_hi, v41, 47
	v_readlane_b32 s49, v41, 51
	s_andn2_b64 vcc, vcc, exec
	s_and_b64 s[48:49], s[48:49], exec
	s_or_b64 vcc, vcc, s[48:49]
	s_and_b64 s[54:55], s[54:55], exec
	s_and_b64 s[96:97], s[96:97], exec
	v_writelane_b32 v41, vcc_lo, 46
	v_writelane_b32 v41, vcc_hi, 47
.LBB166_7741:
	v_readlane_b32 vcc_lo, v41, 48
	v_readlane_b32 vcc_hi, v41, 49
	s_or_b64 exec, exec, vcc
	s_and_b64 vcc, s[4:5], exec
	v_readlane_b32 s4, v41, 42
	v_readlane_b32 s48, v41, 46
	;; [unrolled: 1-line block ×4, first 2 shown]
	s_andn2_b64 s[4:5], s[4:5], exec
	s_and_b64 s[48:49], s[48:49], exec
	s_or_b64 s[4:5], s[4:5], s[48:49]
	s_and_b64 s[54:55], s[54:55], exec
	s_and_b64 s[96:97], s[96:97], exec
	v_writelane_b32 v41, s4, 42
	v_writelane_b32 v41, s5, 43
.LBB166_7742:
	v_readlane_b32 s4, v41, 44
	v_readlane_b32 s5, v41, 45
	s_or_b64 exec, exec, s[4:5]
	s_and_b64 s[4:5], vcc, exec
	v_readlane_b32 vcc_lo, v41, 38
	v_readlane_b32 s48, v41, 42
	v_readlane_b32 vcc_hi, v41, 39
	v_readlane_b32 s49, v41, 43
	s_andn2_b64 vcc, vcc, exec
	s_and_b64 s[48:49], s[48:49], exec
	s_or_b64 vcc, vcc, s[48:49]
	s_and_b64 s[54:55], s[54:55], exec
	s_and_b64 s[96:97], s[96:97], exec
	v_writelane_b32 v41, vcc_lo, 38
	v_writelane_b32 v41, vcc_hi, 39
.LBB166_7743:
	v_readlane_b32 vcc_lo, v41, 40
	v_readlane_b32 vcc_hi, v41, 41
	s_or_b64 exec, exec, vcc
	s_and_b64 vcc, s[4:5], exec
	v_readlane_b32 s4, v41, 32
	v_readlane_b32 s48, v41, 38
	;; [unrolled: 1-line block ×4, first 2 shown]
	s_andn2_b64 s[4:5], s[4:5], exec
	s_and_b64 s[48:49], s[48:49], exec
	s_or_b64 s[4:5], s[4:5], s[48:49]
	s_and_b64 s[54:55], s[54:55], exec
	s_and_b64 s[96:97], s[96:97], exec
	v_writelane_b32 v41, s4, 32
	v_writelane_b32 v41, s5, 33
.LBB166_7744:
	v_readlane_b32 s4, v41, 36
	v_readlane_b32 s5, v41, 37
	s_or_b64 exec, exec, s[4:5]
	s_and_b64 s[4:5], vcc, exec
	v_readlane_b32 vcc_lo, v41, 28
	v_readlane_b32 s48, v41, 32
	v_readlane_b32 vcc_hi, v41, 29
	v_readlane_b32 s49, v41, 33
	s_andn2_b64 vcc, vcc, exec
	s_and_b64 s[48:49], s[48:49], exec
	s_or_b64 vcc, vcc, s[48:49]
	s_and_b64 s[54:55], s[54:55], exec
	s_and_b64 s[96:97], s[96:97], exec
	v_writelane_b32 v41, vcc_lo, 28
	v_writelane_b32 v41, vcc_hi, 29
.LBB166_7745:
	v_readlane_b32 vcc_lo, v41, 34
	v_readlane_b32 vcc_hi, v41, 35
	s_or_b64 exec, exec, vcc
	s_and_b64 vcc, s[4:5], exec
	v_readlane_b32 s4, v41, 26
	v_readlane_b32 s48, v41, 28
	;; [unrolled: 1-line block ×4, first 2 shown]
	s_andn2_b64 s[4:5], s[4:5], exec
	s_and_b64 s[48:49], s[48:49], exec
	s_or_b64 s[4:5], s[4:5], s[48:49]
	s_and_b64 s[54:55], s[54:55], exec
	s_and_b64 s[96:97], s[96:97], exec
	v_writelane_b32 v41, s4, 26
	v_writelane_b32 v41, s5, 27
.LBB166_7746:
	v_readlane_b32 s4, v41, 30
	v_readlane_b32 s5, v41, 31
	s_or_b64 exec, exec, s[4:5]
	s_and_b64 s[4:5], vcc, exec
	v_readlane_b32 vcc_lo, v41, 22
	v_readlane_b32 s48, v41, 26
	v_readlane_b32 vcc_hi, v41, 23
	v_readlane_b32 s49, v41, 27
	s_andn2_b64 vcc, vcc, exec
	s_and_b64 s[48:49], s[48:49], exec
	s_or_b64 vcc, vcc, s[48:49]
	s_and_b64 s[54:55], s[54:55], exec
	s_and_b64 s[96:97], s[96:97], exec
	v_writelane_b32 v41, vcc_lo, 22
	v_writelane_b32 v41, vcc_hi, 23
.LBB166_7747:
	v_readlane_b32 vcc_lo, v41, 24
	v_readlane_b32 vcc_hi, v41, 25
	s_or_b64 exec, exec, vcc
	s_and_b64 vcc, s[4:5], exec
	v_readlane_b32 s4, v41, 14
	v_readlane_b32 s48, v41, 22
	;; [unrolled: 1-line block ×4, first 2 shown]
	s_andn2_b64 s[4:5], s[4:5], exec
	s_and_b64 s[48:49], s[48:49], exec
	s_or_b64 s[4:5], s[4:5], s[48:49]
	s_and_b64 s[54:55], s[54:55], exec
	s_and_b64 s[86:87], s[96:97], exec
	v_writelane_b32 v41, s4, 14
	v_writelane_b32 v41, s5, 15
.LBB166_7748:
	v_readlane_b32 s4, v41, 18
	v_readlane_b32 s5, v41, 19
	s_or_b64 exec, exec, s[4:5]
	s_and_b64 s[4:5], vcc, exec
	v_readlane_b32 vcc_lo, v41, 16
	v_readlane_b32 s48, v41, 14
	v_readlane_b32 vcc_hi, v41, 17
	v_readlane_b32 s49, v41, 15
	s_andn2_b64 vcc, vcc, exec
	s_and_b64 s[48:49], s[48:49], exec
	s_or_b64 vcc, vcc, s[48:49]
	s_and_b64 s[54:55], s[54:55], exec
	s_and_b64 s[82:83], s[86:87], exec
	v_writelane_b32 v41, vcc_lo, 16
	v_writelane_b32 v41, vcc_hi, 17
.LBB166_7749:
	v_readlane_b32 vcc_lo, v41, 20
	v_readlane_b32 vcc_hi, v41, 21
	s_or_b64 exec, exec, vcc
	s_and_b64 vcc, s[4:5], exec
	v_readlane_b32 s4, v41, 6
	v_readlane_b32 s48, v41, 16
	;; [unrolled: 1-line block ×4, first 2 shown]
	s_andn2_b64 s[4:5], s[4:5], exec
	s_and_b64 s[48:49], s[48:49], exec
	s_or_b64 s[4:5], s[4:5], s[48:49]
	s_and_b64 s[54:55], s[54:55], exec
	s_and_b64 s[70:71], s[82:83], exec
	v_writelane_b32 v41, s4, 6
	v_writelane_b32 v41, s5, 7
.LBB166_7750:
	v_readlane_b32 s4, v41, 12
	v_readlane_b32 s5, v41, 13
	s_or_b64 exec, exec, s[4:5]
	s_and_b64 s[4:5], vcc, exec
	v_readlane_b32 vcc_lo, v41, 4
	v_readlane_b32 s48, v41, 6
	v_readlane_b32 vcc_hi, v41, 5
	v_readlane_b32 s49, v41, 7
	s_andn2_b64 vcc, vcc, exec
	s_and_b64 s[48:49], s[48:49], exec
	s_or_b64 vcc, vcc, s[48:49]
	s_and_b64 s[54:55], s[54:55], exec
	s_and_b64 s[66:67], s[70:71], exec
	v_writelane_b32 v41, vcc_lo, 4
	v_writelane_b32 v41, vcc_hi, 5
.LBB166_7751:
	v_readlane_b32 vcc_lo, v41, 8
	v_readlane_b32 vcc_hi, v41, 9
	s_or_b64 exec, exec, vcc
	s_and_b64 vcc, s[4:5], exec
	v_readlane_b32 s4, v41, 0
	v_readlane_b32 s48, v41, 4
	;; [unrolled: 1-line block ×4, first 2 shown]
	s_andn2_b64 s[4:5], s[4:5], exec
	s_and_b64 s[48:49], s[48:49], exec
	s_or_b64 s[4:5], s[4:5], s[48:49]
	s_and_b64 s[64:65], s[54:55], exec
	s_and_b64 s[54:55], s[66:67], exec
	v_writelane_b32 v41, s4, 0
	v_writelane_b32 v41, s5, 1
.LBB166_7752:
	v_readlane_b32 s4, v41, 10
	v_readlane_b32 s5, v41, 11
	s_or_b64 exec, exec, s[4:5]
	s_and_b64 s[4:5], vcc, exec
	s_andn2_b64 vcc, s[36:37], exec
	v_readlane_b32 s36, v41, 0
	v_readlane_b32 s37, v41, 1
	s_and_b64 s[36:37], s[36:37], exec
	s_and_b64 s[52:53], s[64:65], exec
	;; [unrolled: 1-line block ×3, first 2 shown]
	s_or_b64 s[36:37], vcc, s[36:37]
.LBB166_7753:
	s_or_b64 exec, exec, s[38:39]
	s_and_b64 vcc, s[4:5], exec
	s_andn2_b64 s[4:5], s[30:31], exec
	s_and_b64 s[30:31], s[36:37], exec
	s_and_b64 s[48:49], s[52:53], exec
	;; [unrolled: 1-line block ×3, first 2 shown]
	s_or_b64 s[30:31], s[4:5], s[30:31]
.LBB166_7754:
	s_or_b64 exec, exec, s[34:35]
	s_and_b64 s[4:5], vcc, exec
	s_andn2_b64 s[92:93], s[92:93], exec
	s_and_b64 vcc, s[30:31], exec
	s_and_b64 s[36:37], s[48:49], exec
	s_and_b64 s[34:35], s[38:39], exec
	s_or_b64 s[92:93], s[92:93], vcc
.LBB166_7755:
	s_or_b64 exec, exec, s[94:95]
	s_and_b64 vcc, s[4:5], exec
	s_andn2_b64 s[4:5], s[88:89], exec
	s_and_b64 s[88:89], s[92:93], exec
	s_and_b64 s[30:31], s[36:37], exec
	;; [unrolled: 1-line block ×3, first 2 shown]
	s_or_b64 s[88:89], s[4:5], s[88:89]
.LBB166_7756:
	s_or_b64 exec, exec, s[90:91]
	s_andn2_b64 s[76:77], s[76:77], exec
	s_and_b64 s[88:89], s[88:89], exec
	s_and_b64 s[30:31], s[30:31], exec
	s_and_b64 s[4:5], vcc, exec
	s_and_b64 s[90:91], s[94:95], exec
	s_or_b64 s[76:77], s[76:77], s[88:89]
.LBB166_7757:
	s_or_b64 exec, exec, s[78:79]
	s_and_b64 s[88:89], s[4:5], exec
	s_andn2_b64 s[4:5], s[72:73], exec
	s_and_b64 s[72:73], s[76:77], exec
	s_and_b64 s[92:93], s[30:31], exec
	;; [unrolled: 1-line block ×3, first 2 shown]
	s_or_b64 s[72:73], s[4:5], s[72:73]
.LBB166_7758:
	s_or_b64 exec, exec, s[74:75]
	s_andn2_b64 s[60:61], s[60:61], exec
	s_and_b64 s[72:73], s[72:73], exec
	s_and_b64 s[90:91], s[92:93], exec
	;; [unrolled: 1-line block ×4, first 2 shown]
	s_or_b64 s[60:61], s[60:61], s[72:73]
.LBB166_7759:
	s_or_b64 exec, exec, s[62:63]
	s_and_b64 s[72:73], s[4:5], exec
	s_andn2_b64 s[4:5], s[56:57], exec
	s_and_b64 s[56:57], s[60:61], exec
	s_and_b64 s[76:77], s[90:91], exec
	;; [unrolled: 1-line block ×3, first 2 shown]
	s_or_b64 s[56:57], s[4:5], s[56:57]
.LBB166_7760:
	s_or_b64 exec, exec, s[58:59]
	s_andn2_b64 s[44:45], s[44:45], exec
	s_and_b64 s[56:57], s[56:57], exec
	s_and_b64 s[74:75], s[76:77], exec
	s_and_b64 s[4:5], s[72:73], exec
	s_and_b64 s[58:59], s[62:63], exec
	s_or_b64 s[44:45], s[44:45], s[56:57]
.LBB166_7761:
	s_or_b64 exec, exec, s[46:47]
	s_and_b64 s[56:57], s[4:5], exec
	s_andn2_b64 s[4:5], s[40:41], exec
	s_and_b64 s[40:41], s[44:45], exec
	s_and_b64 s[60:61], s[74:75], exec
	;; [unrolled: 1-line block ×3, first 2 shown]
	s_or_b64 s[40:41], s[4:5], s[40:41]
.LBB166_7762:
	s_or_b64 exec, exec, s[42:43]
	s_andn2_b64 s[26:27], s[26:27], exec
	s_and_b64 s[40:41], s[40:41], exec
	s_and_b64 s[58:59], s[60:61], exec
	;; [unrolled: 1-line block ×4, first 2 shown]
	s_or_b64 s[26:27], s[26:27], s[40:41]
.LBB166_7763:
	s_or_b64 exec, exec, s[28:29]
	s_and_b64 s[40:41], s[4:5], exec
	s_andn2_b64 s[4:5], s[22:23], exec
	s_and_b64 s[22:23], s[26:27], exec
	s_and_b64 s[44:45], s[58:59], exec
	;; [unrolled: 1-line block ×3, first 2 shown]
	s_or_b64 s[22:23], s[4:5], s[22:23]
.LBB166_7764:
	s_or_b64 exec, exec, s[24:25]
	s_andn2_b64 s[18:19], s[18:19], exec
	s_and_b64 s[22:23], s[22:23], exec
	s_and_b64 s[42:43], s[44:45], exec
	s_and_b64 s[4:5], s[40:41], exec
	s_and_b64 s[24:25], s[28:29], exec
	s_or_b64 s[18:19], s[18:19], s[22:23]
.LBB166_7765:
	s_or_b64 exec, exec, s[20:21]
	s_and_b64 s[22:23], s[4:5], exec
	s_andn2_b64 s[4:5], s[14:15], exec
	s_and_b64 s[14:15], s[18:19], exec
	s_and_b64 s[26:27], s[42:43], exec
	;; [unrolled: 1-line block ×3, first 2 shown]
	s_or_b64 s[14:15], s[4:5], s[14:15]
.LBB166_7766:
	s_or_b64 exec, exec, s[16:17]
	s_andn2_b64 s[6:7], s[6:7], exec
	s_and_b64 s[14:15], s[14:15], exec
	s_and_b64 s[4:5], s[26:27], exec
	;; [unrolled: 1-line block ×4, first 2 shown]
	s_or_b64 s[6:7], s[6:7], s[14:15]
	s_or_b64 exec, exec, s[12:13]
	s_mov_b64 s[12:13], 0
	s_and_saveexec_b64 s[14:15], s[6:7]
	s_cbranch_execz .LBB166_3784
.LBB166_7767:
	s_mov_b64 s[12:13], exec
	s_andn2_b64 s[16:17], s[16:17], exec
	s_trap 2
	s_or_b64 exec, exec, s[14:15]
	s_and_saveexec_b64 s[6:7], s[16:17]
	s_xor_b64 s[6:7], exec, s[6:7]
	s_cbranch_execz .LBB166_3785
.LBB166_7768:
	v_cmp_neq_f32_e32 vcc, 0, v4
	v_cndmask_b32_e64 v0, 0, 1, vcc
	s_or_b64 s[4:5], s[4:5], exec
	flat_store_byte v[6:7], v0
	s_or_b64 exec, exec, s[6:7]
	s_and_saveexec_b64 s[6:7], s[18:19]
	s_cbranch_execz .LBB166_7810
.LBB166_7769:
	v_cmp_lt_i16_e32 vcc, 4, v112
	s_and_saveexec_b64 s[14:15], vcc
	s_xor_b64 s[14:15], exec, s[14:15]
	s_cbranch_execz .LBB166_7791
; %bb.7770:
	v_cmp_lt_i16_e32 vcc, 7, v112
	s_and_saveexec_b64 s[16:17], vcc
	s_xor_b64 s[16:17], exec, s[16:17]
	s_cbranch_execz .LBB166_7780
; %bb.7771:
	;; [unrolled: 5-line block ×4, first 2 shown]
	v_cvt_f64_f32_e32 v[0:1], v4
	v_mov_b32_e32 v2, 0
	v_mov_b32_e32 v3, v2
	flat_store_dwordx4 v[6:7], v[0:3]
.LBB166_7774:
	s_andn2_saveexec_b64 s[20:21], s[20:21]
	s_cbranch_execz .LBB166_7776
; %bb.7775:
	v_mov_b32_e32 v5, 0
	flat_store_dwordx2 v[6:7], v[4:5]
.LBB166_7776:
	s_or_b64 exec, exec, s[20:21]
.LBB166_7777:
	s_andn2_saveexec_b64 s[18:19], s[18:19]
	s_cbranch_execz .LBB166_7779
; %bb.7778:
	v_cvt_f16_f32_e32 v0, v4
	flat_store_dword v[6:7], v0
.LBB166_7779:
	s_or_b64 exec, exec, s[18:19]
.LBB166_7780:
	s_andn2_saveexec_b64 s[16:17], s[16:17]
	s_cbranch_execz .LBB166_7790
; %bb.7781:
	v_cmp_lt_i16_e32 vcc, 5, v112
	s_and_saveexec_b64 s[18:19], vcc
	s_xor_b64 s[18:19], exec, s[18:19]
	s_cbranch_execz .LBB166_7787
; %bb.7782:
	v_cmp_lt_i16_e32 vcc, 6, v112
	s_and_saveexec_b64 s[20:21], vcc
	s_xor_b64 s[20:21], exec, s[20:21]
	s_cbranch_execz .LBB166_7784
; %bb.7783:
	v_cvt_f64_f32_e32 v[0:1], v4
	flat_store_dwordx2 v[6:7], v[0:1]
.LBB166_7784:
	s_andn2_saveexec_b64 s[20:21], s[20:21]
	s_cbranch_execz .LBB166_7786
; %bb.7785:
	flat_store_dword v[6:7], v4
.LBB166_7786:
	s_or_b64 exec, exec, s[20:21]
.LBB166_7787:
	s_andn2_saveexec_b64 s[18:19], s[18:19]
	s_cbranch_execz .LBB166_7789
; %bb.7788:
	v_cvt_f16_f32_e32 v0, v4
	flat_store_short v[6:7], v0
.LBB166_7789:
	s_or_b64 exec, exec, s[18:19]
.LBB166_7790:
	s_or_b64 exec, exec, s[16:17]
.LBB166_7791:
	s_andn2_saveexec_b64 s[14:15], s[14:15]
	s_cbranch_execz .LBB166_7809
; %bb.7792:
	v_cmp_lt_i16_e32 vcc, 1, v112
	s_and_saveexec_b64 s[16:17], vcc
	s_xor_b64 s[16:17], exec, s[16:17]
	s_cbranch_execz .LBB166_7802
; %bb.7793:
	v_cmp_lt_i16_e32 vcc, 2, v112
	s_and_saveexec_b64 s[18:19], vcc
	s_xor_b64 s[18:19], exec, s[18:19]
	;; [unrolled: 5-line block ×3, first 2 shown]
	s_cbranch_execz .LBB166_7796
; %bb.7795:
	v_trunc_f32_e32 v0, v4
	s_mov_b32 s22, 0x2f800000
	v_mul_f32_e64 v1, |v0|, s22
	v_floor_f32_e32 v1, v1
	s_mov_b32 s22, 0xcf800000
	v_cvt_u32_f32_e32 v2, v1
	v_fma_f32 v1, v1, s22, |v0|
	v_cvt_u32_f32_e32 v1, v1
	v_ashrrev_i32_e32 v3, 31, v0
	v_xor_b32_e32 v2, v2, v3
	v_xor_b32_e32 v0, v1, v3
	v_sub_co_u32_e32 v0, vcc, v0, v3
	v_subb_co_u32_e32 v1, vcc, v2, v3, vcc
	flat_store_dwordx2 v[6:7], v[0:1]
                                        ; implicit-def: $vgpr6_vgpr7
.LBB166_7796:
	s_andn2_saveexec_b64 s[20:21], s[20:21]
	s_cbranch_execz .LBB166_7798
; %bb.7797:
	v_cvt_i32_f32_e32 v0, v4
	flat_store_dword v[6:7], v0
.LBB166_7798:
	s_or_b64 exec, exec, s[20:21]
                                        ; implicit-def: $vgpr6_vgpr7
.LBB166_7799:
	s_andn2_saveexec_b64 s[18:19], s[18:19]
	s_cbranch_execz .LBB166_7801
; %bb.7800:
	v_cvt_i32_f32_e32 v0, v4
	flat_store_short v[6:7], v0
.LBB166_7801:
	s_or_b64 exec, exec, s[18:19]
                                        ; implicit-def: $vgpr6_vgpr7
.LBB166_7802:
	s_andn2_saveexec_b64 s[16:17], s[16:17]
	s_cbranch_execz .LBB166_7808
; %bb.7803:
	v_cmp_lt_i16_e32 vcc, 0, v112
	s_and_saveexec_b64 s[18:19], vcc
	s_xor_b64 s[18:19], exec, s[18:19]
	s_cbranch_execz .LBB166_7805
; %bb.7804:
	v_cvt_i32_f32_e32 v0, v4
                                        ; implicit-def: $vgpr4
	flat_store_byte v[6:7], v0
                                        ; implicit-def: $vgpr6_vgpr7
.LBB166_7805:
	s_andn2_saveexec_b64 s[18:19], s[18:19]
	s_cbranch_execz .LBB166_7807
; %bb.7806:
	v_trunc_f32_e32 v0, v4
	s_mov_b32 s20, 0x2f800000
	v_mul_f32_e64 v1, |v0|, s20
	v_floor_f32_e32 v1, v1
	s_mov_b32 s20, 0xcf800000
	v_fma_f32 v1, v1, s20, |v0|
	v_cvt_u32_f32_e32 v1, v1
	v_ashrrev_i32_e32 v0, 31, v0
	v_xor_b32_e32 v1, v1, v0
	v_sub_u32_e32 v0, v1, v0
	flat_store_byte v[6:7], v0
.LBB166_7807:
	s_or_b64 exec, exec, s[18:19]
.LBB166_7808:
	s_or_b64 exec, exec, s[16:17]
.LBB166_7809:
	s_or_b64 exec, exec, s[14:15]
	s_or_b64 s[4:5], s[4:5], exec
.LBB166_7810:
	s_or_b64 exec, exec, s[6:7]
	s_and_saveexec_b64 s[6:7], s[4:5]
	s_xor_b64 s[4:5], exec, s[6:7]
	s_or_b64 exec, exec, s[4:5]
	s_and_b64 s[4:5], s[12:13], exec
.LBB166_7811:
	s_andn2_saveexec_b64 s[6:7], s[10:11]
	s_cbranch_execnz .LBB166_7814
.LBB166_7812:
	s_or_b64 exec, exec, s[6:7]
	s_and_b64 s[4:5], s[4:5], exec
	s_andn2_saveexec_b64 s[6:7], s[8:9]
	s_cbranch_execz .LBB166_3652
.LBB166_7813:
	s_or_b64 s[4:5], s[4:5], exec
	s_trap 2
	s_or_b64 exec, exec, s[6:7]
	s_and_saveexec_b64 s[6:7], s[4:5]
	s_cbranch_execnz .LBB166_3653
	s_branch .LBB166_3654
.LBB166_7814:
	s_or_b64 s[4:5], s[4:5], exec
	s_trap 2
	s_branch .LBB166_7812
.LBB166_7815:
	v_bfe_u32 v7, v6, 20, 1
	s_mov_b32 s44, 0x487ffff
	v_add3_u32 v7, v6, v7, s44
	s_mov_b64 s[40:41], exec
	v_lshrrev_b32_e32 v7, 20, v7
	s_andn2_saveexec_b64 s[42:43], s[42:43]
	s_cbranch_execz .LBB166_3688
.LBB166_7816:
	s_mov_b32 s44, 0x46000000
	v_add_f32_e64 v7, |v6|, s44
	v_and_b32_e32 v7, 0xff, v7
	v_cmp_ne_u32_e32 vcc, 0, v7
	s_andn2_b64 s[40:41], s[40:41], exec
	s_and_b64 s[44:45], vcc, exec
	s_or_b64 s[40:41], s[40:41], s[44:45]
	s_or_b64 exec, exec, s[42:43]
	v_mov_b32_e32 v17, 0
	s_and_saveexec_b64 s[42:43], s[40:41]
	s_cbranch_execnz .LBB166_3689
	s_branch .LBB166_3690
.LBB166_7817:
	v_bfe_u32 v7, v6, 21, 1
	s_mov_b32 s46, 0x88fffff
	v_add3_u32 v7, v6, v7, s46
	s_mov_b64 s[42:43], exec
	v_lshrrev_b32_e32 v7, 21, v7
	s_andn2_saveexec_b64 s[44:45], s[44:45]
	s_cbranch_execz .LBB166_3701
.LBB166_7818:
	s_mov_b32 s46, 0x42800000
	v_add_f32_e64 v7, |v6|, s46
	v_and_b32_e32 v7, 0xff, v7
	v_cmp_ne_u32_e32 vcc, 0, v7
	s_andn2_b64 s[42:43], s[42:43], exec
	s_and_b64 s[46:47], vcc, exec
	s_or_b64 s[42:43], s[42:43], s[46:47]
	s_or_b64 exec, exec, s[44:45]
	v_mov_b32_e32 v17, 0
	s_and_saveexec_b64 s[44:45], s[42:43]
	s_cbranch_execnz .LBB166_3702
	s_branch .LBB166_3703
.LBB166_7819:
	v_bfe_u32 v7, v6, 20, 1
	s_mov_b32 s44, 0x487ffff
	v_add3_u32 v7, v6, v7, s44
	s_mov_b64 s[40:41], exec
	v_lshrrev_b32_e32 v7, 20, v7
	s_andn2_saveexec_b64 s[42:43], s[42:43]
	s_cbranch_execz .LBB166_3818
.LBB166_7820:
	s_mov_b32 s44, 0x46000000
	v_add_f32_e64 v7, |v6|, s44
	v_and_b32_e32 v7, 0xff, v7
	v_cmp_ne_u32_e32 vcc, 0, v7
	s_andn2_b64 s[40:41], s[40:41], exec
	s_and_b64 s[44:45], vcc, exec
	s_or_b64 s[40:41], s[40:41], s[44:45]
	s_or_b64 exec, exec, s[42:43]
	v_mov_b32_e32 v112, 0
	s_and_saveexec_b64 s[42:43], s[40:41]
	s_cbranch_execnz .LBB166_3819
	s_branch .LBB166_3820
.LBB166_7821:
	v_bfe_u32 v7, v6, 21, 1
	s_mov_b32 s46, 0x88fffff
	v_add3_u32 v7, v6, v7, s46
	s_mov_b64 s[42:43], exec
	v_lshrrev_b32_e32 v7, 21, v7
	s_andn2_saveexec_b64 s[44:45], s[44:45]
	s_cbranch_execz .LBB166_3831
.LBB166_7822:
	s_mov_b32 s46, 0x42800000
	v_add_f32_e64 v7, |v6|, s46
	v_and_b32_e32 v7, 0xff, v7
	v_cmp_ne_u32_e32 vcc, 0, v7
	s_andn2_b64 s[42:43], s[42:43], exec
	s_and_b64 s[46:47], vcc, exec
	s_or_b64 s[42:43], s[42:43], s[46:47]
	s_or_b64 exec, exec, s[44:45]
	v_mov_b32_e32 v112, 0
	s_and_saveexec_b64 s[44:45], s[42:43]
	s_cbranch_execnz .LBB166_3832
	s_branch .LBB166_3833
.LBB166_7823:
	v_bfe_u32 v7, v6, 20, 1
	s_mov_b32 s56, 0x487ffff
	v_add3_u32 v7, v6, v7, s56
	s_mov_b64 s[44:45], exec
	v_lshrrev_b32_e32 v7, 20, v7
	s_andn2_saveexec_b64 s[46:47], s[46:47]
	s_cbranch_execz .LBB166_3947
.LBB166_7824:
	s_mov_b32 s56, 0x46000000
	v_add_f32_e64 v7, |v6|, s56
	v_and_b32_e32 v7, 0xff, v7
	v_cmp_ne_u32_e32 vcc, 0, v7
	s_andn2_b64 s[44:45], s[44:45], exec
	s_and_b64 s[56:57], vcc, exec
	s_or_b64 s[44:45], s[44:45], s[56:57]
	s_or_b64 exec, exec, s[46:47]
	v_mov_b32_e32 v102, 0
	s_and_saveexec_b64 s[46:47], s[44:45]
	s_cbranch_execnz .LBB166_3948
	s_branch .LBB166_3949
.LBB166_7825:
	v_bfe_u32 v7, v6, 21, 1
	s_mov_b32 s58, 0x88fffff
	v_add3_u32 v7, v6, v7, s58
	s_mov_b64 s[46:47], exec
	v_lshrrev_b32_e32 v7, 21, v7
	s_andn2_saveexec_b64 s[56:57], s[56:57]
	s_cbranch_execz .LBB166_3960
.LBB166_7826:
	s_mov_b32 s58, 0x42800000
	v_add_f32_e64 v7, |v6|, s58
	v_and_b32_e32 v7, 0xff, v7
	v_cmp_ne_u32_e32 vcc, 0, v7
	s_andn2_b64 s[46:47], s[46:47], exec
	s_and_b64 s[58:59], vcc, exec
	s_or_b64 s[46:47], s[46:47], s[58:59]
	s_or_b64 exec, exec, s[56:57]
	v_mov_b32_e32 v102, 0
	s_and_saveexec_b64 s[56:57], s[46:47]
	s_cbranch_execnz .LBB166_3961
	s_branch .LBB166_3962
.LBB166_7827:
	v_bfe_u32 v7, v6, 20, 1
	s_mov_b32 s60, 0x487ffff
	v_add3_u32 v7, v6, v7, s60
	s_mov_b64 s[56:57], exec
	v_lshrrev_b32_e32 v7, 20, v7
	s_andn2_saveexec_b64 s[58:59], s[58:59]
	s_cbranch_execz .LBB166_4076
.LBB166_7828:
	s_mov_b32 s60, 0x46000000
	v_add_f32_e64 v7, |v6|, s60
	v_and_b32_e32 v7, 0xff, v7
	v_cmp_ne_u32_e32 vcc, 0, v7
	s_andn2_b64 s[56:57], s[56:57], exec
	s_and_b64 s[60:61], vcc, exec
	s_or_b64 s[56:57], s[56:57], s[60:61]
	s_or_b64 exec, exec, s[58:59]
	v_mov_b32_e32 v100, 0
	s_and_saveexec_b64 s[58:59], s[56:57]
	s_cbranch_execnz .LBB166_4077
	s_branch .LBB166_4078
.LBB166_7829:
	v_bfe_u32 v7, v6, 21, 1
	s_mov_b32 s62, 0x88fffff
	v_add3_u32 v7, v6, v7, s62
	s_mov_b64 s[58:59], exec
	v_lshrrev_b32_e32 v7, 21, v7
	s_andn2_saveexec_b64 s[60:61], s[60:61]
	s_cbranch_execz .LBB166_4089
.LBB166_7830:
	s_mov_b32 s62, 0x42800000
	v_add_f32_e64 v7, |v6|, s62
	v_and_b32_e32 v7, 0xff, v7
	v_cmp_ne_u32_e32 vcc, 0, v7
	s_andn2_b64 s[58:59], s[58:59], exec
	s_and_b64 s[62:63], vcc, exec
	s_or_b64 s[58:59], s[58:59], s[62:63]
	s_or_b64 exec, exec, s[60:61]
	v_mov_b32_e32 v100, 0
	s_and_saveexec_b64 s[60:61], s[58:59]
	s_cbranch_execnz .LBB166_4090
	s_branch .LBB166_4091
.LBB166_7831:
	v_bfe_u32 v7, v6, 20, 1
	s_mov_b32 s72, 0x487ffff
	v_add3_u32 v7, v6, v7, s72
	s_mov_b64 s[60:61], exec
	v_lshrrev_b32_e32 v7, 20, v7
	s_andn2_saveexec_b64 s[62:63], s[62:63]
	s_cbranch_execz .LBB166_4205
.LBB166_7832:
	s_mov_b32 s72, 0x46000000
	v_add_f32_e64 v7, |v6|, s72
	v_and_b32_e32 v7, 0xff, v7
	v_cmp_ne_u32_e32 vcc, 0, v7
	s_andn2_b64 s[60:61], s[60:61], exec
	s_and_b64 s[72:73], vcc, exec
	s_or_b64 s[60:61], s[60:61], s[72:73]
	s_or_b64 exec, exec, s[62:63]
	v_mov_b32_e32 v98, 0
	s_and_saveexec_b64 s[62:63], s[60:61]
	s_cbranch_execnz .LBB166_4206
	s_branch .LBB166_4207
.LBB166_7833:
	v_bfe_u32 v7, v6, 21, 1
	s_mov_b32 s74, 0x88fffff
	v_add3_u32 v7, v6, v7, s74
	s_mov_b64 s[62:63], exec
	v_lshrrev_b32_e32 v7, 21, v7
	s_andn2_saveexec_b64 s[72:73], s[72:73]
	s_cbranch_execz .LBB166_4218
.LBB166_7834:
	s_mov_b32 s74, 0x42800000
	v_add_f32_e64 v7, |v6|, s74
	v_and_b32_e32 v7, 0xff, v7
	v_cmp_ne_u32_e32 vcc, 0, v7
	s_andn2_b64 s[62:63], s[62:63], exec
	s_and_b64 s[74:75], vcc, exec
	s_or_b64 s[62:63], s[62:63], s[74:75]
	s_or_b64 exec, exec, s[72:73]
	v_mov_b32_e32 v98, 0
	s_and_saveexec_b64 s[72:73], s[62:63]
	s_cbranch_execnz .LBB166_4219
	s_branch .LBB166_4220
.LBB166_7835:
	v_bfe_u32 v7, v6, 20, 1
	s_mov_b32 s76, 0x487ffff
	v_add3_u32 v7, v6, v7, s76
	s_mov_b64 s[72:73], exec
	v_lshrrev_b32_e32 v7, 20, v7
	s_andn2_saveexec_b64 s[74:75], s[74:75]
	s_cbranch_execz .LBB166_4334
.LBB166_7836:
	s_mov_b32 s76, 0x46000000
	v_add_f32_e64 v7, |v6|, s76
	v_and_b32_e32 v7, 0xff, v7
	v_cmp_ne_u32_e32 vcc, 0, v7
	s_andn2_b64 s[72:73], s[72:73], exec
	s_and_b64 s[76:77], vcc, exec
	s_or_b64 s[72:73], s[72:73], s[76:77]
	s_or_b64 exec, exec, s[74:75]
	v_mov_b32_e32 v96, 0
	s_and_saveexec_b64 s[74:75], s[72:73]
	s_cbranch_execnz .LBB166_4335
	s_branch .LBB166_4336
.LBB166_7837:
	v_bfe_u32 v7, v6, 21, 1
	s_mov_b32 s78, 0x88fffff
	v_add3_u32 v7, v6, v7, s78
	s_mov_b64 s[74:75], exec
	v_lshrrev_b32_e32 v7, 21, v7
	s_andn2_saveexec_b64 s[76:77], s[76:77]
	s_cbranch_execz .LBB166_4347
.LBB166_7838:
	s_mov_b32 s78, 0x42800000
	v_add_f32_e64 v7, |v6|, s78
	v_and_b32_e32 v7, 0xff, v7
	v_cmp_ne_u32_e32 vcc, 0, v7
	s_andn2_b64 s[74:75], s[74:75], exec
	s_and_b64 s[78:79], vcc, exec
	s_or_b64 s[74:75], s[74:75], s[78:79]
	s_or_b64 exec, exec, s[76:77]
	v_mov_b32_e32 v96, 0
	s_and_saveexec_b64 s[76:77], s[74:75]
	s_cbranch_execnz .LBB166_4348
	s_branch .LBB166_4349
.LBB166_7839:
	v_bfe_u32 v7, v6, 20, 1
	s_mov_b32 s88, 0x487ffff
	v_add3_u32 v7, v6, v7, s88
	s_mov_b64 s[76:77], exec
	v_lshrrev_b32_e32 v7, 20, v7
	s_andn2_saveexec_b64 s[78:79], s[78:79]
	s_cbranch_execz .LBB166_4463
.LBB166_7840:
	s_mov_b32 s88, 0x46000000
	v_add_f32_e64 v7, |v6|, s88
	v_and_b32_e32 v7, 0xff, v7
	v_cmp_ne_u32_e32 vcc, 0, v7
	s_andn2_b64 s[76:77], s[76:77], exec
	s_and_b64 s[88:89], vcc, exec
	s_or_b64 s[76:77], s[76:77], s[88:89]
	s_or_b64 exec, exec, s[78:79]
	v_mov_b32_e32 v86, 0
	s_and_saveexec_b64 s[78:79], s[76:77]
	s_cbranch_execnz .LBB166_4464
	s_branch .LBB166_4465
.LBB166_7841:
	v_bfe_u32 v7, v6, 21, 1
	s_mov_b32 s90, 0x88fffff
	v_add3_u32 v7, v6, v7, s90
	s_mov_b64 s[78:79], exec
	v_lshrrev_b32_e32 v7, 21, v7
	s_andn2_saveexec_b64 s[88:89], s[88:89]
	s_cbranch_execz .LBB166_4476
.LBB166_7842:
	s_mov_b32 s90, 0x42800000
	v_add_f32_e64 v7, |v6|, s90
	v_and_b32_e32 v7, 0xff, v7
	v_cmp_ne_u32_e32 vcc, 0, v7
	s_andn2_b64 s[78:79], s[78:79], exec
	s_and_b64 s[90:91], vcc, exec
	s_or_b64 s[78:79], s[78:79], s[90:91]
	s_or_b64 exec, exec, s[88:89]
	v_mov_b32_e32 v86, 0
	s_and_saveexec_b64 s[88:89], s[78:79]
	s_cbranch_execnz .LBB166_4477
	s_branch .LBB166_4478
.LBB166_7843:
	v_bfe_u32 v7, v6, 20, 1
	s_mov_b32 s92, 0x487ffff
	v_add3_u32 v7, v6, v7, s92
	s_mov_b64 s[88:89], exec
	v_lshrrev_b32_e32 v7, 20, v7
	s_andn2_saveexec_b64 s[90:91], s[90:91]
	s_cbranch_execz .LBB166_4592
.LBB166_7844:
	s_mov_b32 s92, 0x46000000
	v_add_f32_e64 v7, |v6|, s92
	v_and_b32_e32 v7, 0xff, v7
	v_cmp_ne_u32_e32 vcc, 0, v7
	s_andn2_b64 s[88:89], s[88:89], exec
	s_and_b64 s[92:93], vcc, exec
	s_or_b64 s[88:89], s[88:89], s[92:93]
	s_or_b64 exec, exec, s[90:91]
	v_mov_b32_e32 v84, 0
	s_and_saveexec_b64 s[90:91], s[88:89]
	s_cbranch_execnz .LBB166_4593
	s_branch .LBB166_4594
.LBB166_7845:
	v_bfe_u32 v7, v6, 21, 1
	s_mov_b32 s94, 0x88fffff
	v_add3_u32 v7, v6, v7, s94
	s_mov_b64 s[90:91], exec
	v_lshrrev_b32_e32 v7, 21, v7
	s_andn2_saveexec_b64 s[92:93], s[92:93]
	s_cbranch_execz .LBB166_4605
.LBB166_7846:
	s_mov_b32 s94, 0x42800000
	v_add_f32_e64 v7, |v6|, s94
	v_and_b32_e32 v7, 0xff, v7
	v_cmp_ne_u32_e32 vcc, 0, v7
	s_andn2_b64 s[90:91], s[90:91], exec
	s_and_b64 s[94:95], vcc, exec
	s_or_b64 s[90:91], s[90:91], s[94:95]
	s_or_b64 exec, exec, s[92:93]
	v_mov_b32_e32 v84, 0
	s_and_saveexec_b64 s[92:93], s[90:91]
	s_cbranch_execnz .LBB166_4606
	s_branch .LBB166_4607
.LBB166_7847:
	v_bfe_u32 v7, v6, 20, 1
	s_mov_b32 vcc_lo, 0x487ffff
	v_add3_u32 v7, v6, v7, vcc_lo
	s_mov_b64 s[92:93], exec
	v_lshrrev_b32_e32 v7, 20, v7
	s_andn2_saveexec_b64 s[94:95], s[94:95]
	s_cbranch_execz .LBB166_4721
.LBB166_7848:
	s_mov_b32 s30, 0x46000000
	v_add_f32_e64 v7, |v6|, s30
	v_and_b32_e32 v7, 0xff, v7
	v_cmp_ne_u32_e32 vcc, 0, v7
	s_andn2_b64 s[92:93], s[92:93], exec
	s_and_b64 vcc, vcc, exec
	s_or_b64 s[92:93], s[92:93], vcc
	s_or_b64 exec, exec, s[94:95]
	v_mov_b32_e32 v82, 0
	s_and_saveexec_b64 s[94:95], s[92:93]
	s_cbranch_execnz .LBB166_4722
	s_branch .LBB166_4723
.LBB166_7849:
	v_bfe_u32 v7, v6, 21, 1
	s_mov_b32 s30, 0x88fffff
	v_add3_u32 v7, v6, v7, s30
	s_mov_b64 s[94:95], exec
	v_lshrrev_b32_e32 v7, 21, v7
	s_andn2_saveexec_b64 s[30:31], vcc
	s_cbranch_execz .LBB166_4734
.LBB166_7850:
	s_mov_b32 s34, 0x42800000
	v_add_f32_e64 v7, |v6|, s34
	v_and_b32_e32 v7, 0xff, v7
	v_cmp_ne_u32_e32 vcc, 0, v7
	s_andn2_b64 s[94:95], s[94:95], exec
	s_and_b64 vcc, vcc, exec
	s_or_b64 s[94:95], s[94:95], vcc
	s_or_b64 exec, exec, s[30:31]
	v_mov_b32_e32 v82, 0
	s_and_saveexec_b64 vcc, s[94:95]
	s_cbranch_execnz .LBB166_4735
	s_branch .LBB166_4736
.LBB166_7851:
	v_bfe_u32 v7, v6, 20, 1
	s_mov_b32 s34, 0x487ffff
	v_add3_u32 v7, v6, v7, s34
	s_mov_b64 s[30:31], exec
	v_lshrrev_b32_e32 v7, 20, v7
	s_andn2_saveexec_b64 s[34:35], vcc
	s_cbranch_execz .LBB166_4850
.LBB166_7852:
	s_mov_b32 s36, 0x46000000
	v_add_f32_e64 v7, |v6|, s36
	v_and_b32_e32 v7, 0xff, v7
	v_cmp_ne_u32_e32 vcc, 0, v7
	s_andn2_b64 s[30:31], s[30:31], exec
	s_and_b64 vcc, vcc, exec
	s_or_b64 s[30:31], s[30:31], vcc
	s_or_b64 exec, exec, s[34:35]
	v_mov_b32_e32 v80, 0
	s_and_saveexec_b64 vcc, s[30:31]
	s_cbranch_execnz .LBB166_4851
	s_branch .LBB166_4852
.LBB166_7853:
	v_bfe_u32 v7, v6, 21, 1
	s_mov_b32 s36, 0x88fffff
	v_add3_u32 v7, v6, v7, s36
	s_mov_b64 s[34:35], exec
	v_lshrrev_b32_e32 v7, 21, v7
	s_andn2_saveexec_b64 s[36:37], vcc
	s_cbranch_execz .LBB166_4863
.LBB166_7854:
	s_mov_b32 s38, 0x42800000
	v_add_f32_e64 v7, |v6|, s38
	v_and_b32_e32 v7, 0xff, v7
	v_cmp_ne_u32_e32 vcc, 0, v7
	s_andn2_b64 s[34:35], s[34:35], exec
	s_and_b64 vcc, vcc, exec
	s_or_b64 s[34:35], s[34:35], vcc
	s_or_b64 exec, exec, s[36:37]
	v_mov_b32_e32 v80, 0
	s_and_saveexec_b64 vcc, s[34:35]
	s_cbranch_execnz .LBB166_4864
	s_branch .LBB166_4865
.LBB166_7855:
	v_bfe_u32 v7, v6, 20, 1
	s_mov_b32 s38, 0x487ffff
	v_add3_u32 v7, v6, v7, s38
	s_mov_b64 s[36:37], exec
	v_lshrrev_b32_e32 v7, 20, v7
	s_andn2_saveexec_b64 s[38:39], vcc
	s_cbranch_execz .LBB166_4979
.LBB166_7856:
	s_mov_b32 s48, 0x46000000
	v_add_f32_e64 v7, |v6|, s48
	v_and_b32_e32 v7, 0xff, v7
	v_cmp_ne_u32_e32 vcc, 0, v7
	s_andn2_b64 s[36:37], s[36:37], exec
	s_and_b64 vcc, vcc, exec
	s_or_b64 s[36:37], s[36:37], vcc
	s_or_b64 exec, exec, s[38:39]
	v_mov_b32_e32 v70, 0
	s_and_saveexec_b64 vcc, s[36:37]
	s_cbranch_execnz .LBB166_4980
	s_branch .LBB166_4981
.LBB166_7857:
	v_bfe_u32 v7, v6, 21, 1
	s_mov_b32 s48, 0x88fffff
	v_add3_u32 v7, v6, v7, s48
	s_mov_b64 s[38:39], exec
	v_lshrrev_b32_e32 v7, 21, v7
	s_andn2_saveexec_b64 s[48:49], vcc
	s_cbranch_execz .LBB166_4992
.LBB166_7858:
	s_mov_b32 s50, 0x42800000
	v_add_f32_e64 v7, |v6|, s50
	v_and_b32_e32 v7, 0xff, v7
	v_cmp_ne_u32_e32 vcc, 0, v7
	s_andn2_b64 s[38:39], s[38:39], exec
	s_and_b64 vcc, vcc, exec
	s_or_b64 s[38:39], s[38:39], vcc
	s_or_b64 exec, exec, s[48:49]
	v_mov_b32_e32 v70, 0
	s_and_saveexec_b64 vcc, s[38:39]
	s_cbranch_execnz .LBB166_4993
	s_branch .LBB166_4994
.LBB166_7859:
	v_bfe_u32 v7, v6, 20, 1
	s_mov_b32 s50, 0x487ffff
	v_add3_u32 v7, v6, v7, s50
	s_mov_b64 s[48:49], exec
	v_lshrrev_b32_e32 v7, 20, v7
	s_andn2_saveexec_b64 s[50:51], vcc
	s_cbranch_execz .LBB166_5108
.LBB166_7860:
	s_mov_b32 s52, 0x46000000
	v_add_f32_e64 v7, |v6|, s52
	v_and_b32_e32 v7, 0xff, v7
	v_cmp_ne_u32_e32 vcc, 0, v7
	s_andn2_b64 s[48:49], s[48:49], exec
	s_and_b64 vcc, vcc, exec
	s_or_b64 s[48:49], s[48:49], vcc
	s_or_b64 exec, exec, s[50:51]
	v_mov_b32_e32 v68, 0
	s_and_saveexec_b64 vcc, s[48:49]
	s_cbranch_execnz .LBB166_5109
	s_branch .LBB166_5110
.LBB166_7861:
	v_bfe_u32 v7, v6, 21, 1
	s_mov_b32 s52, 0x88fffff
	v_add3_u32 v7, v6, v7, s52
	s_mov_b64 s[50:51], exec
	v_lshrrev_b32_e32 v7, 21, v7
	s_andn2_saveexec_b64 s[52:53], vcc
	s_cbranch_execz .LBB166_5121
.LBB166_7862:
	s_mov_b32 s54, 0x42800000
	v_add_f32_e64 v7, |v6|, s54
	v_and_b32_e32 v7, 0xff, v7
	v_cmp_ne_u32_e32 vcc, 0, v7
	s_andn2_b64 s[50:51], s[50:51], exec
	s_and_b64 vcc, vcc, exec
	s_or_b64 s[50:51], s[50:51], vcc
	s_or_b64 exec, exec, s[52:53]
	v_mov_b32_e32 v68, 0
	s_and_saveexec_b64 vcc, s[50:51]
	s_cbranch_execnz .LBB166_5122
	s_branch .LBB166_5123
.LBB166_7863:
	v_bfe_u32 v7, v6, 20, 1
	s_mov_b32 s54, 0x487ffff
	v_add3_u32 v7, v6, v7, s54
	s_mov_b64 s[52:53], exec
	v_lshrrev_b32_e32 v7, 20, v7
	s_andn2_saveexec_b64 s[54:55], vcc
	s_cbranch_execz .LBB166_5237
.LBB166_7864:
	s_mov_b32 s64, 0x46000000
	v_add_f32_e64 v7, |v6|, s64
	v_and_b32_e32 v7, 0xff, v7
	v_cmp_ne_u32_e32 vcc, 0, v7
	s_andn2_b64 s[52:53], s[52:53], exec
	s_and_b64 vcc, vcc, exec
	s_or_b64 s[52:53], s[52:53], vcc
	s_or_b64 exec, exec, s[54:55]
	v_mov_b32_e32 v66, 0
	s_and_saveexec_b64 vcc, s[52:53]
	s_cbranch_execnz .LBB166_5238
	s_branch .LBB166_5239
.LBB166_7865:
	v_bfe_u32 v7, v6, 21, 1
	s_mov_b32 s64, 0x88fffff
	v_add3_u32 v7, v6, v7, s64
	s_mov_b64 s[54:55], exec
	v_lshrrev_b32_e32 v7, 21, v7
	s_andn2_saveexec_b64 s[64:65], vcc
	s_cbranch_execz .LBB166_5250
.LBB166_7866:
	s_mov_b32 s66, 0x42800000
	v_add_f32_e64 v7, |v6|, s66
	v_and_b32_e32 v7, 0xff, v7
	v_cmp_ne_u32_e32 vcc, 0, v7
	s_andn2_b64 s[54:55], s[54:55], exec
	s_and_b64 vcc, vcc, exec
	s_or_b64 s[54:55], s[54:55], vcc
	s_or_b64 exec, exec, s[64:65]
	v_mov_b32_e32 v66, 0
	s_and_saveexec_b64 vcc, s[54:55]
	s_cbranch_execnz .LBB166_5251
	s_branch .LBB166_5252
.LBB166_7867:
	v_bfe_u32 v7, v6, 20, 1
	s_mov_b32 s66, 0x487ffff
	v_add3_u32 v7, v6, v7, s66
	s_mov_b64 s[64:65], exec
	v_lshrrev_b32_e32 v7, 20, v7
	s_andn2_saveexec_b64 s[66:67], vcc
	s_cbranch_execz .LBB166_5366
.LBB166_7868:
	s_mov_b32 s68, 0x46000000
	v_add_f32_e64 v7, |v6|, s68
	v_and_b32_e32 v7, 0xff, v7
	v_cmp_ne_u32_e32 vcc, 0, v7
	s_andn2_b64 s[64:65], s[64:65], exec
	s_and_b64 vcc, vcc, exec
	s_or_b64 s[64:65], s[64:65], vcc
	s_or_b64 exec, exec, s[66:67]
	v_mov_b32_e32 v64, 0
	s_and_saveexec_b64 vcc, s[64:65]
	s_cbranch_execnz .LBB166_5367
	s_branch .LBB166_5368
.LBB166_7869:
	v_bfe_u32 v7, v6, 21, 1
	s_mov_b32 s68, 0x88fffff
	v_add3_u32 v7, v6, v7, s68
	s_mov_b64 s[66:67], exec
	v_lshrrev_b32_e32 v7, 21, v7
	s_andn2_saveexec_b64 s[68:69], vcc
	s_cbranch_execz .LBB166_5379
.LBB166_7870:
	s_mov_b32 s70, 0x42800000
	v_add_f32_e64 v7, |v6|, s70
	v_and_b32_e32 v7, 0xff, v7
	v_cmp_ne_u32_e32 vcc, 0, v7
	s_andn2_b64 s[66:67], s[66:67], exec
	s_and_b64 vcc, vcc, exec
	s_or_b64 s[66:67], s[66:67], vcc
	s_or_b64 exec, exec, s[68:69]
	v_mov_b32_e32 v64, 0
	s_and_saveexec_b64 vcc, s[66:67]
	s_cbranch_execnz .LBB166_5380
	s_branch .LBB166_5381
.LBB166_7871:
	v_bfe_u32 v7, v6, 20, 1
	s_mov_b32 s70, 0x487ffff
	v_add3_u32 v7, v6, v7, s70
	s_mov_b64 s[68:69], exec
	v_lshrrev_b32_e32 v7, 20, v7
	s_andn2_saveexec_b64 s[70:71], vcc
	s_cbranch_execz .LBB166_5495
.LBB166_7872:
	s_mov_b32 s80, 0x46000000
	v_add_f32_e64 v7, |v6|, s80
	v_and_b32_e32 v7, 0xff, v7
	v_cmp_ne_u32_e32 vcc, 0, v7
	s_andn2_b64 s[68:69], s[68:69], exec
	s_and_b64 vcc, vcc, exec
	s_or_b64 s[68:69], s[68:69], vcc
	s_or_b64 exec, exec, s[70:71]
	v_mov_b32_e32 v54, 0
	s_and_saveexec_b64 vcc, s[68:69]
	s_cbranch_execnz .LBB166_5496
	s_branch .LBB166_5497
.LBB166_7873:
	v_bfe_u32 v7, v6, 21, 1
	s_mov_b32 s80, 0x88fffff
	v_add3_u32 v7, v6, v7, s80
	s_mov_b64 s[70:71], exec
	v_lshrrev_b32_e32 v7, 21, v7
	s_andn2_saveexec_b64 s[80:81], vcc
	s_cbranch_execz .LBB166_5508
.LBB166_7874:
	s_mov_b32 s82, 0x42800000
	v_add_f32_e64 v7, |v6|, s82
	v_and_b32_e32 v7, 0xff, v7
	v_cmp_ne_u32_e32 vcc, 0, v7
	s_andn2_b64 s[70:71], s[70:71], exec
	s_and_b64 vcc, vcc, exec
	s_or_b64 s[70:71], s[70:71], vcc
	s_or_b64 exec, exec, s[80:81]
	v_mov_b32_e32 v54, 0
	s_and_saveexec_b64 vcc, s[70:71]
	s_cbranch_execnz .LBB166_5509
	s_branch .LBB166_5510
.LBB166_7875:
	v_bfe_u32 v7, v6, 20, 1
	s_mov_b32 s82, 0x487ffff
	v_add3_u32 v7, v6, v7, s82
	s_mov_b64 s[80:81], exec
	v_lshrrev_b32_e32 v7, 20, v7
	s_andn2_saveexec_b64 s[82:83], vcc
	s_cbranch_execz .LBB166_5624
.LBB166_7876:
	s_mov_b32 s84, 0x46000000
	v_add_f32_e64 v7, |v6|, s84
	v_and_b32_e32 v7, 0xff, v7
	v_cmp_ne_u32_e32 vcc, 0, v7
	s_andn2_b64 s[80:81], s[80:81], exec
	s_and_b64 vcc, vcc, exec
	s_or_b64 s[80:81], s[80:81], vcc
	s_or_b64 exec, exec, s[82:83]
	v_mov_b32_e32 v52, 0
	s_and_saveexec_b64 vcc, s[80:81]
	s_cbranch_execnz .LBB166_5625
	s_branch .LBB166_5626
.LBB166_7877:
	v_bfe_u32 v7, v6, 21, 1
	s_mov_b32 s84, 0x88fffff
	v_add3_u32 v7, v6, v7, s84
	s_mov_b64 s[82:83], exec
	v_lshrrev_b32_e32 v7, 21, v7
	s_andn2_saveexec_b64 s[84:85], vcc
	s_cbranch_execz .LBB166_5637
.LBB166_7878:
	s_mov_b32 s86, 0x42800000
	v_add_f32_e64 v7, |v6|, s86
	v_and_b32_e32 v7, 0xff, v7
	v_cmp_ne_u32_e32 vcc, 0, v7
	s_andn2_b64 s[82:83], s[82:83], exec
	s_and_b64 vcc, vcc, exec
	s_or_b64 s[82:83], s[82:83], vcc
	s_or_b64 exec, exec, s[84:85]
	v_mov_b32_e32 v52, 0
	s_and_saveexec_b64 vcc, s[82:83]
	s_cbranch_execnz .LBB166_5638
	s_branch .LBB166_5639
.LBB166_7879:
	v_bfe_u32 v7, v6, 20, 1
	s_mov_b32 s48, 0x487ffff
	v_add3_u32 v7, v6, v7, s48
	s_mov_b64 s[84:85], exec
	v_lshrrev_b32_e32 v7, 20, v7
	s_andn2_saveexec_b64 s[86:87], vcc
	s_cbranch_execz .LBB166_5753
.LBB166_7880:
	s_mov_b32 s48, 0x46000000
	v_add_f32_e64 v7, |v6|, s48
	v_and_b32_e32 v7, 0xff, v7
	v_cmp_ne_u32_e32 vcc, 0, v7
	s_andn2_b64 s[48:49], s[84:85], exec
	s_and_b64 vcc, vcc, exec
	s_or_b64 s[84:85], s[48:49], vcc
	s_or_b64 exec, exec, s[86:87]
	v_mov_b32_e32 v50, 0
	s_and_saveexec_b64 vcc, s[84:85]
	s_cbranch_execnz .LBB166_5754
	s_branch .LBB166_5755
.LBB166_7881:
	v_bfe_u32 v7, v6, 21, 1
	s_mov_b32 s48, 0x88fffff
	v_add3_u32 v7, v6, v7, s48
	s_mov_b64 s[86:87], exec
	v_lshrrev_b32_e32 v7, 21, v7
	s_andn2_saveexec_b64 s[96:97], vcc
	s_cbranch_execz .LBB166_5766
.LBB166_7882:
	s_mov_b32 s48, 0x42800000
	v_add_f32_e64 v7, |v6|, s48
	v_and_b32_e32 v7, 0xff, v7
	v_cmp_ne_u32_e32 vcc, 0, v7
	s_andn2_b64 s[48:49], s[86:87], exec
	s_and_b64 vcc, vcc, exec
	s_or_b64 s[86:87], s[48:49], vcc
	s_or_b64 exec, exec, s[96:97]
	v_mov_b32_e32 v50, 0
	s_and_saveexec_b64 vcc, s[86:87]
	s_cbranch_execnz .LBB166_5767
	s_branch .LBB166_5768
.LBB166_7883:
	v_bfe_u32 v7, v6, 20, 1
	s_mov_b32 s48, 0x487ffff
	v_add3_u32 v7, v6, v7, s48
	s_mov_b64 s[54:55], exec
	v_lshrrev_b32_e32 v7, 20, v7
	s_andn2_saveexec_b64 s[96:97], vcc
	s_cbranch_execz .LBB166_5882
.LBB166_7884:
	s_mov_b32 s48, 0x46000000
	v_add_f32_e64 v7, |v6|, s48
	v_and_b32_e32 v7, 0xff, v7
	v_cmp_ne_u32_e32 vcc, 0, v7
	s_andn2_b64 s[48:49], s[54:55], exec
	s_and_b64 vcc, vcc, exec
	s_or_b64 s[54:55], s[48:49], vcc
	s_or_b64 exec, exec, s[96:97]
	v_mov_b32_e32 v48, 0
	s_and_saveexec_b64 vcc, s[54:55]
	s_cbranch_execnz .LBB166_5883
	s_branch .LBB166_5884
.LBB166_7885:
	v_bfe_u32 v7, v6, 21, 1
	s_mov_b32 s48, 0x88fffff
	v_add3_u32 v7, v6, v7, s48
	s_mov_b64 s[52:53], exec
	v_lshrrev_b32_e32 v7, 21, v7
	s_andn2_saveexec_b64 s[54:55], vcc
	s_cbranch_execz .LBB166_5895
.LBB166_7886:
	s_mov_b32 s48, 0x42800000
	v_add_f32_e64 v7, |v6|, s48
	v_and_b32_e32 v7, 0xff, v7
	v_cmp_ne_u32_e32 vcc, 0, v7
	s_andn2_b64 s[48:49], s[52:53], exec
	s_and_b64 vcc, vcc, exec
	s_or_b64 s[52:53], s[48:49], vcc
	s_or_b64 exec, exec, s[54:55]
	v_mov_b32_e32 v48, 0
	s_and_saveexec_b64 vcc, s[52:53]
	s_cbranch_execnz .LBB166_5896
	s_branch .LBB166_5897
.LBB166_7887:
	v_bfe_u32 v7, v6, 20, 1
	s_mov_b32 s48, 0x487ffff
	v_add3_u32 v7, v6, v7, s48
	s_mov_b64 s[54:55], exec
	v_lshrrev_b32_e32 v7, 20, v7
	s_andn2_saveexec_b64 s[66:67], vcc
	s_cbranch_execz .LBB166_6011
.LBB166_7888:
	s_mov_b32 s48, 0x46000000
	v_add_f32_e64 v7, |v6|, s48
	v_and_b32_e32 v7, 0xff, v7
	v_cmp_ne_u32_e32 vcc, 0, v7
	s_andn2_b64 s[48:49], s[54:55], exec
	s_and_b64 vcc, vcc, exec
	s_or_b64 s[54:55], s[48:49], vcc
	s_or_b64 exec, exec, s[66:67]
	v_mov_b32_e32 v38, 0
	s_and_saveexec_b64 vcc, s[54:55]
	s_cbranch_execnz .LBB166_6012
	s_branch .LBB166_6013
.LBB166_7889:
	v_bfe_u32 v7, v6, 21, 1
	s_mov_b32 s48, 0x88fffff
	v_add3_u32 v7, v6, v7, s48
	s_mov_b64 s[52:53], exec
	v_lshrrev_b32_e32 v7, 21, v7
	s_andn2_saveexec_b64 s[54:55], vcc
	s_cbranch_execz .LBB166_6024
.LBB166_7890:
	s_mov_b32 s48, 0x42800000
	v_add_f32_e64 v7, |v6|, s48
	v_and_b32_e32 v7, 0xff, v7
	v_cmp_ne_u32_e32 vcc, 0, v7
	s_andn2_b64 s[48:49], s[52:53], exec
	s_and_b64 vcc, vcc, exec
	s_or_b64 s[52:53], s[48:49], vcc
	s_or_b64 exec, exec, s[54:55]
	v_mov_b32_e32 v38, 0
	s_and_saveexec_b64 vcc, s[52:53]
	s_cbranch_execnz .LBB166_6025
	s_branch .LBB166_6026
.LBB166_7891:
	v_bfe_u32 v7, v6, 20, 1
	s_mov_b32 s48, 0x487ffff
	v_add3_u32 v7, v6, v7, s48
	s_mov_b64 s[54:55], exec
	v_lshrrev_b32_e32 v7, 20, v7
	s_andn2_saveexec_b64 s[68:69], vcc
	s_cbranch_execz .LBB166_6140
.LBB166_7892:
	s_mov_b32 s48, 0x46000000
	v_add_f32_e64 v7, |v6|, s48
	v_and_b32_e32 v7, 0xff, v7
	v_cmp_ne_u32_e32 vcc, 0, v7
	s_andn2_b64 s[48:49], s[54:55], exec
	s_and_b64 vcc, vcc, exec
	s_or_b64 s[54:55], s[48:49], vcc
	s_or_b64 exec, exec, s[68:69]
	v_mov_b32_e32 v36, 0
	s_and_saveexec_b64 vcc, s[54:55]
	s_cbranch_execnz .LBB166_6141
	s_branch .LBB166_6142
.LBB166_7893:
	v_bfe_u32 v7, v6, 21, 1
	s_mov_b32 s48, 0x88fffff
	v_add3_u32 v7, v6, v7, s48
	s_mov_b64 s[54:55], exec
	v_lshrrev_b32_e32 v7, 21, v7
	s_andn2_saveexec_b64 s[66:67], vcc
	s_cbranch_execz .LBB166_6153
.LBB166_7894:
	s_mov_b32 s48, 0x42800000
	v_add_f32_e64 v7, |v6|, s48
	v_and_b32_e32 v7, 0xff, v7
	v_cmp_ne_u32_e32 vcc, 0, v7
	s_andn2_b64 s[48:49], s[54:55], exec
	s_and_b64 vcc, vcc, exec
	s_or_b64 s[54:55], s[48:49], vcc
	s_or_b64 exec, exec, s[66:67]
	v_mov_b32_e32 v36, 0
	s_and_saveexec_b64 vcc, s[54:55]
	s_cbranch_execnz .LBB166_6154
	s_branch .LBB166_6155
.LBB166_7895:
	v_bfe_u32 v7, v6, 20, 1
	s_mov_b32 s48, 0x487ffff
	v_add3_u32 v7, v6, v7, s48
	s_mov_b64 s[54:55], exec
	v_lshrrev_b32_e32 v7, 20, v7
	s_andn2_saveexec_b64 s[68:69], vcc
	s_cbranch_execz .LBB166_6269
.LBB166_7896:
	s_mov_b32 s48, 0x46000000
	v_add_f32_e64 v7, |v6|, s48
	v_and_b32_e32 v7, 0xff, v7
	v_cmp_ne_u32_e32 vcc, 0, v7
	s_andn2_b64 s[48:49], s[54:55], exec
	s_and_b64 vcc, vcc, exec
	s_or_b64 s[54:55], s[48:49], vcc
	s_or_b64 exec, exec, s[68:69]
	v_mov_b32_e32 v34, 0
	s_and_saveexec_b64 vcc, s[54:55]
	s_cbranch_execnz .LBB166_6270
	s_branch .LBB166_6271
.LBB166_7897:
	v_bfe_u32 v7, v6, 21, 1
	s_mov_b32 s48, 0x88fffff
	v_add3_u32 v7, v6, v7, s48
	s_mov_b64 s[54:55], exec
	v_lshrrev_b32_e32 v7, 21, v7
	s_andn2_saveexec_b64 s[68:69], vcc
	s_cbranch_execz .LBB166_6282
.LBB166_7898:
	s_mov_b32 s48, 0x42800000
	v_add_f32_e64 v7, |v6|, s48
	v_and_b32_e32 v7, 0xff, v7
	v_cmp_ne_u32_e32 vcc, 0, v7
	s_andn2_b64 s[48:49], s[54:55], exec
	s_and_b64 vcc, vcc, exec
	s_or_b64 s[54:55], s[48:49], vcc
	s_or_b64 exec, exec, s[68:69]
	v_mov_b32_e32 v34, 0
	s_and_saveexec_b64 vcc, s[54:55]
	s_cbranch_execnz .LBB166_6283
	s_branch .LBB166_6284
.LBB166_7899:
	v_bfe_u32 v7, v6, 20, 1
	s_mov_b32 s48, 0x487ffff
	v_add3_u32 v7, v6, v7, s48
	s_mov_b64 s[54:55], exec
	v_lshrrev_b32_e32 v7, 20, v7
	s_andn2_saveexec_b64 s[68:69], vcc
	s_cbranch_execz .LBB166_6398
.LBB166_7900:
	s_mov_b32 s48, 0x46000000
	v_add_f32_e64 v7, |v6|, s48
	v_and_b32_e32 v7, 0xff, v7
	v_cmp_ne_u32_e32 vcc, 0, v7
	s_andn2_b64 s[48:49], s[54:55], exec
	s_and_b64 vcc, vcc, exec
	s_or_b64 s[54:55], s[48:49], vcc
	s_or_b64 exec, exec, s[68:69]
	v_mov_b32_e32 v32, 0
	s_and_saveexec_b64 vcc, s[54:55]
	s_cbranch_execnz .LBB166_6399
	s_branch .LBB166_6400
.LBB166_7901:
	v_bfe_u32 v7, v6, 21, 1
	s_mov_b32 s48, 0x88fffff
	v_add3_u32 v7, v6, v7, s48
	s_mov_b64 s[54:55], exec
	v_lshrrev_b32_e32 v7, 21, v7
	s_andn2_saveexec_b64 s[68:69], vcc
	s_cbranch_execz .LBB166_6411
.LBB166_7902:
	s_mov_b32 s48, 0x42800000
	v_add_f32_e64 v7, |v6|, s48
	v_and_b32_e32 v7, 0xff, v7
	v_cmp_ne_u32_e32 vcc, 0, v7
	s_andn2_b64 s[48:49], s[54:55], exec
	s_and_b64 vcc, vcc, exec
	s_or_b64 s[54:55], s[48:49], vcc
	s_or_b64 exec, exec, s[68:69]
	v_mov_b32_e32 v32, 0
	s_and_saveexec_b64 vcc, s[54:55]
	s_cbranch_execnz .LBB166_6412
	s_branch .LBB166_6413
.LBB166_7903:
	v_bfe_u32 v7, v6, 20, 1
	s_mov_b32 s48, 0x487ffff
	v_add3_u32 v7, v6, v7, s48
	s_mov_b64 s[54:55], exec
	v_lshrrev_b32_e32 v7, 20, v7
	s_andn2_saveexec_b64 s[68:69], vcc
	s_cbranch_execz .LBB166_6527
.LBB166_7904:
	s_mov_b32 s48, 0x46000000
	v_add_f32_e64 v7, |v6|, s48
	v_and_b32_e32 v7, 0xff, v7
	v_cmp_ne_u32_e32 vcc, 0, v7
	s_andn2_b64 s[48:49], s[54:55], exec
	s_and_b64 vcc, vcc, exec
	s_or_b64 s[54:55], s[48:49], vcc
	s_or_b64 exec, exec, s[68:69]
	v_mov_b32_e32 v30, 0
	s_and_saveexec_b64 vcc, s[54:55]
	s_cbranch_execnz .LBB166_6528
	s_branch .LBB166_6529
.LBB166_7905:
	v_bfe_u32 v7, v6, 21, 1
	s_mov_b32 s48, 0x88fffff
	v_add3_u32 v7, v6, v7, s48
	s_mov_b64 s[54:55], exec
	v_lshrrev_b32_e32 v7, 21, v7
	s_andn2_saveexec_b64 s[68:69], vcc
	s_cbranch_execz .LBB166_6540
.LBB166_7906:
	s_mov_b32 s48, 0x42800000
	v_add_f32_e64 v7, |v6|, s48
	v_and_b32_e32 v7, 0xff, v7
	v_cmp_ne_u32_e32 vcc, 0, v7
	s_andn2_b64 s[48:49], s[54:55], exec
	s_and_b64 vcc, vcc, exec
	s_or_b64 s[54:55], s[48:49], vcc
	s_or_b64 exec, exec, s[68:69]
	v_mov_b32_e32 v30, 0
	s_and_saveexec_b64 vcc, s[54:55]
	s_cbranch_execnz .LBB166_6541
	s_branch .LBB166_6542
.LBB166_7907:
	v_bfe_u32 v7, v6, 20, 1
	s_mov_b32 s48, 0x487ffff
	v_add3_u32 v7, v6, v7, s48
	s_mov_b64 s[54:55], exec
	v_lshrrev_b32_e32 v7, 20, v7
	s_andn2_saveexec_b64 s[68:69], vcc
	s_cbranch_execz .LBB166_6656
.LBB166_7908:
	s_mov_b32 s48, 0x46000000
	v_add_f32_e64 v7, |v6|, s48
	v_and_b32_e32 v7, 0xff, v7
	v_cmp_ne_u32_e32 vcc, 0, v7
	s_andn2_b64 s[48:49], s[54:55], exec
	s_and_b64 vcc, vcc, exec
	s_or_b64 s[54:55], s[48:49], vcc
	s_or_b64 exec, exec, s[68:69]
	v_mov_b32_e32 v28, 0
	s_and_saveexec_b64 vcc, s[54:55]
	s_cbranch_execnz .LBB166_6657
	s_branch .LBB166_6658
.LBB166_7909:
	v_bfe_u32 v7, v6, 21, 1
	s_mov_b32 s48, 0x88fffff
	v_add3_u32 v7, v6, v7, s48
	s_mov_b64 s[54:55], exec
	v_lshrrev_b32_e32 v7, 21, v7
	s_andn2_saveexec_b64 s[68:69], vcc
	s_cbranch_execz .LBB166_6669
.LBB166_7910:
	s_mov_b32 s48, 0x42800000
	v_add_f32_e64 v7, |v6|, s48
	v_and_b32_e32 v7, 0xff, v7
	v_cmp_ne_u32_e32 vcc, 0, v7
	s_andn2_b64 s[48:49], s[54:55], exec
	s_and_b64 vcc, vcc, exec
	s_or_b64 s[54:55], s[48:49], vcc
	s_or_b64 exec, exec, s[68:69]
	v_mov_b32_e32 v28, 0
	s_and_saveexec_b64 vcc, s[54:55]
	s_cbranch_execnz .LBB166_6670
	s_branch .LBB166_6671
.LBB166_7911:
	v_bfe_u32 v7, v6, 20, 1
	s_mov_b32 s48, 0x487ffff
	v_add3_u32 v7, v6, v7, s48
	s_mov_b64 s[54:55], exec
	v_lshrrev_b32_e32 v7, 20, v7
	s_andn2_saveexec_b64 s[68:69], vcc
	s_cbranch_execz .LBB166_6785
.LBB166_7912:
	s_mov_b32 s48, 0x46000000
	v_add_f32_e64 v7, |v6|, s48
	v_and_b32_e32 v7, 0xff, v7
	v_cmp_ne_u32_e32 vcc, 0, v7
	s_andn2_b64 s[48:49], s[54:55], exec
	s_and_b64 vcc, vcc, exec
	s_or_b64 s[54:55], s[48:49], vcc
	s_or_b64 exec, exec, s[68:69]
	v_mov_b32_e32 v26, 0
	s_and_saveexec_b64 vcc, s[54:55]
	s_cbranch_execnz .LBB166_6786
	s_branch .LBB166_6787
.LBB166_7913:
	v_bfe_u32 v7, v6, 21, 1
	s_mov_b32 s48, 0x88fffff
	v_add3_u32 v7, v6, v7, s48
	s_mov_b64 s[54:55], exec
	v_lshrrev_b32_e32 v7, 21, v7
	s_andn2_saveexec_b64 s[68:69], vcc
	s_cbranch_execz .LBB166_6798
.LBB166_7914:
	s_mov_b32 s48, 0x42800000
	v_add_f32_e64 v7, |v6|, s48
	v_and_b32_e32 v7, 0xff, v7
	v_cmp_ne_u32_e32 vcc, 0, v7
	s_andn2_b64 s[48:49], s[54:55], exec
	s_and_b64 vcc, vcc, exec
	s_or_b64 s[54:55], s[48:49], vcc
	s_or_b64 exec, exec, s[68:69]
	v_mov_b32_e32 v26, 0
	s_and_saveexec_b64 vcc, s[54:55]
	s_cbranch_execnz .LBB166_6799
	s_branch .LBB166_6800
.LBB166_7915:
	v_bfe_u32 v7, v6, 20, 1
	s_mov_b32 s48, 0x487ffff
	v_add3_u32 v7, v6, v7, s48
	s_mov_b64 s[54:55], exec
	v_lshrrev_b32_e32 v7, 20, v7
	s_andn2_saveexec_b64 s[68:69], vcc
	s_cbranch_execz .LBB166_6914
.LBB166_7916:
	s_mov_b32 s48, 0x46000000
	v_add_f32_e64 v7, |v6|, s48
	v_and_b32_e32 v7, 0xff, v7
	v_cmp_ne_u32_e32 vcc, 0, v7
	s_andn2_b64 s[48:49], s[54:55], exec
	s_and_b64 vcc, vcc, exec
	s_or_b64 s[54:55], s[48:49], vcc
	s_or_b64 exec, exec, s[68:69]
	v_mov_b32_e32 v24, 0
	s_and_saveexec_b64 vcc, s[54:55]
	s_cbranch_execnz .LBB166_6915
	s_branch .LBB166_6916
.LBB166_7917:
	v_bfe_u32 v7, v6, 21, 1
	s_mov_b32 s48, 0x88fffff
	v_add3_u32 v7, v6, v7, s48
	s_mov_b64 s[54:55], exec
	v_lshrrev_b32_e32 v7, 21, v7
	s_andn2_saveexec_b64 s[68:69], vcc
	s_cbranch_execz .LBB166_6927
.LBB166_7918:
	s_mov_b32 s48, 0x42800000
	v_add_f32_e64 v7, |v6|, s48
	v_and_b32_e32 v7, 0xff, v7
	v_cmp_ne_u32_e32 vcc, 0, v7
	s_andn2_b64 s[48:49], s[54:55], exec
	s_and_b64 vcc, vcc, exec
	s_or_b64 s[54:55], s[48:49], vcc
	s_or_b64 exec, exec, s[68:69]
	v_mov_b32_e32 v24, 0
	s_and_saveexec_b64 vcc, s[54:55]
	s_cbranch_execnz .LBB166_6928
	s_branch .LBB166_6929
.LBB166_7919:
	v_bfe_u32 v7, v6, 20, 1
	s_mov_b32 s48, 0x487ffff
	v_add3_u32 v7, v6, v7, s48
	s_mov_b64 s[54:55], exec
	v_lshrrev_b32_e32 v7, 20, v7
	s_andn2_saveexec_b64 s[68:69], vcc
	s_cbranch_execz .LBB166_7043
.LBB166_7920:
	s_mov_b32 s48, 0x46000000
	v_add_f32_e64 v7, |v6|, s48
	v_and_b32_e32 v7, 0xff, v7
	v_cmp_ne_u32_e32 vcc, 0, v7
	s_andn2_b64 s[48:49], s[54:55], exec
	s_and_b64 vcc, vcc, exec
	s_or_b64 s[54:55], s[48:49], vcc
	s_or_b64 exec, exec, s[68:69]
	v_mov_b32_e32 v22, 0
	s_and_saveexec_b64 vcc, s[54:55]
	s_cbranch_execnz .LBB166_7044
	s_branch .LBB166_7045
.LBB166_7921:
	v_bfe_u32 v7, v6, 21, 1
	s_mov_b32 s48, 0x88fffff
	v_add3_u32 v7, v6, v7, s48
	s_mov_b64 s[54:55], exec
	v_lshrrev_b32_e32 v7, 21, v7
	s_andn2_saveexec_b64 s[68:69], vcc
	s_cbranch_execz .LBB166_7056
.LBB166_7922:
	s_mov_b32 s48, 0x42800000
	v_add_f32_e64 v7, |v6|, s48
	v_and_b32_e32 v7, 0xff, v7
	v_cmp_ne_u32_e32 vcc, 0, v7
	s_andn2_b64 s[48:49], s[54:55], exec
	s_and_b64 vcc, vcc, exec
	s_or_b64 s[54:55], s[48:49], vcc
	s_or_b64 exec, exec, s[68:69]
	v_mov_b32_e32 v22, 0
	s_and_saveexec_b64 vcc, s[54:55]
	s_cbranch_execnz .LBB166_7057
	s_branch .LBB166_7058
.LBB166_7923:
	v_bfe_u32 v7, v6, 20, 1
	s_mov_b32 s48, 0x487ffff
	v_add3_u32 v7, v6, v7, s48
	s_mov_b64 s[54:55], exec
	v_lshrrev_b32_e32 v7, 20, v7
	s_andn2_saveexec_b64 s[68:69], vcc
	s_cbranch_execz .LBB166_7172
.LBB166_7924:
	s_mov_b32 s48, 0x46000000
	v_add_f32_e64 v7, |v6|, s48
	v_and_b32_e32 v7, 0xff, v7
	v_cmp_ne_u32_e32 vcc, 0, v7
	s_andn2_b64 s[48:49], s[54:55], exec
	s_and_b64 vcc, vcc, exec
	s_or_b64 s[54:55], s[48:49], vcc
	s_or_b64 exec, exec, s[68:69]
	v_mov_b32_e32 v20, 0
	s_and_saveexec_b64 vcc, s[54:55]
	s_cbranch_execnz .LBB166_7173
	s_branch .LBB166_7174
.LBB166_7925:
	v_bfe_u32 v7, v6, 21, 1
	s_mov_b32 s48, 0x88fffff
	v_add3_u32 v7, v6, v7, s48
	s_mov_b64 s[54:55], exec
	v_lshrrev_b32_e32 v7, 21, v7
	s_andn2_saveexec_b64 s[68:69], vcc
	s_cbranch_execz .LBB166_7185
.LBB166_7926:
	s_mov_b32 s48, 0x42800000
	v_add_f32_e64 v7, |v6|, s48
	v_and_b32_e32 v7, 0xff, v7
	v_cmp_ne_u32_e32 vcc, 0, v7
	s_andn2_b64 s[48:49], s[54:55], exec
	s_and_b64 vcc, vcc, exec
	s_or_b64 s[54:55], s[48:49], vcc
	s_or_b64 exec, exec, s[68:69]
	v_mov_b32_e32 v20, 0
	s_and_saveexec_b64 vcc, s[54:55]
	s_cbranch_execnz .LBB166_7186
	s_branch .LBB166_7187
.LBB166_7927:
	v_bfe_u32 v7, v6, 20, 1
	s_mov_b32 s48, 0x487ffff
	v_add3_u32 v7, v6, v7, s48
	s_mov_b64 s[54:55], exec
	v_lshrrev_b32_e32 v7, 20, v7
	s_andn2_saveexec_b64 s[68:69], vcc
	s_cbranch_execz .LBB166_7301
.LBB166_7928:
	s_mov_b32 s48, 0x46000000
	v_add_f32_e64 v7, |v6|, s48
	v_and_b32_e32 v7, 0xff, v7
	v_cmp_ne_u32_e32 vcc, 0, v7
	s_andn2_b64 s[48:49], s[54:55], exec
	s_and_b64 vcc, vcc, exec
	s_or_b64 s[54:55], s[48:49], vcc
	s_or_b64 exec, exec, s[68:69]
	v_mov_b32_e32 v18, 0
	s_and_saveexec_b64 vcc, s[54:55]
	s_cbranch_execnz .LBB166_7302
	s_branch .LBB166_7303
.LBB166_7929:
	v_bfe_u32 v7, v6, 21, 1
	s_mov_b32 s48, 0x88fffff
	v_add3_u32 v7, v6, v7, s48
	s_mov_b64 s[54:55], exec
	v_lshrrev_b32_e32 v7, 21, v7
	s_andn2_saveexec_b64 s[68:69], vcc
	s_cbranch_execz .LBB166_7314
.LBB166_7930:
	s_mov_b32 s48, 0x42800000
	v_add_f32_e64 v7, |v6|, s48
	v_and_b32_e32 v7, 0xff, v7
	v_cmp_ne_u32_e32 vcc, 0, v7
	s_andn2_b64 s[48:49], s[54:55], exec
	s_and_b64 vcc, vcc, exec
	s_or_b64 s[54:55], s[48:49], vcc
	s_or_b64 exec, exec, s[68:69]
	v_mov_b32_e32 v18, 0
	s_and_saveexec_b64 vcc, s[54:55]
	s_cbranch_execnz .LBB166_7315
	s_branch .LBB166_7316
.LBB166_7931:
	v_bfe_u32 v7, v6, 20, 1
	s_mov_b32 s48, 0x487ffff
	v_add3_u32 v7, v6, v7, s48
	s_mov_b64 s[54:55], exec
	v_lshrrev_b32_e32 v7, 20, v7
	s_andn2_saveexec_b64 s[68:69], vcc
	s_cbranch_execz .LBB166_7430
.LBB166_7932:
	s_mov_b32 s48, 0x46000000
	v_add_f32_e64 v7, |v6|, s48
	v_and_b32_e32 v7, 0xff, v7
	v_cmp_ne_u32_e32 vcc, 0, v7
	s_andn2_b64 s[48:49], s[54:55], exec
	s_and_b64 vcc, vcc, exec
	s_or_b64 s[54:55], s[48:49], vcc
	s_or_b64 exec, exec, s[68:69]
	v_mov_b32_e32 v15, 0
	s_and_saveexec_b64 vcc, s[54:55]
	s_cbranch_execnz .LBB166_7431
	s_branch .LBB166_7432
.LBB166_7933:
	v_bfe_u32 v7, v6, 21, 1
	s_mov_b32 s48, 0x88fffff
	v_add3_u32 v7, v6, v7, s48
	s_mov_b64 s[54:55], exec
	v_lshrrev_b32_e32 v7, 21, v7
	s_andn2_saveexec_b64 s[68:69], vcc
	s_cbranch_execz .LBB166_7443
.LBB166_7934:
	s_mov_b32 s48, 0x42800000
	v_add_f32_e64 v7, |v6|, s48
	v_and_b32_e32 v7, 0xff, v7
	v_cmp_ne_u32_e32 vcc, 0, v7
	s_andn2_b64 s[48:49], s[54:55], exec
	s_and_b64 vcc, vcc, exec
	s_or_b64 s[54:55], s[48:49], vcc
	s_or_b64 exec, exec, s[68:69]
	v_mov_b32_e32 v15, 0
	s_and_saveexec_b64 vcc, s[54:55]
	s_cbranch_execnz .LBB166_7444
	s_branch .LBB166_7445
.LBB166_7935:
	v_bfe_u32 v7, v6, 20, 1
	s_mov_b32 s48, 0x487ffff
	v_add3_u32 v7, v6, v7, s48
	s_mov_b64 s[54:55], exec
	v_lshrrev_b32_e32 v7, 20, v7
	s_andn2_saveexec_b64 s[68:69], vcc
	s_cbranch_execz .LBB166_7559
.LBB166_7936:
	s_mov_b32 s48, 0x46000000
	v_add_f32_e64 v7, |v6|, s48
	v_and_b32_e32 v7, 0xff, v7
	v_cmp_ne_u32_e32 vcc, 0, v7
	s_andn2_b64 s[48:49], s[54:55], exec
	s_and_b64 vcc, vcc, exec
	s_or_b64 s[54:55], s[48:49], vcc
	s_or_b64 exec, exec, s[68:69]
	v_mov_b32_e32 v11, 0
	s_and_saveexec_b64 vcc, s[54:55]
	s_cbranch_execnz .LBB166_7560
	s_branch .LBB166_7561
.LBB166_7937:
	v_bfe_u32 v7, v6, 21, 1
	s_mov_b32 s48, 0x88fffff
	v_add3_u32 v7, v6, v7, s48
	s_mov_b64 s[52:53], exec
	v_lshrrev_b32_e32 v7, 21, v7
	s_andn2_saveexec_b64 s[68:69], vcc
	s_cbranch_execz .LBB166_7572
.LBB166_7938:
	s_mov_b32 s48, 0x42800000
	v_add_f32_e64 v7, |v6|, s48
	v_and_b32_e32 v7, 0xff, v7
	v_cmp_ne_u32_e32 vcc, 0, v7
	s_andn2_b64 s[48:49], s[52:53], exec
	s_and_b64 vcc, vcc, exec
	s_or_b64 s[52:53], s[48:49], vcc
	s_or_b64 exec, exec, s[68:69]
	v_mov_b32_e32 v11, 0
	s_and_saveexec_b64 vcc, s[52:53]
	s_cbranch_execnz .LBB166_7573
	s_branch .LBB166_7574
.LBB166_7939:
	v_bfe_u32 v0, v4, 20, 1
	s_mov_b32 s48, 0x487ffff
	v_add3_u32 v0, v4, v0, s48
	s_mov_b64 s[54:55], exec
	v_lshrrev_b32_e32 v0, 20, v0
	s_andn2_saveexec_b64 s[50:51], vcc
	s_cbranch_execz .LBB166_7685
.LBB166_7940:
	s_mov_b32 s48, 0x46000000
	v_add_f32_e64 v0, |v4|, s48
	v_and_b32_e32 v0, 0xff, v0
	v_cmp_ne_u32_e32 vcc, 0, v0
	s_andn2_b64 s[48:49], s[54:55], exec
	s_and_b64 vcc, vcc, exec
	s_or_b64 s[54:55], s[48:49], vcc
	s_or_b64 exec, exec, s[50:51]
	v_mov_b32_e32 v1, 0
	s_and_saveexec_b64 vcc, s[54:55]
	s_cbranch_execnz .LBB166_7686
	s_branch .LBB166_7687
.LBB166_7941:
	v_bfe_u32 v0, v4, 21, 1
	s_mov_b32 s48, 0x88fffff
	v_add3_u32 v0, v4, v0, s48
	s_mov_b64 s[54:55], exec
	v_lshrrev_b32_e32 v0, 21, v0
	s_andn2_saveexec_b64 s[68:69], vcc
	s_cbranch_execz .LBB166_7698
.LBB166_7942:
	s_mov_b32 s48, 0x42800000
	v_add_f32_e64 v0, |v4|, s48
	v_and_b32_e32 v0, 0xff, v0
	v_cmp_ne_u32_e32 vcc, 0, v0
	s_andn2_b64 s[48:49], s[54:55], exec
	s_and_b64 vcc, vcc, exec
	s_or_b64 s[54:55], s[48:49], vcc
	s_or_b64 exec, exec, s[68:69]
	v_mov_b32_e32 v1, 0
	s_and_saveexec_b64 vcc, s[54:55]
	s_cbranch_execnz .LBB166_7699
	s_branch .LBB166_7700
.Lfunc_end166:
	.size	_ZN2at6native25elementwise_kernel_helperILb1ENS0_13BinaryFunctorIfffZNS0_12_GLOBAL__N_121threshold_kernel_implIfEEvRNS_18TensorIteratorBaseET_S7_EUlffE_EENS0_6memory8policies11unroll_baseILi512ESt5arrayIPcLm3EE23TrivialOffsetCalculatorILi2EjESG_ILi1EjENSA_12LoadWithCastILi2EEENSA_13StoreWithCastILi1EEELi32ELi1EEEEEvT0_T1_, .Lfunc_end166-_ZN2at6native25elementwise_kernel_helperILb1ENS0_13BinaryFunctorIfffZNS0_12_GLOBAL__N_121threshold_kernel_implIfEEvRNS_18TensorIteratorBaseET_S7_EUlffE_EENS0_6memory8policies11unroll_baseILi512ESt5arrayIPcLm3EE23TrivialOffsetCalculatorILi2EjESG_ILi1EjENSA_12LoadWithCastILi2EEENSA_13StoreWithCastILi1EEELi32ELi1EEEEEvT0_T1_
                                        ; -- End function
	.set .L_ZN2at6native25elementwise_kernel_helperILb1ENS0_13BinaryFunctorIfffZNS0_12_GLOBAL__N_121threshold_kernel_implIfEEvRNS_18TensorIteratorBaseET_S7_EUlffE_EENS0_6memory8policies11unroll_baseILi512ESt5arrayIPcLm3EE23TrivialOffsetCalculatorILi2EjESG_ILi1EjENSA_12LoadWithCastILi2EEENSA_13StoreWithCastILi1EEELi32ELi1EEEEEvT0_T1_.num_vgpr, 119
	.set .L_ZN2at6native25elementwise_kernel_helperILb1ENS0_13BinaryFunctorIfffZNS0_12_GLOBAL__N_121threshold_kernel_implIfEEvRNS_18TensorIteratorBaseET_S7_EUlffE_EENS0_6memory8policies11unroll_baseILi512ESt5arrayIPcLm3EE23TrivialOffsetCalculatorILi2EjESG_ILi1EjENSA_12LoadWithCastILi2EEENSA_13StoreWithCastILi1EEELi32ELi1EEEEEvT0_T1_.num_agpr, 0
	.set .L_ZN2at6native25elementwise_kernel_helperILb1ENS0_13BinaryFunctorIfffZNS0_12_GLOBAL__N_121threshold_kernel_implIfEEvRNS_18TensorIteratorBaseET_S7_EUlffE_EENS0_6memory8policies11unroll_baseILi512ESt5arrayIPcLm3EE23TrivialOffsetCalculatorILi2EjESG_ILi1EjENSA_12LoadWithCastILi2EEENSA_13StoreWithCastILi1EEELi32ELi1EEEEEvT0_T1_.numbered_sgpr, 98
	.set .L_ZN2at6native25elementwise_kernel_helperILb1ENS0_13BinaryFunctorIfffZNS0_12_GLOBAL__N_121threshold_kernel_implIfEEvRNS_18TensorIteratorBaseET_S7_EUlffE_EENS0_6memory8policies11unroll_baseILi512ESt5arrayIPcLm3EE23TrivialOffsetCalculatorILi2EjESG_ILi1EjENSA_12LoadWithCastILi2EEENSA_13StoreWithCastILi1EEELi32ELi1EEEEEvT0_T1_.num_named_barrier, 0
	.set .L_ZN2at6native25elementwise_kernel_helperILb1ENS0_13BinaryFunctorIfffZNS0_12_GLOBAL__N_121threshold_kernel_implIfEEvRNS_18TensorIteratorBaseET_S7_EUlffE_EENS0_6memory8policies11unroll_baseILi512ESt5arrayIPcLm3EE23TrivialOffsetCalculatorILi2EjESG_ILi1EjENSA_12LoadWithCastILi2EEENSA_13StoreWithCastILi1EEELi32ELi1EEEEEvT0_T1_.private_seg_size, 272
	.set .L_ZN2at6native25elementwise_kernel_helperILb1ENS0_13BinaryFunctorIfffZNS0_12_GLOBAL__N_121threshold_kernel_implIfEEvRNS_18TensorIteratorBaseET_S7_EUlffE_EENS0_6memory8policies11unroll_baseILi512ESt5arrayIPcLm3EE23TrivialOffsetCalculatorILi2EjESG_ILi1EjENSA_12LoadWithCastILi2EEENSA_13StoreWithCastILi1EEELi32ELi1EEEEEvT0_T1_.uses_vcc, 1
	.set .L_ZN2at6native25elementwise_kernel_helperILb1ENS0_13BinaryFunctorIfffZNS0_12_GLOBAL__N_121threshold_kernel_implIfEEvRNS_18TensorIteratorBaseET_S7_EUlffE_EENS0_6memory8policies11unroll_baseILi512ESt5arrayIPcLm3EE23TrivialOffsetCalculatorILi2EjESG_ILi1EjENSA_12LoadWithCastILi2EEENSA_13StoreWithCastILi1EEELi32ELi1EEEEEvT0_T1_.uses_flat_scratch, 0
	.set .L_ZN2at6native25elementwise_kernel_helperILb1ENS0_13BinaryFunctorIfffZNS0_12_GLOBAL__N_121threshold_kernel_implIfEEvRNS_18TensorIteratorBaseET_S7_EUlffE_EENS0_6memory8policies11unroll_baseILi512ESt5arrayIPcLm3EE23TrivialOffsetCalculatorILi2EjESG_ILi1EjENSA_12LoadWithCastILi2EEENSA_13StoreWithCastILi1EEELi32ELi1EEEEEvT0_T1_.has_dyn_sized_stack, 0
	.set .L_ZN2at6native25elementwise_kernel_helperILb1ENS0_13BinaryFunctorIfffZNS0_12_GLOBAL__N_121threshold_kernel_implIfEEvRNS_18TensorIteratorBaseET_S7_EUlffE_EENS0_6memory8policies11unroll_baseILi512ESt5arrayIPcLm3EE23TrivialOffsetCalculatorILi2EjESG_ILi1EjENSA_12LoadWithCastILi2EEENSA_13StoreWithCastILi1EEELi32ELi1EEEEEvT0_T1_.has_recursion, 0
	.set .L_ZN2at6native25elementwise_kernel_helperILb1ENS0_13BinaryFunctorIfffZNS0_12_GLOBAL__N_121threshold_kernel_implIfEEvRNS_18TensorIteratorBaseET_S7_EUlffE_EENS0_6memory8policies11unroll_baseILi512ESt5arrayIPcLm3EE23TrivialOffsetCalculatorILi2EjESG_ILi1EjENSA_12LoadWithCastILi2EEENSA_13StoreWithCastILi1EEELi32ELi1EEEEEvT0_T1_.has_indirect_call, 0
	.section	.AMDGPU.csdata,"",@progbits
; Function info:
; codeLenInByte = 163936
; TotalNumSgprs: 102
; NumVgprs: 119
; ScratchSize: 272
; MemoryBound: 1
	.section	.text._ZN2at6native39vectorized_templated_elementwise_kernelILi8ENS0_13BinaryFunctorIfffZNS0_12_GLOBAL__N_121threshold_kernel_implIfEEvRNS_18TensorIteratorBaseET_S7_EUlffE_EESt5arrayIPcLm3EE23TrivialOffsetCalculatorILi2EjESD_ILi1EjENS0_6memory12LoadWithCastILi2EEENSG_13StoreWithCastILi1EEEfJfN3c108BFloat16EEEEviT0_T1_T2_T3_T4_T5_,"axG",@progbits,_ZN2at6native39vectorized_templated_elementwise_kernelILi8ENS0_13BinaryFunctorIfffZNS0_12_GLOBAL__N_121threshold_kernel_implIfEEvRNS_18TensorIteratorBaseET_S7_EUlffE_EESt5arrayIPcLm3EE23TrivialOffsetCalculatorILi2EjESD_ILi1EjENS0_6memory12LoadWithCastILi2EEENSG_13StoreWithCastILi1EEEfJfN3c108BFloat16EEEEviT0_T1_T2_T3_T4_T5_,comdat
	.globl	_ZN2at6native39vectorized_templated_elementwise_kernelILi8ENS0_13BinaryFunctorIfffZNS0_12_GLOBAL__N_121threshold_kernel_implIfEEvRNS_18TensorIteratorBaseET_S7_EUlffE_EESt5arrayIPcLm3EE23TrivialOffsetCalculatorILi2EjESD_ILi1EjENS0_6memory12LoadWithCastILi2EEENSG_13StoreWithCastILi1EEEfJfN3c108BFloat16EEEEviT0_T1_T2_T3_T4_T5_ ; -- Begin function _ZN2at6native39vectorized_templated_elementwise_kernelILi8ENS0_13BinaryFunctorIfffZNS0_12_GLOBAL__N_121threshold_kernel_implIfEEvRNS_18TensorIteratorBaseET_S7_EUlffE_EESt5arrayIPcLm3EE23TrivialOffsetCalculatorILi2EjESD_ILi1EjENS0_6memory12LoadWithCastILi2EEENSG_13StoreWithCastILi1EEEfJfN3c108BFloat16EEEEviT0_T1_T2_T3_T4_T5_
	.p2align	8
	.type	_ZN2at6native39vectorized_templated_elementwise_kernelILi8ENS0_13BinaryFunctorIfffZNS0_12_GLOBAL__N_121threshold_kernel_implIfEEvRNS_18TensorIteratorBaseET_S7_EUlffE_EESt5arrayIPcLm3EE23TrivialOffsetCalculatorILi2EjESD_ILi1EjENS0_6memory12LoadWithCastILi2EEENSG_13StoreWithCastILi1EEEfJfN3c108BFloat16EEEEviT0_T1_T2_T3_T4_T5_,@function
_ZN2at6native39vectorized_templated_elementwise_kernelILi8ENS0_13BinaryFunctorIfffZNS0_12_GLOBAL__N_121threshold_kernel_implIfEEvRNS_18TensorIteratorBaseET_S7_EUlffE_EESt5arrayIPcLm3EE23TrivialOffsetCalculatorILi2EjESD_ILi1EjENS0_6memory12LoadWithCastILi2EEENSG_13StoreWithCastILi1EEEfJfN3c108BFloat16EEEEviT0_T1_T2_T3_T4_T5_: ; @_ZN2at6native39vectorized_templated_elementwise_kernelILi8ENS0_13BinaryFunctorIfffZNS0_12_GLOBAL__N_121threshold_kernel_implIfEEvRNS_18TensorIteratorBaseET_S7_EUlffE_EESt5arrayIPcLm3EE23TrivialOffsetCalculatorILi2EjESD_ILi1EjENS0_6memory12LoadWithCastILi2EEENSG_13StoreWithCastILi1EEEfJfN3c108BFloat16EEEEviT0_T1_T2_T3_T4_T5_
; %bb.0:
	s_add_u32 s0, s0, s7
	s_load_dword s7, s[4:5], 0x40
	s_load_dwordx8 s[12:19], s[4:5], 0x0
	s_load_dwordx2 s[20:21], s[4:5], 0x20
	s_addc_u32 s1, s1, 0
	s_not_b32 s8, s6
	s_waitcnt lgkmcnt(0)
	s_add_i32 s7, s7, s8
	s_lshl_b32 s8, s7, 14
	s_sub_i32 s7, s12, s8
	s_cmpk_gt_i32 s7, 0x3fff
	s_mov_b64 s[10:11], -1
	s_mov_b32 s32, 0
	s_cbranch_scc1 .LBB167_3
; %bb.1:
	s_andn2_b64 vcc, exec, s[10:11]
	s_cbranch_vccz .LBB167_4
.LBB167_2:
	s_endpgm
.LBB167_3:
	s_ashr_i32 s9, s8, 31
	s_lshl_b64 s[22:23], s[8:9], 2
	s_add_u32 s10, s18, s22
	s_addc_u32 s11, s19, s23
	s_lshl_b64 s[8:9], s[8:9], 1
	v_lshlrev_b32_e32 v7, 5, v0
	s_add_u32 s24, s20, s8
	v_mov_b32_e32 v1, s11
	v_add_co_u32_e32 v9, vcc, s10, v7
	s_addc_u32 s25, s21, s9
	v_lshlrev_b32_e32 v26, 4, v0
	v_addc_co_u32_e32 v8, vcc, 0, v1, vcc
	v_mov_b32_e32 v1, s25
	v_add_co_u32_e64 v30, s[8:9], s24, v26
	v_addc_co_u32_e64 v31, s[8:9], 0, v1, s[8:9]
	s_movk_i32 s8, 0x2000
	v_add_co_u32_e32 v5, vcc, 0x4000, v9
	v_add_co_u32_e64 v1, s[8:9], s8, v30
	v_addc_co_u32_e64 v2, s[8:9], 0, v31, s[8:9]
	v_addc_co_u32_e64 v11, s[8:9], 0, v8, vcc
	v_mov_b32_e32 v10, v5
	global_load_dwordx4 v[1:4], v[1:2], off
	v_addc_co_u32_e32 v6, vcc, 0, v8, vcc
	global_load_dwordx4 v[10:13], v[10:11], off
	s_nop 0
	global_load_dwordx4 v[14:17], v[5:6], off offset:16
	global_load_dwordx4 v[18:21], v26, s[24:25]
	global_load_dwordx4 v[22:25], v7, s[10:11]
	s_movk_i32 s12, 0x4000
	v_add_co_u32_e64 v39, s[8:9], s12, v30
	s_movk_i32 s15, 0x6000
	global_load_dwordx4 v[26:29], v7, s[10:11] offset:16
	v_addc_co_u32_e64 v40, s[8:9], 0, v31, s[8:9]
	v_add_co_u32_e64 v41, s[8:9], s15, v30
	v_add_co_u32_e32 v5, vcc, 0x8000, v9
	v_addc_co_u32_e64 v42, s[8:9], 0, v31, s[8:9]
	s_mov_b64 s[8:9], vcc
	v_mov_b32_e32 v38, v5
	global_load_dwordx4 v[30:33], v[39:40], off
	global_load_dwordx4 v[34:37], v[41:42], off
	v_addc_co_u32_e64 v39, s[8:9], 0, v8, s[8:9]
	global_load_dwordx4 v[38:41], v[38:39], off
	s_add_u32 s22, s16, s22
	s_mov_b64 s[10:11], vcc
	v_add_co_u32_e32 v54, vcc, 0xc000, v9
	s_addc_u32 s23, s17, s23
	v_addc_co_u32_e64 v55, s[8:9], 0, v8, vcc
	v_addc_co_u32_e32 v57, vcc, 0, v8, vcc
	v_addc_co_u32_e64 v6, s[10:11], 0, v8, s[10:11]
	v_mov_b32_e32 v8, s23
	v_add_co_u32_e32 v59, vcc, s22, v7
	v_addc_co_u32_e32 v60, vcc, 0, v8, vcc
	global_load_dwordx4 v[42:45], v[5:6], off offset:16
	v_add_co_u32_e32 v5, vcc, s12, v59
	v_addc_co_u32_e32 v6, vcc, 0, v60, vcc
	v_mov_b32_e32 v58, s14
	v_mov_b32_e32 v56, v54
	s_mov_b32 s8, 0x8000
	s_waitcnt vmcnt(9)
	v_lshlrev_b32_e32 v8, 16, v1
	v_and_b32_e32 v1, 0xffff0000, v1
	v_lshlrev_b32_e32 v46, 16, v2
	s_waitcnt vmcnt(8)
	v_cmp_nge_f32_e32 vcc, s13, v10
	v_cndmask_b32_e32 v8, v58, v8, vcc
	v_cmp_nge_f32_e32 vcc, s13, v11
	v_cndmask_b32_e32 v9, v58, v1, vcc
	v_cmp_nge_f32_e32 vcc, s13, v12
	v_cndmask_b32_e32 v10, v58, v46, vcc
	global_load_dwordx4 v[46:49], v[56:57], off
	global_load_dwordx4 v[50:53], v[54:55], off offset:16
	v_and_b32_e32 v1, 0xffff0000, v2
	v_cmp_nge_f32_e32 vcc, s13, v13
	v_cndmask_b32_e32 v11, v58, v1, vcc
	v_lshlrev_b32_e32 v1, 16, v3
	s_waitcnt vmcnt(9)
	v_cmp_nge_f32_e32 vcc, s13, v14
	v_and_b32_e32 v2, 0xffff0000, v3
	v_cndmask_b32_e32 v1, v58, v1, vcc
	v_cmp_nge_f32_e32 vcc, s13, v15
	v_lshlrev_b32_e32 v3, 16, v4
	v_cndmask_b32_e32 v2, v58, v2, vcc
	v_cmp_nge_f32_e32 vcc, s13, v16
	v_and_b32_e32 v4, 0xffff0000, v4
	v_cndmask_b32_e32 v3, v58, v3, vcc
	v_cmp_nge_f32_e32 vcc, s13, v17
	v_cndmask_b32_e32 v4, v58, v4, vcc
	global_store_dwordx4 v[5:6], v[1:4], off offset:16
	s_waitcnt vmcnt(8)
	v_cmp_nge_f32_e32 vcc, s13, v22
	v_lshlrev_b32_e32 v1, 16, v18
	v_and_b32_e32 v2, 0xffff0000, v18
	v_cndmask_b32_e32 v1, v58, v1, vcc
	v_cmp_nge_f32_e32 vcc, s13, v23
	v_cndmask_b32_e32 v2, v58, v2, vcc
	v_lshlrev_b32_e32 v3, 16, v19
	v_cmp_nge_f32_e32 vcc, s13, v24
	v_cndmask_b32_e32 v3, v58, v3, vcc
	v_and_b32_e32 v4, 0xffff0000, v19
	v_cmp_nge_f32_e32 vcc, s13, v25
	v_cndmask_b32_e32 v4, v58, v4, vcc
	global_store_dwordx4 v7, v[1:4], s[22:23]
	s_waitcnt vmcnt(8)
	v_cmp_nge_f32_e32 vcc, s13, v26
	v_lshlrev_b32_e32 v1, 16, v20
	v_and_b32_e32 v2, 0xffff0000, v20
	v_cndmask_b32_e32 v1, v58, v1, vcc
	v_cmp_nge_f32_e32 vcc, s13, v27
	v_lshlrev_b32_e32 v3, 16, v21
	v_cndmask_b32_e32 v2, v58, v2, vcc
	v_cmp_nge_f32_e32 vcc, s13, v28
	v_and_b32_e32 v4, 0xffff0000, v21
	v_cndmask_b32_e32 v3, v58, v3, vcc
	v_cmp_nge_f32_e32 vcc, s13, v29
	v_cndmask_b32_e32 v4, v58, v4, vcc
	global_store_dwordx4 v7, v[1:4], s[22:23] offset:16
	s_waitcnt vmcnt(6)
	v_cmp_nge_f32_e32 vcc, s13, v38
	v_lshlrev_b32_e32 v1, 16, v30
	v_and_b32_e32 v2, 0xffff0000, v30
	v_cndmask_b32_e32 v1, v58, v1, vcc
	v_cmp_nge_f32_e32 vcc, s13, v39
	v_lshlrev_b32_e32 v3, 16, v31
	v_cndmask_b32_e32 v2, v58, v2, vcc
	v_cmp_nge_f32_e32 vcc, s13, v40
	v_and_b32_e32 v4, 0xffff0000, v31
	v_cndmask_b32_e32 v3, v58, v3, vcc
	v_cmp_nge_f32_e32 vcc, s13, v41
	v_cndmask_b32_e32 v4, v58, v4, vcc
	v_add_co_u32_e32 v13, vcc, s8, v59
	v_addc_co_u32_e32 v14, vcc, 0, v60, vcc
	global_store_dwordx4 v[13:14], v[1:4], off
	s_waitcnt vmcnt(6)
	v_cmp_nge_f32_e32 vcc, s13, v42
	v_lshlrev_b32_e32 v1, 16, v32
	v_and_b32_e32 v2, 0xffff0000, v32
	v_cndmask_b32_e32 v1, v58, v1, vcc
	v_cmp_nge_f32_e32 vcc, s13, v43
	v_lshlrev_b32_e32 v3, 16, v33
	v_cndmask_b32_e32 v2, v58, v2, vcc
	v_cmp_nge_f32_e32 vcc, s13, v44
	v_and_b32_e32 v4, 0xffff0000, v33
	v_cndmask_b32_e32 v3, v58, v3, vcc
	v_cmp_nge_f32_e32 vcc, s13, v45
	global_store_dwordx4 v[5:6], v[8:11], off
	v_lshlrev_b32_e32 v5, 16, v34
	v_cndmask_b32_e32 v4, v58, v4, vcc
	v_and_b32_e32 v6, 0xffff0000, v34
	v_lshlrev_b32_e32 v7, 16, v35
	v_and_b32_e32 v8, 0xffff0000, v35
	v_lshlrev_b32_e32 v9, 16, v36
	v_and_b32_e32 v10, 0xffff0000, v36
	s_waitcnt vmcnt(6)
	v_cmp_nge_f32_e32 vcc, s13, v46
	v_cndmask_b32_e32 v5, v58, v5, vcc
	v_cmp_nge_f32_e32 vcc, s13, v47
	v_cndmask_b32_e32 v6, v58, v6, vcc
	v_cmp_nge_f32_e32 vcc, s13, v48
	v_cndmask_b32_e32 v7, v58, v7, vcc
	v_cmp_nge_f32_e32 vcc, s13, v49
	v_cndmask_b32_e32 v8, v58, v8, vcc
	s_waitcnt vmcnt(5)
	v_cmp_nge_f32_e32 vcc, s13, v50
	v_cndmask_b32_e32 v9, v58, v9, vcc
	v_cmp_nge_f32_e32 vcc, s13, v51
	v_lshlrev_b32_e32 v11, 16, v37
	v_cndmask_b32_e32 v10, v58, v10, vcc
	v_cmp_nge_f32_e32 vcc, s13, v52
	v_and_b32_e32 v12, 0xffff0000, v37
	v_cndmask_b32_e32 v11, v58, v11, vcc
	v_cmp_nge_f32_e32 vcc, s13, v53
	v_cndmask_b32_e32 v12, v58, v12, vcc
	global_store_dwordx4 v[13:14], v[1:4], off offset:16
	s_nop 0
	v_add_co_u32_e32 v1, vcc, 0xc000, v59
	v_addc_co_u32_e32 v2, vcc, 0, v60, vcc
	global_store_dwordx4 v[1:2], v[5:8], off
	global_store_dwordx4 v[1:2], v[9:12], off offset:16
	s_cbranch_execnz .LBB167_2
.LBB167_4:
	s_load_dword s10, s[4:5], 0x2c
	s_load_dwordx4 s[24:27], s[4:5], 0x30
	s_mov_b32 s12, s6
	v_mov_b32_e32 v31, v0
	v_mov_b32_e32 v0, s13
	s_waitcnt lgkmcnt(0)
	s_bfe_u32 s11, s10, 0x80008
	s_add_u32 s8, s4, 64
	s_addc_u32 s9, s5, 0
	s_getpc_b64 s[4:5]
	s_add_u32 s4, s4, _ZN2at6native25elementwise_kernel_helperILb1ENS0_13BinaryFunctorIfffZNS0_12_GLOBAL__N_121threshold_kernel_implIfEEvRNS_18TensorIteratorBaseET_S7_EUlffE_EENS0_6memory8policies11unroll_baseILi512ESt5arrayIPcLm3EE23TrivialOffsetCalculatorILi2EjESG_ILi1EjENSA_12LoadWithCastILi2EEENSA_13StoreWithCastILi1EEELi32ELi1EEEEEvT0_T1_@rel32@lo+4
	s_addc_u32 s5, s5, _ZN2at6native25elementwise_kernel_helperILb1ENS0_13BinaryFunctorIfffZNS0_12_GLOBAL__N_121threshold_kernel_implIfEEvRNS_18TensorIteratorBaseET_S7_EUlffE_EENS0_6memory8policies11unroll_baseILi512ESt5arrayIPcLm3EE23TrivialOffsetCalculatorILi2EjESG_ILi1EjENSA_12LoadWithCastILi2EEENSA_13StoreWithCastILi1EEELi32ELi1EEEEEvT0_T1_@rel32@hi+12
	v_mov_b32_e32 v1, s14
	v_mov_b32_e32 v2, s16
	v_mov_b32_e32 v3, s17
	v_mov_b32_e32 v4, s18
	v_mov_b32_e32 v5, s19
	v_mov_b32_e32 v6, s20
	v_mov_b32_e32 v7, s21
	v_mov_b32_e32 v8, s7
	v_mov_b32_e32 v9, s10
	v_mov_b32_e32 v10, s11
	v_mov_b32_e32 v11, s24
	v_mov_b32_e32 v12, s25
	v_mov_b32_e32 v13, s26
	v_mov_b32_e32 v14, s27
	s_swappc_b64 s[30:31], s[4:5]
	s_endpgm
	.section	.rodata,"a",@progbits
	.p2align	6, 0x0
	.amdhsa_kernel _ZN2at6native39vectorized_templated_elementwise_kernelILi8ENS0_13BinaryFunctorIfffZNS0_12_GLOBAL__N_121threshold_kernel_implIfEEvRNS_18TensorIteratorBaseET_S7_EUlffE_EESt5arrayIPcLm3EE23TrivialOffsetCalculatorILi2EjESD_ILi1EjENS0_6memory12LoadWithCastILi2EEENSG_13StoreWithCastILi1EEEfJfN3c108BFloat16EEEEviT0_T1_T2_T3_T4_T5_
		.amdhsa_group_segment_fixed_size 0
		.amdhsa_private_segment_fixed_size 272
		.amdhsa_kernarg_size 320
		.amdhsa_user_sgpr_count 6
		.amdhsa_user_sgpr_private_segment_buffer 1
		.amdhsa_user_sgpr_dispatch_ptr 0
		.amdhsa_user_sgpr_queue_ptr 0
		.amdhsa_user_sgpr_kernarg_segment_ptr 1
		.amdhsa_user_sgpr_dispatch_id 0
		.amdhsa_user_sgpr_flat_scratch_init 0
		.amdhsa_user_sgpr_private_segment_size 0
		.amdhsa_uses_dynamic_stack 0
		.amdhsa_system_sgpr_private_segment_wavefront_offset 1
		.amdhsa_system_sgpr_workgroup_id_x 1
		.amdhsa_system_sgpr_workgroup_id_y 0
		.amdhsa_system_sgpr_workgroup_id_z 0
		.amdhsa_system_sgpr_workgroup_info 0
		.amdhsa_system_vgpr_workitem_id 0
		.amdhsa_next_free_vgpr 119
		.amdhsa_next_free_sgpr 98
		.amdhsa_reserve_vcc 1
		.amdhsa_reserve_flat_scratch 0
		.amdhsa_float_round_mode_32 0
		.amdhsa_float_round_mode_16_64 0
		.amdhsa_float_denorm_mode_32 3
		.amdhsa_float_denorm_mode_16_64 3
		.amdhsa_dx10_clamp 1
		.amdhsa_ieee_mode 1
		.amdhsa_fp16_overflow 0
		.amdhsa_exception_fp_ieee_invalid_op 0
		.amdhsa_exception_fp_denorm_src 0
		.amdhsa_exception_fp_ieee_div_zero 0
		.amdhsa_exception_fp_ieee_overflow 0
		.amdhsa_exception_fp_ieee_underflow 0
		.amdhsa_exception_fp_ieee_inexact 0
		.amdhsa_exception_int_div_zero 0
	.end_amdhsa_kernel
	.section	.text._ZN2at6native39vectorized_templated_elementwise_kernelILi8ENS0_13BinaryFunctorIfffZNS0_12_GLOBAL__N_121threshold_kernel_implIfEEvRNS_18TensorIteratorBaseET_S7_EUlffE_EESt5arrayIPcLm3EE23TrivialOffsetCalculatorILi2EjESD_ILi1EjENS0_6memory12LoadWithCastILi2EEENSG_13StoreWithCastILi1EEEfJfN3c108BFloat16EEEEviT0_T1_T2_T3_T4_T5_,"axG",@progbits,_ZN2at6native39vectorized_templated_elementwise_kernelILi8ENS0_13BinaryFunctorIfffZNS0_12_GLOBAL__N_121threshold_kernel_implIfEEvRNS_18TensorIteratorBaseET_S7_EUlffE_EESt5arrayIPcLm3EE23TrivialOffsetCalculatorILi2EjESD_ILi1EjENS0_6memory12LoadWithCastILi2EEENSG_13StoreWithCastILi1EEEfJfN3c108BFloat16EEEEviT0_T1_T2_T3_T4_T5_,comdat
.Lfunc_end167:
	.size	_ZN2at6native39vectorized_templated_elementwise_kernelILi8ENS0_13BinaryFunctorIfffZNS0_12_GLOBAL__N_121threshold_kernel_implIfEEvRNS_18TensorIteratorBaseET_S7_EUlffE_EESt5arrayIPcLm3EE23TrivialOffsetCalculatorILi2EjESD_ILi1EjENS0_6memory12LoadWithCastILi2EEENSG_13StoreWithCastILi1EEEfJfN3c108BFloat16EEEEviT0_T1_T2_T3_T4_T5_, .Lfunc_end167-_ZN2at6native39vectorized_templated_elementwise_kernelILi8ENS0_13BinaryFunctorIfffZNS0_12_GLOBAL__N_121threshold_kernel_implIfEEvRNS_18TensorIteratorBaseET_S7_EUlffE_EESt5arrayIPcLm3EE23TrivialOffsetCalculatorILi2EjESD_ILi1EjENS0_6memory12LoadWithCastILi2EEENSG_13StoreWithCastILi1EEEfJfN3c108BFloat16EEEEviT0_T1_T2_T3_T4_T5_
                                        ; -- End function
	.set _ZN2at6native39vectorized_templated_elementwise_kernelILi8ENS0_13BinaryFunctorIfffZNS0_12_GLOBAL__N_121threshold_kernel_implIfEEvRNS_18TensorIteratorBaseET_S7_EUlffE_EESt5arrayIPcLm3EE23TrivialOffsetCalculatorILi2EjESD_ILi1EjENS0_6memory12LoadWithCastILi2EEENSG_13StoreWithCastILi1EEEfJfN3c108BFloat16EEEEviT0_T1_T2_T3_T4_T5_.num_vgpr, max(61, .L_ZN2at6native25elementwise_kernel_helperILb1ENS0_13BinaryFunctorIfffZNS0_12_GLOBAL__N_121threshold_kernel_implIfEEvRNS_18TensorIteratorBaseET_S7_EUlffE_EENS0_6memory8policies11unroll_baseILi512ESt5arrayIPcLm3EE23TrivialOffsetCalculatorILi2EjESG_ILi1EjENSA_12LoadWithCastILi2EEENSA_13StoreWithCastILi1EEELi32ELi1EEEEEvT0_T1_.num_vgpr)
	.set _ZN2at6native39vectorized_templated_elementwise_kernelILi8ENS0_13BinaryFunctorIfffZNS0_12_GLOBAL__N_121threshold_kernel_implIfEEvRNS_18TensorIteratorBaseET_S7_EUlffE_EESt5arrayIPcLm3EE23TrivialOffsetCalculatorILi2EjESD_ILi1EjENS0_6memory12LoadWithCastILi2EEENSG_13StoreWithCastILi1EEEfJfN3c108BFloat16EEEEviT0_T1_T2_T3_T4_T5_.num_agpr, max(0, .L_ZN2at6native25elementwise_kernel_helperILb1ENS0_13BinaryFunctorIfffZNS0_12_GLOBAL__N_121threshold_kernel_implIfEEvRNS_18TensorIteratorBaseET_S7_EUlffE_EENS0_6memory8policies11unroll_baseILi512ESt5arrayIPcLm3EE23TrivialOffsetCalculatorILi2EjESG_ILi1EjENSA_12LoadWithCastILi2EEENSA_13StoreWithCastILi1EEELi32ELi1EEEEEvT0_T1_.num_agpr)
	.set _ZN2at6native39vectorized_templated_elementwise_kernelILi8ENS0_13BinaryFunctorIfffZNS0_12_GLOBAL__N_121threshold_kernel_implIfEEvRNS_18TensorIteratorBaseET_S7_EUlffE_EESt5arrayIPcLm3EE23TrivialOffsetCalculatorILi2EjESD_ILi1EjENS0_6memory12LoadWithCastILi2EEENSG_13StoreWithCastILi1EEEfJfN3c108BFloat16EEEEviT0_T1_T2_T3_T4_T5_.numbered_sgpr, max(33, .L_ZN2at6native25elementwise_kernel_helperILb1ENS0_13BinaryFunctorIfffZNS0_12_GLOBAL__N_121threshold_kernel_implIfEEvRNS_18TensorIteratorBaseET_S7_EUlffE_EENS0_6memory8policies11unroll_baseILi512ESt5arrayIPcLm3EE23TrivialOffsetCalculatorILi2EjESG_ILi1EjENSA_12LoadWithCastILi2EEENSA_13StoreWithCastILi1EEELi32ELi1EEEEEvT0_T1_.numbered_sgpr)
	.set _ZN2at6native39vectorized_templated_elementwise_kernelILi8ENS0_13BinaryFunctorIfffZNS0_12_GLOBAL__N_121threshold_kernel_implIfEEvRNS_18TensorIteratorBaseET_S7_EUlffE_EESt5arrayIPcLm3EE23TrivialOffsetCalculatorILi2EjESD_ILi1EjENS0_6memory12LoadWithCastILi2EEENSG_13StoreWithCastILi1EEEfJfN3c108BFloat16EEEEviT0_T1_T2_T3_T4_T5_.num_named_barrier, max(0, .L_ZN2at6native25elementwise_kernel_helperILb1ENS0_13BinaryFunctorIfffZNS0_12_GLOBAL__N_121threshold_kernel_implIfEEvRNS_18TensorIteratorBaseET_S7_EUlffE_EENS0_6memory8policies11unroll_baseILi512ESt5arrayIPcLm3EE23TrivialOffsetCalculatorILi2EjESG_ILi1EjENSA_12LoadWithCastILi2EEENSA_13StoreWithCastILi1EEELi32ELi1EEEEEvT0_T1_.num_named_barrier)
	.set _ZN2at6native39vectorized_templated_elementwise_kernelILi8ENS0_13BinaryFunctorIfffZNS0_12_GLOBAL__N_121threshold_kernel_implIfEEvRNS_18TensorIteratorBaseET_S7_EUlffE_EESt5arrayIPcLm3EE23TrivialOffsetCalculatorILi2EjESD_ILi1EjENS0_6memory12LoadWithCastILi2EEENSG_13StoreWithCastILi1EEEfJfN3c108BFloat16EEEEviT0_T1_T2_T3_T4_T5_.private_seg_size, 0+max(.L_ZN2at6native25elementwise_kernel_helperILb1ENS0_13BinaryFunctorIfffZNS0_12_GLOBAL__N_121threshold_kernel_implIfEEvRNS_18TensorIteratorBaseET_S7_EUlffE_EENS0_6memory8policies11unroll_baseILi512ESt5arrayIPcLm3EE23TrivialOffsetCalculatorILi2EjESG_ILi1EjENSA_12LoadWithCastILi2EEENSA_13StoreWithCastILi1EEELi32ELi1EEEEEvT0_T1_.private_seg_size)
	.set _ZN2at6native39vectorized_templated_elementwise_kernelILi8ENS0_13BinaryFunctorIfffZNS0_12_GLOBAL__N_121threshold_kernel_implIfEEvRNS_18TensorIteratorBaseET_S7_EUlffE_EESt5arrayIPcLm3EE23TrivialOffsetCalculatorILi2EjESD_ILi1EjENS0_6memory12LoadWithCastILi2EEENSG_13StoreWithCastILi1EEEfJfN3c108BFloat16EEEEviT0_T1_T2_T3_T4_T5_.uses_vcc, or(1, .L_ZN2at6native25elementwise_kernel_helperILb1ENS0_13BinaryFunctorIfffZNS0_12_GLOBAL__N_121threshold_kernel_implIfEEvRNS_18TensorIteratorBaseET_S7_EUlffE_EENS0_6memory8policies11unroll_baseILi512ESt5arrayIPcLm3EE23TrivialOffsetCalculatorILi2EjESG_ILi1EjENSA_12LoadWithCastILi2EEENSA_13StoreWithCastILi1EEELi32ELi1EEEEEvT0_T1_.uses_vcc)
	.set _ZN2at6native39vectorized_templated_elementwise_kernelILi8ENS0_13BinaryFunctorIfffZNS0_12_GLOBAL__N_121threshold_kernel_implIfEEvRNS_18TensorIteratorBaseET_S7_EUlffE_EESt5arrayIPcLm3EE23TrivialOffsetCalculatorILi2EjESD_ILi1EjENS0_6memory12LoadWithCastILi2EEENSG_13StoreWithCastILi1EEEfJfN3c108BFloat16EEEEviT0_T1_T2_T3_T4_T5_.uses_flat_scratch, or(0, .L_ZN2at6native25elementwise_kernel_helperILb1ENS0_13BinaryFunctorIfffZNS0_12_GLOBAL__N_121threshold_kernel_implIfEEvRNS_18TensorIteratorBaseET_S7_EUlffE_EENS0_6memory8policies11unroll_baseILi512ESt5arrayIPcLm3EE23TrivialOffsetCalculatorILi2EjESG_ILi1EjENSA_12LoadWithCastILi2EEENSA_13StoreWithCastILi1EEELi32ELi1EEEEEvT0_T1_.uses_flat_scratch)
	.set _ZN2at6native39vectorized_templated_elementwise_kernelILi8ENS0_13BinaryFunctorIfffZNS0_12_GLOBAL__N_121threshold_kernel_implIfEEvRNS_18TensorIteratorBaseET_S7_EUlffE_EESt5arrayIPcLm3EE23TrivialOffsetCalculatorILi2EjESD_ILi1EjENS0_6memory12LoadWithCastILi2EEENSG_13StoreWithCastILi1EEEfJfN3c108BFloat16EEEEviT0_T1_T2_T3_T4_T5_.has_dyn_sized_stack, or(0, .L_ZN2at6native25elementwise_kernel_helperILb1ENS0_13BinaryFunctorIfffZNS0_12_GLOBAL__N_121threshold_kernel_implIfEEvRNS_18TensorIteratorBaseET_S7_EUlffE_EENS0_6memory8policies11unroll_baseILi512ESt5arrayIPcLm3EE23TrivialOffsetCalculatorILi2EjESG_ILi1EjENSA_12LoadWithCastILi2EEENSA_13StoreWithCastILi1EEELi32ELi1EEEEEvT0_T1_.has_dyn_sized_stack)
	.set _ZN2at6native39vectorized_templated_elementwise_kernelILi8ENS0_13BinaryFunctorIfffZNS0_12_GLOBAL__N_121threshold_kernel_implIfEEvRNS_18TensorIteratorBaseET_S7_EUlffE_EESt5arrayIPcLm3EE23TrivialOffsetCalculatorILi2EjESD_ILi1EjENS0_6memory12LoadWithCastILi2EEENSG_13StoreWithCastILi1EEEfJfN3c108BFloat16EEEEviT0_T1_T2_T3_T4_T5_.has_recursion, or(0, .L_ZN2at6native25elementwise_kernel_helperILb1ENS0_13BinaryFunctorIfffZNS0_12_GLOBAL__N_121threshold_kernel_implIfEEvRNS_18TensorIteratorBaseET_S7_EUlffE_EENS0_6memory8policies11unroll_baseILi512ESt5arrayIPcLm3EE23TrivialOffsetCalculatorILi2EjESG_ILi1EjENSA_12LoadWithCastILi2EEENSA_13StoreWithCastILi1EEELi32ELi1EEEEEvT0_T1_.has_recursion)
	.set _ZN2at6native39vectorized_templated_elementwise_kernelILi8ENS0_13BinaryFunctorIfffZNS0_12_GLOBAL__N_121threshold_kernel_implIfEEvRNS_18TensorIteratorBaseET_S7_EUlffE_EESt5arrayIPcLm3EE23TrivialOffsetCalculatorILi2EjESD_ILi1EjENS0_6memory12LoadWithCastILi2EEENSG_13StoreWithCastILi1EEEfJfN3c108BFloat16EEEEviT0_T1_T2_T3_T4_T5_.has_indirect_call, or(0, .L_ZN2at6native25elementwise_kernel_helperILb1ENS0_13BinaryFunctorIfffZNS0_12_GLOBAL__N_121threshold_kernel_implIfEEvRNS_18TensorIteratorBaseET_S7_EUlffE_EENS0_6memory8policies11unroll_baseILi512ESt5arrayIPcLm3EE23TrivialOffsetCalculatorILi2EjESG_ILi1EjENSA_12LoadWithCastILi2EEENSA_13StoreWithCastILi1EEELi32ELi1EEEEEvT0_T1_.has_indirect_call)
	.section	.AMDGPU.csdata,"",@progbits
; Kernel info:
; codeLenInByte = 1140
; TotalNumSgprs: 102
; NumVgprs: 119
; ScratchSize: 272
; MemoryBound: 0
; FloatMode: 240
; IeeeMode: 1
; LDSByteSize: 0 bytes/workgroup (compile time only)
; SGPRBlocks: 12
; VGPRBlocks: 29
; NumSGPRsForWavesPerEU: 102
; NumVGPRsForWavesPerEU: 119
; Occupancy: 2
; WaveLimiterHint : 1
; COMPUTE_PGM_RSRC2:SCRATCH_EN: 1
; COMPUTE_PGM_RSRC2:USER_SGPR: 6
; COMPUTE_PGM_RSRC2:TRAP_HANDLER: 0
; COMPUTE_PGM_RSRC2:TGID_X_EN: 1
; COMPUTE_PGM_RSRC2:TGID_Y_EN: 0
; COMPUTE_PGM_RSRC2:TGID_Z_EN: 0
; COMPUTE_PGM_RSRC2:TIDIG_COMP_CNT: 0
	.section	.text._ZN2at6native39vectorized_templated_elementwise_kernelILi4ENS0_13BinaryFunctorIfffZNS0_12_GLOBAL__N_121threshold_kernel_implIfEEvRNS_18TensorIteratorBaseET_S7_EUlffE_EESt5arrayIPcLm3EE23TrivialOffsetCalculatorILi2EjESD_ILi1EjENS0_6memory12LoadWithCastILi2EEENSG_13StoreWithCastILi1EEEfJfN3c108BFloat16EEEEviT0_T1_T2_T3_T4_T5_,"axG",@progbits,_ZN2at6native39vectorized_templated_elementwise_kernelILi4ENS0_13BinaryFunctorIfffZNS0_12_GLOBAL__N_121threshold_kernel_implIfEEvRNS_18TensorIteratorBaseET_S7_EUlffE_EESt5arrayIPcLm3EE23TrivialOffsetCalculatorILi2EjESD_ILi1EjENS0_6memory12LoadWithCastILi2EEENSG_13StoreWithCastILi1EEEfJfN3c108BFloat16EEEEviT0_T1_T2_T3_T4_T5_,comdat
	.globl	_ZN2at6native39vectorized_templated_elementwise_kernelILi4ENS0_13BinaryFunctorIfffZNS0_12_GLOBAL__N_121threshold_kernel_implIfEEvRNS_18TensorIteratorBaseET_S7_EUlffE_EESt5arrayIPcLm3EE23TrivialOffsetCalculatorILi2EjESD_ILi1EjENS0_6memory12LoadWithCastILi2EEENSG_13StoreWithCastILi1EEEfJfN3c108BFloat16EEEEviT0_T1_T2_T3_T4_T5_ ; -- Begin function _ZN2at6native39vectorized_templated_elementwise_kernelILi4ENS0_13BinaryFunctorIfffZNS0_12_GLOBAL__N_121threshold_kernel_implIfEEvRNS_18TensorIteratorBaseET_S7_EUlffE_EESt5arrayIPcLm3EE23TrivialOffsetCalculatorILi2EjESD_ILi1EjENS0_6memory12LoadWithCastILi2EEENSG_13StoreWithCastILi1EEEfJfN3c108BFloat16EEEEviT0_T1_T2_T3_T4_T5_
	.p2align	8
	.type	_ZN2at6native39vectorized_templated_elementwise_kernelILi4ENS0_13BinaryFunctorIfffZNS0_12_GLOBAL__N_121threshold_kernel_implIfEEvRNS_18TensorIteratorBaseET_S7_EUlffE_EESt5arrayIPcLm3EE23TrivialOffsetCalculatorILi2EjESD_ILi1EjENS0_6memory12LoadWithCastILi2EEENSG_13StoreWithCastILi1EEEfJfN3c108BFloat16EEEEviT0_T1_T2_T3_T4_T5_,@function
_ZN2at6native39vectorized_templated_elementwise_kernelILi4ENS0_13BinaryFunctorIfffZNS0_12_GLOBAL__N_121threshold_kernel_implIfEEvRNS_18TensorIteratorBaseET_S7_EUlffE_EESt5arrayIPcLm3EE23TrivialOffsetCalculatorILi2EjESD_ILi1EjENS0_6memory12LoadWithCastILi2EEENSG_13StoreWithCastILi1EEEfJfN3c108BFloat16EEEEviT0_T1_T2_T3_T4_T5_: ; @_ZN2at6native39vectorized_templated_elementwise_kernelILi4ENS0_13BinaryFunctorIfffZNS0_12_GLOBAL__N_121threshold_kernel_implIfEEvRNS_18TensorIteratorBaseET_S7_EUlffE_EESt5arrayIPcLm3EE23TrivialOffsetCalculatorILi2EjESD_ILi1EjENS0_6memory12LoadWithCastILi2EEENSG_13StoreWithCastILi1EEEfJfN3c108BFloat16EEEEviT0_T1_T2_T3_T4_T5_
; %bb.0:
	s_add_u32 s0, s0, s7
	s_load_dword s7, s[4:5], 0x40
	s_load_dwordx8 s[12:19], s[4:5], 0x0
	s_load_dwordx2 s[20:21], s[4:5], 0x20
	s_addc_u32 s1, s1, 0
	s_not_b32 s8, s6
	s_waitcnt lgkmcnt(0)
	s_add_i32 s7, s7, s8
	s_lshl_b32 s8, s7, 14
	s_sub_i32 s7, s12, s8
	s_cmpk_gt_i32 s7, 0x3fff
	s_mov_b64 s[10:11], -1
	s_mov_b32 s32, 0
	s_cbranch_scc1 .LBB168_3
; %bb.1:
	s_andn2_b64 vcc, exec, s[10:11]
	s_cbranch_vccz .LBB168_4
.LBB168_2:
	s_endpgm
.LBB168_3:
	s_ashr_i32 s9, s8, 31
	s_lshl_b64 s[22:23], s[8:9], 2
	s_add_u32 s10, s18, s22
	s_addc_u32 s11, s19, s23
	v_lshlrev_b32_e32 v1, 4, v0
	s_lshl_b64 s[8:9], s[8:9], 1
	v_mov_b32_e32 v2, s11
	v_add_co_u32_e32 v3, vcc, s10, v1
	s_add_u32 s24, s20, s8
	v_addc_co_u32_e32 v2, vcc, 0, v2, vcc
	s_addc_u32 s25, s21, s9
	v_lshlrev_b32_e32 v4, 3, v0
	v_mov_b32_e32 v5, s25
	v_add_co_u32_e32 v23, vcc, s24, v4
	s_movk_i32 s12, 0x2000
	v_addc_co_u32_e32 v24, vcc, 0, v5, vcc
	v_add_co_u32_e32 v5, vcc, 0x2000, v3
	v_add_co_u32_e64 v9, s[8:9], s12, v23
	v_addc_co_u32_e64 v10, s[8:9], 0, v24, s[8:9]
	v_addc_co_u32_e32 v6, vcc, 0, v2, vcc
	global_load_dwordx2 v[25:26], v[9:10], off offset:-4096
	global_load_dwordx2 v[37:38], v[9:10], off
	v_add_co_u32_e32 v11, vcc, 0x4000, v3
	global_load_dwordx4 v[5:8], v[5:6], off
	v_addc_co_u32_e32 v12, vcc, 0, v2, vcc
	global_load_dwordx4 v[9:12], v[11:12], off
	s_movk_i32 s26, 0x4000
	v_add_co_u32_e32 v17, vcc, 0x6000, v3
	global_load_dwordx4 v[13:16], v1, s[10:11]
	s_mov_b64 s[8:9], vcc
	v_add_co_u32_e64 v29, s[10:11], s26, v23
	v_addc_co_u32_e64 v30, s[10:11], 0, v24, s[10:11]
	v_addc_co_u32_e64 v18, s[8:9], 0, v2, s[8:9]
	s_movk_i32 s27, 0x7000
	global_load_dwordx2 v[39:40], v[29:30], off offset:-4096
	v_add_co_u32_e64 v21, s[8:9], s27, v23
	global_load_dwordx4 v[17:20], v[17:18], off
	s_movk_i32 s15, 0x6000
	v_addc_co_u32_e64 v22, s[8:9], 0, v24, s[8:9]
	v_add_co_u32_e64 v31, s[8:9], s15, v23
	v_add_co_u32_e32 v27, vcc, 0x8000, v3
	v_addc_co_u32_e64 v32, s[8:9], 0, v24, s[8:9]
	s_mov_b64 s[8:9], vcc
	global_load_dwordx2 v[43:44], v[21:22], off
	v_addc_co_u32_e64 v28, s[8:9], 0, v2, s[8:9]
	global_load_dwordx2 v[45:46], v[29:30], off
	global_load_dwordx2 v[47:48], v[31:32], off offset:-4096
	global_load_dwordx4 v[21:24], v[27:28], off
	v_add_co_u32_e32 v41, vcc, 0xa000, v3
	s_mov_b64 s[8:9], vcc
	v_add_co_u32_e32 v49, vcc, 0xc000, v3
	v_addc_co_u32_e64 v42, s[8:9], 0, v2, s[8:9]
	s_mov_b64 s[8:9], vcc
	v_add_co_u32_e32 v51, vcc, 0xe000, v3
	global_load_dwordx2 v[53:54], v[31:32], off
	global_load_dwordx2 v[55:56], v4, s[24:25]
	v_addc_co_u32_e32 v52, vcc, 0, v2, vcc
	v_mov_b32_e32 v57, s14
	v_addc_co_u32_e64 v50, s[8:9], 0, v2, s[8:9]
	s_add_u32 s8, s16, s22
	s_addc_u32 s9, s17, s23
	s_mov_b32 s10, 0x8000
	s_waitcnt vmcnt(12)
	v_lshlrev_b32_e32 v2, 16, v25
	v_and_b32_e32 v3, 0xffff0000, v25
	v_lshlrev_b32_e32 v25, 16, v26
	v_and_b32_e32 v26, 0xffff0000, v26
	s_waitcnt vmcnt(10)
	v_cmp_nge_f32_e32 vcc, s13, v5
	v_cndmask_b32_e32 v5, v57, v2, vcc
	v_cmp_nge_f32_e32 vcc, s13, v6
	v_cndmask_b32_e32 v6, v57, v3, vcc
	;; [unrolled: 2-line block ×4, first 2 shown]
	global_load_dwordx4 v[25:28], v[41:42], off
	global_load_dwordx4 v[29:32], v[49:50], off
	;; [unrolled: 1-line block ×3, first 2 shown]
	v_mov_b32_e32 v2, s9
	v_add_co_u32_e32 v58, vcc, s8, v1
	v_addc_co_u32_e32 v59, vcc, 0, v2, vcc
	v_add_co_u32_e32 v2, vcc, s12, v58
	v_addc_co_u32_e32 v3, vcc, 0, v59, vcc
	global_store_dwordx4 v[2:3], v[5:8], off
	v_lshlrev_b32_e32 v2, 16, v37
	s_waitcnt vmcnt(13)
	v_cmp_nge_f32_e32 vcc, s13, v9
	v_and_b32_e32 v3, 0xffff0000, v37
	v_cndmask_b32_e32 v2, v57, v2, vcc
	v_cmp_nge_f32_e32 vcc, s13, v10
	v_lshlrev_b32_e32 v4, 16, v38
	v_cndmask_b32_e32 v3, v57, v3, vcc
	v_cmp_nge_f32_e32 vcc, s13, v11
	v_and_b32_e32 v5, 0xffff0000, v38
	v_cndmask_b32_e32 v4, v57, v4, vcc
	v_cmp_nge_f32_e32 vcc, s13, v12
	v_cndmask_b32_e32 v5, v57, v5, vcc
	v_add_co_u32_e32 v6, vcc, s26, v58
	v_addc_co_u32_e32 v7, vcc, 0, v59, vcc
	global_store_dwordx4 v[6:7], v[2:5], off
	s_waitcnt vmcnt(11)
	v_cmp_nge_f32_e32 vcc, s13, v17
	v_lshlrev_b32_e32 v2, 16, v39
	v_and_b32_e32 v3, 0xffff0000, v39
	v_cndmask_b32_e32 v2, v57, v2, vcc
	v_cmp_nge_f32_e32 vcc, s13, v18
	v_lshlrev_b32_e32 v4, 16, v40
	v_cndmask_b32_e32 v3, v57, v3, vcc
	v_cmp_nge_f32_e32 vcc, s13, v19
	v_and_b32_e32 v5, 0xffff0000, v40
	v_cndmask_b32_e32 v4, v57, v4, vcc
	v_cmp_nge_f32_e32 vcc, s13, v20
	v_cndmask_b32_e32 v5, v57, v5, vcc
	v_add_co_u32_e32 v6, vcc, s15, v58
	v_addc_co_u32_e32 v7, vcc, 0, v59, vcc
	global_store_dwordx4 v[6:7], v[2:5], off
	s_waitcnt vmcnt(8)
	v_cmp_nge_f32_e32 vcc, s13, v21
	v_lshlrev_b32_e32 v2, 16, v45
	v_and_b32_e32 v3, 0xffff0000, v45
	v_cndmask_b32_e32 v2, v57, v2, vcc
	v_cmp_nge_f32_e32 vcc, s13, v22
	v_lshlrev_b32_e32 v4, 16, v46
	v_cndmask_b32_e32 v3, v57, v3, vcc
	v_cmp_nge_f32_e32 vcc, s13, v23
	v_and_b32_e32 v5, 0xffff0000, v46
	v_cndmask_b32_e32 v4, v57, v4, vcc
	v_cmp_nge_f32_e32 vcc, s13, v24
	v_cndmask_b32_e32 v5, v57, v5, vcc
	v_add_co_u32_e32 v6, vcc, s10, v58
	v_addc_co_u32_e32 v7, vcc, 0, v59, vcc
	global_store_dwordx4 v[6:7], v[2:5], off
	v_cmp_nge_f32_e32 vcc, s13, v13
	s_waitcnt vmcnt(7)
	v_lshlrev_b32_e32 v2, 16, v55
	v_and_b32_e32 v3, 0xffff0000, v55
	v_cndmask_b32_e32 v2, v57, v2, vcc
	v_cmp_nge_f32_e32 vcc, s13, v14
	v_lshlrev_b32_e32 v4, 16, v56
	v_cndmask_b32_e32 v3, v57, v3, vcc
	v_cmp_nge_f32_e32 vcc, s13, v15
	v_and_b32_e32 v5, 0xffff0000, v56
	v_cndmask_b32_e32 v4, v57, v4, vcc
	v_cmp_nge_f32_e32 vcc, s13, v16
	v_lshlrev_b32_e32 v6, 16, v47
	v_cndmask_b32_e32 v5, v57, v5, vcc
	v_and_b32_e32 v7, 0xffff0000, v47
	v_lshlrev_b32_e32 v8, 16, v48
	v_and_b32_e32 v9, 0xffff0000, v48
	s_waitcnt vmcnt(6)
	v_cmp_nge_f32_e32 vcc, s13, v25
	v_cndmask_b32_e32 v6, v57, v6, vcc
	v_cmp_nge_f32_e32 vcc, s13, v26
	v_cndmask_b32_e32 v7, v57, v7, vcc
	;; [unrolled: 2-line block ×3, first 2 shown]
	v_cmp_nge_f32_e32 vcc, s13, v28
	v_lshlrev_b32_e32 v10, 16, v53
	v_cndmask_b32_e32 v9, v57, v9, vcc
	s_waitcnt vmcnt(5)
	v_cmp_nge_f32_e32 vcc, s13, v29
	v_and_b32_e32 v11, 0xffff0000, v53
	v_cndmask_b32_e32 v10, v57, v10, vcc
	v_cmp_nge_f32_e32 vcc, s13, v30
	v_lshlrev_b32_e32 v12, 16, v54
	v_cndmask_b32_e32 v11, v57, v11, vcc
	v_cmp_nge_f32_e32 vcc, s13, v31
	v_and_b32_e32 v17, 0xffff0000, v54
	v_cndmask_b32_e32 v12, v57, v12, vcc
	v_cmp_nge_f32_e32 vcc, s13, v32
	v_lshlrev_b32_e32 v18, 16, v43
	v_cndmask_b32_e32 v13, v57, v17, vcc
	s_waitcnt vmcnt(4)
	v_cmp_nge_f32_e32 vcc, s13, v33
	v_and_b32_e32 v19, 0xffff0000, v43
	v_cndmask_b32_e32 v14, v57, v18, vcc
	v_cmp_nge_f32_e32 vcc, s13, v34
	v_lshlrev_b32_e32 v20, 16, v44
	v_cndmask_b32_e32 v15, v57, v19, vcc
	v_cmp_nge_f32_e32 vcc, s13, v35
	v_and_b32_e32 v21, 0xffff0000, v44
	v_cndmask_b32_e32 v16, v57, v20, vcc
	v_cmp_nge_f32_e32 vcc, s13, v36
	s_mov_b32 s10, 0xa000
	v_cndmask_b32_e32 v17, v57, v21, vcc
	global_store_dwordx4 v1, v[2:5], s[8:9]
	v_add_co_u32_e32 v1, vcc, s10, v58
	v_addc_co_u32_e32 v2, vcc, 0, v59, vcc
	global_store_dwordx4 v[1:2], v[6:9], off
	v_add_co_u32_e32 v1, vcc, 0xc000, v58
	v_addc_co_u32_e32 v2, vcc, 0, v59, vcc
	global_store_dwordx4 v[1:2], v[10:13], off
	;; [unrolled: 3-line block ×3, first 2 shown]
	s_cbranch_execnz .LBB168_2
.LBB168_4:
	s_load_dword s10, s[4:5], 0x2c
	s_load_dwordx4 s[24:27], s[4:5], 0x30
	s_mov_b32 s12, s6
	v_mov_b32_e32 v31, v0
	v_mov_b32_e32 v0, s13
	s_waitcnt lgkmcnt(0)
	s_bfe_u32 s11, s10, 0x80008
	s_add_u32 s8, s4, 64
	s_addc_u32 s9, s5, 0
	s_getpc_b64 s[4:5]
	s_add_u32 s4, s4, _ZN2at6native25elementwise_kernel_helperILb1ENS0_13BinaryFunctorIfffZNS0_12_GLOBAL__N_121threshold_kernel_implIfEEvRNS_18TensorIteratorBaseET_S7_EUlffE_EENS0_6memory8policies11unroll_baseILi512ESt5arrayIPcLm3EE23TrivialOffsetCalculatorILi2EjESG_ILi1EjENSA_12LoadWithCastILi2EEENSA_13StoreWithCastILi1EEELi32ELi1EEEEEvT0_T1_@rel32@lo+4
	s_addc_u32 s5, s5, _ZN2at6native25elementwise_kernel_helperILb1ENS0_13BinaryFunctorIfffZNS0_12_GLOBAL__N_121threshold_kernel_implIfEEvRNS_18TensorIteratorBaseET_S7_EUlffE_EENS0_6memory8policies11unroll_baseILi512ESt5arrayIPcLm3EE23TrivialOffsetCalculatorILi2EjESG_ILi1EjENSA_12LoadWithCastILi2EEENSA_13StoreWithCastILi1EEELi32ELi1EEEEEvT0_T1_@rel32@hi+12
	v_mov_b32_e32 v1, s14
	v_mov_b32_e32 v2, s16
	v_mov_b32_e32 v3, s17
	v_mov_b32_e32 v4, s18
	v_mov_b32_e32 v5, s19
	v_mov_b32_e32 v6, s20
	v_mov_b32_e32 v7, s21
	v_mov_b32_e32 v8, s7
	v_mov_b32_e32 v9, s10
	v_mov_b32_e32 v10, s11
	v_mov_b32_e32 v11, s24
	v_mov_b32_e32 v12, s25
	v_mov_b32_e32 v13, s26
	v_mov_b32_e32 v14, s27
	s_swappc_b64 s[30:31], s[4:5]
	s_endpgm
	.section	.rodata,"a",@progbits
	.p2align	6, 0x0
	.amdhsa_kernel _ZN2at6native39vectorized_templated_elementwise_kernelILi4ENS0_13BinaryFunctorIfffZNS0_12_GLOBAL__N_121threshold_kernel_implIfEEvRNS_18TensorIteratorBaseET_S7_EUlffE_EESt5arrayIPcLm3EE23TrivialOffsetCalculatorILi2EjESD_ILi1EjENS0_6memory12LoadWithCastILi2EEENSG_13StoreWithCastILi1EEEfJfN3c108BFloat16EEEEviT0_T1_T2_T3_T4_T5_
		.amdhsa_group_segment_fixed_size 0
		.amdhsa_private_segment_fixed_size 272
		.amdhsa_kernarg_size 320
		.amdhsa_user_sgpr_count 6
		.amdhsa_user_sgpr_private_segment_buffer 1
		.amdhsa_user_sgpr_dispatch_ptr 0
		.amdhsa_user_sgpr_queue_ptr 0
		.amdhsa_user_sgpr_kernarg_segment_ptr 1
		.amdhsa_user_sgpr_dispatch_id 0
		.amdhsa_user_sgpr_flat_scratch_init 0
		.amdhsa_user_sgpr_private_segment_size 0
		.amdhsa_uses_dynamic_stack 0
		.amdhsa_system_sgpr_private_segment_wavefront_offset 1
		.amdhsa_system_sgpr_workgroup_id_x 1
		.amdhsa_system_sgpr_workgroup_id_y 0
		.amdhsa_system_sgpr_workgroup_id_z 0
		.amdhsa_system_sgpr_workgroup_info 0
		.amdhsa_system_vgpr_workitem_id 0
		.amdhsa_next_free_vgpr 119
		.amdhsa_next_free_sgpr 98
		.amdhsa_reserve_vcc 1
		.amdhsa_reserve_flat_scratch 0
		.amdhsa_float_round_mode_32 0
		.amdhsa_float_round_mode_16_64 0
		.amdhsa_float_denorm_mode_32 3
		.amdhsa_float_denorm_mode_16_64 3
		.amdhsa_dx10_clamp 1
		.amdhsa_ieee_mode 1
		.amdhsa_fp16_overflow 0
		.amdhsa_exception_fp_ieee_invalid_op 0
		.amdhsa_exception_fp_denorm_src 0
		.amdhsa_exception_fp_ieee_div_zero 0
		.amdhsa_exception_fp_ieee_overflow 0
		.amdhsa_exception_fp_ieee_underflow 0
		.amdhsa_exception_fp_ieee_inexact 0
		.amdhsa_exception_int_div_zero 0
	.end_amdhsa_kernel
	.section	.text._ZN2at6native39vectorized_templated_elementwise_kernelILi4ENS0_13BinaryFunctorIfffZNS0_12_GLOBAL__N_121threshold_kernel_implIfEEvRNS_18TensorIteratorBaseET_S7_EUlffE_EESt5arrayIPcLm3EE23TrivialOffsetCalculatorILi2EjESD_ILi1EjENS0_6memory12LoadWithCastILi2EEENSG_13StoreWithCastILi1EEEfJfN3c108BFloat16EEEEviT0_T1_T2_T3_T4_T5_,"axG",@progbits,_ZN2at6native39vectorized_templated_elementwise_kernelILi4ENS0_13BinaryFunctorIfffZNS0_12_GLOBAL__N_121threshold_kernel_implIfEEvRNS_18TensorIteratorBaseET_S7_EUlffE_EESt5arrayIPcLm3EE23TrivialOffsetCalculatorILi2EjESD_ILi1EjENS0_6memory12LoadWithCastILi2EEENSG_13StoreWithCastILi1EEEfJfN3c108BFloat16EEEEviT0_T1_T2_T3_T4_T5_,comdat
.Lfunc_end168:
	.size	_ZN2at6native39vectorized_templated_elementwise_kernelILi4ENS0_13BinaryFunctorIfffZNS0_12_GLOBAL__N_121threshold_kernel_implIfEEvRNS_18TensorIteratorBaseET_S7_EUlffE_EESt5arrayIPcLm3EE23TrivialOffsetCalculatorILi2EjESD_ILi1EjENS0_6memory12LoadWithCastILi2EEENSG_13StoreWithCastILi1EEEfJfN3c108BFloat16EEEEviT0_T1_T2_T3_T4_T5_, .Lfunc_end168-_ZN2at6native39vectorized_templated_elementwise_kernelILi4ENS0_13BinaryFunctorIfffZNS0_12_GLOBAL__N_121threshold_kernel_implIfEEvRNS_18TensorIteratorBaseET_S7_EUlffE_EESt5arrayIPcLm3EE23TrivialOffsetCalculatorILi2EjESD_ILi1EjENS0_6memory12LoadWithCastILi2EEENSG_13StoreWithCastILi1EEEfJfN3c108BFloat16EEEEviT0_T1_T2_T3_T4_T5_
                                        ; -- End function
	.set _ZN2at6native39vectorized_templated_elementwise_kernelILi4ENS0_13BinaryFunctorIfffZNS0_12_GLOBAL__N_121threshold_kernel_implIfEEvRNS_18TensorIteratorBaseET_S7_EUlffE_EESt5arrayIPcLm3EE23TrivialOffsetCalculatorILi2EjESD_ILi1EjENS0_6memory12LoadWithCastILi2EEENSG_13StoreWithCastILi1EEEfJfN3c108BFloat16EEEEviT0_T1_T2_T3_T4_T5_.num_vgpr, max(60, .L_ZN2at6native25elementwise_kernel_helperILb1ENS0_13BinaryFunctorIfffZNS0_12_GLOBAL__N_121threshold_kernel_implIfEEvRNS_18TensorIteratorBaseET_S7_EUlffE_EENS0_6memory8policies11unroll_baseILi512ESt5arrayIPcLm3EE23TrivialOffsetCalculatorILi2EjESG_ILi1EjENSA_12LoadWithCastILi2EEENSA_13StoreWithCastILi1EEELi32ELi1EEEEEvT0_T1_.num_vgpr)
	.set _ZN2at6native39vectorized_templated_elementwise_kernelILi4ENS0_13BinaryFunctorIfffZNS0_12_GLOBAL__N_121threshold_kernel_implIfEEvRNS_18TensorIteratorBaseET_S7_EUlffE_EESt5arrayIPcLm3EE23TrivialOffsetCalculatorILi2EjESD_ILi1EjENS0_6memory12LoadWithCastILi2EEENSG_13StoreWithCastILi1EEEfJfN3c108BFloat16EEEEviT0_T1_T2_T3_T4_T5_.num_agpr, max(0, .L_ZN2at6native25elementwise_kernel_helperILb1ENS0_13BinaryFunctorIfffZNS0_12_GLOBAL__N_121threshold_kernel_implIfEEvRNS_18TensorIteratorBaseET_S7_EUlffE_EENS0_6memory8policies11unroll_baseILi512ESt5arrayIPcLm3EE23TrivialOffsetCalculatorILi2EjESG_ILi1EjENSA_12LoadWithCastILi2EEENSA_13StoreWithCastILi1EEELi32ELi1EEEEEvT0_T1_.num_agpr)
	.set _ZN2at6native39vectorized_templated_elementwise_kernelILi4ENS0_13BinaryFunctorIfffZNS0_12_GLOBAL__N_121threshold_kernel_implIfEEvRNS_18TensorIteratorBaseET_S7_EUlffE_EESt5arrayIPcLm3EE23TrivialOffsetCalculatorILi2EjESD_ILi1EjENS0_6memory12LoadWithCastILi2EEENSG_13StoreWithCastILi1EEEfJfN3c108BFloat16EEEEviT0_T1_T2_T3_T4_T5_.numbered_sgpr, max(33, .L_ZN2at6native25elementwise_kernel_helperILb1ENS0_13BinaryFunctorIfffZNS0_12_GLOBAL__N_121threshold_kernel_implIfEEvRNS_18TensorIteratorBaseET_S7_EUlffE_EENS0_6memory8policies11unroll_baseILi512ESt5arrayIPcLm3EE23TrivialOffsetCalculatorILi2EjESG_ILi1EjENSA_12LoadWithCastILi2EEENSA_13StoreWithCastILi1EEELi32ELi1EEEEEvT0_T1_.numbered_sgpr)
	.set _ZN2at6native39vectorized_templated_elementwise_kernelILi4ENS0_13BinaryFunctorIfffZNS0_12_GLOBAL__N_121threshold_kernel_implIfEEvRNS_18TensorIteratorBaseET_S7_EUlffE_EESt5arrayIPcLm3EE23TrivialOffsetCalculatorILi2EjESD_ILi1EjENS0_6memory12LoadWithCastILi2EEENSG_13StoreWithCastILi1EEEfJfN3c108BFloat16EEEEviT0_T1_T2_T3_T4_T5_.num_named_barrier, max(0, .L_ZN2at6native25elementwise_kernel_helperILb1ENS0_13BinaryFunctorIfffZNS0_12_GLOBAL__N_121threshold_kernel_implIfEEvRNS_18TensorIteratorBaseET_S7_EUlffE_EENS0_6memory8policies11unroll_baseILi512ESt5arrayIPcLm3EE23TrivialOffsetCalculatorILi2EjESG_ILi1EjENSA_12LoadWithCastILi2EEENSA_13StoreWithCastILi1EEELi32ELi1EEEEEvT0_T1_.num_named_barrier)
	.set _ZN2at6native39vectorized_templated_elementwise_kernelILi4ENS0_13BinaryFunctorIfffZNS0_12_GLOBAL__N_121threshold_kernel_implIfEEvRNS_18TensorIteratorBaseET_S7_EUlffE_EESt5arrayIPcLm3EE23TrivialOffsetCalculatorILi2EjESD_ILi1EjENS0_6memory12LoadWithCastILi2EEENSG_13StoreWithCastILi1EEEfJfN3c108BFloat16EEEEviT0_T1_T2_T3_T4_T5_.private_seg_size, 0+max(.L_ZN2at6native25elementwise_kernel_helperILb1ENS0_13BinaryFunctorIfffZNS0_12_GLOBAL__N_121threshold_kernel_implIfEEvRNS_18TensorIteratorBaseET_S7_EUlffE_EENS0_6memory8policies11unroll_baseILi512ESt5arrayIPcLm3EE23TrivialOffsetCalculatorILi2EjESG_ILi1EjENSA_12LoadWithCastILi2EEENSA_13StoreWithCastILi1EEELi32ELi1EEEEEvT0_T1_.private_seg_size)
	.set _ZN2at6native39vectorized_templated_elementwise_kernelILi4ENS0_13BinaryFunctorIfffZNS0_12_GLOBAL__N_121threshold_kernel_implIfEEvRNS_18TensorIteratorBaseET_S7_EUlffE_EESt5arrayIPcLm3EE23TrivialOffsetCalculatorILi2EjESD_ILi1EjENS0_6memory12LoadWithCastILi2EEENSG_13StoreWithCastILi1EEEfJfN3c108BFloat16EEEEviT0_T1_T2_T3_T4_T5_.uses_vcc, or(1, .L_ZN2at6native25elementwise_kernel_helperILb1ENS0_13BinaryFunctorIfffZNS0_12_GLOBAL__N_121threshold_kernel_implIfEEvRNS_18TensorIteratorBaseET_S7_EUlffE_EENS0_6memory8policies11unroll_baseILi512ESt5arrayIPcLm3EE23TrivialOffsetCalculatorILi2EjESG_ILi1EjENSA_12LoadWithCastILi2EEENSA_13StoreWithCastILi1EEELi32ELi1EEEEEvT0_T1_.uses_vcc)
	.set _ZN2at6native39vectorized_templated_elementwise_kernelILi4ENS0_13BinaryFunctorIfffZNS0_12_GLOBAL__N_121threshold_kernel_implIfEEvRNS_18TensorIteratorBaseET_S7_EUlffE_EESt5arrayIPcLm3EE23TrivialOffsetCalculatorILi2EjESD_ILi1EjENS0_6memory12LoadWithCastILi2EEENSG_13StoreWithCastILi1EEEfJfN3c108BFloat16EEEEviT0_T1_T2_T3_T4_T5_.uses_flat_scratch, or(0, .L_ZN2at6native25elementwise_kernel_helperILb1ENS0_13BinaryFunctorIfffZNS0_12_GLOBAL__N_121threshold_kernel_implIfEEvRNS_18TensorIteratorBaseET_S7_EUlffE_EENS0_6memory8policies11unroll_baseILi512ESt5arrayIPcLm3EE23TrivialOffsetCalculatorILi2EjESG_ILi1EjENSA_12LoadWithCastILi2EEENSA_13StoreWithCastILi1EEELi32ELi1EEEEEvT0_T1_.uses_flat_scratch)
	.set _ZN2at6native39vectorized_templated_elementwise_kernelILi4ENS0_13BinaryFunctorIfffZNS0_12_GLOBAL__N_121threshold_kernel_implIfEEvRNS_18TensorIteratorBaseET_S7_EUlffE_EESt5arrayIPcLm3EE23TrivialOffsetCalculatorILi2EjESD_ILi1EjENS0_6memory12LoadWithCastILi2EEENSG_13StoreWithCastILi1EEEfJfN3c108BFloat16EEEEviT0_T1_T2_T3_T4_T5_.has_dyn_sized_stack, or(0, .L_ZN2at6native25elementwise_kernel_helperILb1ENS0_13BinaryFunctorIfffZNS0_12_GLOBAL__N_121threshold_kernel_implIfEEvRNS_18TensorIteratorBaseET_S7_EUlffE_EENS0_6memory8policies11unroll_baseILi512ESt5arrayIPcLm3EE23TrivialOffsetCalculatorILi2EjESG_ILi1EjENSA_12LoadWithCastILi2EEENSA_13StoreWithCastILi1EEELi32ELi1EEEEEvT0_T1_.has_dyn_sized_stack)
	.set _ZN2at6native39vectorized_templated_elementwise_kernelILi4ENS0_13BinaryFunctorIfffZNS0_12_GLOBAL__N_121threshold_kernel_implIfEEvRNS_18TensorIteratorBaseET_S7_EUlffE_EESt5arrayIPcLm3EE23TrivialOffsetCalculatorILi2EjESD_ILi1EjENS0_6memory12LoadWithCastILi2EEENSG_13StoreWithCastILi1EEEfJfN3c108BFloat16EEEEviT0_T1_T2_T3_T4_T5_.has_recursion, or(0, .L_ZN2at6native25elementwise_kernel_helperILb1ENS0_13BinaryFunctorIfffZNS0_12_GLOBAL__N_121threshold_kernel_implIfEEvRNS_18TensorIteratorBaseET_S7_EUlffE_EENS0_6memory8policies11unroll_baseILi512ESt5arrayIPcLm3EE23TrivialOffsetCalculatorILi2EjESG_ILi1EjENSA_12LoadWithCastILi2EEENSA_13StoreWithCastILi1EEELi32ELi1EEEEEvT0_T1_.has_recursion)
	.set _ZN2at6native39vectorized_templated_elementwise_kernelILi4ENS0_13BinaryFunctorIfffZNS0_12_GLOBAL__N_121threshold_kernel_implIfEEvRNS_18TensorIteratorBaseET_S7_EUlffE_EESt5arrayIPcLm3EE23TrivialOffsetCalculatorILi2EjESD_ILi1EjENS0_6memory12LoadWithCastILi2EEENSG_13StoreWithCastILi1EEEfJfN3c108BFloat16EEEEviT0_T1_T2_T3_T4_T5_.has_indirect_call, or(0, .L_ZN2at6native25elementwise_kernel_helperILb1ENS0_13BinaryFunctorIfffZNS0_12_GLOBAL__N_121threshold_kernel_implIfEEvRNS_18TensorIteratorBaseET_S7_EUlffE_EENS0_6memory8policies11unroll_baseILi512ESt5arrayIPcLm3EE23TrivialOffsetCalculatorILi2EjESG_ILi1EjENSA_12LoadWithCastILi2EEENSA_13StoreWithCastILi1EEELi32ELi1EEEEEvT0_T1_.has_indirect_call)
	.section	.AMDGPU.csdata,"",@progbits
; Kernel info:
; codeLenInByte = 1252
; TotalNumSgprs: 102
; NumVgprs: 119
; ScratchSize: 272
; MemoryBound: 0
; FloatMode: 240
; IeeeMode: 1
; LDSByteSize: 0 bytes/workgroup (compile time only)
; SGPRBlocks: 12
; VGPRBlocks: 29
; NumSGPRsForWavesPerEU: 102
; NumVGPRsForWavesPerEU: 119
; Occupancy: 2
; WaveLimiterHint : 1
; COMPUTE_PGM_RSRC2:SCRATCH_EN: 1
; COMPUTE_PGM_RSRC2:USER_SGPR: 6
; COMPUTE_PGM_RSRC2:TRAP_HANDLER: 0
; COMPUTE_PGM_RSRC2:TGID_X_EN: 1
; COMPUTE_PGM_RSRC2:TGID_Y_EN: 0
; COMPUTE_PGM_RSRC2:TGID_Z_EN: 0
; COMPUTE_PGM_RSRC2:TIDIG_COMP_CNT: 0
	.section	.text._ZN2at6native39vectorized_templated_elementwise_kernelILi2ENS0_13BinaryFunctorIfffZNS0_12_GLOBAL__N_121threshold_kernel_implIfEEvRNS_18TensorIteratorBaseET_S7_EUlffE_EESt5arrayIPcLm3EE23TrivialOffsetCalculatorILi2EjESD_ILi1EjENS0_6memory12LoadWithCastILi2EEENSG_13StoreWithCastILi1EEEfJfN3c108BFloat16EEEEviT0_T1_T2_T3_T4_T5_,"axG",@progbits,_ZN2at6native39vectorized_templated_elementwise_kernelILi2ENS0_13BinaryFunctorIfffZNS0_12_GLOBAL__N_121threshold_kernel_implIfEEvRNS_18TensorIteratorBaseET_S7_EUlffE_EESt5arrayIPcLm3EE23TrivialOffsetCalculatorILi2EjESD_ILi1EjENS0_6memory12LoadWithCastILi2EEENSG_13StoreWithCastILi1EEEfJfN3c108BFloat16EEEEviT0_T1_T2_T3_T4_T5_,comdat
	.globl	_ZN2at6native39vectorized_templated_elementwise_kernelILi2ENS0_13BinaryFunctorIfffZNS0_12_GLOBAL__N_121threshold_kernel_implIfEEvRNS_18TensorIteratorBaseET_S7_EUlffE_EESt5arrayIPcLm3EE23TrivialOffsetCalculatorILi2EjESD_ILi1EjENS0_6memory12LoadWithCastILi2EEENSG_13StoreWithCastILi1EEEfJfN3c108BFloat16EEEEviT0_T1_T2_T3_T4_T5_ ; -- Begin function _ZN2at6native39vectorized_templated_elementwise_kernelILi2ENS0_13BinaryFunctorIfffZNS0_12_GLOBAL__N_121threshold_kernel_implIfEEvRNS_18TensorIteratorBaseET_S7_EUlffE_EESt5arrayIPcLm3EE23TrivialOffsetCalculatorILi2EjESD_ILi1EjENS0_6memory12LoadWithCastILi2EEENSG_13StoreWithCastILi1EEEfJfN3c108BFloat16EEEEviT0_T1_T2_T3_T4_T5_
	.p2align	8
	.type	_ZN2at6native39vectorized_templated_elementwise_kernelILi2ENS0_13BinaryFunctorIfffZNS0_12_GLOBAL__N_121threshold_kernel_implIfEEvRNS_18TensorIteratorBaseET_S7_EUlffE_EESt5arrayIPcLm3EE23TrivialOffsetCalculatorILi2EjESD_ILi1EjENS0_6memory12LoadWithCastILi2EEENSG_13StoreWithCastILi1EEEfJfN3c108BFloat16EEEEviT0_T1_T2_T3_T4_T5_,@function
_ZN2at6native39vectorized_templated_elementwise_kernelILi2ENS0_13BinaryFunctorIfffZNS0_12_GLOBAL__N_121threshold_kernel_implIfEEvRNS_18TensorIteratorBaseET_S7_EUlffE_EESt5arrayIPcLm3EE23TrivialOffsetCalculatorILi2EjESD_ILi1EjENS0_6memory12LoadWithCastILi2EEENSG_13StoreWithCastILi1EEEfJfN3c108BFloat16EEEEviT0_T1_T2_T3_T4_T5_: ; @_ZN2at6native39vectorized_templated_elementwise_kernelILi2ENS0_13BinaryFunctorIfffZNS0_12_GLOBAL__N_121threshold_kernel_implIfEEvRNS_18TensorIteratorBaseET_S7_EUlffE_EESt5arrayIPcLm3EE23TrivialOffsetCalculatorILi2EjESD_ILi1EjENS0_6memory12LoadWithCastILi2EEENSG_13StoreWithCastILi1EEEfJfN3c108BFloat16EEEEviT0_T1_T2_T3_T4_T5_
; %bb.0:
	s_add_u32 s0, s0, s7
	s_load_dword s7, s[4:5], 0x40
	s_load_dwordx8 s[12:19], s[4:5], 0x0
	s_load_dwordx2 s[10:11], s[4:5], 0x20
	s_addc_u32 s1, s1, 0
	s_not_b32 s8, s6
	s_waitcnt lgkmcnt(0)
	s_add_i32 s7, s7, s8
	s_lshl_b32 s8, s7, 14
	s_sub_i32 s7, s12, s8
	s_cmpk_gt_i32 s7, 0x3fff
	s_mov_b64 s[20:21], -1
	s_mov_b32 s32, 0
	s_cbranch_scc1 .LBB169_3
; %bb.1:
	s_andn2_b64 vcc, exec, s[20:21]
	s_cbranch_vccz .LBB169_4
.LBB169_2:
	s_endpgm
.LBB169_3:
	s_ashr_i32 s9, s8, 31
	s_lshl_b64 s[20:21], s[8:9], 2
	s_add_u32 s22, s18, s20
	s_addc_u32 s23, s19, s21
	s_lshl_b64 s[8:9], s[8:9], 1
	s_add_u32 s24, s10, s8
	s_addc_u32 s25, s11, s9
	v_lshlrev_b32_e32 v4, 2, v0
	global_load_dword v3, v4, s[24:25] offset:2048
	v_lshlrev_b32_e32 v1, 3, v0
	v_mov_b32_e32 v5, s23
	v_add_co_u32_e32 v37, vcc, s22, v1
	v_addc_co_u32_e32 v38, vcc, 0, v5, vcc
	v_add_co_u32_e32 v5, vcc, 0x1000, v37
	v_addc_co_u32_e32 v6, vcc, 0, v38, vcc
	;; [unrolled: 2-line block ×3, first 2 shown]
	v_mov_b32_e32 v10, s25
	v_add_co_u32_e32 v9, vcc, 0x3000, v37
	v_add_co_u32_e64 v39, s[8:9], s24, v4
	v_addc_co_u32_e64 v40, s[8:9], 0, v10, s[8:9]
	v_addc_co_u32_e32 v10, vcc, 0, v38, vcc
	global_load_dwordx2 v[23:24], v[5:6], off
	global_load_dwordx2 v[25:26], v[7:8], off
	;; [unrolled: 1-line block ×3, first 2 shown]
	s_movk_i32 s27, 0x1000
	v_add_co_u32_e32 v11, vcc, s27, v39
	s_movk_i32 s26, 0x3000
	v_addc_co_u32_e32 v12, vcc, 0, v40, vcc
	v_add_co_u32_e32 v13, vcc, s26, v39
	s_movk_i32 s15, 0x5000
	v_addc_co_u32_e32 v14, vcc, 0, v40, vcc
	;; [unrolled: 3-line block ×3, first 2 shown]
	v_add_co_u32_e32 v17, vcc, s12, v39
	v_addc_co_u32_e32 v18, vcc, 0, v40, vcc
	v_add_co_u32_e32 v19, vcc, 0x4000, v37
	v_addc_co_u32_e32 v20, vcc, 0, v38, vcc
	s_movk_i32 s28, 0x2000
	v_add_co_u32_e32 v9, vcc, 0x5000, v37
	v_add_co_u32_e64 v21, s[8:9], s28, v39
	v_addc_co_u32_e32 v10, vcc, 0, v38, vcc
	v_addc_co_u32_e64 v22, s[8:9], 0, v40, s[8:9]
	global_load_dword v53, v[11:12], off offset:2048
	global_load_dword v54, v[13:14], off offset:2048
	;; [unrolled: 1-line block ×3, first 2 shown]
	global_load_dword v6, v[17:18], off
	global_load_dword v5, v[17:18], off offset:2048
	global_load_dword v55, v[21:22], off offset:-4096
	global_load_dword v8, v4, s[24:25]
	v_add_co_u32_e32 v11, vcc, 0x6000, v37
	v_addc_co_u32_e32 v12, vcc, 0, v38, vcc
	global_load_dword v56, v[21:22], off
	global_load_dwordx2 v[33:34], v[19:20], off
	global_load_dword v57, v[21:22], off offset:2048
	global_load_dwordx2 v[35:36], v[9:10], off
	s_movk_i32 s12, 0x4000
	v_add_co_u32_e64 v21, s[8:9], s12, v39
	v_addc_co_u32_e64 v22, s[8:9], 0, v40, s[8:9]
	global_load_dword v58, v[21:22], off offset:-4096
	s_movk_i32 s15, 0x6000
	global_load_dwordx2 v[11:12], v[11:12], off
	v_mov_b32_e32 v2, s14
	s_add_u32 s8, s16, s20
	s_addc_u32 s9, s17, s21
	s_waitcnt vmcnt(16)
	v_and_b32_e32 v45, 0xffff0000, v3
	v_lshlrev_b32_e32 v46, 16, v3
	v_add_co_u32_e32 v3, vcc, 0x7000, v37
	v_addc_co_u32_e32 v4, vcc, 0, v38, vcc
	v_add_co_u32_e32 v13, vcc, 0x8000, v37
	v_addc_co_u32_e32 v14, vcc, 0, v38, vcc
	;; [unrolled: 2-line block ×7, first 2 shown]
	v_add_co_u32_e32 v9, vcc, 0xe000, v37
	global_load_dwordx2 v[3:4], v[3:4], off
	v_addc_co_u32_e32 v10, vcc, 0, v38, vcc
	v_add_co_u32_e32 v37, vcc, 0xf000, v37
	v_addc_co_u32_e32 v38, vcc, 0, v38, vcc
	v_add_co_u32_e32 v39, vcc, s15, v39
	v_addc_co_u32_e32 v40, vcc, 0, v40, vcc
	global_load_dword v59, v[21:22], off
	global_load_dword v60, v[21:22], off offset:2048
	global_load_dword v61, v[39:40], off offset:-4096
	global_load_dword v62, v[39:40], off
	global_load_dword v63, v[39:40], off offset:2048
	global_load_dwordx2 v[41:42], v[13:14], off
	global_load_dwordx2 v[43:44], v1, s[22:23]
	s_waitcnt vmcnt(23)
	v_cmp_nge_f32_e32 vcc, s13, v23
	v_cndmask_b32_e32 v13, v2, v46, vcc
	v_cmp_nge_f32_e32 vcc, s13, v24
	v_cndmask_b32_e32 v14, v2, v45, vcc
	global_load_dwordx2 v[21:22], v[15:16], off
	global_load_dwordx2 v[23:24], v[17:18], off
	;; [unrolled: 1-line block ×7, first 2 shown]
	v_mov_b32_e32 v9, s9
	v_add_co_u32_e32 v15, vcc, s8, v1
	v_addc_co_u32_e32 v16, vcc, 0, v9, vcc
	v_add_co_u32_e32 v9, vcc, s28, v15
	v_addc_co_u32_e32 v10, vcc, 0, v16, vcc
	global_store_dwordx2 v[9:10], v[13:14], off offset:-4096
	s_waitcnt vmcnt(23)
	v_lshlrev_b32_e32 v13, 16, v55
	v_cmp_nge_f32_e32 vcc, s13, v25
	v_and_b32_e32 v14, 0xffff0000, v55
	v_cndmask_b32_e32 v13, v2, v13, vcc
	v_cmp_nge_f32_e32 vcc, s13, v26
	v_cndmask_b32_e32 v14, v2, v14, vcc
	global_store_dwordx2 v[9:10], v[13:14], off
	v_lshlrev_b32_e32 v9, 16, v53
	v_cmp_nge_f32_e32 vcc, s13, v27
	v_and_b32_e32 v10, 0xffff0000, v53
	v_cndmask_b32_e32 v9, v2, v9, vcc
	v_cmp_nge_f32_e32 vcc, s13, v28
	v_cndmask_b32_e32 v10, v2, v10, vcc
	v_add_co_u32_e32 v13, vcc, s12, v15
	v_addc_co_u32_e32 v14, vcc, 0, v16, vcc
	global_store_dwordx2 v[13:14], v[9:10], off offset:-4096
	s_waitcnt vmcnt(23)
	v_lshlrev_b32_e32 v9, 16, v56
	s_waitcnt vmcnt(22)
	v_cmp_nge_f32_e32 vcc, s13, v33
	v_and_b32_e32 v10, 0xffff0000, v56
	v_cndmask_b32_e32 v9, v2, v9, vcc
	v_cmp_nge_f32_e32 vcc, s13, v34
	v_cndmask_b32_e32 v10, v2, v10, vcc
	global_store_dwordx2 v[13:14], v[9:10], off
	s_waitcnt vmcnt(22)
	v_lshlrev_b32_e32 v9, 16, v57
	s_waitcnt vmcnt(21)
	v_cmp_nge_f32_e32 vcc, s13, v35
	v_and_b32_e32 v10, 0xffff0000, v57
	v_cndmask_b32_e32 v9, v2, v9, vcc
	v_cmp_nge_f32_e32 vcc, s13, v36
	v_cndmask_b32_e32 v10, v2, v10, vcc
	v_add_co_u32_e32 v13, vcc, s15, v15
	v_addc_co_u32_e32 v14, vcc, 0, v16, vcc
	global_store_dwordx2 v[13:14], v[9:10], off offset:-4096
	s_waitcnt vmcnt(21)
	v_lshlrev_b32_e32 v9, 16, v58
	s_waitcnt vmcnt(20)
	v_cmp_nge_f32_e32 vcc, s13, v11
	v_and_b32_e32 v10, 0xffff0000, v58
	v_cndmask_b32_e32 v9, v2, v9, vcc
	v_cmp_nge_f32_e32 vcc, s13, v12
	v_cndmask_b32_e32 v10, v2, v10, vcc
	global_store_dwordx2 v[13:14], v[9:10], off
	v_lshlrev_b32_e32 v10, 16, v54
	v_and_b32_e32 v9, 0xffff0000, v54
	s_mov_b32 s12, 0x8000
	v_lshlrev_b32_e32 v11, 16, v5
	s_waitcnt vmcnt(20)
	v_cmp_nge_f32_e32 vcc, s13, v3
	v_cndmask_b32_e32 v3, v2, v10, vcc
	v_cmp_nge_f32_e32 vcc, s13, v4
	v_cndmask_b32_e32 v4, v2, v9, vcc
	v_add_co_u32_e32 v9, vcc, s12, v15
	v_addc_co_u32_e32 v10, vcc, 0, v16, vcc
	global_store_dwordx2 v[9:10], v[3:4], off offset:-4096
	s_waitcnt vmcnt(20)
	v_lshlrev_b32_e32 v3, 16, v59
	s_waitcnt vmcnt(15)
	v_cmp_nge_f32_e32 vcc, s13, v41
	v_and_b32_e32 v4, 0xffff0000, v59
	v_cndmask_b32_e32 v3, v2, v3, vcc
	v_cmp_nge_f32_e32 vcc, s13, v42
	v_cndmask_b32_e32 v4, v2, v4, vcc
	global_store_dwordx2 v[9:10], v[3:4], off
	v_lshlrev_b32_e32 v3, 16, v60
	s_waitcnt vmcnt(14)
	v_cmp_nge_f32_e32 vcc, s13, v21
	v_and_b32_e32 v4, 0xffff0000, v60
	v_cndmask_b32_e32 v3, v2, v3, vcc
	v_cmp_nge_f32_e32 vcc, s13, v22
	s_mov_b32 s12, 0xa000
	v_cndmask_b32_e32 v4, v2, v4, vcc
	v_add_co_u32_e32 v9, vcc, s12, v15
	v_addc_co_u32_e32 v10, vcc, 0, v16, vcc
	global_store_dwordx2 v[9:10], v[3:4], off offset:-4096
	v_lshlrev_b32_e32 v3, 16, v61
	s_waitcnt vmcnt(14)
	v_cmp_nge_f32_e32 vcc, s13, v23
	v_and_b32_e32 v4, 0xffff0000, v61
	v_cndmask_b32_e32 v3, v2, v3, vcc
	v_cmp_nge_f32_e32 vcc, s13, v24
	v_cndmask_b32_e32 v4, v2, v4, vcc
	global_store_dwordx2 v[9:10], v[3:4], off
	v_lshlrev_b32_e32 v3, 16, v7
	s_waitcnt vmcnt(14)
	v_cmp_nge_f32_e32 vcc, s13, v39
	v_and_b32_e32 v4, 0xffff0000, v7
	v_cndmask_b32_e32 v3, v2, v3, vcc
	v_cmp_nge_f32_e32 vcc, s13, v40
	s_mov_b32 s12, 0xc000
	v_cndmask_b32_e32 v4, v2, v4, vcc
	v_add_co_u32_e32 v9, vcc, s12, v15
	v_addc_co_u32_e32 v10, vcc, 0, v16, vcc
	global_store_dwordx2 v[9:10], v[3:4], off offset:-4096
	v_lshlrev_b32_e32 v3, 16, v62
	s_waitcnt vmcnt(14)
	v_cmp_nge_f32_e32 vcc, s13, v45
	v_and_b32_e32 v4, 0xffff0000, v62
	v_cndmask_b32_e32 v3, v2, v3, vcc
	v_cmp_nge_f32_e32 vcc, s13, v46
	v_cndmask_b32_e32 v4, v2, v4, vcc
	global_store_dwordx2 v[9:10], v[3:4], off
	v_lshlrev_b32_e32 v3, 16, v8
	v_cmp_nge_f32_e32 vcc, s13, v43
	v_and_b32_e32 v4, 0xffff0000, v8
	v_cndmask_b32_e32 v3, v2, v3, vcc
	v_cmp_nge_f32_e32 vcc, s13, v44
	v_and_b32_e32 v9, 0xffff0000, v6
	v_lshlrev_b32_e32 v10, 16, v6
	v_and_b32_e32 v6, 0xffff0000, v5
	v_cndmask_b32_e32 v4, v2, v4, vcc
	s_waitcnt vmcnt(12)
	v_cmp_nge_f32_e32 vcc, s13, v52
	v_lshlrev_b32_e32 v8, 16, v63
	v_cndmask_b32_e32 v5, v2, v6, vcc
	v_cmp_nge_f32_e32 vcc, s13, v47
	s_mov_b32 s12, 0xd000
	v_and_b32_e32 v7, 0xffff0000, v63
	global_store_dwordx2 v1, v[3:4], s[8:9]
	v_cndmask_b32_e32 v3, v2, v8, vcc
	v_cmp_nge_f32_e32 vcc, s13, v48
	v_cndmask_b32_e32 v4, v2, v7, vcc
	v_add_co_u32_e32 v6, vcc, s12, v15
	v_addc_co_u32_e32 v7, vcc, 0, v16, vcc
	v_cmp_nge_f32_e32 vcc, s13, v49
	global_store_dwordx2 v[6:7], v[3:4], off
	v_cndmask_b32_e32 v3, v2, v10, vcc
	v_cmp_nge_f32_e32 vcc, s13, v50
	v_cndmask_b32_e32 v4, v2, v9, vcc
	v_add_co_u32_e32 v6, vcc, 0xe000, v15
	v_addc_co_u32_e32 v7, vcc, 0, v16, vcc
	v_cmp_nge_f32_e32 vcc, s13, v51
	global_store_dwordx2 v[6:7], v[3:4], off
	v_cndmask_b32_e32 v4, v2, v11, vcc
	v_add_co_u32_e32 v1, vcc, 0xf000, v15
	v_addc_co_u32_e32 v2, vcc, 0, v16, vcc
	global_store_dwordx2 v[1:2], v[4:5], off
	s_cbranch_execnz .LBB169_2
.LBB169_4:
	s_load_dword s15, s[4:5], 0x2c
	s_load_dwordx4 s[20:23], s[4:5], 0x30
	s_mov_b32 s12, s6
	v_mov_b32_e32 v31, v0
	v_mov_b32_e32 v0, s13
	s_waitcnt lgkmcnt(0)
	s_bfe_u32 s24, s15, 0x80008
	s_add_u32 s8, s4, 64
	s_addc_u32 s9, s5, 0
	s_getpc_b64 s[4:5]
	s_add_u32 s4, s4, _ZN2at6native25elementwise_kernel_helperILb1ENS0_13BinaryFunctorIfffZNS0_12_GLOBAL__N_121threshold_kernel_implIfEEvRNS_18TensorIteratorBaseET_S7_EUlffE_EENS0_6memory8policies11unroll_baseILi512ESt5arrayIPcLm3EE23TrivialOffsetCalculatorILi2EjESG_ILi1EjENSA_12LoadWithCastILi2EEENSA_13StoreWithCastILi1EEELi32ELi1EEEEEvT0_T1_@rel32@lo+4
	s_addc_u32 s5, s5, _ZN2at6native25elementwise_kernel_helperILb1ENS0_13BinaryFunctorIfffZNS0_12_GLOBAL__N_121threshold_kernel_implIfEEvRNS_18TensorIteratorBaseET_S7_EUlffE_EENS0_6memory8policies11unroll_baseILi512ESt5arrayIPcLm3EE23TrivialOffsetCalculatorILi2EjESG_ILi1EjENSA_12LoadWithCastILi2EEENSA_13StoreWithCastILi1EEELi32ELi1EEEEEvT0_T1_@rel32@hi+12
	v_mov_b32_e32 v1, s14
	v_mov_b32_e32 v2, s16
	;; [unrolled: 1-line block ×14, first 2 shown]
	s_swappc_b64 s[30:31], s[4:5]
	s_endpgm
	.section	.rodata,"a",@progbits
	.p2align	6, 0x0
	.amdhsa_kernel _ZN2at6native39vectorized_templated_elementwise_kernelILi2ENS0_13BinaryFunctorIfffZNS0_12_GLOBAL__N_121threshold_kernel_implIfEEvRNS_18TensorIteratorBaseET_S7_EUlffE_EESt5arrayIPcLm3EE23TrivialOffsetCalculatorILi2EjESD_ILi1EjENS0_6memory12LoadWithCastILi2EEENSG_13StoreWithCastILi1EEEfJfN3c108BFloat16EEEEviT0_T1_T2_T3_T4_T5_
		.amdhsa_group_segment_fixed_size 0
		.amdhsa_private_segment_fixed_size 272
		.amdhsa_kernarg_size 320
		.amdhsa_user_sgpr_count 6
		.amdhsa_user_sgpr_private_segment_buffer 1
		.amdhsa_user_sgpr_dispatch_ptr 0
		.amdhsa_user_sgpr_queue_ptr 0
		.amdhsa_user_sgpr_kernarg_segment_ptr 1
		.amdhsa_user_sgpr_dispatch_id 0
		.amdhsa_user_sgpr_flat_scratch_init 0
		.amdhsa_user_sgpr_private_segment_size 0
		.amdhsa_uses_dynamic_stack 0
		.amdhsa_system_sgpr_private_segment_wavefront_offset 1
		.amdhsa_system_sgpr_workgroup_id_x 1
		.amdhsa_system_sgpr_workgroup_id_y 0
		.amdhsa_system_sgpr_workgroup_id_z 0
		.amdhsa_system_sgpr_workgroup_info 0
		.amdhsa_system_vgpr_workitem_id 0
		.amdhsa_next_free_vgpr 119
		.amdhsa_next_free_sgpr 98
		.amdhsa_reserve_vcc 1
		.amdhsa_reserve_flat_scratch 0
		.amdhsa_float_round_mode_32 0
		.amdhsa_float_round_mode_16_64 0
		.amdhsa_float_denorm_mode_32 3
		.amdhsa_float_denorm_mode_16_64 3
		.amdhsa_dx10_clamp 1
		.amdhsa_ieee_mode 1
		.amdhsa_fp16_overflow 0
		.amdhsa_exception_fp_ieee_invalid_op 0
		.amdhsa_exception_fp_denorm_src 0
		.amdhsa_exception_fp_ieee_div_zero 0
		.amdhsa_exception_fp_ieee_overflow 0
		.amdhsa_exception_fp_ieee_underflow 0
		.amdhsa_exception_fp_ieee_inexact 0
		.amdhsa_exception_int_div_zero 0
	.end_amdhsa_kernel
	.section	.text._ZN2at6native39vectorized_templated_elementwise_kernelILi2ENS0_13BinaryFunctorIfffZNS0_12_GLOBAL__N_121threshold_kernel_implIfEEvRNS_18TensorIteratorBaseET_S7_EUlffE_EESt5arrayIPcLm3EE23TrivialOffsetCalculatorILi2EjESD_ILi1EjENS0_6memory12LoadWithCastILi2EEENSG_13StoreWithCastILi1EEEfJfN3c108BFloat16EEEEviT0_T1_T2_T3_T4_T5_,"axG",@progbits,_ZN2at6native39vectorized_templated_elementwise_kernelILi2ENS0_13BinaryFunctorIfffZNS0_12_GLOBAL__N_121threshold_kernel_implIfEEvRNS_18TensorIteratorBaseET_S7_EUlffE_EESt5arrayIPcLm3EE23TrivialOffsetCalculatorILi2EjESD_ILi1EjENS0_6memory12LoadWithCastILi2EEENSG_13StoreWithCastILi1EEEfJfN3c108BFloat16EEEEviT0_T1_T2_T3_T4_T5_,comdat
.Lfunc_end169:
	.size	_ZN2at6native39vectorized_templated_elementwise_kernelILi2ENS0_13BinaryFunctorIfffZNS0_12_GLOBAL__N_121threshold_kernel_implIfEEvRNS_18TensorIteratorBaseET_S7_EUlffE_EESt5arrayIPcLm3EE23TrivialOffsetCalculatorILi2EjESD_ILi1EjENS0_6memory12LoadWithCastILi2EEENSG_13StoreWithCastILi1EEEfJfN3c108BFloat16EEEEviT0_T1_T2_T3_T4_T5_, .Lfunc_end169-_ZN2at6native39vectorized_templated_elementwise_kernelILi2ENS0_13BinaryFunctorIfffZNS0_12_GLOBAL__N_121threshold_kernel_implIfEEvRNS_18TensorIteratorBaseET_S7_EUlffE_EESt5arrayIPcLm3EE23TrivialOffsetCalculatorILi2EjESD_ILi1EjENS0_6memory12LoadWithCastILi2EEENSG_13StoreWithCastILi1EEEfJfN3c108BFloat16EEEEviT0_T1_T2_T3_T4_T5_
                                        ; -- End function
	.set _ZN2at6native39vectorized_templated_elementwise_kernelILi2ENS0_13BinaryFunctorIfffZNS0_12_GLOBAL__N_121threshold_kernel_implIfEEvRNS_18TensorIteratorBaseET_S7_EUlffE_EESt5arrayIPcLm3EE23TrivialOffsetCalculatorILi2EjESD_ILi1EjENS0_6memory12LoadWithCastILi2EEENSG_13StoreWithCastILi1EEEfJfN3c108BFloat16EEEEviT0_T1_T2_T3_T4_T5_.num_vgpr, max(64, .L_ZN2at6native25elementwise_kernel_helperILb1ENS0_13BinaryFunctorIfffZNS0_12_GLOBAL__N_121threshold_kernel_implIfEEvRNS_18TensorIteratorBaseET_S7_EUlffE_EENS0_6memory8policies11unroll_baseILi512ESt5arrayIPcLm3EE23TrivialOffsetCalculatorILi2EjESG_ILi1EjENSA_12LoadWithCastILi2EEENSA_13StoreWithCastILi1EEELi32ELi1EEEEEvT0_T1_.num_vgpr)
	.set _ZN2at6native39vectorized_templated_elementwise_kernelILi2ENS0_13BinaryFunctorIfffZNS0_12_GLOBAL__N_121threshold_kernel_implIfEEvRNS_18TensorIteratorBaseET_S7_EUlffE_EESt5arrayIPcLm3EE23TrivialOffsetCalculatorILi2EjESD_ILi1EjENS0_6memory12LoadWithCastILi2EEENSG_13StoreWithCastILi1EEEfJfN3c108BFloat16EEEEviT0_T1_T2_T3_T4_T5_.num_agpr, max(0, .L_ZN2at6native25elementwise_kernel_helperILb1ENS0_13BinaryFunctorIfffZNS0_12_GLOBAL__N_121threshold_kernel_implIfEEvRNS_18TensorIteratorBaseET_S7_EUlffE_EENS0_6memory8policies11unroll_baseILi512ESt5arrayIPcLm3EE23TrivialOffsetCalculatorILi2EjESG_ILi1EjENSA_12LoadWithCastILi2EEENSA_13StoreWithCastILi1EEELi32ELi1EEEEEvT0_T1_.num_agpr)
	.set _ZN2at6native39vectorized_templated_elementwise_kernelILi2ENS0_13BinaryFunctorIfffZNS0_12_GLOBAL__N_121threshold_kernel_implIfEEvRNS_18TensorIteratorBaseET_S7_EUlffE_EESt5arrayIPcLm3EE23TrivialOffsetCalculatorILi2EjESD_ILi1EjENS0_6memory12LoadWithCastILi2EEENSG_13StoreWithCastILi1EEEfJfN3c108BFloat16EEEEviT0_T1_T2_T3_T4_T5_.numbered_sgpr, max(33, .L_ZN2at6native25elementwise_kernel_helperILb1ENS0_13BinaryFunctorIfffZNS0_12_GLOBAL__N_121threshold_kernel_implIfEEvRNS_18TensorIteratorBaseET_S7_EUlffE_EENS0_6memory8policies11unroll_baseILi512ESt5arrayIPcLm3EE23TrivialOffsetCalculatorILi2EjESG_ILi1EjENSA_12LoadWithCastILi2EEENSA_13StoreWithCastILi1EEELi32ELi1EEEEEvT0_T1_.numbered_sgpr)
	.set _ZN2at6native39vectorized_templated_elementwise_kernelILi2ENS0_13BinaryFunctorIfffZNS0_12_GLOBAL__N_121threshold_kernel_implIfEEvRNS_18TensorIteratorBaseET_S7_EUlffE_EESt5arrayIPcLm3EE23TrivialOffsetCalculatorILi2EjESD_ILi1EjENS0_6memory12LoadWithCastILi2EEENSG_13StoreWithCastILi1EEEfJfN3c108BFloat16EEEEviT0_T1_T2_T3_T4_T5_.num_named_barrier, max(0, .L_ZN2at6native25elementwise_kernel_helperILb1ENS0_13BinaryFunctorIfffZNS0_12_GLOBAL__N_121threshold_kernel_implIfEEvRNS_18TensorIteratorBaseET_S7_EUlffE_EENS0_6memory8policies11unroll_baseILi512ESt5arrayIPcLm3EE23TrivialOffsetCalculatorILi2EjESG_ILi1EjENSA_12LoadWithCastILi2EEENSA_13StoreWithCastILi1EEELi32ELi1EEEEEvT0_T1_.num_named_barrier)
	.set _ZN2at6native39vectorized_templated_elementwise_kernelILi2ENS0_13BinaryFunctorIfffZNS0_12_GLOBAL__N_121threshold_kernel_implIfEEvRNS_18TensorIteratorBaseET_S7_EUlffE_EESt5arrayIPcLm3EE23TrivialOffsetCalculatorILi2EjESD_ILi1EjENS0_6memory12LoadWithCastILi2EEENSG_13StoreWithCastILi1EEEfJfN3c108BFloat16EEEEviT0_T1_T2_T3_T4_T5_.private_seg_size, 0+max(.L_ZN2at6native25elementwise_kernel_helperILb1ENS0_13BinaryFunctorIfffZNS0_12_GLOBAL__N_121threshold_kernel_implIfEEvRNS_18TensorIteratorBaseET_S7_EUlffE_EENS0_6memory8policies11unroll_baseILi512ESt5arrayIPcLm3EE23TrivialOffsetCalculatorILi2EjESG_ILi1EjENSA_12LoadWithCastILi2EEENSA_13StoreWithCastILi1EEELi32ELi1EEEEEvT0_T1_.private_seg_size)
	.set _ZN2at6native39vectorized_templated_elementwise_kernelILi2ENS0_13BinaryFunctorIfffZNS0_12_GLOBAL__N_121threshold_kernel_implIfEEvRNS_18TensorIteratorBaseET_S7_EUlffE_EESt5arrayIPcLm3EE23TrivialOffsetCalculatorILi2EjESD_ILi1EjENS0_6memory12LoadWithCastILi2EEENSG_13StoreWithCastILi1EEEfJfN3c108BFloat16EEEEviT0_T1_T2_T3_T4_T5_.uses_vcc, or(1, .L_ZN2at6native25elementwise_kernel_helperILb1ENS0_13BinaryFunctorIfffZNS0_12_GLOBAL__N_121threshold_kernel_implIfEEvRNS_18TensorIteratorBaseET_S7_EUlffE_EENS0_6memory8policies11unroll_baseILi512ESt5arrayIPcLm3EE23TrivialOffsetCalculatorILi2EjESG_ILi1EjENSA_12LoadWithCastILi2EEENSA_13StoreWithCastILi1EEELi32ELi1EEEEEvT0_T1_.uses_vcc)
	.set _ZN2at6native39vectorized_templated_elementwise_kernelILi2ENS0_13BinaryFunctorIfffZNS0_12_GLOBAL__N_121threshold_kernel_implIfEEvRNS_18TensorIteratorBaseET_S7_EUlffE_EESt5arrayIPcLm3EE23TrivialOffsetCalculatorILi2EjESD_ILi1EjENS0_6memory12LoadWithCastILi2EEENSG_13StoreWithCastILi1EEEfJfN3c108BFloat16EEEEviT0_T1_T2_T3_T4_T5_.uses_flat_scratch, or(0, .L_ZN2at6native25elementwise_kernel_helperILb1ENS0_13BinaryFunctorIfffZNS0_12_GLOBAL__N_121threshold_kernel_implIfEEvRNS_18TensorIteratorBaseET_S7_EUlffE_EENS0_6memory8policies11unroll_baseILi512ESt5arrayIPcLm3EE23TrivialOffsetCalculatorILi2EjESG_ILi1EjENSA_12LoadWithCastILi2EEENSA_13StoreWithCastILi1EEELi32ELi1EEEEEvT0_T1_.uses_flat_scratch)
	.set _ZN2at6native39vectorized_templated_elementwise_kernelILi2ENS0_13BinaryFunctorIfffZNS0_12_GLOBAL__N_121threshold_kernel_implIfEEvRNS_18TensorIteratorBaseET_S7_EUlffE_EESt5arrayIPcLm3EE23TrivialOffsetCalculatorILi2EjESD_ILi1EjENS0_6memory12LoadWithCastILi2EEENSG_13StoreWithCastILi1EEEfJfN3c108BFloat16EEEEviT0_T1_T2_T3_T4_T5_.has_dyn_sized_stack, or(0, .L_ZN2at6native25elementwise_kernel_helperILb1ENS0_13BinaryFunctorIfffZNS0_12_GLOBAL__N_121threshold_kernel_implIfEEvRNS_18TensorIteratorBaseET_S7_EUlffE_EENS0_6memory8policies11unroll_baseILi512ESt5arrayIPcLm3EE23TrivialOffsetCalculatorILi2EjESG_ILi1EjENSA_12LoadWithCastILi2EEENSA_13StoreWithCastILi1EEELi32ELi1EEEEEvT0_T1_.has_dyn_sized_stack)
	.set _ZN2at6native39vectorized_templated_elementwise_kernelILi2ENS0_13BinaryFunctorIfffZNS0_12_GLOBAL__N_121threshold_kernel_implIfEEvRNS_18TensorIteratorBaseET_S7_EUlffE_EESt5arrayIPcLm3EE23TrivialOffsetCalculatorILi2EjESD_ILi1EjENS0_6memory12LoadWithCastILi2EEENSG_13StoreWithCastILi1EEEfJfN3c108BFloat16EEEEviT0_T1_T2_T3_T4_T5_.has_recursion, or(0, .L_ZN2at6native25elementwise_kernel_helperILb1ENS0_13BinaryFunctorIfffZNS0_12_GLOBAL__N_121threshold_kernel_implIfEEvRNS_18TensorIteratorBaseET_S7_EUlffE_EENS0_6memory8policies11unroll_baseILi512ESt5arrayIPcLm3EE23TrivialOffsetCalculatorILi2EjESG_ILi1EjENSA_12LoadWithCastILi2EEENSA_13StoreWithCastILi1EEELi32ELi1EEEEEvT0_T1_.has_recursion)
	.set _ZN2at6native39vectorized_templated_elementwise_kernelILi2ENS0_13BinaryFunctorIfffZNS0_12_GLOBAL__N_121threshold_kernel_implIfEEvRNS_18TensorIteratorBaseET_S7_EUlffE_EESt5arrayIPcLm3EE23TrivialOffsetCalculatorILi2EjESD_ILi1EjENS0_6memory12LoadWithCastILi2EEENSG_13StoreWithCastILi1EEEfJfN3c108BFloat16EEEEviT0_T1_T2_T3_T4_T5_.has_indirect_call, or(0, .L_ZN2at6native25elementwise_kernel_helperILb1ENS0_13BinaryFunctorIfffZNS0_12_GLOBAL__N_121threshold_kernel_implIfEEvRNS_18TensorIteratorBaseET_S7_EUlffE_EENS0_6memory8policies11unroll_baseILi512ESt5arrayIPcLm3EE23TrivialOffsetCalculatorILi2EjESG_ILi1EjENSA_12LoadWithCastILi2EEENSA_13StoreWithCastILi1EEELi32ELi1EEEEEvT0_T1_.has_indirect_call)
	.section	.AMDGPU.csdata,"",@progbits
; Kernel info:
; codeLenInByte = 1600
; TotalNumSgprs: 102
; NumVgprs: 119
; ScratchSize: 272
; MemoryBound: 0
; FloatMode: 240
; IeeeMode: 1
; LDSByteSize: 0 bytes/workgroup (compile time only)
; SGPRBlocks: 12
; VGPRBlocks: 29
; NumSGPRsForWavesPerEU: 102
; NumVGPRsForWavesPerEU: 119
; Occupancy: 2
; WaveLimiterHint : 1
; COMPUTE_PGM_RSRC2:SCRATCH_EN: 1
; COMPUTE_PGM_RSRC2:USER_SGPR: 6
; COMPUTE_PGM_RSRC2:TRAP_HANDLER: 0
; COMPUTE_PGM_RSRC2:TGID_X_EN: 1
; COMPUTE_PGM_RSRC2:TGID_Y_EN: 0
; COMPUTE_PGM_RSRC2:TGID_Z_EN: 0
; COMPUTE_PGM_RSRC2:TIDIG_COMP_CNT: 0
	.section	.text._ZN2at6native39vectorized_templated_elementwise_kernelILi8ENS0_13BinaryFunctorIfffZNS0_12_GLOBAL__N_121threshold_kernel_implIfEEvRNS_18TensorIteratorBaseET_S7_EUlffE_EESt5arrayIPcLm3EE23TrivialOffsetCalculatorILi2EjESD_ILi1EjENS0_6memory12LoadWithCastILi2EEENSG_13StoreWithCastILi1EEEfJN3c108BFloat16EfEEEviT0_T1_T2_T3_T4_T5_,"axG",@progbits,_ZN2at6native39vectorized_templated_elementwise_kernelILi8ENS0_13BinaryFunctorIfffZNS0_12_GLOBAL__N_121threshold_kernel_implIfEEvRNS_18TensorIteratorBaseET_S7_EUlffE_EESt5arrayIPcLm3EE23TrivialOffsetCalculatorILi2EjESD_ILi1EjENS0_6memory12LoadWithCastILi2EEENSG_13StoreWithCastILi1EEEfJN3c108BFloat16EfEEEviT0_T1_T2_T3_T4_T5_,comdat
	.globl	_ZN2at6native39vectorized_templated_elementwise_kernelILi8ENS0_13BinaryFunctorIfffZNS0_12_GLOBAL__N_121threshold_kernel_implIfEEvRNS_18TensorIteratorBaseET_S7_EUlffE_EESt5arrayIPcLm3EE23TrivialOffsetCalculatorILi2EjESD_ILi1EjENS0_6memory12LoadWithCastILi2EEENSG_13StoreWithCastILi1EEEfJN3c108BFloat16EfEEEviT0_T1_T2_T3_T4_T5_ ; -- Begin function _ZN2at6native39vectorized_templated_elementwise_kernelILi8ENS0_13BinaryFunctorIfffZNS0_12_GLOBAL__N_121threshold_kernel_implIfEEvRNS_18TensorIteratorBaseET_S7_EUlffE_EESt5arrayIPcLm3EE23TrivialOffsetCalculatorILi2EjESD_ILi1EjENS0_6memory12LoadWithCastILi2EEENSG_13StoreWithCastILi1EEEfJN3c108BFloat16EfEEEviT0_T1_T2_T3_T4_T5_
	.p2align	8
	.type	_ZN2at6native39vectorized_templated_elementwise_kernelILi8ENS0_13BinaryFunctorIfffZNS0_12_GLOBAL__N_121threshold_kernel_implIfEEvRNS_18TensorIteratorBaseET_S7_EUlffE_EESt5arrayIPcLm3EE23TrivialOffsetCalculatorILi2EjESD_ILi1EjENS0_6memory12LoadWithCastILi2EEENSG_13StoreWithCastILi1EEEfJN3c108BFloat16EfEEEviT0_T1_T2_T3_T4_T5_,@function
_ZN2at6native39vectorized_templated_elementwise_kernelILi8ENS0_13BinaryFunctorIfffZNS0_12_GLOBAL__N_121threshold_kernel_implIfEEvRNS_18TensorIteratorBaseET_S7_EUlffE_EESt5arrayIPcLm3EE23TrivialOffsetCalculatorILi2EjESD_ILi1EjENS0_6memory12LoadWithCastILi2EEENSG_13StoreWithCastILi1EEEfJN3c108BFloat16EfEEEviT0_T1_T2_T3_T4_T5_: ; @_ZN2at6native39vectorized_templated_elementwise_kernelILi8ENS0_13BinaryFunctorIfffZNS0_12_GLOBAL__N_121threshold_kernel_implIfEEvRNS_18TensorIteratorBaseET_S7_EUlffE_EESt5arrayIPcLm3EE23TrivialOffsetCalculatorILi2EjESD_ILi1EjENS0_6memory12LoadWithCastILi2EEENSG_13StoreWithCastILi1EEEfJN3c108BFloat16EfEEEviT0_T1_T2_T3_T4_T5_
; %bb.0:
	s_add_u32 s0, s0, s7
	s_load_dword s7, s[4:5], 0x40
	s_load_dwordx8 s[12:19], s[4:5], 0x0
	s_load_dwordx2 s[20:21], s[4:5], 0x20
	s_addc_u32 s1, s1, 0
	s_not_b32 s8, s6
	s_waitcnt lgkmcnt(0)
	s_add_i32 s7, s7, s8
	s_lshl_b32 s10, s7, 14
	s_sub_i32 s7, s12, s10
	s_cmpk_gt_i32 s7, 0x3fff
	s_mov_b64 s[8:9], -1
	s_mov_b32 s32, 0
	s_cbranch_scc1 .LBB170_3
; %bb.1:
	s_andn2_b64 vcc, exec, s[8:9]
	s_cbranch_vccz .LBB170_4
.LBB170_2:
	s_endpgm
.LBB170_3:
	s_ashr_i32 s11, s10, 31
	s_lshl_b64 s[8:9], s[10:11], 1
	s_add_u32 s8, s18, s8
	s_addc_u32 s9, s19, s9
	v_lshlrev_b32_e32 v26, 4, v0
	v_mov_b32_e32 v1, s9
	v_add_co_u32_e32 v6, vcc, s8, v26
	v_addc_co_u32_e32 v7, vcc, 0, v1, vcc
	s_movk_i32 s12, 0x2000
	v_add_co_u32_e32 v1, vcc, s12, v6
	v_addc_co_u32_e32 v2, vcc, 0, v7, vcc
	global_load_dwordx4 v[1:4], v[1:2], off
	s_lshl_b64 s[10:11], s[10:11], 2
	s_add_u32 s22, s20, s10
	v_lshlrev_b32_e32 v5, 5, v0
	s_addc_u32 s23, s21, s11
	v_mov_b32_e32 v8, s23
	v_add_co_u32_e32 v42, vcc, s22, v5
	s_movk_i32 s12, 0x4000
	v_addc_co_u32_e32 v43, vcc, 0, v8, vcc
	v_add_co_u32_e32 v24, vcc, s12, v42
	v_addc_co_u32_e32 v25, vcc, 0, v43, vcc
	global_load_dwordx4 v[8:11], v[24:25], off
	global_load_dwordx4 v[12:15], v[24:25], off offset:16
	global_load_dwordx4 v[16:19], v26, s[8:9]
	global_load_dwordx4 v[20:23], v5, s[22:23]
	v_add_co_u32_e32 v28, vcc, s12, v6
	global_load_dwordx4 v[24:27], v5, s[22:23] offset:16
	s_mov_b32 s15, 0x8000
	v_addc_co_u32_e32 v29, vcc, 0, v7, vcc
	global_load_dwordx4 v[28:31], v[28:29], off
	v_add_co_u32_e32 v40, vcc, s15, v42
	v_addc_co_u32_e32 v41, vcc, 0, v43, vcc
	s_movk_i32 s8, 0x6000
	global_load_dwordx4 v[32:35], v[40:41], off
	v_add_co_u32_e32 v6, vcc, s8, v6
	s_mov_b32 s9, 0xc000
	v_addc_co_u32_e32 v7, vcc, 0, v7, vcc
	global_load_dwordx4 v[36:39], v[6:7], off
	v_add_co_u32_e32 v6, vcc, s9, v42
	v_addc_co_u32_e32 v7, vcc, 0, v43, vcc
	global_load_dwordx4 v[40:43], v[40:41], off offset:16
	s_add_u32 s22, s16, s10
	s_addc_u32 s23, s17, s11
	v_mov_b32_e32 v44, s23
	v_add_co_u32_e32 v51, vcc, s22, v5
	v_addc_co_u32_e32 v52, vcc, 0, v44, vcc
	global_load_dwordx4 v[44:47], v[6:7], off
	v_add_co_u32_e32 v48, vcc, s12, v51
	v_addc_co_u32_e32 v49, vcc, 0, v52, vcc
	v_mov_b32_e32 v50, s14
	s_waitcnt vmcnt(10)
	v_and_b32_e32 v53, 0xffff0000, v1
	v_lshlrev_b32_e32 v54, 16, v2
	v_and_b32_e32 v55, 0xffff0000, v2
	v_lshlrev_b32_e32 v56, 16, v1
	v_lshlrev_b32_e32 v57, 16, v3
	v_and_b32_e32 v58, 0xffff0000, v3
	v_lshlrev_b32_e32 v59, 16, v4
	v_and_b32_e32 v60, 0xffff0000, v4
	global_load_dwordx4 v[1:4], v[6:7], off offset:16
	v_cmp_nge_f32_e32 vcc, s13, v53
	v_cmp_nge_f32_e64 s[8:9], s13, v54
	v_cmp_nge_f32_e64 s[10:11], s13, v56
	s_waitcnt vmcnt(10)
	v_cndmask_b32_e32 v7, v50, v9, vcc
	v_cmp_nge_f32_e32 vcc, s13, v55
	v_cndmask_b32_e32 v9, v50, v11, vcc
	v_cmp_nge_f32_e32 vcc, s13, v57
	v_cndmask_b32_e64 v6, v50, v8, s[10:11]
	v_cndmask_b32_e64 v8, v50, v10, s[8:9]
	s_waitcnt vmcnt(9)
	v_cndmask_b32_e32 v10, v50, v12, vcc
	v_cmp_nge_f32_e32 vcc, s13, v58
	v_cndmask_b32_e32 v11, v50, v13, vcc
	v_cmp_nge_f32_e32 vcc, s13, v59
	;; [unrolled: 2-line block ×3, first 2 shown]
	v_cndmask_b32_e32 v13, v50, v15, vcc
	global_store_dwordx4 v[48:49], v[6:9], off
	global_store_dwordx4 v[48:49], v[10:13], off offset:16
	s_waitcnt vmcnt(10)
	v_lshlrev_b32_e32 v6, 16, v16
	v_and_b32_e32 v7, 0xffff0000, v16
	v_cmp_nge_f32_e32 vcc, s13, v6
	v_lshlrev_b32_e32 v8, 16, v17
	s_waitcnt vmcnt(9)
	v_cndmask_b32_e32 v6, v50, v20, vcc
	v_cmp_nge_f32_e32 vcc, s13, v7
	v_and_b32_e32 v9, 0xffff0000, v17
	v_cndmask_b32_e32 v7, v50, v21, vcc
	v_cmp_nge_f32_e32 vcc, s13, v8
	v_cndmask_b32_e32 v8, v50, v22, vcc
	v_cmp_nge_f32_e32 vcc, s13, v9
	v_lshlrev_b32_e32 v10, 16, v18
	v_cndmask_b32_e32 v9, v50, v23, vcc
	v_and_b32_e32 v11, 0xffff0000, v18
	v_cmp_nge_f32_e32 vcc, s13, v10
	v_lshlrev_b32_e32 v12, 16, v19
	s_waitcnt vmcnt(8)
	v_cndmask_b32_e32 v10, v50, v24, vcc
	v_cmp_nge_f32_e32 vcc, s13, v11
	v_and_b32_e32 v13, 0xffff0000, v19
	v_cndmask_b32_e32 v11, v50, v25, vcc
	v_cmp_nge_f32_e32 vcc, s13, v12
	v_cndmask_b32_e32 v12, v50, v26, vcc
	v_cmp_nge_f32_e32 vcc, s13, v13
	s_waitcnt vmcnt(7)
	v_lshlrev_b32_e32 v14, 16, v28
	v_cndmask_b32_e32 v13, v50, v27, vcc
	v_and_b32_e32 v15, 0xffff0000, v28
	v_cmp_nge_f32_e32 vcc, s13, v14
	v_lshlrev_b32_e32 v16, 16, v29
	s_waitcnt vmcnt(6)
	v_cndmask_b32_e32 v14, v50, v32, vcc
	v_cmp_nge_f32_e32 vcc, s13, v15
	v_and_b32_e32 v17, 0xffff0000, v29
	v_cndmask_b32_e32 v15, v50, v33, vcc
	v_cmp_nge_f32_e32 vcc, s13, v16
	v_cndmask_b32_e32 v16, v50, v34, vcc
	v_cmp_nge_f32_e32 vcc, s13, v17
	v_lshlrev_b32_e32 v18, 16, v30
	v_cndmask_b32_e32 v17, v50, v35, vcc
	v_and_b32_e32 v19, 0xffff0000, v30
	v_cmp_nge_f32_e32 vcc, s13, v18
	v_lshlrev_b32_e32 v20, 16, v31
	s_waitcnt vmcnt(4)
	v_cndmask_b32_e32 v18, v50, v40, vcc
	v_cmp_nge_f32_e32 vcc, s13, v19
	v_and_b32_e32 v21, 0xffff0000, v31
	v_cndmask_b32_e32 v19, v50, v41, vcc
	v_cmp_nge_f32_e32 vcc, s13, v20
	v_cndmask_b32_e32 v20, v50, v42, vcc
	v_cmp_nge_f32_e32 vcc, s13, v21
	;; [unrolled: 13-line block ×4, first 2 shown]
	v_cndmask_b32_e32 v4, v50, v4, vcc
	global_store_dwordx4 v5, v[6:9], s[22:23]
	global_store_dwordx4 v5, v[10:13], s[22:23] offset:16
	v_add_co_u32_e32 v5, vcc, s15, v51
	v_addc_co_u32_e32 v6, vcc, 0, v52, vcc
	global_store_dwordx4 v[5:6], v[14:17], off
	global_store_dwordx4 v[5:6], v[18:21], off offset:16
	v_add_co_u32_e32 v5, vcc, 0xc000, v51
	v_addc_co_u32_e32 v6, vcc, 0, v52, vcc
	global_store_dwordx4 v[5:6], v[22:25], off
	global_store_dwordx4 v[5:6], v[1:4], off offset:16
	s_cbranch_execnz .LBB170_2
.LBB170_4:
	s_load_dword s10, s[4:5], 0x2c
	s_load_dwordx4 s[24:27], s[4:5], 0x30
	s_mov_b32 s12, s6
	v_mov_b32_e32 v31, v0
	v_mov_b32_e32 v0, s13
	s_waitcnt lgkmcnt(0)
	s_bfe_u32 s11, s10, 0x80008
	s_add_u32 s8, s4, 64
	s_addc_u32 s9, s5, 0
	s_getpc_b64 s[4:5]
	s_add_u32 s4, s4, _ZN2at6native25elementwise_kernel_helperILb1ENS0_13BinaryFunctorIfffZNS0_12_GLOBAL__N_121threshold_kernel_implIfEEvRNS_18TensorIteratorBaseET_S7_EUlffE_EENS0_6memory8policies11unroll_baseILi512ESt5arrayIPcLm3EE23TrivialOffsetCalculatorILi2EjESG_ILi1EjENSA_12LoadWithCastILi2EEENSA_13StoreWithCastILi1EEELi32ELi1EEEEEvT0_T1_@rel32@lo+4
	s_addc_u32 s5, s5, _ZN2at6native25elementwise_kernel_helperILb1ENS0_13BinaryFunctorIfffZNS0_12_GLOBAL__N_121threshold_kernel_implIfEEvRNS_18TensorIteratorBaseET_S7_EUlffE_EENS0_6memory8policies11unroll_baseILi512ESt5arrayIPcLm3EE23TrivialOffsetCalculatorILi2EjESG_ILi1EjENSA_12LoadWithCastILi2EEENSA_13StoreWithCastILi1EEELi32ELi1EEEEEvT0_T1_@rel32@hi+12
	v_mov_b32_e32 v1, s14
	v_mov_b32_e32 v2, s16
	;; [unrolled: 1-line block ×14, first 2 shown]
	s_swappc_b64 s[30:31], s[4:5]
	s_endpgm
	.section	.rodata,"a",@progbits
	.p2align	6, 0x0
	.amdhsa_kernel _ZN2at6native39vectorized_templated_elementwise_kernelILi8ENS0_13BinaryFunctorIfffZNS0_12_GLOBAL__N_121threshold_kernel_implIfEEvRNS_18TensorIteratorBaseET_S7_EUlffE_EESt5arrayIPcLm3EE23TrivialOffsetCalculatorILi2EjESD_ILi1EjENS0_6memory12LoadWithCastILi2EEENSG_13StoreWithCastILi1EEEfJN3c108BFloat16EfEEEviT0_T1_T2_T3_T4_T5_
		.amdhsa_group_segment_fixed_size 0
		.amdhsa_private_segment_fixed_size 272
		.amdhsa_kernarg_size 320
		.amdhsa_user_sgpr_count 6
		.amdhsa_user_sgpr_private_segment_buffer 1
		.amdhsa_user_sgpr_dispatch_ptr 0
		.amdhsa_user_sgpr_queue_ptr 0
		.amdhsa_user_sgpr_kernarg_segment_ptr 1
		.amdhsa_user_sgpr_dispatch_id 0
		.amdhsa_user_sgpr_flat_scratch_init 0
		.amdhsa_user_sgpr_private_segment_size 0
		.amdhsa_uses_dynamic_stack 0
		.amdhsa_system_sgpr_private_segment_wavefront_offset 1
		.amdhsa_system_sgpr_workgroup_id_x 1
		.amdhsa_system_sgpr_workgroup_id_y 0
		.amdhsa_system_sgpr_workgroup_id_z 0
		.amdhsa_system_sgpr_workgroup_info 0
		.amdhsa_system_vgpr_workitem_id 0
		.amdhsa_next_free_vgpr 119
		.amdhsa_next_free_sgpr 98
		.amdhsa_reserve_vcc 1
		.amdhsa_reserve_flat_scratch 0
		.amdhsa_float_round_mode_32 0
		.amdhsa_float_round_mode_16_64 0
		.amdhsa_float_denorm_mode_32 3
		.amdhsa_float_denorm_mode_16_64 3
		.amdhsa_dx10_clamp 1
		.amdhsa_ieee_mode 1
		.amdhsa_fp16_overflow 0
		.amdhsa_exception_fp_ieee_invalid_op 0
		.amdhsa_exception_fp_denorm_src 0
		.amdhsa_exception_fp_ieee_div_zero 0
		.amdhsa_exception_fp_ieee_overflow 0
		.amdhsa_exception_fp_ieee_underflow 0
		.amdhsa_exception_fp_ieee_inexact 0
		.amdhsa_exception_int_div_zero 0
	.end_amdhsa_kernel
	.section	.text._ZN2at6native39vectorized_templated_elementwise_kernelILi8ENS0_13BinaryFunctorIfffZNS0_12_GLOBAL__N_121threshold_kernel_implIfEEvRNS_18TensorIteratorBaseET_S7_EUlffE_EESt5arrayIPcLm3EE23TrivialOffsetCalculatorILi2EjESD_ILi1EjENS0_6memory12LoadWithCastILi2EEENSG_13StoreWithCastILi1EEEfJN3c108BFloat16EfEEEviT0_T1_T2_T3_T4_T5_,"axG",@progbits,_ZN2at6native39vectorized_templated_elementwise_kernelILi8ENS0_13BinaryFunctorIfffZNS0_12_GLOBAL__N_121threshold_kernel_implIfEEvRNS_18TensorIteratorBaseET_S7_EUlffE_EESt5arrayIPcLm3EE23TrivialOffsetCalculatorILi2EjESD_ILi1EjENS0_6memory12LoadWithCastILi2EEENSG_13StoreWithCastILi1EEEfJN3c108BFloat16EfEEEviT0_T1_T2_T3_T4_T5_,comdat
.Lfunc_end170:
	.size	_ZN2at6native39vectorized_templated_elementwise_kernelILi8ENS0_13BinaryFunctorIfffZNS0_12_GLOBAL__N_121threshold_kernel_implIfEEvRNS_18TensorIteratorBaseET_S7_EUlffE_EESt5arrayIPcLm3EE23TrivialOffsetCalculatorILi2EjESD_ILi1EjENS0_6memory12LoadWithCastILi2EEENSG_13StoreWithCastILi1EEEfJN3c108BFloat16EfEEEviT0_T1_T2_T3_T4_T5_, .Lfunc_end170-_ZN2at6native39vectorized_templated_elementwise_kernelILi8ENS0_13BinaryFunctorIfffZNS0_12_GLOBAL__N_121threshold_kernel_implIfEEvRNS_18TensorIteratorBaseET_S7_EUlffE_EESt5arrayIPcLm3EE23TrivialOffsetCalculatorILi2EjESD_ILi1EjENS0_6memory12LoadWithCastILi2EEENSG_13StoreWithCastILi1EEEfJN3c108BFloat16EfEEEviT0_T1_T2_T3_T4_T5_
                                        ; -- End function
	.set _ZN2at6native39vectorized_templated_elementwise_kernelILi8ENS0_13BinaryFunctorIfffZNS0_12_GLOBAL__N_121threshold_kernel_implIfEEvRNS_18TensorIteratorBaseET_S7_EUlffE_EESt5arrayIPcLm3EE23TrivialOffsetCalculatorILi2EjESD_ILi1EjENS0_6memory12LoadWithCastILi2EEENSG_13StoreWithCastILi1EEEfJN3c108BFloat16EfEEEviT0_T1_T2_T3_T4_T5_.num_vgpr, max(61, .L_ZN2at6native25elementwise_kernel_helperILb1ENS0_13BinaryFunctorIfffZNS0_12_GLOBAL__N_121threshold_kernel_implIfEEvRNS_18TensorIteratorBaseET_S7_EUlffE_EENS0_6memory8policies11unroll_baseILi512ESt5arrayIPcLm3EE23TrivialOffsetCalculatorILi2EjESG_ILi1EjENSA_12LoadWithCastILi2EEENSA_13StoreWithCastILi1EEELi32ELi1EEEEEvT0_T1_.num_vgpr)
	.set _ZN2at6native39vectorized_templated_elementwise_kernelILi8ENS0_13BinaryFunctorIfffZNS0_12_GLOBAL__N_121threshold_kernel_implIfEEvRNS_18TensorIteratorBaseET_S7_EUlffE_EESt5arrayIPcLm3EE23TrivialOffsetCalculatorILi2EjESD_ILi1EjENS0_6memory12LoadWithCastILi2EEENSG_13StoreWithCastILi1EEEfJN3c108BFloat16EfEEEviT0_T1_T2_T3_T4_T5_.num_agpr, max(0, .L_ZN2at6native25elementwise_kernel_helperILb1ENS0_13BinaryFunctorIfffZNS0_12_GLOBAL__N_121threshold_kernel_implIfEEvRNS_18TensorIteratorBaseET_S7_EUlffE_EENS0_6memory8policies11unroll_baseILi512ESt5arrayIPcLm3EE23TrivialOffsetCalculatorILi2EjESG_ILi1EjENSA_12LoadWithCastILi2EEENSA_13StoreWithCastILi1EEELi32ELi1EEEEEvT0_T1_.num_agpr)
	.set _ZN2at6native39vectorized_templated_elementwise_kernelILi8ENS0_13BinaryFunctorIfffZNS0_12_GLOBAL__N_121threshold_kernel_implIfEEvRNS_18TensorIteratorBaseET_S7_EUlffE_EESt5arrayIPcLm3EE23TrivialOffsetCalculatorILi2EjESD_ILi1EjENS0_6memory12LoadWithCastILi2EEENSG_13StoreWithCastILi1EEEfJN3c108BFloat16EfEEEviT0_T1_T2_T3_T4_T5_.numbered_sgpr, max(33, .L_ZN2at6native25elementwise_kernel_helperILb1ENS0_13BinaryFunctorIfffZNS0_12_GLOBAL__N_121threshold_kernel_implIfEEvRNS_18TensorIteratorBaseET_S7_EUlffE_EENS0_6memory8policies11unroll_baseILi512ESt5arrayIPcLm3EE23TrivialOffsetCalculatorILi2EjESG_ILi1EjENSA_12LoadWithCastILi2EEENSA_13StoreWithCastILi1EEELi32ELi1EEEEEvT0_T1_.numbered_sgpr)
	.set _ZN2at6native39vectorized_templated_elementwise_kernelILi8ENS0_13BinaryFunctorIfffZNS0_12_GLOBAL__N_121threshold_kernel_implIfEEvRNS_18TensorIteratorBaseET_S7_EUlffE_EESt5arrayIPcLm3EE23TrivialOffsetCalculatorILi2EjESD_ILi1EjENS0_6memory12LoadWithCastILi2EEENSG_13StoreWithCastILi1EEEfJN3c108BFloat16EfEEEviT0_T1_T2_T3_T4_T5_.num_named_barrier, max(0, .L_ZN2at6native25elementwise_kernel_helperILb1ENS0_13BinaryFunctorIfffZNS0_12_GLOBAL__N_121threshold_kernel_implIfEEvRNS_18TensorIteratorBaseET_S7_EUlffE_EENS0_6memory8policies11unroll_baseILi512ESt5arrayIPcLm3EE23TrivialOffsetCalculatorILi2EjESG_ILi1EjENSA_12LoadWithCastILi2EEENSA_13StoreWithCastILi1EEELi32ELi1EEEEEvT0_T1_.num_named_barrier)
	.set _ZN2at6native39vectorized_templated_elementwise_kernelILi8ENS0_13BinaryFunctorIfffZNS0_12_GLOBAL__N_121threshold_kernel_implIfEEvRNS_18TensorIteratorBaseET_S7_EUlffE_EESt5arrayIPcLm3EE23TrivialOffsetCalculatorILi2EjESD_ILi1EjENS0_6memory12LoadWithCastILi2EEENSG_13StoreWithCastILi1EEEfJN3c108BFloat16EfEEEviT0_T1_T2_T3_T4_T5_.private_seg_size, 0+max(.L_ZN2at6native25elementwise_kernel_helperILb1ENS0_13BinaryFunctorIfffZNS0_12_GLOBAL__N_121threshold_kernel_implIfEEvRNS_18TensorIteratorBaseET_S7_EUlffE_EENS0_6memory8policies11unroll_baseILi512ESt5arrayIPcLm3EE23TrivialOffsetCalculatorILi2EjESG_ILi1EjENSA_12LoadWithCastILi2EEENSA_13StoreWithCastILi1EEELi32ELi1EEEEEvT0_T1_.private_seg_size)
	.set _ZN2at6native39vectorized_templated_elementwise_kernelILi8ENS0_13BinaryFunctorIfffZNS0_12_GLOBAL__N_121threshold_kernel_implIfEEvRNS_18TensorIteratorBaseET_S7_EUlffE_EESt5arrayIPcLm3EE23TrivialOffsetCalculatorILi2EjESD_ILi1EjENS0_6memory12LoadWithCastILi2EEENSG_13StoreWithCastILi1EEEfJN3c108BFloat16EfEEEviT0_T1_T2_T3_T4_T5_.uses_vcc, or(1, .L_ZN2at6native25elementwise_kernel_helperILb1ENS0_13BinaryFunctorIfffZNS0_12_GLOBAL__N_121threshold_kernel_implIfEEvRNS_18TensorIteratorBaseET_S7_EUlffE_EENS0_6memory8policies11unroll_baseILi512ESt5arrayIPcLm3EE23TrivialOffsetCalculatorILi2EjESG_ILi1EjENSA_12LoadWithCastILi2EEENSA_13StoreWithCastILi1EEELi32ELi1EEEEEvT0_T1_.uses_vcc)
	.set _ZN2at6native39vectorized_templated_elementwise_kernelILi8ENS0_13BinaryFunctorIfffZNS0_12_GLOBAL__N_121threshold_kernel_implIfEEvRNS_18TensorIteratorBaseET_S7_EUlffE_EESt5arrayIPcLm3EE23TrivialOffsetCalculatorILi2EjESD_ILi1EjENS0_6memory12LoadWithCastILi2EEENSG_13StoreWithCastILi1EEEfJN3c108BFloat16EfEEEviT0_T1_T2_T3_T4_T5_.uses_flat_scratch, or(0, .L_ZN2at6native25elementwise_kernel_helperILb1ENS0_13BinaryFunctorIfffZNS0_12_GLOBAL__N_121threshold_kernel_implIfEEvRNS_18TensorIteratorBaseET_S7_EUlffE_EENS0_6memory8policies11unroll_baseILi512ESt5arrayIPcLm3EE23TrivialOffsetCalculatorILi2EjESG_ILi1EjENSA_12LoadWithCastILi2EEENSA_13StoreWithCastILi1EEELi32ELi1EEEEEvT0_T1_.uses_flat_scratch)
	.set _ZN2at6native39vectorized_templated_elementwise_kernelILi8ENS0_13BinaryFunctorIfffZNS0_12_GLOBAL__N_121threshold_kernel_implIfEEvRNS_18TensorIteratorBaseET_S7_EUlffE_EESt5arrayIPcLm3EE23TrivialOffsetCalculatorILi2EjESD_ILi1EjENS0_6memory12LoadWithCastILi2EEENSG_13StoreWithCastILi1EEEfJN3c108BFloat16EfEEEviT0_T1_T2_T3_T4_T5_.has_dyn_sized_stack, or(0, .L_ZN2at6native25elementwise_kernel_helperILb1ENS0_13BinaryFunctorIfffZNS0_12_GLOBAL__N_121threshold_kernel_implIfEEvRNS_18TensorIteratorBaseET_S7_EUlffE_EENS0_6memory8policies11unroll_baseILi512ESt5arrayIPcLm3EE23TrivialOffsetCalculatorILi2EjESG_ILi1EjENSA_12LoadWithCastILi2EEENSA_13StoreWithCastILi1EEELi32ELi1EEEEEvT0_T1_.has_dyn_sized_stack)
	.set _ZN2at6native39vectorized_templated_elementwise_kernelILi8ENS0_13BinaryFunctorIfffZNS0_12_GLOBAL__N_121threshold_kernel_implIfEEvRNS_18TensorIteratorBaseET_S7_EUlffE_EESt5arrayIPcLm3EE23TrivialOffsetCalculatorILi2EjESD_ILi1EjENS0_6memory12LoadWithCastILi2EEENSG_13StoreWithCastILi1EEEfJN3c108BFloat16EfEEEviT0_T1_T2_T3_T4_T5_.has_recursion, or(0, .L_ZN2at6native25elementwise_kernel_helperILb1ENS0_13BinaryFunctorIfffZNS0_12_GLOBAL__N_121threshold_kernel_implIfEEvRNS_18TensorIteratorBaseET_S7_EUlffE_EENS0_6memory8policies11unroll_baseILi512ESt5arrayIPcLm3EE23TrivialOffsetCalculatorILi2EjESG_ILi1EjENSA_12LoadWithCastILi2EEENSA_13StoreWithCastILi1EEELi32ELi1EEEEEvT0_T1_.has_recursion)
	.set _ZN2at6native39vectorized_templated_elementwise_kernelILi8ENS0_13BinaryFunctorIfffZNS0_12_GLOBAL__N_121threshold_kernel_implIfEEvRNS_18TensorIteratorBaseET_S7_EUlffE_EESt5arrayIPcLm3EE23TrivialOffsetCalculatorILi2EjESD_ILi1EjENS0_6memory12LoadWithCastILi2EEENSG_13StoreWithCastILi1EEEfJN3c108BFloat16EfEEEviT0_T1_T2_T3_T4_T5_.has_indirect_call, or(0, .L_ZN2at6native25elementwise_kernel_helperILb1ENS0_13BinaryFunctorIfffZNS0_12_GLOBAL__N_121threshold_kernel_implIfEEvRNS_18TensorIteratorBaseET_S7_EUlffE_EENS0_6memory8policies11unroll_baseILi512ESt5arrayIPcLm3EE23TrivialOffsetCalculatorILi2EjESG_ILi1EjENSA_12LoadWithCastILi2EEENSA_13StoreWithCastILi1EEELi32ELi1EEEEEvT0_T1_.has_indirect_call)
	.section	.AMDGPU.csdata,"",@progbits
; Kernel info:
; codeLenInByte = 1072
; TotalNumSgprs: 102
; NumVgprs: 119
; ScratchSize: 272
; MemoryBound: 0
; FloatMode: 240
; IeeeMode: 1
; LDSByteSize: 0 bytes/workgroup (compile time only)
; SGPRBlocks: 12
; VGPRBlocks: 29
; NumSGPRsForWavesPerEU: 102
; NumVGPRsForWavesPerEU: 119
; Occupancy: 2
; WaveLimiterHint : 1
; COMPUTE_PGM_RSRC2:SCRATCH_EN: 1
; COMPUTE_PGM_RSRC2:USER_SGPR: 6
; COMPUTE_PGM_RSRC2:TRAP_HANDLER: 0
; COMPUTE_PGM_RSRC2:TGID_X_EN: 1
; COMPUTE_PGM_RSRC2:TGID_Y_EN: 0
; COMPUTE_PGM_RSRC2:TGID_Z_EN: 0
; COMPUTE_PGM_RSRC2:TIDIG_COMP_CNT: 0
	.section	.text._ZN2at6native39vectorized_templated_elementwise_kernelILi4ENS0_13BinaryFunctorIfffZNS0_12_GLOBAL__N_121threshold_kernel_implIfEEvRNS_18TensorIteratorBaseET_S7_EUlffE_EESt5arrayIPcLm3EE23TrivialOffsetCalculatorILi2EjESD_ILi1EjENS0_6memory12LoadWithCastILi2EEENSG_13StoreWithCastILi1EEEfJN3c108BFloat16EfEEEviT0_T1_T2_T3_T4_T5_,"axG",@progbits,_ZN2at6native39vectorized_templated_elementwise_kernelILi4ENS0_13BinaryFunctorIfffZNS0_12_GLOBAL__N_121threshold_kernel_implIfEEvRNS_18TensorIteratorBaseET_S7_EUlffE_EESt5arrayIPcLm3EE23TrivialOffsetCalculatorILi2EjESD_ILi1EjENS0_6memory12LoadWithCastILi2EEENSG_13StoreWithCastILi1EEEfJN3c108BFloat16EfEEEviT0_T1_T2_T3_T4_T5_,comdat
	.globl	_ZN2at6native39vectorized_templated_elementwise_kernelILi4ENS0_13BinaryFunctorIfffZNS0_12_GLOBAL__N_121threshold_kernel_implIfEEvRNS_18TensorIteratorBaseET_S7_EUlffE_EESt5arrayIPcLm3EE23TrivialOffsetCalculatorILi2EjESD_ILi1EjENS0_6memory12LoadWithCastILi2EEENSG_13StoreWithCastILi1EEEfJN3c108BFloat16EfEEEviT0_T1_T2_T3_T4_T5_ ; -- Begin function _ZN2at6native39vectorized_templated_elementwise_kernelILi4ENS0_13BinaryFunctorIfffZNS0_12_GLOBAL__N_121threshold_kernel_implIfEEvRNS_18TensorIteratorBaseET_S7_EUlffE_EESt5arrayIPcLm3EE23TrivialOffsetCalculatorILi2EjESD_ILi1EjENS0_6memory12LoadWithCastILi2EEENSG_13StoreWithCastILi1EEEfJN3c108BFloat16EfEEEviT0_T1_T2_T3_T4_T5_
	.p2align	8
	.type	_ZN2at6native39vectorized_templated_elementwise_kernelILi4ENS0_13BinaryFunctorIfffZNS0_12_GLOBAL__N_121threshold_kernel_implIfEEvRNS_18TensorIteratorBaseET_S7_EUlffE_EESt5arrayIPcLm3EE23TrivialOffsetCalculatorILi2EjESD_ILi1EjENS0_6memory12LoadWithCastILi2EEENSG_13StoreWithCastILi1EEEfJN3c108BFloat16EfEEEviT0_T1_T2_T3_T4_T5_,@function
_ZN2at6native39vectorized_templated_elementwise_kernelILi4ENS0_13BinaryFunctorIfffZNS0_12_GLOBAL__N_121threshold_kernel_implIfEEvRNS_18TensorIteratorBaseET_S7_EUlffE_EESt5arrayIPcLm3EE23TrivialOffsetCalculatorILi2EjESD_ILi1EjENS0_6memory12LoadWithCastILi2EEENSG_13StoreWithCastILi1EEEfJN3c108BFloat16EfEEEviT0_T1_T2_T3_T4_T5_: ; @_ZN2at6native39vectorized_templated_elementwise_kernelILi4ENS0_13BinaryFunctorIfffZNS0_12_GLOBAL__N_121threshold_kernel_implIfEEvRNS_18TensorIteratorBaseET_S7_EUlffE_EESt5arrayIPcLm3EE23TrivialOffsetCalculatorILi2EjESD_ILi1EjENS0_6memory12LoadWithCastILi2EEENSG_13StoreWithCastILi1EEEfJN3c108BFloat16EfEEEviT0_T1_T2_T3_T4_T5_
; %bb.0:
	s_add_u32 s0, s0, s7
	s_load_dword s7, s[4:5], 0x40
	s_load_dwordx8 s[12:19], s[4:5], 0x0
	s_load_dwordx2 s[10:11], s[4:5], 0x20
	s_addc_u32 s1, s1, 0
	s_not_b32 s8, s6
	s_waitcnt lgkmcnt(0)
	s_add_i32 s7, s7, s8
	s_lshl_b32 s20, s7, 14
	s_sub_i32 s7, s12, s20
	s_cmpk_gt_i32 s7, 0x3fff
	s_mov_b64 s[8:9], -1
	s_mov_b32 s32, 0
	s_cbranch_scc1 .LBB171_3
; %bb.1:
	s_andn2_b64 vcc, exec, s[8:9]
	s_cbranch_vccz .LBB171_4
.LBB171_2:
	s_endpgm
.LBB171_3:
	s_ashr_i32 s21, s20, 31
	s_lshl_b64 s[8:9], s[20:21], 1
	s_add_u32 s8, s18, s8
	s_addc_u32 s9, s19, s9
	v_lshlrev_b32_e32 v5, 3, v0
	v_mov_b32_e32 v1, s9
	v_add_co_u32_e32 v6, vcc, s8, v5
	v_addc_co_u32_e32 v7, vcc, 0, v1, vcc
	s_movk_i32 s12, 0x2000
	s_lshl_b64 s[20:21], s[20:21], 2
	v_add_co_u32_e32 v12, vcc, s12, v6
	s_add_u32 s22, s10, s20
	v_addc_co_u32_e32 v13, vcc, 0, v7, vcc
	v_lshlrev_b32_e32 v3, 4, v0
	s_addc_u32 s23, s11, s21
	v_mov_b32_e32 v4, s23
	v_add_co_u32_e32 v24, vcc, s22, v3
	v_addc_co_u32_e32 v25, vcc, 0, v4, vcc
	global_load_dwordx2 v[1:2], v[12:13], off offset:-4096
	global_load_dwordx2 v[40:41], v[12:13], off
	v_add_co_u32_e32 v8, vcc, s12, v24
	v_addc_co_u32_e32 v9, vcc, 0, v25, vcc
	global_load_dwordx4 v[8:11], v[8:9], off
	s_movk_i32 s15, 0x4000
	v_add_co_u32_e32 v12, vcc, s15, v24
	v_addc_co_u32_e32 v13, vcc, 0, v25, vcc
	global_load_dwordx4 v[12:15], v[12:13], off
	v_add_co_u32_e32 v20, vcc, s15, v6
	s_movk_i32 s25, 0x6000
	v_addc_co_u32_e32 v21, vcc, 0, v7, vcc
	global_load_dwordx2 v[42:43], v[20:21], off offset:-4096
	v_add_co_u32_e32 v16, vcc, s25, v24
	v_addc_co_u32_e32 v17, vcc, 0, v25, vcc
	global_load_dwordx4 v[16:19], v[16:17], off
	v_add_co_u32_e32 v28, vcc, s25, v6
	s_movk_i32 s26, 0x7000
	v_addc_co_u32_e32 v29, vcc, 0, v7, vcc
	v_add_co_u32_e32 v6, vcc, s26, v6
	s_mov_b32 s27, 0x8000
	v_addc_co_u32_e32 v7, vcc, 0, v7, vcc
	global_load_dwordx2 v[44:45], v[20:21], off
	global_load_dwordx2 v[46:47], v[6:7], off
	global_load_dwordx2 v[48:49], v5, s[8:9]
	v_add_co_u32_e32 v5, vcc, s27, v24
	v_addc_co_u32_e32 v6, vcc, 0, v25, vcc
	s_mov_b32 s24, 0xa000
	global_load_dwordx4 v[20:23], v[5:6], off
	v_add_co_u32_e32 v30, vcc, s24, v24
	s_mov_b32 s28, 0xc000
	v_addc_co_u32_e32 v31, vcc, 0, v25, vcc
	v_add_co_u32_e32 v50, vcc, s28, v24
	s_mov_b32 s29, 0xe000
	v_addc_co_u32_e32 v51, vcc, 0, v25, vcc
	v_add_co_u32_e32 v52, vcc, s29, v24
	v_addc_co_u32_e32 v53, vcc, 0, v25, vcc
	global_load_dwordx4 v[24:27], v3, s[22:23]
	v_mov_b32_e32 v4, s14
	s_add_u32 s8, s16, s20
	s_addc_u32 s9, s17, s21
	s_waitcnt vmcnt(10)
	v_lshlrev_b32_e32 v5, 16, v1
	v_and_b32_e32 v1, 0xffff0000, v1
	v_cmp_nge_f32_e32 vcc, s13, v5
	v_lshlrev_b32_e32 v7, 16, v2
	v_and_b32_e32 v2, 0xffff0000, v2
	s_waitcnt vmcnt(8)
	v_cndmask_b32_e32 v5, v4, v8, vcc
	v_cmp_nge_f32_e32 vcc, s13, v1
	v_cndmask_b32_e32 v6, v4, v9, vcc
	v_cmp_nge_f32_e32 vcc, s13, v7
	;; [unrolled: 2-line block ×3, first 2 shown]
	global_load_dwordx2 v[1:2], v[28:29], off offset:-4096
	global_load_dwordx2 v[54:55], v[28:29], off
	v_cndmask_b32_e32 v8, v4, v11, vcc
	global_load_dwordx4 v[28:31], v[30:31], off
	s_nop 0
	global_load_dwordx4 v[32:35], v[50:51], off
	global_load_dwordx4 v[36:39], v[52:53], off
	v_mov_b32_e32 v9, s9
	v_add_co_u32_e32 v56, vcc, s8, v3
	v_addc_co_u32_e32 v57, vcc, 0, v9, vcc
	v_add_co_u32_e32 v9, vcc, s12, v56
	v_addc_co_u32_e32 v10, vcc, 0, v57, vcc
	global_store_dwordx4 v[9:10], v[5:8], off
	s_waitcnt vmcnt(5)
	v_lshlrev_b32_e32 v11, 16, v2
	v_lshlrev_b32_e32 v5, 16, v40
	v_and_b32_e32 v6, 0xffff0000, v40
	v_cmp_nge_f32_e32 vcc, s13, v5
	v_lshlrev_b32_e32 v7, 16, v41
	v_cndmask_b32_e32 v5, v4, v12, vcc
	v_cmp_nge_f32_e32 vcc, s13, v6
	v_and_b32_e32 v8, 0xffff0000, v41
	v_cndmask_b32_e32 v6, v4, v13, vcc
	v_cmp_nge_f32_e32 vcc, s13, v7
	v_cndmask_b32_e32 v7, v4, v14, vcc
	v_cmp_nge_f32_e32 vcc, s13, v8
	v_cndmask_b32_e32 v8, v4, v15, vcc
	v_add_co_u32_e32 v9, vcc, s15, v56
	v_addc_co_u32_e32 v10, vcc, 0, v57, vcc
	global_store_dwordx4 v[9:10], v[5:8], off
	v_and_b32_e32 v2, 0xffff0000, v2
	v_lshlrev_b32_e32 v5, 16, v42
	v_and_b32_e32 v6, 0xffff0000, v42
	v_cmp_nge_f32_e32 vcc, s13, v5
	v_lshlrev_b32_e32 v7, 16, v43
	v_cndmask_b32_e32 v5, v4, v16, vcc
	v_cmp_nge_f32_e32 vcc, s13, v6
	v_and_b32_e32 v8, 0xffff0000, v43
	v_cndmask_b32_e32 v6, v4, v17, vcc
	v_cmp_nge_f32_e32 vcc, s13, v7
	v_cndmask_b32_e32 v7, v4, v18, vcc
	v_cmp_nge_f32_e32 vcc, s13, v8
	v_cndmask_b32_e32 v8, v4, v19, vcc
	v_add_co_u32_e32 v9, vcc, s25, v56
	v_addc_co_u32_e32 v10, vcc, 0, v57, vcc
	global_store_dwordx4 v[9:10], v[5:8], off
	s_waitcnt vmcnt(6)
	v_lshlrev_b32_e32 v15, 16, v55
	v_lshlrev_b32_e32 v5, 16, v44
	v_and_b32_e32 v6, 0xffff0000, v44
	v_cmp_nge_f32_e32 vcc, s13, v5
	v_lshlrev_b32_e32 v7, 16, v45
	v_cndmask_b32_e32 v5, v4, v20, vcc
	v_cmp_nge_f32_e32 vcc, s13, v6
	v_and_b32_e32 v8, 0xffff0000, v45
	v_cndmask_b32_e32 v6, v4, v21, vcc
	v_cmp_nge_f32_e32 vcc, s13, v7
	v_cndmask_b32_e32 v7, v4, v22, vcc
	v_cmp_nge_f32_e32 vcc, s13, v8
	v_cndmask_b32_e32 v8, v4, v23, vcc
	v_add_co_u32_e32 v9, vcc, s27, v56
	v_addc_co_u32_e32 v10, vcc, 0, v57, vcc
	global_store_dwordx4 v[9:10], v[5:8], off
	v_lshlrev_b32_e32 v9, 16, v1
	v_lshlrev_b32_e32 v5, 16, v48
	v_and_b32_e32 v6, 0xffff0000, v48
	v_cmp_nge_f32_e32 vcc, s13, v5
	v_lshlrev_b32_e32 v7, 16, v49
	v_cndmask_b32_e32 v5, v4, v24, vcc
	v_cmp_nge_f32_e32 vcc, s13, v6
	v_and_b32_e32 v8, 0xffff0000, v49
	v_cndmask_b32_e32 v6, v4, v25, vcc
	v_cmp_nge_f32_e32 vcc, s13, v7
	v_cndmask_b32_e32 v7, v4, v26, vcc
	v_cmp_nge_f32_e32 vcc, s13, v8
	v_cndmask_b32_e32 v8, v4, v27, vcc
	v_and_b32_e32 v1, 0xffff0000, v1
	v_cmp_nge_f32_e32 vcc, s13, v9
	s_waitcnt vmcnt(6)
	v_cndmask_b32_e32 v9, v4, v28, vcc
	v_cmp_nge_f32_e32 vcc, s13, v1
	v_cndmask_b32_e32 v10, v4, v29, vcc
	v_cmp_nge_f32_e32 vcc, s13, v11
	;; [unrolled: 2-line block ×3, first 2 shown]
	v_lshlrev_b32_e32 v1, 16, v54
	v_cndmask_b32_e32 v12, v4, v31, vcc
	v_and_b32_e32 v2, 0xffff0000, v54
	v_cmp_nge_f32_e32 vcc, s13, v1
	s_waitcnt vmcnt(5)
	v_cndmask_b32_e32 v13, v4, v32, vcc
	v_cmp_nge_f32_e32 vcc, s13, v2
	v_and_b32_e32 v16, 0xffff0000, v55
	v_cndmask_b32_e32 v14, v4, v33, vcc
	v_cmp_nge_f32_e32 vcc, s13, v15
	v_cndmask_b32_e32 v15, v4, v34, vcc
	v_cmp_nge_f32_e32 vcc, s13, v16
	v_lshlrev_b32_e32 v1, 16, v46
	v_cndmask_b32_e32 v16, v4, v35, vcc
	v_and_b32_e32 v2, 0xffff0000, v46
	v_cmp_nge_f32_e32 vcc, s13, v1
	v_lshlrev_b32_e32 v19, 16, v47
	s_waitcnt vmcnt(4)
	v_cndmask_b32_e32 v17, v4, v36, vcc
	v_cmp_nge_f32_e32 vcc, s13, v2
	v_and_b32_e32 v20, 0xffff0000, v47
	v_cndmask_b32_e32 v18, v4, v37, vcc
	v_cmp_nge_f32_e32 vcc, s13, v19
	v_cndmask_b32_e32 v19, v4, v38, vcc
	v_cmp_nge_f32_e32 vcc, s13, v20
	v_cndmask_b32_e32 v20, v4, v39, vcc
	v_add_co_u32_e32 v1, vcc, s24, v56
	v_addc_co_u32_e32 v2, vcc, 0, v57, vcc
	global_store_dwordx4 v[1:2], v[9:12], off
	v_add_co_u32_e32 v1, vcc, 0xc000, v56
	v_addc_co_u32_e32 v2, vcc, 0, v57, vcc
	global_store_dwordx4 v[1:2], v[13:16], off
	v_add_co_u32_e32 v1, vcc, 0xe000, v56
	v_addc_co_u32_e32 v2, vcc, 0, v57, vcc
	global_store_dwordx4 v3, v[5:8], s[8:9]
	global_store_dwordx4 v[1:2], v[17:20], off
	s_cbranch_execnz .LBB171_2
.LBB171_4:
	s_load_dword s15, s[4:5], 0x2c
	s_load_dwordx4 s[20:23], s[4:5], 0x30
	s_mov_b32 s12, s6
	v_mov_b32_e32 v31, v0
	v_mov_b32_e32 v0, s13
	s_waitcnt lgkmcnt(0)
	s_bfe_u32 s24, s15, 0x80008
	s_add_u32 s8, s4, 64
	s_addc_u32 s9, s5, 0
	s_getpc_b64 s[4:5]
	s_add_u32 s4, s4, _ZN2at6native25elementwise_kernel_helperILb1ENS0_13BinaryFunctorIfffZNS0_12_GLOBAL__N_121threshold_kernel_implIfEEvRNS_18TensorIteratorBaseET_S7_EUlffE_EENS0_6memory8policies11unroll_baseILi512ESt5arrayIPcLm3EE23TrivialOffsetCalculatorILi2EjESG_ILi1EjENSA_12LoadWithCastILi2EEENSA_13StoreWithCastILi1EEELi32ELi1EEEEEvT0_T1_@rel32@lo+4
	s_addc_u32 s5, s5, _ZN2at6native25elementwise_kernel_helperILb1ENS0_13BinaryFunctorIfffZNS0_12_GLOBAL__N_121threshold_kernel_implIfEEvRNS_18TensorIteratorBaseET_S7_EUlffE_EENS0_6memory8policies11unroll_baseILi512ESt5arrayIPcLm3EE23TrivialOffsetCalculatorILi2EjESG_ILi1EjENSA_12LoadWithCastILi2EEENSA_13StoreWithCastILi1EEELi32ELi1EEEEEvT0_T1_@rel32@hi+12
	v_mov_b32_e32 v1, s14
	v_mov_b32_e32 v2, s16
	;; [unrolled: 1-line block ×14, first 2 shown]
	s_swappc_b64 s[30:31], s[4:5]
	s_endpgm
	.section	.rodata,"a",@progbits
	.p2align	6, 0x0
	.amdhsa_kernel _ZN2at6native39vectorized_templated_elementwise_kernelILi4ENS0_13BinaryFunctorIfffZNS0_12_GLOBAL__N_121threshold_kernel_implIfEEvRNS_18TensorIteratorBaseET_S7_EUlffE_EESt5arrayIPcLm3EE23TrivialOffsetCalculatorILi2EjESD_ILi1EjENS0_6memory12LoadWithCastILi2EEENSG_13StoreWithCastILi1EEEfJN3c108BFloat16EfEEEviT0_T1_T2_T3_T4_T5_
		.amdhsa_group_segment_fixed_size 0
		.amdhsa_private_segment_fixed_size 272
		.amdhsa_kernarg_size 320
		.amdhsa_user_sgpr_count 6
		.amdhsa_user_sgpr_private_segment_buffer 1
		.amdhsa_user_sgpr_dispatch_ptr 0
		.amdhsa_user_sgpr_queue_ptr 0
		.amdhsa_user_sgpr_kernarg_segment_ptr 1
		.amdhsa_user_sgpr_dispatch_id 0
		.amdhsa_user_sgpr_flat_scratch_init 0
		.amdhsa_user_sgpr_private_segment_size 0
		.amdhsa_uses_dynamic_stack 0
		.amdhsa_system_sgpr_private_segment_wavefront_offset 1
		.amdhsa_system_sgpr_workgroup_id_x 1
		.amdhsa_system_sgpr_workgroup_id_y 0
		.amdhsa_system_sgpr_workgroup_id_z 0
		.amdhsa_system_sgpr_workgroup_info 0
		.amdhsa_system_vgpr_workitem_id 0
		.amdhsa_next_free_vgpr 119
		.amdhsa_next_free_sgpr 98
		.amdhsa_reserve_vcc 1
		.amdhsa_reserve_flat_scratch 0
		.amdhsa_float_round_mode_32 0
		.amdhsa_float_round_mode_16_64 0
		.amdhsa_float_denorm_mode_32 3
		.amdhsa_float_denorm_mode_16_64 3
		.amdhsa_dx10_clamp 1
		.amdhsa_ieee_mode 1
		.amdhsa_fp16_overflow 0
		.amdhsa_exception_fp_ieee_invalid_op 0
		.amdhsa_exception_fp_denorm_src 0
		.amdhsa_exception_fp_ieee_div_zero 0
		.amdhsa_exception_fp_ieee_overflow 0
		.amdhsa_exception_fp_ieee_underflow 0
		.amdhsa_exception_fp_ieee_inexact 0
		.amdhsa_exception_int_div_zero 0
	.end_amdhsa_kernel
	.section	.text._ZN2at6native39vectorized_templated_elementwise_kernelILi4ENS0_13BinaryFunctorIfffZNS0_12_GLOBAL__N_121threshold_kernel_implIfEEvRNS_18TensorIteratorBaseET_S7_EUlffE_EESt5arrayIPcLm3EE23TrivialOffsetCalculatorILi2EjESD_ILi1EjENS0_6memory12LoadWithCastILi2EEENSG_13StoreWithCastILi1EEEfJN3c108BFloat16EfEEEviT0_T1_T2_T3_T4_T5_,"axG",@progbits,_ZN2at6native39vectorized_templated_elementwise_kernelILi4ENS0_13BinaryFunctorIfffZNS0_12_GLOBAL__N_121threshold_kernel_implIfEEvRNS_18TensorIteratorBaseET_S7_EUlffE_EESt5arrayIPcLm3EE23TrivialOffsetCalculatorILi2EjESD_ILi1EjENS0_6memory12LoadWithCastILi2EEENSG_13StoreWithCastILi1EEEfJN3c108BFloat16EfEEEviT0_T1_T2_T3_T4_T5_,comdat
.Lfunc_end171:
	.size	_ZN2at6native39vectorized_templated_elementwise_kernelILi4ENS0_13BinaryFunctorIfffZNS0_12_GLOBAL__N_121threshold_kernel_implIfEEvRNS_18TensorIteratorBaseET_S7_EUlffE_EESt5arrayIPcLm3EE23TrivialOffsetCalculatorILi2EjESD_ILi1EjENS0_6memory12LoadWithCastILi2EEENSG_13StoreWithCastILi1EEEfJN3c108BFloat16EfEEEviT0_T1_T2_T3_T4_T5_, .Lfunc_end171-_ZN2at6native39vectorized_templated_elementwise_kernelILi4ENS0_13BinaryFunctorIfffZNS0_12_GLOBAL__N_121threshold_kernel_implIfEEvRNS_18TensorIteratorBaseET_S7_EUlffE_EESt5arrayIPcLm3EE23TrivialOffsetCalculatorILi2EjESD_ILi1EjENS0_6memory12LoadWithCastILi2EEENSG_13StoreWithCastILi1EEEfJN3c108BFloat16EfEEEviT0_T1_T2_T3_T4_T5_
                                        ; -- End function
	.set _ZN2at6native39vectorized_templated_elementwise_kernelILi4ENS0_13BinaryFunctorIfffZNS0_12_GLOBAL__N_121threshold_kernel_implIfEEvRNS_18TensorIteratorBaseET_S7_EUlffE_EESt5arrayIPcLm3EE23TrivialOffsetCalculatorILi2EjESD_ILi1EjENS0_6memory12LoadWithCastILi2EEENSG_13StoreWithCastILi1EEEfJN3c108BFloat16EfEEEviT0_T1_T2_T3_T4_T5_.num_vgpr, max(58, .L_ZN2at6native25elementwise_kernel_helperILb1ENS0_13BinaryFunctorIfffZNS0_12_GLOBAL__N_121threshold_kernel_implIfEEvRNS_18TensorIteratorBaseET_S7_EUlffE_EENS0_6memory8policies11unroll_baseILi512ESt5arrayIPcLm3EE23TrivialOffsetCalculatorILi2EjESG_ILi1EjENSA_12LoadWithCastILi2EEENSA_13StoreWithCastILi1EEELi32ELi1EEEEEvT0_T1_.num_vgpr)
	.set _ZN2at6native39vectorized_templated_elementwise_kernelILi4ENS0_13BinaryFunctorIfffZNS0_12_GLOBAL__N_121threshold_kernel_implIfEEvRNS_18TensorIteratorBaseET_S7_EUlffE_EESt5arrayIPcLm3EE23TrivialOffsetCalculatorILi2EjESD_ILi1EjENS0_6memory12LoadWithCastILi2EEENSG_13StoreWithCastILi1EEEfJN3c108BFloat16EfEEEviT0_T1_T2_T3_T4_T5_.num_agpr, max(0, .L_ZN2at6native25elementwise_kernel_helperILb1ENS0_13BinaryFunctorIfffZNS0_12_GLOBAL__N_121threshold_kernel_implIfEEvRNS_18TensorIteratorBaseET_S7_EUlffE_EENS0_6memory8policies11unroll_baseILi512ESt5arrayIPcLm3EE23TrivialOffsetCalculatorILi2EjESG_ILi1EjENSA_12LoadWithCastILi2EEENSA_13StoreWithCastILi1EEELi32ELi1EEEEEvT0_T1_.num_agpr)
	.set _ZN2at6native39vectorized_templated_elementwise_kernelILi4ENS0_13BinaryFunctorIfffZNS0_12_GLOBAL__N_121threshold_kernel_implIfEEvRNS_18TensorIteratorBaseET_S7_EUlffE_EESt5arrayIPcLm3EE23TrivialOffsetCalculatorILi2EjESD_ILi1EjENS0_6memory12LoadWithCastILi2EEENSG_13StoreWithCastILi1EEEfJN3c108BFloat16EfEEEviT0_T1_T2_T3_T4_T5_.numbered_sgpr, max(33, .L_ZN2at6native25elementwise_kernel_helperILb1ENS0_13BinaryFunctorIfffZNS0_12_GLOBAL__N_121threshold_kernel_implIfEEvRNS_18TensorIteratorBaseET_S7_EUlffE_EENS0_6memory8policies11unroll_baseILi512ESt5arrayIPcLm3EE23TrivialOffsetCalculatorILi2EjESG_ILi1EjENSA_12LoadWithCastILi2EEENSA_13StoreWithCastILi1EEELi32ELi1EEEEEvT0_T1_.numbered_sgpr)
	.set _ZN2at6native39vectorized_templated_elementwise_kernelILi4ENS0_13BinaryFunctorIfffZNS0_12_GLOBAL__N_121threshold_kernel_implIfEEvRNS_18TensorIteratorBaseET_S7_EUlffE_EESt5arrayIPcLm3EE23TrivialOffsetCalculatorILi2EjESD_ILi1EjENS0_6memory12LoadWithCastILi2EEENSG_13StoreWithCastILi1EEEfJN3c108BFloat16EfEEEviT0_T1_T2_T3_T4_T5_.num_named_barrier, max(0, .L_ZN2at6native25elementwise_kernel_helperILb1ENS0_13BinaryFunctorIfffZNS0_12_GLOBAL__N_121threshold_kernel_implIfEEvRNS_18TensorIteratorBaseET_S7_EUlffE_EENS0_6memory8policies11unroll_baseILi512ESt5arrayIPcLm3EE23TrivialOffsetCalculatorILi2EjESG_ILi1EjENSA_12LoadWithCastILi2EEENSA_13StoreWithCastILi1EEELi32ELi1EEEEEvT0_T1_.num_named_barrier)
	.set _ZN2at6native39vectorized_templated_elementwise_kernelILi4ENS0_13BinaryFunctorIfffZNS0_12_GLOBAL__N_121threshold_kernel_implIfEEvRNS_18TensorIteratorBaseET_S7_EUlffE_EESt5arrayIPcLm3EE23TrivialOffsetCalculatorILi2EjESD_ILi1EjENS0_6memory12LoadWithCastILi2EEENSG_13StoreWithCastILi1EEEfJN3c108BFloat16EfEEEviT0_T1_T2_T3_T4_T5_.private_seg_size, 0+max(.L_ZN2at6native25elementwise_kernel_helperILb1ENS0_13BinaryFunctorIfffZNS0_12_GLOBAL__N_121threshold_kernel_implIfEEvRNS_18TensorIteratorBaseET_S7_EUlffE_EENS0_6memory8policies11unroll_baseILi512ESt5arrayIPcLm3EE23TrivialOffsetCalculatorILi2EjESG_ILi1EjENSA_12LoadWithCastILi2EEENSA_13StoreWithCastILi1EEELi32ELi1EEEEEvT0_T1_.private_seg_size)
	.set _ZN2at6native39vectorized_templated_elementwise_kernelILi4ENS0_13BinaryFunctorIfffZNS0_12_GLOBAL__N_121threshold_kernel_implIfEEvRNS_18TensorIteratorBaseET_S7_EUlffE_EESt5arrayIPcLm3EE23TrivialOffsetCalculatorILi2EjESD_ILi1EjENS0_6memory12LoadWithCastILi2EEENSG_13StoreWithCastILi1EEEfJN3c108BFloat16EfEEEviT0_T1_T2_T3_T4_T5_.uses_vcc, or(1, .L_ZN2at6native25elementwise_kernel_helperILb1ENS0_13BinaryFunctorIfffZNS0_12_GLOBAL__N_121threshold_kernel_implIfEEvRNS_18TensorIteratorBaseET_S7_EUlffE_EENS0_6memory8policies11unroll_baseILi512ESt5arrayIPcLm3EE23TrivialOffsetCalculatorILi2EjESG_ILi1EjENSA_12LoadWithCastILi2EEENSA_13StoreWithCastILi1EEELi32ELi1EEEEEvT0_T1_.uses_vcc)
	.set _ZN2at6native39vectorized_templated_elementwise_kernelILi4ENS0_13BinaryFunctorIfffZNS0_12_GLOBAL__N_121threshold_kernel_implIfEEvRNS_18TensorIteratorBaseET_S7_EUlffE_EESt5arrayIPcLm3EE23TrivialOffsetCalculatorILi2EjESD_ILi1EjENS0_6memory12LoadWithCastILi2EEENSG_13StoreWithCastILi1EEEfJN3c108BFloat16EfEEEviT0_T1_T2_T3_T4_T5_.uses_flat_scratch, or(0, .L_ZN2at6native25elementwise_kernel_helperILb1ENS0_13BinaryFunctorIfffZNS0_12_GLOBAL__N_121threshold_kernel_implIfEEvRNS_18TensorIteratorBaseET_S7_EUlffE_EENS0_6memory8policies11unroll_baseILi512ESt5arrayIPcLm3EE23TrivialOffsetCalculatorILi2EjESG_ILi1EjENSA_12LoadWithCastILi2EEENSA_13StoreWithCastILi1EEELi32ELi1EEEEEvT0_T1_.uses_flat_scratch)
	.set _ZN2at6native39vectorized_templated_elementwise_kernelILi4ENS0_13BinaryFunctorIfffZNS0_12_GLOBAL__N_121threshold_kernel_implIfEEvRNS_18TensorIteratorBaseET_S7_EUlffE_EESt5arrayIPcLm3EE23TrivialOffsetCalculatorILi2EjESD_ILi1EjENS0_6memory12LoadWithCastILi2EEENSG_13StoreWithCastILi1EEEfJN3c108BFloat16EfEEEviT0_T1_T2_T3_T4_T5_.has_dyn_sized_stack, or(0, .L_ZN2at6native25elementwise_kernel_helperILb1ENS0_13BinaryFunctorIfffZNS0_12_GLOBAL__N_121threshold_kernel_implIfEEvRNS_18TensorIteratorBaseET_S7_EUlffE_EENS0_6memory8policies11unroll_baseILi512ESt5arrayIPcLm3EE23TrivialOffsetCalculatorILi2EjESG_ILi1EjENSA_12LoadWithCastILi2EEENSA_13StoreWithCastILi1EEELi32ELi1EEEEEvT0_T1_.has_dyn_sized_stack)
	.set _ZN2at6native39vectorized_templated_elementwise_kernelILi4ENS0_13BinaryFunctorIfffZNS0_12_GLOBAL__N_121threshold_kernel_implIfEEvRNS_18TensorIteratorBaseET_S7_EUlffE_EESt5arrayIPcLm3EE23TrivialOffsetCalculatorILi2EjESD_ILi1EjENS0_6memory12LoadWithCastILi2EEENSG_13StoreWithCastILi1EEEfJN3c108BFloat16EfEEEviT0_T1_T2_T3_T4_T5_.has_recursion, or(0, .L_ZN2at6native25elementwise_kernel_helperILb1ENS0_13BinaryFunctorIfffZNS0_12_GLOBAL__N_121threshold_kernel_implIfEEvRNS_18TensorIteratorBaseET_S7_EUlffE_EENS0_6memory8policies11unroll_baseILi512ESt5arrayIPcLm3EE23TrivialOffsetCalculatorILi2EjESG_ILi1EjENSA_12LoadWithCastILi2EEENSA_13StoreWithCastILi1EEELi32ELi1EEEEEvT0_T1_.has_recursion)
	.set _ZN2at6native39vectorized_templated_elementwise_kernelILi4ENS0_13BinaryFunctorIfffZNS0_12_GLOBAL__N_121threshold_kernel_implIfEEvRNS_18TensorIteratorBaseET_S7_EUlffE_EESt5arrayIPcLm3EE23TrivialOffsetCalculatorILi2EjESD_ILi1EjENS0_6memory12LoadWithCastILi2EEENSG_13StoreWithCastILi1EEEfJN3c108BFloat16EfEEEviT0_T1_T2_T3_T4_T5_.has_indirect_call, or(0, .L_ZN2at6native25elementwise_kernel_helperILb1ENS0_13BinaryFunctorIfffZNS0_12_GLOBAL__N_121threshold_kernel_implIfEEvRNS_18TensorIteratorBaseET_S7_EUlffE_EENS0_6memory8policies11unroll_baseILi512ESt5arrayIPcLm3EE23TrivialOffsetCalculatorILi2EjESG_ILi1EjENSA_12LoadWithCastILi2EEENSA_13StoreWithCastILi1EEELi32ELi1EEEEEvT0_T1_.has_indirect_call)
	.section	.AMDGPU.csdata,"",@progbits
; Kernel info:
; codeLenInByte = 1172
; TotalNumSgprs: 102
; NumVgprs: 119
; ScratchSize: 272
; MemoryBound: 0
; FloatMode: 240
; IeeeMode: 1
; LDSByteSize: 0 bytes/workgroup (compile time only)
; SGPRBlocks: 12
; VGPRBlocks: 29
; NumSGPRsForWavesPerEU: 102
; NumVGPRsForWavesPerEU: 119
; Occupancy: 2
; WaveLimiterHint : 1
; COMPUTE_PGM_RSRC2:SCRATCH_EN: 1
; COMPUTE_PGM_RSRC2:USER_SGPR: 6
; COMPUTE_PGM_RSRC2:TRAP_HANDLER: 0
; COMPUTE_PGM_RSRC2:TGID_X_EN: 1
; COMPUTE_PGM_RSRC2:TGID_Y_EN: 0
; COMPUTE_PGM_RSRC2:TGID_Z_EN: 0
; COMPUTE_PGM_RSRC2:TIDIG_COMP_CNT: 0
	.section	.text._ZN2at6native39vectorized_templated_elementwise_kernelILi2ENS0_13BinaryFunctorIfffZNS0_12_GLOBAL__N_121threshold_kernel_implIfEEvRNS_18TensorIteratorBaseET_S7_EUlffE_EESt5arrayIPcLm3EE23TrivialOffsetCalculatorILi2EjESD_ILi1EjENS0_6memory12LoadWithCastILi2EEENSG_13StoreWithCastILi1EEEfJN3c108BFloat16EfEEEviT0_T1_T2_T3_T4_T5_,"axG",@progbits,_ZN2at6native39vectorized_templated_elementwise_kernelILi2ENS0_13BinaryFunctorIfffZNS0_12_GLOBAL__N_121threshold_kernel_implIfEEvRNS_18TensorIteratorBaseET_S7_EUlffE_EESt5arrayIPcLm3EE23TrivialOffsetCalculatorILi2EjESD_ILi1EjENS0_6memory12LoadWithCastILi2EEENSG_13StoreWithCastILi1EEEfJN3c108BFloat16EfEEEviT0_T1_T2_T3_T4_T5_,comdat
	.globl	_ZN2at6native39vectorized_templated_elementwise_kernelILi2ENS0_13BinaryFunctorIfffZNS0_12_GLOBAL__N_121threshold_kernel_implIfEEvRNS_18TensorIteratorBaseET_S7_EUlffE_EESt5arrayIPcLm3EE23TrivialOffsetCalculatorILi2EjESD_ILi1EjENS0_6memory12LoadWithCastILi2EEENSG_13StoreWithCastILi1EEEfJN3c108BFloat16EfEEEviT0_T1_T2_T3_T4_T5_ ; -- Begin function _ZN2at6native39vectorized_templated_elementwise_kernelILi2ENS0_13BinaryFunctorIfffZNS0_12_GLOBAL__N_121threshold_kernel_implIfEEvRNS_18TensorIteratorBaseET_S7_EUlffE_EESt5arrayIPcLm3EE23TrivialOffsetCalculatorILi2EjESD_ILi1EjENS0_6memory12LoadWithCastILi2EEENSG_13StoreWithCastILi1EEEfJN3c108BFloat16EfEEEviT0_T1_T2_T3_T4_T5_
	.p2align	8
	.type	_ZN2at6native39vectorized_templated_elementwise_kernelILi2ENS0_13BinaryFunctorIfffZNS0_12_GLOBAL__N_121threshold_kernel_implIfEEvRNS_18TensorIteratorBaseET_S7_EUlffE_EESt5arrayIPcLm3EE23TrivialOffsetCalculatorILi2EjESD_ILi1EjENS0_6memory12LoadWithCastILi2EEENSG_13StoreWithCastILi1EEEfJN3c108BFloat16EfEEEviT0_T1_T2_T3_T4_T5_,@function
_ZN2at6native39vectorized_templated_elementwise_kernelILi2ENS0_13BinaryFunctorIfffZNS0_12_GLOBAL__N_121threshold_kernel_implIfEEvRNS_18TensorIteratorBaseET_S7_EUlffE_EESt5arrayIPcLm3EE23TrivialOffsetCalculatorILi2EjESD_ILi1EjENS0_6memory12LoadWithCastILi2EEENSG_13StoreWithCastILi1EEEfJN3c108BFloat16EfEEEviT0_T1_T2_T3_T4_T5_: ; @_ZN2at6native39vectorized_templated_elementwise_kernelILi2ENS0_13BinaryFunctorIfffZNS0_12_GLOBAL__N_121threshold_kernel_implIfEEvRNS_18TensorIteratorBaseET_S7_EUlffE_EESt5arrayIPcLm3EE23TrivialOffsetCalculatorILi2EjESD_ILi1EjENS0_6memory12LoadWithCastILi2EEENSG_13StoreWithCastILi1EEEfJN3c108BFloat16EfEEEviT0_T1_T2_T3_T4_T5_
; %bb.0:
	s_add_u32 s0, s0, s7
	s_load_dword s7, s[4:5], 0x40
	s_load_dwordx8 s[12:19], s[4:5], 0x0
	s_load_dwordx2 s[10:11], s[4:5], 0x20
	s_addc_u32 s1, s1, 0
	s_not_b32 s8, s6
	s_waitcnt lgkmcnt(0)
	s_add_i32 s7, s7, s8
	s_lshl_b32 s8, s7, 14
	s_sub_i32 s7, s12, s8
	s_cmpk_gt_i32 s7, 0x3fff
	s_mov_b64 s[20:21], -1
	s_mov_b32 s32, 0
	s_cbranch_scc1 .LBB172_3
; %bb.1:
	s_andn2_b64 vcc, exec, s[20:21]
	s_cbranch_vccz .LBB172_4
.LBB172_2:
	s_endpgm
.LBB172_3:
	s_ashr_i32 s9, s8, 31
	s_lshl_b64 s[20:21], s[8:9], 1
	s_add_u32 s22, s18, s20
	s_addc_u32 s23, s19, s21
	v_lshlrev_b32_e32 v3, 2, v0
	v_mov_b32_e32 v1, s23
	v_add_co_u32_e32 v20, vcc, s22, v3
	v_addc_co_u32_e32 v21, vcc, 0, v1, vcc
	s_movk_i32 s12, 0x2000
	s_lshl_b64 s[8:9], s[8:9], 2
	s_add_u32 s20, s10, s8
	v_add_co_u32_e32 v6, vcc, s12, v20
	s_addc_u32 s21, s11, s9
	v_lshlrev_b32_e32 v1, 3, v0
	v_addc_co_u32_e32 v7, vcc, 0, v21, vcc
	v_mov_b32_e32 v2, s21
	v_add_co_u32_e32 v32, vcc, s20, v1
	global_load_dword v28, v3, s[22:23] offset:2048
	global_load_dword v29, v[6:7], off offset:-4096
	v_addc_co_u32_e32 v33, vcc, 0, v2, vcc
	v_add_co_u32_e32 v4, vcc, s12, v32
	v_addc_co_u32_e32 v5, vcc, 0, v33, vcc
	global_load_dwordx2 v[8:9], v[4:5], off offset:-4096
	global_load_dwordx2 v[10:11], v[4:5], off
	s_movk_i32 s25, 0x1000
	v_add_co_u32_e32 v4, vcc, s25, v20
	s_movk_i32 s26, 0x3000
	v_addc_co_u32_e32 v5, vcc, 0, v21, vcc
	v_add_co_u32_e32 v12, vcc, s26, v20
	s_movk_i32 s27, 0x5000
	v_addc_co_u32_e32 v13, vcc, 0, v21, vcc
	;; [unrolled: 3-line block ×5, first 2 shown]
	v_add_co_u32_e32 v20, vcc, s15, v20
	v_addc_co_u32_e32 v21, vcc, 0, v21, vcc
	global_load_dword v44, v[4:5], off offset:2048
	v_add_co_u32_e32 v22, vcc, s24, v32
	v_addc_co_u32_e32 v23, vcc, 0, v33, vcc
	global_load_dwordx2 v[24:25], v[22:23], off offset:-4096
	global_load_dword v45, v[6:7], off
	global_load_dword v46, v[6:7], off offset:2048
	global_load_dword v47, v[18:19], off offset:-4096
	global_load_dword v48, v[18:19], off
	global_load_dword v49, v[18:19], off offset:2048
	global_load_dword v50, v[20:21], off offset:-4096
	global_load_dword v51, v[20:21], off
	global_load_dwordx2 v[26:27], v[22:23], off
	global_load_dword v52, v[12:13], off offset:2048
	global_load_dword v53, v[14:15], off offset:2048
	global_load_dword v5, v[16:17], off
	global_load_dword v4, v[16:17], off offset:2048
	global_load_dword v54, v3, s[22:23]
	v_add_co_u32_e32 v6, vcc, s15, v32
	v_addc_co_u32_e32 v7, vcc, 0, v33, vcc
	v_mov_b32_e32 v2, s14
	s_mov_b32 s25, 0x8000
	global_load_dwordx2 v[12:13], v[6:7], off offset:-4096
	s_mov_b32 s23, 0xa000
	s_mov_b32 s22, 0xc000
	;; [unrolled: 1-line block ×4, first 2 shown]
	s_add_u32 s8, s16, s8
	s_addc_u32 s9, s17, s9
	s_waitcnt vmcnt(19)
	v_lshlrev_b32_e32 v14, 16, v28
	v_and_b32_e32 v3, 0xffff0000, v28
	v_cmp_nge_f32_e32 vcc, s13, v14
	s_waitcnt vmcnt(18)
	v_lshlrev_b32_e32 v16, 16, v29
	v_and_b32_e32 v15, 0xffff0000, v29
	s_waitcnt vmcnt(17)
	v_cndmask_b32_e32 v8, v2, v8, vcc
	v_cmp_nge_f32_e32 vcc, s13, v3
	v_cndmask_b32_e32 v9, v2, v9, vcc
	v_cmp_nge_f32_e32 vcc, s13, v16
	s_waitcnt vmcnt(16)
	v_cndmask_b32_e32 v10, v2, v10, vcc
	v_cmp_nge_f32_e32 vcc, s13, v15
	v_cndmask_b32_e32 v11, v2, v11, vcc
	v_add_co_u32_e32 v14, vcc, s25, v32
	v_addc_co_u32_e32 v15, vcc, 0, v33, vcc
	global_load_dwordx2 v[16:17], v[14:15], off offset:-4096
	v_add_co_u32_e32 v18, vcc, s23, v32
	global_load_dwordx2 v[6:7], v[6:7], off
	v_addc_co_u32_e32 v19, vcc, 0, v33, vcc
	global_load_dwordx2 v[14:15], v[14:15], off
	s_nop 0
	global_load_dword v3, v[20:21], off offset:2048
	v_add_co_u32_e32 v20, vcc, s22, v32
	v_addc_co_u32_e32 v21, vcc, 0, v33, vcc
	v_add_co_u32_e32 v22, vcc, s27, v32
	v_addc_co_u32_e32 v23, vcc, 0, v33, vcc
	global_load_dwordx2 v[28:29], v[22:23], off
	global_load_dwordx2 v[30:31], v1, s[20:21]
	v_add_co_u32_e32 v22, vcc, s26, v32
	v_addc_co_u32_e32 v23, vcc, 0, v33, vcc
	global_load_dwordx2 v[32:33], v[18:19], off offset:-4096
	global_load_dwordx2 v[34:35], v[18:19], off
	global_load_dwordx2 v[36:37], v[20:21], off offset:-4096
	global_load_dwordx2 v[38:39], v[20:21], off
	;; [unrolled: 2-line block ×3, first 2 shown]
	v_mov_b32_e32 v18, s9
	v_add_co_u32_e32 v20, vcc, s8, v1
	v_addc_co_u32_e32 v21, vcc, 0, v18, vcc
	v_add_co_u32_e32 v18, vcc, s12, v20
	v_addc_co_u32_e32 v19, vcc, 0, v21, vcc
	global_store_dwordx2 v[18:19], v[8:9], off offset:-4096
	global_store_dwordx2 v[18:19], v[10:11], off
	s_waitcnt vmcnt(29)
	v_lshlrev_b32_e32 v8, 16, v44
	v_and_b32_e32 v9, 0xffff0000, v44
	v_cmp_nge_f32_e32 vcc, s13, v8
	s_waitcnt vmcnt(28)
	v_cndmask_b32_e32 v8, v2, v24, vcc
	v_cmp_nge_f32_e32 vcc, s13, v9
	s_waitcnt vmcnt(27)
	v_lshlrev_b32_e32 v10, 16, v45
	v_cndmask_b32_e32 v9, v2, v25, vcc
	v_and_b32_e32 v11, 0xffff0000, v45
	v_cmp_nge_f32_e32 vcc, s13, v10
	s_waitcnt vmcnt(20)
	v_cndmask_b32_e32 v10, v2, v26, vcc
	v_cmp_nge_f32_e32 vcc, s13, v11
	v_cndmask_b32_e32 v11, v2, v27, vcc
	v_add_co_u32_e32 v18, vcc, s24, v20
	v_addc_co_u32_e32 v19, vcc, 0, v21, vcc
	global_store_dwordx2 v[18:19], v[8:9], off offset:-4096
	global_store_dwordx2 v[18:19], v[10:11], off
	v_lshlrev_b32_e32 v8, 16, v46
	v_and_b32_e32 v9, 0xffff0000, v46
	v_cmp_nge_f32_e32 vcc, s13, v8
	s_waitcnt vmcnt(16)
	v_cndmask_b32_e32 v8, v2, v12, vcc
	v_cmp_nge_f32_e32 vcc, s13, v9
	v_lshlrev_b32_e32 v11, 16, v47
	v_cndmask_b32_e32 v9, v2, v13, vcc
	v_and_b32_e32 v10, 0xffff0000, v47
	v_cmp_nge_f32_e32 vcc, s13, v11
	v_lshlrev_b32_e32 v12, 16, v53
	v_and_b32_e32 v13, 0xffff0000, v53
	s_mov_b32 s12, 0xd000
	s_waitcnt vmcnt(14)
	v_cndmask_b32_e32 v6, v2, v6, vcc
	v_cmp_nge_f32_e32 vcc, s13, v10
	v_cndmask_b32_e32 v7, v2, v7, vcc
	v_add_co_u32_e32 v10, vcc, s15, v20
	v_addc_co_u32_e32 v11, vcc, 0, v21, vcc
	global_store_dwordx2 v[10:11], v[8:9], off offset:-4096
	global_store_dwordx2 v[10:11], v[6:7], off
	v_lshlrev_b32_e32 v6, 16, v52
	v_and_b32_e32 v7, 0xffff0000, v52
	v_cmp_nge_f32_e32 vcc, s13, v6
	v_cndmask_b32_e32 v6, v2, v16, vcc
	v_cmp_nge_f32_e32 vcc, s13, v7
	v_lshlrev_b32_e32 v8, 16, v48
	v_cndmask_b32_e32 v7, v2, v17, vcc
	v_and_b32_e32 v9, 0xffff0000, v48
	v_cmp_nge_f32_e32 vcc, s13, v8
	s_waitcnt vmcnt(15)
	v_cndmask_b32_e32 v8, v2, v14, vcc
	v_cmp_nge_f32_e32 vcc, s13, v9
	v_cndmask_b32_e32 v9, v2, v15, vcc
	v_add_co_u32_e32 v10, vcc, s25, v20
	v_addc_co_u32_e32 v11, vcc, 0, v21, vcc
	global_store_dwordx2 v[10:11], v[6:7], off offset:-4096
	global_store_dwordx2 v[10:11], v[8:9], off
	v_lshlrev_b32_e32 v6, 16, v54
	v_and_b32_e32 v7, 0xffff0000, v54
	v_cmp_nge_f32_e32 vcc, s13, v6
	s_waitcnt vmcnt(14)
	v_cndmask_b32_e32 v6, v2, v30, vcc
	v_cmp_nge_f32_e32 vcc, s13, v7
	v_lshlrev_b32_e32 v8, 16, v49
	v_cndmask_b32_e32 v7, v2, v31, vcc
	v_and_b32_e32 v9, 0xffff0000, v49
	v_cmp_nge_f32_e32 vcc, s13, v8
	s_waitcnt vmcnt(13)
	v_cndmask_b32_e32 v8, v2, v32, vcc
	v_cmp_nge_f32_e32 vcc, s13, v9
	v_lshlrev_b32_e32 v10, 16, v50
	v_cndmask_b32_e32 v9, v2, v33, vcc
	v_and_b32_e32 v11, 0xffff0000, v50
	v_cmp_nge_f32_e32 vcc, s13, v10
	s_waitcnt vmcnt(12)
	v_cndmask_b32_e32 v10, v2, v34, vcc
	v_cmp_nge_f32_e32 vcc, s13, v11
	v_cndmask_b32_e32 v11, v2, v35, vcc
	v_cmp_nge_f32_e32 vcc, s13, v12
	s_waitcnt vmcnt(11)
	v_cndmask_b32_e32 v12, v2, v36, vcc
	v_cmp_nge_f32_e32 vcc, s13, v13
	v_lshlrev_b32_e32 v14, 16, v51
	v_cndmask_b32_e32 v13, v2, v37, vcc
	v_and_b32_e32 v15, 0xffff0000, v51
	v_cmp_nge_f32_e32 vcc, s13, v14
	s_waitcnt vmcnt(10)
	v_cndmask_b32_e32 v14, v2, v38, vcc
	v_cmp_nge_f32_e32 vcc, s13, v15
	v_and_b32_e32 v17, 0xffff0000, v3
	v_lshlrev_b32_e32 v3, 16, v3
	v_cndmask_b32_e32 v15, v2, v39, vcc
	v_cmp_nge_f32_e32 vcc, s13, v3
	s_waitcnt vmcnt(9)
	v_cndmask_b32_e32 v16, v2, v40, vcc
	v_cmp_nge_f32_e32 vcc, s13, v17
	v_and_b32_e32 v3, 0xffff0000, v5
	v_lshlrev_b32_e32 v5, 16, v5
	v_cndmask_b32_e32 v17, v2, v41, vcc
	v_cmp_nge_f32_e32 vcc, s13, v5
	s_waitcnt vmcnt(8)
	v_cndmask_b32_e32 v18, v2, v42, vcc
	v_cmp_nge_f32_e32 vcc, s13, v3
	v_lshlrev_b32_e32 v3, 16, v4
	v_cndmask_b32_e32 v19, v2, v43, vcc
	v_and_b32_e32 v5, 0xffff0000, v4
	v_cmp_nge_f32_e32 vcc, s13, v3
	v_cndmask_b32_e32 v3, v2, v28, vcc
	v_cmp_nge_f32_e32 vcc, s13, v5
	v_cndmask_b32_e32 v4, v2, v29, vcc
	global_store_dwordx2 v1, v[6:7], s[8:9]
	v_add_co_u32_e32 v1, vcc, s23, v20
	v_addc_co_u32_e32 v2, vcc, 0, v21, vcc
	global_store_dwordx2 v[1:2], v[8:9], off offset:-4096
	global_store_dwordx2 v[1:2], v[10:11], off
	v_add_co_u32_e32 v1, vcc, s22, v20
	v_addc_co_u32_e32 v2, vcc, 0, v21, vcc
	global_store_dwordx2 v[1:2], v[12:13], off offset:-4096
	global_store_dwordx2 v[1:2], v[14:15], off
	v_add_co_u32_e32 v1, vcc, s12, v20
	v_addc_co_u32_e32 v2, vcc, 0, v21, vcc
	global_store_dwordx2 v[1:2], v[16:17], off
	v_add_co_u32_e32 v1, vcc, 0xe000, v20
	v_addc_co_u32_e32 v2, vcc, 0, v21, vcc
	;; [unrolled: 3-line block ×3, first 2 shown]
	global_store_dwordx2 v[1:2], v[3:4], off
	s_cbranch_execnz .LBB172_2
.LBB172_4:
	s_load_dword s15, s[4:5], 0x2c
	s_load_dwordx4 s[20:23], s[4:5], 0x30
	s_mov_b32 s12, s6
	v_mov_b32_e32 v31, v0
	v_mov_b32_e32 v0, s13
	s_waitcnt lgkmcnt(0)
	s_bfe_u32 s24, s15, 0x80008
	s_add_u32 s8, s4, 64
	s_addc_u32 s9, s5, 0
	s_getpc_b64 s[4:5]
	s_add_u32 s4, s4, _ZN2at6native25elementwise_kernel_helperILb1ENS0_13BinaryFunctorIfffZNS0_12_GLOBAL__N_121threshold_kernel_implIfEEvRNS_18TensorIteratorBaseET_S7_EUlffE_EENS0_6memory8policies11unroll_baseILi512ESt5arrayIPcLm3EE23TrivialOffsetCalculatorILi2EjESG_ILi1EjENSA_12LoadWithCastILi2EEENSA_13StoreWithCastILi1EEELi32ELi1EEEEEvT0_T1_@rel32@lo+4
	s_addc_u32 s5, s5, _ZN2at6native25elementwise_kernel_helperILb1ENS0_13BinaryFunctorIfffZNS0_12_GLOBAL__N_121threshold_kernel_implIfEEvRNS_18TensorIteratorBaseET_S7_EUlffE_EENS0_6memory8policies11unroll_baseILi512ESt5arrayIPcLm3EE23TrivialOffsetCalculatorILi2EjESG_ILi1EjENSA_12LoadWithCastILi2EEENSA_13StoreWithCastILi1EEELi32ELi1EEEEEvT0_T1_@rel32@hi+12
	v_mov_b32_e32 v1, s14
	v_mov_b32_e32 v2, s16
	v_mov_b32_e32 v3, s17
	v_mov_b32_e32 v4, s18
	v_mov_b32_e32 v5, s19
	v_mov_b32_e32 v6, s10
	v_mov_b32_e32 v7, s11
	v_mov_b32_e32 v8, s7
	v_mov_b32_e32 v9, s15
	v_mov_b32_e32 v10, s24
	v_mov_b32_e32 v11, s20
	v_mov_b32_e32 v12, s21
	v_mov_b32_e32 v13, s22
	v_mov_b32_e32 v14, s23
	s_swappc_b64 s[30:31], s[4:5]
	s_endpgm
	.section	.rodata,"a",@progbits
	.p2align	6, 0x0
	.amdhsa_kernel _ZN2at6native39vectorized_templated_elementwise_kernelILi2ENS0_13BinaryFunctorIfffZNS0_12_GLOBAL__N_121threshold_kernel_implIfEEvRNS_18TensorIteratorBaseET_S7_EUlffE_EESt5arrayIPcLm3EE23TrivialOffsetCalculatorILi2EjESD_ILi1EjENS0_6memory12LoadWithCastILi2EEENSG_13StoreWithCastILi1EEEfJN3c108BFloat16EfEEEviT0_T1_T2_T3_T4_T5_
		.amdhsa_group_segment_fixed_size 0
		.amdhsa_private_segment_fixed_size 272
		.amdhsa_kernarg_size 320
		.amdhsa_user_sgpr_count 6
		.amdhsa_user_sgpr_private_segment_buffer 1
		.amdhsa_user_sgpr_dispatch_ptr 0
		.amdhsa_user_sgpr_queue_ptr 0
		.amdhsa_user_sgpr_kernarg_segment_ptr 1
		.amdhsa_user_sgpr_dispatch_id 0
		.amdhsa_user_sgpr_flat_scratch_init 0
		.amdhsa_user_sgpr_private_segment_size 0
		.amdhsa_uses_dynamic_stack 0
		.amdhsa_system_sgpr_private_segment_wavefront_offset 1
		.amdhsa_system_sgpr_workgroup_id_x 1
		.amdhsa_system_sgpr_workgroup_id_y 0
		.amdhsa_system_sgpr_workgroup_id_z 0
		.amdhsa_system_sgpr_workgroup_info 0
		.amdhsa_system_vgpr_workitem_id 0
		.amdhsa_next_free_vgpr 119
		.amdhsa_next_free_sgpr 98
		.amdhsa_reserve_vcc 1
		.amdhsa_reserve_flat_scratch 0
		.amdhsa_float_round_mode_32 0
		.amdhsa_float_round_mode_16_64 0
		.amdhsa_float_denorm_mode_32 3
		.amdhsa_float_denorm_mode_16_64 3
		.amdhsa_dx10_clamp 1
		.amdhsa_ieee_mode 1
		.amdhsa_fp16_overflow 0
		.amdhsa_exception_fp_ieee_invalid_op 0
		.amdhsa_exception_fp_denorm_src 0
		.amdhsa_exception_fp_ieee_div_zero 0
		.amdhsa_exception_fp_ieee_overflow 0
		.amdhsa_exception_fp_ieee_underflow 0
		.amdhsa_exception_fp_ieee_inexact 0
		.amdhsa_exception_int_div_zero 0
	.end_amdhsa_kernel
	.section	.text._ZN2at6native39vectorized_templated_elementwise_kernelILi2ENS0_13BinaryFunctorIfffZNS0_12_GLOBAL__N_121threshold_kernel_implIfEEvRNS_18TensorIteratorBaseET_S7_EUlffE_EESt5arrayIPcLm3EE23TrivialOffsetCalculatorILi2EjESD_ILi1EjENS0_6memory12LoadWithCastILi2EEENSG_13StoreWithCastILi1EEEfJN3c108BFloat16EfEEEviT0_T1_T2_T3_T4_T5_,"axG",@progbits,_ZN2at6native39vectorized_templated_elementwise_kernelILi2ENS0_13BinaryFunctorIfffZNS0_12_GLOBAL__N_121threshold_kernel_implIfEEvRNS_18TensorIteratorBaseET_S7_EUlffE_EESt5arrayIPcLm3EE23TrivialOffsetCalculatorILi2EjESD_ILi1EjENS0_6memory12LoadWithCastILi2EEENSG_13StoreWithCastILi1EEEfJN3c108BFloat16EfEEEviT0_T1_T2_T3_T4_T5_,comdat
.Lfunc_end172:
	.size	_ZN2at6native39vectorized_templated_elementwise_kernelILi2ENS0_13BinaryFunctorIfffZNS0_12_GLOBAL__N_121threshold_kernel_implIfEEvRNS_18TensorIteratorBaseET_S7_EUlffE_EESt5arrayIPcLm3EE23TrivialOffsetCalculatorILi2EjESD_ILi1EjENS0_6memory12LoadWithCastILi2EEENSG_13StoreWithCastILi1EEEfJN3c108BFloat16EfEEEviT0_T1_T2_T3_T4_T5_, .Lfunc_end172-_ZN2at6native39vectorized_templated_elementwise_kernelILi2ENS0_13BinaryFunctorIfffZNS0_12_GLOBAL__N_121threshold_kernel_implIfEEvRNS_18TensorIteratorBaseET_S7_EUlffE_EESt5arrayIPcLm3EE23TrivialOffsetCalculatorILi2EjESD_ILi1EjENS0_6memory12LoadWithCastILi2EEENSG_13StoreWithCastILi1EEEfJN3c108BFloat16EfEEEviT0_T1_T2_T3_T4_T5_
                                        ; -- End function
	.set _ZN2at6native39vectorized_templated_elementwise_kernelILi2ENS0_13BinaryFunctorIfffZNS0_12_GLOBAL__N_121threshold_kernel_implIfEEvRNS_18TensorIteratorBaseET_S7_EUlffE_EESt5arrayIPcLm3EE23TrivialOffsetCalculatorILi2EjESD_ILi1EjENS0_6memory12LoadWithCastILi2EEENSG_13StoreWithCastILi1EEEfJN3c108BFloat16EfEEEviT0_T1_T2_T3_T4_T5_.num_vgpr, max(55, .L_ZN2at6native25elementwise_kernel_helperILb1ENS0_13BinaryFunctorIfffZNS0_12_GLOBAL__N_121threshold_kernel_implIfEEvRNS_18TensorIteratorBaseET_S7_EUlffE_EENS0_6memory8policies11unroll_baseILi512ESt5arrayIPcLm3EE23TrivialOffsetCalculatorILi2EjESG_ILi1EjENSA_12LoadWithCastILi2EEENSA_13StoreWithCastILi1EEELi32ELi1EEEEEvT0_T1_.num_vgpr)
	.set _ZN2at6native39vectorized_templated_elementwise_kernelILi2ENS0_13BinaryFunctorIfffZNS0_12_GLOBAL__N_121threshold_kernel_implIfEEvRNS_18TensorIteratorBaseET_S7_EUlffE_EESt5arrayIPcLm3EE23TrivialOffsetCalculatorILi2EjESD_ILi1EjENS0_6memory12LoadWithCastILi2EEENSG_13StoreWithCastILi1EEEfJN3c108BFloat16EfEEEviT0_T1_T2_T3_T4_T5_.num_agpr, max(0, .L_ZN2at6native25elementwise_kernel_helperILb1ENS0_13BinaryFunctorIfffZNS0_12_GLOBAL__N_121threshold_kernel_implIfEEvRNS_18TensorIteratorBaseET_S7_EUlffE_EENS0_6memory8policies11unroll_baseILi512ESt5arrayIPcLm3EE23TrivialOffsetCalculatorILi2EjESG_ILi1EjENSA_12LoadWithCastILi2EEENSA_13StoreWithCastILi1EEELi32ELi1EEEEEvT0_T1_.num_agpr)
	.set _ZN2at6native39vectorized_templated_elementwise_kernelILi2ENS0_13BinaryFunctorIfffZNS0_12_GLOBAL__N_121threshold_kernel_implIfEEvRNS_18TensorIteratorBaseET_S7_EUlffE_EESt5arrayIPcLm3EE23TrivialOffsetCalculatorILi2EjESD_ILi1EjENS0_6memory12LoadWithCastILi2EEENSG_13StoreWithCastILi1EEEfJN3c108BFloat16EfEEEviT0_T1_T2_T3_T4_T5_.numbered_sgpr, max(33, .L_ZN2at6native25elementwise_kernel_helperILb1ENS0_13BinaryFunctorIfffZNS0_12_GLOBAL__N_121threshold_kernel_implIfEEvRNS_18TensorIteratorBaseET_S7_EUlffE_EENS0_6memory8policies11unroll_baseILi512ESt5arrayIPcLm3EE23TrivialOffsetCalculatorILi2EjESG_ILi1EjENSA_12LoadWithCastILi2EEENSA_13StoreWithCastILi1EEELi32ELi1EEEEEvT0_T1_.numbered_sgpr)
	.set _ZN2at6native39vectorized_templated_elementwise_kernelILi2ENS0_13BinaryFunctorIfffZNS0_12_GLOBAL__N_121threshold_kernel_implIfEEvRNS_18TensorIteratorBaseET_S7_EUlffE_EESt5arrayIPcLm3EE23TrivialOffsetCalculatorILi2EjESD_ILi1EjENS0_6memory12LoadWithCastILi2EEENSG_13StoreWithCastILi1EEEfJN3c108BFloat16EfEEEviT0_T1_T2_T3_T4_T5_.num_named_barrier, max(0, .L_ZN2at6native25elementwise_kernel_helperILb1ENS0_13BinaryFunctorIfffZNS0_12_GLOBAL__N_121threshold_kernel_implIfEEvRNS_18TensorIteratorBaseET_S7_EUlffE_EENS0_6memory8policies11unroll_baseILi512ESt5arrayIPcLm3EE23TrivialOffsetCalculatorILi2EjESG_ILi1EjENSA_12LoadWithCastILi2EEENSA_13StoreWithCastILi1EEELi32ELi1EEEEEvT0_T1_.num_named_barrier)
	.set _ZN2at6native39vectorized_templated_elementwise_kernelILi2ENS0_13BinaryFunctorIfffZNS0_12_GLOBAL__N_121threshold_kernel_implIfEEvRNS_18TensorIteratorBaseET_S7_EUlffE_EESt5arrayIPcLm3EE23TrivialOffsetCalculatorILi2EjESD_ILi1EjENS0_6memory12LoadWithCastILi2EEENSG_13StoreWithCastILi1EEEfJN3c108BFloat16EfEEEviT0_T1_T2_T3_T4_T5_.private_seg_size, 0+max(.L_ZN2at6native25elementwise_kernel_helperILb1ENS0_13BinaryFunctorIfffZNS0_12_GLOBAL__N_121threshold_kernel_implIfEEvRNS_18TensorIteratorBaseET_S7_EUlffE_EENS0_6memory8policies11unroll_baseILi512ESt5arrayIPcLm3EE23TrivialOffsetCalculatorILi2EjESG_ILi1EjENSA_12LoadWithCastILi2EEENSA_13StoreWithCastILi1EEELi32ELi1EEEEEvT0_T1_.private_seg_size)
	.set _ZN2at6native39vectorized_templated_elementwise_kernelILi2ENS0_13BinaryFunctorIfffZNS0_12_GLOBAL__N_121threshold_kernel_implIfEEvRNS_18TensorIteratorBaseET_S7_EUlffE_EESt5arrayIPcLm3EE23TrivialOffsetCalculatorILi2EjESD_ILi1EjENS0_6memory12LoadWithCastILi2EEENSG_13StoreWithCastILi1EEEfJN3c108BFloat16EfEEEviT0_T1_T2_T3_T4_T5_.uses_vcc, or(1, .L_ZN2at6native25elementwise_kernel_helperILb1ENS0_13BinaryFunctorIfffZNS0_12_GLOBAL__N_121threshold_kernel_implIfEEvRNS_18TensorIteratorBaseET_S7_EUlffE_EENS0_6memory8policies11unroll_baseILi512ESt5arrayIPcLm3EE23TrivialOffsetCalculatorILi2EjESG_ILi1EjENSA_12LoadWithCastILi2EEENSA_13StoreWithCastILi1EEELi32ELi1EEEEEvT0_T1_.uses_vcc)
	.set _ZN2at6native39vectorized_templated_elementwise_kernelILi2ENS0_13BinaryFunctorIfffZNS0_12_GLOBAL__N_121threshold_kernel_implIfEEvRNS_18TensorIteratorBaseET_S7_EUlffE_EESt5arrayIPcLm3EE23TrivialOffsetCalculatorILi2EjESD_ILi1EjENS0_6memory12LoadWithCastILi2EEENSG_13StoreWithCastILi1EEEfJN3c108BFloat16EfEEEviT0_T1_T2_T3_T4_T5_.uses_flat_scratch, or(0, .L_ZN2at6native25elementwise_kernel_helperILb1ENS0_13BinaryFunctorIfffZNS0_12_GLOBAL__N_121threshold_kernel_implIfEEvRNS_18TensorIteratorBaseET_S7_EUlffE_EENS0_6memory8policies11unroll_baseILi512ESt5arrayIPcLm3EE23TrivialOffsetCalculatorILi2EjESG_ILi1EjENSA_12LoadWithCastILi2EEENSA_13StoreWithCastILi1EEELi32ELi1EEEEEvT0_T1_.uses_flat_scratch)
	.set _ZN2at6native39vectorized_templated_elementwise_kernelILi2ENS0_13BinaryFunctorIfffZNS0_12_GLOBAL__N_121threshold_kernel_implIfEEvRNS_18TensorIteratorBaseET_S7_EUlffE_EESt5arrayIPcLm3EE23TrivialOffsetCalculatorILi2EjESD_ILi1EjENS0_6memory12LoadWithCastILi2EEENSG_13StoreWithCastILi1EEEfJN3c108BFloat16EfEEEviT0_T1_T2_T3_T4_T5_.has_dyn_sized_stack, or(0, .L_ZN2at6native25elementwise_kernel_helperILb1ENS0_13BinaryFunctorIfffZNS0_12_GLOBAL__N_121threshold_kernel_implIfEEvRNS_18TensorIteratorBaseET_S7_EUlffE_EENS0_6memory8policies11unroll_baseILi512ESt5arrayIPcLm3EE23TrivialOffsetCalculatorILi2EjESG_ILi1EjENSA_12LoadWithCastILi2EEENSA_13StoreWithCastILi1EEELi32ELi1EEEEEvT0_T1_.has_dyn_sized_stack)
	.set _ZN2at6native39vectorized_templated_elementwise_kernelILi2ENS0_13BinaryFunctorIfffZNS0_12_GLOBAL__N_121threshold_kernel_implIfEEvRNS_18TensorIteratorBaseET_S7_EUlffE_EESt5arrayIPcLm3EE23TrivialOffsetCalculatorILi2EjESD_ILi1EjENS0_6memory12LoadWithCastILi2EEENSG_13StoreWithCastILi1EEEfJN3c108BFloat16EfEEEviT0_T1_T2_T3_T4_T5_.has_recursion, or(0, .L_ZN2at6native25elementwise_kernel_helperILb1ENS0_13BinaryFunctorIfffZNS0_12_GLOBAL__N_121threshold_kernel_implIfEEvRNS_18TensorIteratorBaseET_S7_EUlffE_EENS0_6memory8policies11unroll_baseILi512ESt5arrayIPcLm3EE23TrivialOffsetCalculatorILi2EjESG_ILi1EjENSA_12LoadWithCastILi2EEENSA_13StoreWithCastILi1EEELi32ELi1EEEEEvT0_T1_.has_recursion)
	.set _ZN2at6native39vectorized_templated_elementwise_kernelILi2ENS0_13BinaryFunctorIfffZNS0_12_GLOBAL__N_121threshold_kernel_implIfEEvRNS_18TensorIteratorBaseET_S7_EUlffE_EESt5arrayIPcLm3EE23TrivialOffsetCalculatorILi2EjESD_ILi1EjENS0_6memory12LoadWithCastILi2EEENSG_13StoreWithCastILi1EEEfJN3c108BFloat16EfEEEviT0_T1_T2_T3_T4_T5_.has_indirect_call, or(0, .L_ZN2at6native25elementwise_kernel_helperILb1ENS0_13BinaryFunctorIfffZNS0_12_GLOBAL__N_121threshold_kernel_implIfEEvRNS_18TensorIteratorBaseET_S7_EUlffE_EENS0_6memory8policies11unroll_baseILi512ESt5arrayIPcLm3EE23TrivialOffsetCalculatorILi2EjESG_ILi1EjENSA_12LoadWithCastILi2EEENSA_13StoreWithCastILi1EEELi32ELi1EEEEEvT0_T1_.has_indirect_call)
	.section	.AMDGPU.csdata,"",@progbits
; Kernel info:
; codeLenInByte = 1484
; TotalNumSgprs: 102
; NumVgprs: 119
; ScratchSize: 272
; MemoryBound: 0
; FloatMode: 240
; IeeeMode: 1
; LDSByteSize: 0 bytes/workgroup (compile time only)
; SGPRBlocks: 12
; VGPRBlocks: 29
; NumSGPRsForWavesPerEU: 102
; NumVGPRsForWavesPerEU: 119
; Occupancy: 2
; WaveLimiterHint : 1
; COMPUTE_PGM_RSRC2:SCRATCH_EN: 1
; COMPUTE_PGM_RSRC2:USER_SGPR: 6
; COMPUTE_PGM_RSRC2:TRAP_HANDLER: 0
; COMPUTE_PGM_RSRC2:TGID_X_EN: 1
; COMPUTE_PGM_RSRC2:TGID_Y_EN: 0
; COMPUTE_PGM_RSRC2:TGID_Z_EN: 0
; COMPUTE_PGM_RSRC2:TIDIG_COMP_CNT: 0
	.section	.text._ZN2at6native39vectorized_templated_elementwise_kernelILi8ENS0_13BinaryFunctorIfffZNS0_12_GLOBAL__N_121threshold_kernel_implIfEEvRNS_18TensorIteratorBaseET_S7_EUlffE_EESt5arrayIPcLm3EE23TrivialOffsetCalculatorILi2EjESD_ILi1EjENS0_6memory12LoadWithCastILi2EEENSG_13StoreWithCastILi1EEEN3c108BFloat16EJSM_fEEEviT0_T1_T2_T3_T4_T5_,"axG",@progbits,_ZN2at6native39vectorized_templated_elementwise_kernelILi8ENS0_13BinaryFunctorIfffZNS0_12_GLOBAL__N_121threshold_kernel_implIfEEvRNS_18TensorIteratorBaseET_S7_EUlffE_EESt5arrayIPcLm3EE23TrivialOffsetCalculatorILi2EjESD_ILi1EjENS0_6memory12LoadWithCastILi2EEENSG_13StoreWithCastILi1EEEN3c108BFloat16EJSM_fEEEviT0_T1_T2_T3_T4_T5_,comdat
	.globl	_ZN2at6native39vectorized_templated_elementwise_kernelILi8ENS0_13BinaryFunctorIfffZNS0_12_GLOBAL__N_121threshold_kernel_implIfEEvRNS_18TensorIteratorBaseET_S7_EUlffE_EESt5arrayIPcLm3EE23TrivialOffsetCalculatorILi2EjESD_ILi1EjENS0_6memory12LoadWithCastILi2EEENSG_13StoreWithCastILi1EEEN3c108BFloat16EJSM_fEEEviT0_T1_T2_T3_T4_T5_ ; -- Begin function _ZN2at6native39vectorized_templated_elementwise_kernelILi8ENS0_13BinaryFunctorIfffZNS0_12_GLOBAL__N_121threshold_kernel_implIfEEvRNS_18TensorIteratorBaseET_S7_EUlffE_EESt5arrayIPcLm3EE23TrivialOffsetCalculatorILi2EjESD_ILi1EjENS0_6memory12LoadWithCastILi2EEENSG_13StoreWithCastILi1EEEN3c108BFloat16EJSM_fEEEviT0_T1_T2_T3_T4_T5_
	.p2align	8
	.type	_ZN2at6native39vectorized_templated_elementwise_kernelILi8ENS0_13BinaryFunctorIfffZNS0_12_GLOBAL__N_121threshold_kernel_implIfEEvRNS_18TensorIteratorBaseET_S7_EUlffE_EESt5arrayIPcLm3EE23TrivialOffsetCalculatorILi2EjESD_ILi1EjENS0_6memory12LoadWithCastILi2EEENSG_13StoreWithCastILi1EEEN3c108BFloat16EJSM_fEEEviT0_T1_T2_T3_T4_T5_,@function
_ZN2at6native39vectorized_templated_elementwise_kernelILi8ENS0_13BinaryFunctorIfffZNS0_12_GLOBAL__N_121threshold_kernel_implIfEEvRNS_18TensorIteratorBaseET_S7_EUlffE_EESt5arrayIPcLm3EE23TrivialOffsetCalculatorILi2EjESD_ILi1EjENS0_6memory12LoadWithCastILi2EEENSG_13StoreWithCastILi1EEEN3c108BFloat16EJSM_fEEEviT0_T1_T2_T3_T4_T5_: ; @_ZN2at6native39vectorized_templated_elementwise_kernelILi8ENS0_13BinaryFunctorIfffZNS0_12_GLOBAL__N_121threshold_kernel_implIfEEvRNS_18TensorIteratorBaseET_S7_EUlffE_EESt5arrayIPcLm3EE23TrivialOffsetCalculatorILi2EjESD_ILi1EjENS0_6memory12LoadWithCastILi2EEENSG_13StoreWithCastILi1EEEN3c108BFloat16EJSM_fEEEviT0_T1_T2_T3_T4_T5_
; %bb.0:
	s_add_u32 s0, s0, s7
	s_load_dword s7, s[4:5], 0x40
	s_load_dwordx8 s[12:19], s[4:5], 0x0
	s_load_dwordx2 s[10:11], s[4:5], 0x20
	s_addc_u32 s1, s1, 0
	s_not_b32 s8, s6
	s_waitcnt lgkmcnt(0)
	s_add_i32 s7, s7, s8
	s_lshl_b32 s8, s7, 14
	s_sub_i32 s7, s12, s8
	s_cmpk_gt_i32 s7, 0x3fff
	s_mov_b64 s[20:21], -1
	s_mov_b32 s32, 0
	s_cbranch_scc1 .LBB173_3
; %bb.1:
	s_andn2_b64 vcc, exec, s[20:21]
	s_cbranch_vccz .LBB173_4
.LBB173_2:
	s_endpgm
.LBB173_3:
	s_ashr_i32 s9, s8, 31
	s_lshl_b64 s[20:21], s[8:9], 1
	s_add_u32 s22, s18, s20
	s_addc_u32 s23, s19, s21
	v_lshlrev_b32_e32 v13, 4, v0
	s_lshl_b64 s[8:9], s[8:9], 2
	v_add_co_u32_e32 v42, vcc, s22, v13
	v_mov_b32_e32 v1, s23
	s_add_u32 s8, s10, s8
	v_addc_co_u32_e32 v43, vcc, 0, v1, vcc
	s_addc_u32 s9, s11, s9
	v_lshlrev_b32_e32 v22, 5, v0
	v_add_co_u32_e32 v1, vcc, s8, v22
	v_mov_b32_e32 v2, s9
	v_addc_co_u32_e32 v2, vcc, 0, v2, vcc
	s_movk_i32 s12, 0x4000
	v_add_co_u32_e32 v7, vcc, s12, v1
	v_addc_co_u32_e32 v8, vcc, 0, v2, vcc
	s_mov_b32 s15, 0x8000
	v_add_co_u32_e32 v5, vcc, s15, v1
	v_addc_co_u32_e32 v6, vcc, 0, v2, vcc
	s_mov_b32 s15, 0xc000
	v_add_co_u32_e32 v9, vcc, s15, v1
	s_add_u32 s20, s16, s20
	v_addc_co_u32_e32 v10, vcc, 0, v2, vcc
	s_addc_u32 s21, s17, s21
	v_add_co_u32_e32 v12, vcc, s20, v13
	v_mov_b32_e32 v1, s21
	v_addc_co_u32_e32 v11, vcc, 0, v1, vcc
	global_load_dwordx4 v[1:4], v13, s[22:23]
	global_load_dwordx4 v[18:21], v22, s[8:9] offset:16
	global_load_dwordx4 v[14:17], v22, s[8:9]
	v_mov_b32_e32 v31, 1
	s_movk_i32 s22, 0x7fff
	v_mov_b32_e32 v33, 0x7fc00000
	v_mov_b32_e32 v34, s14
	;; [unrolled: 1-line block ×3, first 2 shown]
	s_movk_i32 s15, 0x2000
	s_waitcnt vmcnt(2)
	v_lshlrev_b32_e32 v23, 16, v1
	s_waitcnt vmcnt(0)
	v_and_b32_sdwa v22, v15, v31 dst_sel:DWORD dst_unused:UNUSED_PAD src0_sel:WORD_1 src1_sel:DWORD
	v_and_b32_sdwa v24, v14, v31 dst_sel:DWORD dst_unused:UNUSED_PAD src0_sel:WORD_1 src1_sel:DWORD
	v_add3_u32 v22, v15, v22, s22
	v_add3_u32 v24, v14, v24, s22
	v_and_b32_e32 v22, 0xffff0000, v22
	v_cmp_o_f32_e32 vcc, v15, v15
	v_and_b32_e32 v24, 0xffff0000, v24
	v_cndmask_b32_e32 v15, v33, v22, vcc
	v_cmp_o_f32_e32 vcc, v14, v14
	v_and_b32_e32 v1, 0xffff0000, v1
	v_cndmask_b32_e32 v14, v33, v24, vcc
	v_cmp_nge_f32_e64 s[8:9], s13, v23
	v_cmp_nge_f32_e32 vcc, s13, v1
	v_cndmask_b32_e64 v1, v34, v14, s[8:9]
	v_cndmask_b32_e32 v15, v34, v15, vcc
	v_and_b32_sdwa v22, v1, v31 dst_sel:DWORD dst_unused:UNUSED_PAD src0_sel:WORD_1 src1_sel:DWORD
	v_and_b32_sdwa v14, v15, v31 dst_sel:DWORD dst_unused:UNUSED_PAD src0_sel:WORD_1 src1_sel:DWORD
	v_add3_u32 v22, v1, v22, s22
	v_add3_u32 v14, v15, v14, s22
	v_lshrrev_b32_e32 v22, 16, v22
	v_cmp_o_f32_e32 vcc, v1, v1
	v_lshrrev_b32_e32 v23, 16, v14
	v_cndmask_b32_e32 v14, v35, v22, vcc
	v_cmp_o_f32_e32 vcc, v15, v15
	v_and_b32_sdwa v22, v17, v31 dst_sel:DWORD dst_unused:UNUSED_PAD src0_sel:WORD_1 src1_sel:DWORD
	v_cndmask_b32_e32 v15, v35, v23, vcc
	v_and_b32_sdwa v23, v16, v31 dst_sel:DWORD dst_unused:UNUSED_PAD src0_sel:WORD_1 src1_sel:DWORD
	v_add3_u32 v22, v17, v22, s22
	v_add3_u32 v23, v16, v23, s22
	v_and_b32_e32 v22, 0xffff0000, v22
	v_cmp_o_f32_e32 vcc, v17, v17
	v_lshlrev_b32_e32 v1, 16, v2
	v_and_b32_e32 v23, 0xffff0000, v23
	v_cndmask_b32_e32 v17, v33, v22, vcc
	v_cmp_o_f32_e32 vcc, v16, v16
	v_and_b32_e32 v2, 0xffff0000, v2
	v_cndmask_b32_e32 v16, v33, v23, vcc
	v_cmp_nge_f32_e64 s[8:9], s13, v1
	v_cmp_nge_f32_e32 vcc, s13, v2
	v_cndmask_b32_e64 v1, v34, v16, s[8:9]
	v_cndmask_b32_e32 v2, v34, v17, vcc
	v_and_b32_sdwa v17, v1, v31 dst_sel:DWORD dst_unused:UNUSED_PAD src0_sel:WORD_1 src1_sel:DWORD
	v_and_b32_sdwa v16, v2, v31 dst_sel:DWORD dst_unused:UNUSED_PAD src0_sel:WORD_1 src1_sel:DWORD
	v_add3_u32 v17, v1, v17, s22
	v_add3_u32 v16, v2, v16, s22
	v_lshrrev_b32_e32 v17, 16, v17
	v_cmp_o_f32_e32 vcc, v1, v1
	v_lshrrev_b32_e32 v22, 16, v16
	v_cndmask_b32_e32 v16, v35, v17, vcc
	v_cmp_o_f32_e32 vcc, v2, v2
	v_lshlrev_b32_e32 v1, 16, v3
	v_and_b32_e32 v2, 0xffff0000, v3
	v_and_b32_sdwa v3, v19, v31 dst_sel:DWORD dst_unused:UNUSED_PAD src0_sel:WORD_1 src1_sel:DWORD
	v_cndmask_b32_e32 v17, v35, v22, vcc
	v_and_b32_sdwa v22, v18, v31 dst_sel:DWORD dst_unused:UNUSED_PAD src0_sel:WORD_1 src1_sel:DWORD
	v_add3_u32 v3, v19, v3, s22
	v_add3_u32 v22, v18, v22, s22
	v_and_b32_e32 v3, 0xffff0000, v3
	v_cmp_o_f32_e32 vcc, v19, v19
	v_and_b32_e32 v22, 0xffff0000, v22
	v_cndmask_b32_e32 v3, v33, v3, vcc
	v_cmp_o_f32_e32 vcc, v18, v18
	v_cndmask_b32_e32 v18, v33, v22, vcc
	v_cmp_nge_f32_e64 s[8:9], s13, v1
	v_cmp_nge_f32_e32 vcc, s13, v2
	v_cndmask_b32_e64 v1, v34, v18, s[8:9]
	v_cndmask_b32_e32 v2, v34, v3, vcc
	v_and_b32_sdwa v18, v1, v31 dst_sel:DWORD dst_unused:UNUSED_PAD src0_sel:WORD_1 src1_sel:DWORD
	v_and_b32_sdwa v3, v2, v31 dst_sel:DWORD dst_unused:UNUSED_PAD src0_sel:WORD_1 src1_sel:DWORD
	v_add3_u32 v18, v1, v18, s22
	v_add3_u32 v3, v2, v3, s22
	v_lshrrev_b32_e32 v18, 16, v18
	v_cmp_o_f32_e32 vcc, v1, v1
	v_lshrrev_b32_e32 v3, 16, v3
	v_cndmask_b32_e32 v18, v35, v18, vcc
	v_cmp_o_f32_e32 vcc, v2, v2
	v_cndmask_b32_e32 v19, v35, v3, vcc
	v_and_b32_sdwa v3, v21, v31 dst_sel:DWORD dst_unused:UNUSED_PAD src0_sel:WORD_1 src1_sel:DWORD
	v_lshlrev_b32_e32 v1, 16, v4
	v_and_b32_e32 v2, 0xffff0000, v4
	v_and_b32_sdwa v4, v20, v31 dst_sel:DWORD dst_unused:UNUSED_PAD src0_sel:WORD_1 src1_sel:DWORD
	v_add3_u32 v3, v21, v3, s22
	v_add3_u32 v4, v20, v4, s22
	v_and_b32_e32 v3, 0xffff0000, v3
	v_cmp_o_f32_e32 vcc, v21, v21
	v_and_b32_e32 v4, 0xffff0000, v4
	v_cndmask_b32_e32 v3, v33, v3, vcc
	v_cmp_o_f32_e32 vcc, v20, v20
	v_cndmask_b32_e32 v4, v33, v4, vcc
	v_cmp_nge_f32_e64 s[8:9], s13, v1
	v_cmp_nge_f32_e32 vcc, s13, v2
	v_cndmask_b32_e64 v1, v34, v4, s[8:9]
	v_cndmask_b32_e32 v2, v34, v3, vcc
	v_and_b32_sdwa v4, v1, v31 dst_sel:DWORD dst_unused:UNUSED_PAD src0_sel:WORD_1 src1_sel:DWORD
	v_and_b32_sdwa v3, v2, v31 dst_sel:DWORD dst_unused:UNUSED_PAD src0_sel:WORD_1 src1_sel:DWORD
	v_add3_u32 v4, v1, v4, s22
	v_add3_u32 v3, v2, v3, s22
	v_lshrrev_b32_e32 v4, 16, v4
	v_cmp_o_f32_e32 vcc, v1, v1
	v_lshrrev_b32_e32 v3, 16, v3
	v_cndmask_b32_e32 v20, v35, v4, vcc
	v_cmp_o_f32_e32 vcc, v2, v2
	v_cndmask_b32_e32 v21, v35, v3, vcc
	v_add_co_u32_e32 v1, vcc, s15, v42
	v_addc_co_u32_e32 v2, vcc, 0, v43, vcc
	global_load_dwordx4 v[1:4], v[1:2], off
	s_nop 0
	global_load_dwordx4 v[23:26], v[7:8], off
	global_load_dwordx4 v[36:39], v[7:8], off offset:16
	s_waitcnt vmcnt(1)
	v_and_b32_sdwa v7, v24, v31 dst_sel:DWORD dst_unused:UNUSED_PAD src0_sel:WORD_1 src1_sel:DWORD
	v_and_b32_sdwa v8, v23, v31 dst_sel:DWORD dst_unused:UNUSED_PAD src0_sel:WORD_1 src1_sel:DWORD
	v_add3_u32 v7, v24, v7, s22
	v_add3_u32 v8, v23, v8, s22
	v_and_b32_e32 v7, 0xffff0000, v7
	v_cmp_o_f32_e32 vcc, v24, v24
	v_lshlrev_b32_e32 v22, 16, v1
	v_and_b32_e32 v8, 0xffff0000, v8
	v_cndmask_b32_e32 v7, v33, v7, vcc
	v_cmp_o_f32_e32 vcc, v23, v23
	v_and_b32_e32 v1, 0xffff0000, v1
	v_cndmask_b32_e32 v8, v33, v8, vcc
	v_cmp_nge_f32_e64 s[8:9], s13, v22
	v_cmp_nge_f32_e32 vcc, s13, v1
	v_cndmask_b32_e64 v1, v34, v8, s[8:9]
	v_cndmask_b32_e32 v7, v34, v7, vcc
	v_and_b32_sdwa v22, v1, v31 dst_sel:DWORD dst_unused:UNUSED_PAD src0_sel:WORD_1 src1_sel:DWORD
	v_and_b32_sdwa v8, v7, v31 dst_sel:DWORD dst_unused:UNUSED_PAD src0_sel:WORD_1 src1_sel:DWORD
	v_add3_u32 v22, v1, v22, s22
	v_add3_u32 v8, v7, v8, s22
	v_lshrrev_b32_e32 v22, 16, v22
	v_cmp_o_f32_e32 vcc, v1, v1
	v_lshrrev_b32_e32 v8, 16, v8
	v_cndmask_b32_e32 v22, v35, v22, vcc
	v_cmp_o_f32_e32 vcc, v7, v7
	v_and_b32_sdwa v7, v26, v31 dst_sel:DWORD dst_unused:UNUSED_PAD src0_sel:WORD_1 src1_sel:DWORD
	v_cndmask_b32_e32 v23, v35, v8, vcc
	v_and_b32_sdwa v8, v25, v31 dst_sel:DWORD dst_unused:UNUSED_PAD src0_sel:WORD_1 src1_sel:DWORD
	v_add3_u32 v7, v26, v7, s22
	v_add3_u32 v8, v25, v8, s22
	v_and_b32_e32 v7, 0xffff0000, v7
	v_cmp_o_f32_e32 vcc, v26, v26
	v_lshlrev_b32_e32 v1, 16, v2
	v_and_b32_e32 v8, 0xffff0000, v8
	v_cndmask_b32_e32 v7, v33, v7, vcc
	v_cmp_o_f32_e32 vcc, v25, v25
	v_and_b32_e32 v2, 0xffff0000, v2
	v_cndmask_b32_e32 v8, v33, v8, vcc
	v_cmp_nge_f32_e64 s[8:9], s13, v1
	v_cmp_nge_f32_e32 vcc, s13, v2
	v_cndmask_b32_e64 v1, v34, v8, s[8:9]
	v_cndmask_b32_e32 v2, v34, v7, vcc
	v_and_b32_sdwa v8, v1, v31 dst_sel:DWORD dst_unused:UNUSED_PAD src0_sel:WORD_1 src1_sel:DWORD
	v_and_b32_sdwa v7, v2, v31 dst_sel:DWORD dst_unused:UNUSED_PAD src0_sel:WORD_1 src1_sel:DWORD
	v_add3_u32 v8, v1, v8, s22
	v_add3_u32 v7, v2, v7, s22
	v_lshrrev_b32_e32 v8, 16, v8
	v_cmp_o_f32_e32 vcc, v1, v1
	v_lshrrev_b32_e32 v7, 16, v7
	v_cndmask_b32_e32 v26, v35, v8, vcc
	v_cmp_o_f32_e32 vcc, v2, v2
	v_lshlrev_b32_e32 v1, 16, v3
	v_and_b32_e32 v2, 0xffff0000, v3
	s_waitcnt vmcnt(0)
	v_and_b32_sdwa v3, v37, v31 dst_sel:DWORD dst_unused:UNUSED_PAD src0_sel:WORD_1 src1_sel:DWORD
	v_cndmask_b32_e32 v27, v35, v7, vcc
	v_and_b32_sdwa v7, v36, v31 dst_sel:DWORD dst_unused:UNUSED_PAD src0_sel:WORD_1 src1_sel:DWORD
	v_add3_u32 v3, v37, v3, s22
	v_add3_u32 v7, v36, v7, s22
	v_and_b32_e32 v3, 0xffff0000, v3
	v_cmp_o_f32_e32 vcc, v37, v37
	v_and_b32_e32 v7, 0xffff0000, v7
	v_cndmask_b32_e32 v3, v33, v3, vcc
	v_cmp_o_f32_e32 vcc, v36, v36
	v_cndmask_b32_e32 v7, v33, v7, vcc
	v_cmp_nge_f32_e64 s[8:9], s13, v1
	v_cmp_nge_f32_e32 vcc, s13, v2
	v_cndmask_b32_e64 v1, v34, v7, s[8:9]
	v_cndmask_b32_e32 v2, v34, v3, vcc
	v_and_b32_sdwa v7, v1, v31 dst_sel:DWORD dst_unused:UNUSED_PAD src0_sel:WORD_1 src1_sel:DWORD
	v_and_b32_sdwa v3, v2, v31 dst_sel:DWORD dst_unused:UNUSED_PAD src0_sel:WORD_1 src1_sel:DWORD
	v_add3_u32 v7, v1, v7, s22
	v_add3_u32 v3, v2, v3, s22
	v_lshrrev_b32_e32 v7, 16, v7
	v_cmp_o_f32_e32 vcc, v1, v1
	v_lshrrev_b32_e32 v3, 16, v3
	v_cndmask_b32_e32 v24, v35, v7, vcc
	v_cmp_o_f32_e32 vcc, v2, v2
	v_cndmask_b32_e32 v25, v35, v3, vcc
	v_and_b32_sdwa v3, v39, v31 dst_sel:DWORD dst_unused:UNUSED_PAD src0_sel:WORD_1 src1_sel:DWORD
	v_lshlrev_b32_e32 v1, 16, v4
	v_and_b32_e32 v2, 0xffff0000, v4
	v_and_b32_sdwa v4, v38, v31 dst_sel:DWORD dst_unused:UNUSED_PAD src0_sel:WORD_1 src1_sel:DWORD
	v_add3_u32 v3, v39, v3, s22
	v_add3_u32 v4, v38, v4, s22
	v_and_b32_e32 v3, 0xffff0000, v3
	v_cmp_o_f32_e32 vcc, v39, v39
	v_and_b32_e32 v4, 0xffff0000, v4
	v_cndmask_b32_e32 v3, v33, v3, vcc
	v_cmp_o_f32_e32 vcc, v38, v38
	v_cndmask_b32_e32 v4, v33, v4, vcc
	v_cmp_nge_f32_e64 s[8:9], s13, v1
	v_cmp_nge_f32_e32 vcc, s13, v2
	v_cndmask_b32_e64 v1, v34, v4, s[8:9]
	v_cndmask_b32_e32 v2, v34, v3, vcc
	v_and_b32_sdwa v4, v1, v31 dst_sel:DWORD dst_unused:UNUSED_PAD src0_sel:WORD_1 src1_sel:DWORD
	v_and_b32_sdwa v3, v2, v31 dst_sel:DWORD dst_unused:UNUSED_PAD src0_sel:WORD_1 src1_sel:DWORD
	v_add3_u32 v4, v1, v4, s22
	v_add3_u32 v3, v2, v3, s22
	v_lshrrev_b32_e32 v4, 16, v4
	v_cmp_o_f32_e32 vcc, v1, v1
	v_lshrrev_b32_e32 v3, 16, v3
	v_cndmask_b32_e32 v28, v35, v4, vcc
	v_cmp_o_f32_e32 vcc, v2, v2
	v_cndmask_b32_e32 v29, v35, v3, vcc
	v_add_co_u32_e32 v1, vcc, s12, v42
	v_addc_co_u32_e32 v2, vcc, 0, v43, vcc
	global_load_dwordx4 v[1:4], v[1:2], off
	s_nop 0
	global_load_dwordx4 v[38:41], v[5:6], off
	global_load_dwordx4 v[44:47], v[5:6], off offset:16
	s_waitcnt vmcnt(1)
	v_and_b32_sdwa v5, v39, v31 dst_sel:DWORD dst_unused:UNUSED_PAD src0_sel:WORD_1 src1_sel:DWORD
	v_and_b32_sdwa v6, v38, v31 dst_sel:DWORD dst_unused:UNUSED_PAD src0_sel:WORD_1 src1_sel:DWORD
	v_add3_u32 v5, v39, v5, s22
	v_add3_u32 v6, v38, v6, s22
	v_and_b32_e32 v5, 0xffff0000, v5
	v_cmp_o_f32_e32 vcc, v39, v39
	v_lshlrev_b32_e32 v7, 16, v1
	v_and_b32_e32 v6, 0xffff0000, v6
	v_cndmask_b32_e32 v5, v33, v5, vcc
	v_cmp_o_f32_e32 vcc, v38, v38
	v_and_b32_e32 v1, 0xffff0000, v1
	v_cndmask_b32_e32 v6, v33, v6, vcc
	v_cmp_nge_f32_e64 s[8:9], s13, v7
	v_cmp_nge_f32_e32 vcc, s13, v1
	v_cndmask_b32_e64 v1, v34, v6, s[8:9]
	v_cndmask_b32_e32 v5, v34, v5, vcc
	v_and_b32_sdwa v7, v1, v31 dst_sel:DWORD dst_unused:UNUSED_PAD src0_sel:WORD_1 src1_sel:DWORD
	v_and_b32_sdwa v6, v5, v31 dst_sel:DWORD dst_unused:UNUSED_PAD src0_sel:WORD_1 src1_sel:DWORD
	v_add3_u32 v7, v1, v7, s22
	v_add3_u32 v6, v5, v6, s22
	v_lshrrev_b32_e32 v7, 16, v7
	v_cmp_o_f32_e32 vcc, v1, v1
	v_lshrrev_b32_e32 v6, 16, v6
	v_cndmask_b32_e32 v38, v35, v7, vcc
	v_cmp_o_f32_e32 vcc, v5, v5
	v_and_b32_sdwa v5, v41, v31 dst_sel:DWORD dst_unused:UNUSED_PAD src0_sel:WORD_1 src1_sel:DWORD
	v_cndmask_b32_e32 v39, v35, v6, vcc
	v_and_b32_sdwa v6, v40, v31 dst_sel:DWORD dst_unused:UNUSED_PAD src0_sel:WORD_1 src1_sel:DWORD
	v_add3_u32 v5, v41, v5, s22
	v_add3_u32 v6, v40, v6, s22
	v_and_b32_e32 v5, 0xffff0000, v5
	v_cmp_o_f32_e32 vcc, v41, v41
	v_lshlrev_b32_e32 v1, 16, v2
	v_and_b32_e32 v6, 0xffff0000, v6
	v_cndmask_b32_e32 v5, v33, v5, vcc
	v_cmp_o_f32_e32 vcc, v40, v40
	v_and_b32_e32 v2, 0xffff0000, v2
	v_cndmask_b32_e32 v6, v33, v6, vcc
	v_cmp_nge_f32_e64 s[8:9], s13, v1
	v_cmp_nge_f32_e32 vcc, s13, v2
	v_cndmask_b32_e64 v1, v34, v6, s[8:9]
	v_cndmask_b32_e32 v2, v34, v5, vcc
	v_and_b32_sdwa v6, v1, v31 dst_sel:DWORD dst_unused:UNUSED_PAD src0_sel:WORD_1 src1_sel:DWORD
	v_and_b32_sdwa v5, v2, v31 dst_sel:DWORD dst_unused:UNUSED_PAD src0_sel:WORD_1 src1_sel:DWORD
	v_add3_u32 v6, v1, v6, s22
	v_add3_u32 v5, v2, v5, s22
	v_lshrrev_b32_e32 v6, 16, v6
	v_cmp_o_f32_e32 vcc, v1, v1
	v_lshrrev_b32_e32 v5, 16, v5
	v_cndmask_b32_e32 v40, v35, v6, vcc
	v_cmp_o_f32_e32 vcc, v2, v2
	v_lshlrev_b32_e32 v1, 16, v3
	v_and_b32_e32 v2, 0xffff0000, v3
	s_waitcnt vmcnt(0)
	v_and_b32_sdwa v3, v45, v31 dst_sel:DWORD dst_unused:UNUSED_PAD src0_sel:WORD_1 src1_sel:DWORD
	v_cndmask_b32_e32 v41, v35, v5, vcc
	v_and_b32_sdwa v5, v44, v31 dst_sel:DWORD dst_unused:UNUSED_PAD src0_sel:WORD_1 src1_sel:DWORD
	v_add3_u32 v3, v45, v3, s22
	v_add3_u32 v5, v44, v5, s22
	v_and_b32_e32 v3, 0xffff0000, v3
	v_cmp_o_f32_e32 vcc, v45, v45
	v_and_b32_e32 v5, 0xffff0000, v5
	v_cndmask_b32_e32 v3, v33, v3, vcc
	v_cmp_o_f32_e32 vcc, v44, v44
	v_cndmask_b32_e32 v5, v33, v5, vcc
	v_cmp_nge_f32_e64 s[8:9], s13, v1
	v_cmp_nge_f32_e32 vcc, s13, v2
	v_cndmask_b32_e64 v1, v34, v5, s[8:9]
	v_cndmask_b32_e32 v2, v34, v3, vcc
	v_and_b32_sdwa v5, v1, v31 dst_sel:DWORD dst_unused:UNUSED_PAD src0_sel:WORD_1 src1_sel:DWORD
	v_and_b32_sdwa v3, v2, v31 dst_sel:DWORD dst_unused:UNUSED_PAD src0_sel:WORD_1 src1_sel:DWORD
	v_add3_u32 v5, v1, v5, s22
	v_add3_u32 v3, v2, v3, s22
	v_lshrrev_b32_e32 v5, 16, v5
	v_cmp_o_f32_e32 vcc, v1, v1
	v_lshrrev_b32_e32 v3, 16, v3
	v_cndmask_b32_e32 v30, v35, v5, vcc
	v_cmp_o_f32_e32 vcc, v2, v2
	v_cndmask_b32_e32 v32, v35, v3, vcc
	v_and_b32_sdwa v3, v47, v31 dst_sel:DWORD dst_unused:UNUSED_PAD src0_sel:WORD_1 src1_sel:DWORD
	v_lshlrev_b32_e32 v1, 16, v4
	v_and_b32_e32 v2, 0xffff0000, v4
	v_and_b32_sdwa v4, v46, v31 dst_sel:DWORD dst_unused:UNUSED_PAD src0_sel:WORD_1 src1_sel:DWORD
	v_add3_u32 v3, v47, v3, s22
	v_add3_u32 v4, v46, v4, s22
	v_and_b32_e32 v3, 0xffff0000, v3
	v_cmp_o_f32_e32 vcc, v47, v47
	v_and_b32_e32 v4, 0xffff0000, v4
	v_cndmask_b32_e32 v3, v33, v3, vcc
	v_cmp_o_f32_e32 vcc, v46, v46
	v_cndmask_b32_e32 v4, v33, v4, vcc
	v_cmp_nge_f32_e64 s[8:9], s13, v1
	v_cmp_nge_f32_e32 vcc, s13, v2
	v_cndmask_b32_e64 v1, v34, v4, s[8:9]
	v_cndmask_b32_e32 v2, v34, v3, vcc
	v_and_b32_sdwa v4, v1, v31 dst_sel:DWORD dst_unused:UNUSED_PAD src0_sel:WORD_1 src1_sel:DWORD
	v_and_b32_sdwa v3, v2, v31 dst_sel:DWORD dst_unused:UNUSED_PAD src0_sel:WORD_1 src1_sel:DWORD
	v_add3_u32 v4, v1, v4, s22
	v_add3_u32 v3, v2, v3, s22
	v_lshrrev_b32_e32 v4, 16, v4
	v_cmp_o_f32_e32 vcc, v1, v1
	v_lshrrev_b32_e32 v3, 16, v3
	v_cndmask_b32_e32 v36, v35, v4, vcc
	v_cmp_o_f32_e32 vcc, v2, v2
	s_movk_i32 s8, 0x6000
	v_cndmask_b32_e32 v37, v35, v3, vcc
	v_add_co_u32_e32 v1, vcc, s8, v42
	v_addc_co_u32_e32 v2, vcc, 0, v43, vcc
	global_load_dwordx4 v[1:4], v[1:2], off
	s_nop 0
	global_load_dwordx4 v[43:46], v[9:10], off
	global_load_dwordx4 v[5:8], v[9:10], off offset:16
	s_waitcnt vmcnt(1)
	v_and_b32_sdwa v9, v44, v31 dst_sel:DWORD dst_unused:UNUSED_PAD src0_sel:WORD_1 src1_sel:DWORD
	v_and_b32_sdwa v10, v43, v31 dst_sel:DWORD dst_unused:UNUSED_PAD src0_sel:WORD_1 src1_sel:DWORD
	v_add3_u32 v9, v44, v9, s22
	v_add3_u32 v10, v43, v10, s22
	v_and_b32_e32 v9, 0xffff0000, v9
	v_cmp_o_f32_e32 vcc, v44, v44
	v_lshlrev_b32_e32 v42, 16, v1
	v_and_b32_e32 v10, 0xffff0000, v10
	v_cndmask_b32_e32 v9, v33, v9, vcc
	v_cmp_o_f32_e32 vcc, v43, v43
	v_and_b32_e32 v1, 0xffff0000, v1
	v_cndmask_b32_e32 v10, v33, v10, vcc
	v_cmp_nge_f32_e64 s[8:9], s13, v42
	v_cmp_nge_f32_e32 vcc, s13, v1
	v_cndmask_b32_e64 v1, v34, v10, s[8:9]
	v_and_b32_sdwa v42, v1, v31 dst_sel:DWORD dst_unused:UNUSED_PAD src0_sel:WORD_1 src1_sel:DWORD
	v_cndmask_b32_e32 v9, v34, v9, vcc
	v_add3_u32 v42, v1, v42, s22
	v_and_b32_sdwa v10, v9, v31 dst_sel:DWORD dst_unused:UNUSED_PAD src0_sel:WORD_1 src1_sel:DWORD
	v_lshrrev_b32_e32 v42, 16, v42
	v_cmp_o_f32_e32 vcc, v1, v1
	v_add3_u32 v10, v9, v10, s22
	v_cndmask_b32_e32 v1, v35, v42, vcc
	v_and_b32_sdwa v42, v46, v31 dst_sel:DWORD dst_unused:UNUSED_PAD src0_sel:WORD_1 src1_sel:DWORD
	v_lshrrev_b32_e32 v10, 16, v10
	v_cmp_o_f32_e32 vcc, v9, v9
	v_and_b32_sdwa v43, v45, v31 dst_sel:DWORD dst_unused:UNUSED_PAD src0_sel:WORD_1 src1_sel:DWORD
	v_add3_u32 v42, v46, v42, s22
	v_cndmask_b32_e32 v9, v35, v10, vcc
	v_add3_u32 v43, v45, v43, s22
	v_and_b32_e32 v42, 0xffff0000, v42
	v_cmp_o_f32_e32 vcc, v46, v46
	v_lshlrev_b32_e32 v10, 16, v2
	v_and_b32_e32 v43, 0xffff0000, v43
	v_cndmask_b32_e32 v42, v33, v42, vcc
	v_cmp_o_f32_e32 vcc, v45, v45
	v_and_b32_e32 v2, 0xffff0000, v2
	v_cndmask_b32_e32 v43, v33, v43, vcc
	v_cmp_nge_f32_e64 s[8:9], s13, v10
	v_cmp_nge_f32_e32 vcc, s13, v2
	v_cndmask_b32_e64 v2, v34, v43, s[8:9]
	v_and_b32_sdwa v43, v2, v31 dst_sel:DWORD dst_unused:UNUSED_PAD src0_sel:WORD_1 src1_sel:DWORD
	v_cndmask_b32_e32 v10, v34, v42, vcc
	v_add3_u32 v43, v2, v43, s22
	v_and_b32_sdwa v42, v10, v31 dst_sel:DWORD dst_unused:UNUSED_PAD src0_sel:WORD_1 src1_sel:DWORD
	v_lshrrev_b32_e32 v43, 16, v43
	v_cmp_o_f32_e32 vcc, v2, v2
	v_add3_u32 v42, v10, v42, s22
	v_cndmask_b32_e32 v2, v35, v43, vcc
	s_waitcnt vmcnt(0)
	v_and_b32_sdwa v43, v6, v31 dst_sel:DWORD dst_unused:UNUSED_PAD src0_sel:WORD_1 src1_sel:DWORD
	v_lshrrev_b32_e32 v42, 16, v42
	v_cmp_o_f32_e32 vcc, v10, v10
	v_and_b32_sdwa v44, v5, v31 dst_sel:DWORD dst_unused:UNUSED_PAD src0_sel:WORD_1 src1_sel:DWORD
	v_add3_u32 v43, v6, v43, s22
	v_cndmask_b32_e32 v10, v35, v42, vcc
	v_add3_u32 v44, v5, v44, s22
	v_and_b32_e32 v43, 0xffff0000, v43
	v_cmp_o_f32_e32 vcc, v6, v6
	v_lshlrev_b32_e32 v42, 16, v3
	v_and_b32_e32 v44, 0xffff0000, v44
	v_cndmask_b32_e32 v6, v33, v43, vcc
	v_cmp_o_f32_e32 vcc, v5, v5
	v_and_b32_e32 v3, 0xffff0000, v3
	v_cndmask_b32_e32 v5, v33, v44, vcc
	v_cmp_nge_f32_e64 s[8:9], s13, v42
	v_cmp_nge_f32_e32 vcc, s13, v3
	v_cndmask_b32_e64 v3, v34, v5, s[8:9]
	v_and_b32_sdwa v42, v3, v31 dst_sel:DWORD dst_unused:UNUSED_PAD src0_sel:WORD_1 src1_sel:DWORD
	v_cndmask_b32_e32 v5, v34, v6, vcc
	v_add3_u32 v42, v3, v42, s22
	v_and_b32_sdwa v6, v5, v31 dst_sel:DWORD dst_unused:UNUSED_PAD src0_sel:WORD_1 src1_sel:DWORD
	v_lshrrev_b32_e32 v42, 16, v42
	v_cmp_o_f32_e32 vcc, v3, v3
	v_add3_u32 v6, v5, v6, s22
	v_cndmask_b32_e32 v3, v35, v42, vcc
	v_and_b32_sdwa v42, v8, v31 dst_sel:DWORD dst_unused:UNUSED_PAD src0_sel:WORD_1 src1_sel:DWORD
	v_lshrrev_b32_e32 v6, 16, v6
	v_cmp_o_f32_e32 vcc, v5, v5
	v_and_b32_sdwa v43, v7, v31 dst_sel:DWORD dst_unused:UNUSED_PAD src0_sel:WORD_1 src1_sel:DWORD
	v_add3_u32 v42, v8, v42, s22
	v_cndmask_b32_e32 v5, v35, v6, vcc
	v_add3_u32 v43, v7, v43, s22
	v_and_b32_e32 v44, 0xffff0000, v42
	v_cmp_o_f32_e32 vcc, v8, v8
	v_lshlrev_b32_e32 v6, 16, v4
	v_and_b32_e32 v42, 0xffff0000, v43
	v_cndmask_b32_e32 v8, v33, v44, vcc
	v_cmp_o_f32_e32 vcc, v7, v7
	v_and_b32_e32 v4, 0xffff0000, v4
	v_cndmask_b32_e32 v7, v33, v42, vcc
	v_cmp_nge_f32_e64 s[8:9], s13, v6
	v_cmp_nge_f32_e32 vcc, s13, v4
	v_cndmask_b32_e64 v4, v34, v7, s[8:9]
	v_cndmask_b32_e32 v6, v34, v8, vcc
	v_and_b32_sdwa v8, v4, v31 dst_sel:DWORD dst_unused:UNUSED_PAD src0_sel:WORD_1 src1_sel:DWORD
	v_and_b32_sdwa v7, v6, v31 dst_sel:DWORD dst_unused:UNUSED_PAD src0_sel:WORD_1 src1_sel:DWORD
	v_add3_u32 v8, v4, v8, s22
	v_add3_u32 v7, v6, v7, s22
	v_lshrrev_b32_e32 v8, 16, v8
	v_cmp_o_f32_e32 vcc, v4, v4
	v_lshrrev_b32_e32 v7, 16, v7
	v_cndmask_b32_e32 v4, v35, v8, vcc
	v_cmp_o_f32_e32 vcc, v6, v6
	s_mov_b32 s8, 0x5040100
	v_cndmask_b32_e32 v6, v35, v7, vcc
	v_perm_b32 v20, v21, v20, s8
	v_perm_b32 v19, v19, v18, s8
	;; [unrolled: 1-line block ×4, first 2 shown]
	v_add_co_u32_e32 v7, vcc, s15, v12
	global_store_dwordx4 v13, v[17:20], s[20:21]
	v_perm_b32 v14, v27, v26, s8
	v_perm_b32 v13, v23, v22, s8
	;; [unrolled: 1-line block ×4, first 2 shown]
	v_addc_co_u32_e32 v8, vcc, 0, v11, vcc
	global_store_dwordx4 v[7:8], v[13:16], off
	v_add_co_u32_e32 v7, vcc, s12, v12
	v_addc_co_u32_e32 v8, vcc, 0, v11, vcc
	v_perm_b32 v3, v5, v3, s8
	v_add_co_u32_e32 v5, vcc, 0x6000, v12
	v_perm_b32 v14, v41, v40, s8
	v_perm_b32 v13, v39, v38, s8
	v_perm_b32 v16, v37, v36, s8
	v_perm_b32 v15, v32, v30, s8
	v_perm_b32 v2, v10, v2, s8
	v_perm_b32 v1, v9, v1, s8
	v_perm_b32 v4, v6, v4, s8
	v_addc_co_u32_e32 v6, vcc, 0, v11, vcc
	global_store_dwordx4 v[7:8], v[13:16], off
	global_store_dwordx4 v[5:6], v[1:4], off
	s_cbranch_execnz .LBB173_2
.LBB173_4:
	s_load_dword s15, s[4:5], 0x2c
	s_load_dwordx4 s[20:23], s[4:5], 0x30
	s_mov_b32 s12, s6
	v_mov_b32_e32 v31, v0
	v_mov_b32_e32 v0, s13
	s_waitcnt lgkmcnt(0)
	s_bfe_u32 s24, s15, 0x80008
	s_add_u32 s8, s4, 64
	s_addc_u32 s9, s5, 0
	s_getpc_b64 s[4:5]
	s_add_u32 s4, s4, _ZN2at6native25elementwise_kernel_helperILb1ENS0_13BinaryFunctorIfffZNS0_12_GLOBAL__N_121threshold_kernel_implIfEEvRNS_18TensorIteratorBaseET_S7_EUlffE_EENS0_6memory8policies11unroll_baseILi512ESt5arrayIPcLm3EE23TrivialOffsetCalculatorILi2EjESG_ILi1EjENSA_12LoadWithCastILi2EEENSA_13StoreWithCastILi1EEELi32ELi1EEEEEvT0_T1_@rel32@lo+4
	s_addc_u32 s5, s5, _ZN2at6native25elementwise_kernel_helperILb1ENS0_13BinaryFunctorIfffZNS0_12_GLOBAL__N_121threshold_kernel_implIfEEvRNS_18TensorIteratorBaseET_S7_EUlffE_EENS0_6memory8policies11unroll_baseILi512ESt5arrayIPcLm3EE23TrivialOffsetCalculatorILi2EjESG_ILi1EjENSA_12LoadWithCastILi2EEENSA_13StoreWithCastILi1EEELi32ELi1EEEEEvT0_T1_@rel32@hi+12
	v_mov_b32_e32 v1, s14
	v_mov_b32_e32 v2, s16
	;; [unrolled: 1-line block ×14, first 2 shown]
	s_swappc_b64 s[30:31], s[4:5]
	s_endpgm
	.section	.rodata,"a",@progbits
	.p2align	6, 0x0
	.amdhsa_kernel _ZN2at6native39vectorized_templated_elementwise_kernelILi8ENS0_13BinaryFunctorIfffZNS0_12_GLOBAL__N_121threshold_kernel_implIfEEvRNS_18TensorIteratorBaseET_S7_EUlffE_EESt5arrayIPcLm3EE23TrivialOffsetCalculatorILi2EjESD_ILi1EjENS0_6memory12LoadWithCastILi2EEENSG_13StoreWithCastILi1EEEN3c108BFloat16EJSM_fEEEviT0_T1_T2_T3_T4_T5_
		.amdhsa_group_segment_fixed_size 0
		.amdhsa_private_segment_fixed_size 272
		.amdhsa_kernarg_size 320
		.amdhsa_user_sgpr_count 6
		.amdhsa_user_sgpr_private_segment_buffer 1
		.amdhsa_user_sgpr_dispatch_ptr 0
		.amdhsa_user_sgpr_queue_ptr 0
		.amdhsa_user_sgpr_kernarg_segment_ptr 1
		.amdhsa_user_sgpr_dispatch_id 0
		.amdhsa_user_sgpr_flat_scratch_init 0
		.amdhsa_user_sgpr_private_segment_size 0
		.amdhsa_uses_dynamic_stack 0
		.amdhsa_system_sgpr_private_segment_wavefront_offset 1
		.amdhsa_system_sgpr_workgroup_id_x 1
		.amdhsa_system_sgpr_workgroup_id_y 0
		.amdhsa_system_sgpr_workgroup_id_z 0
		.amdhsa_system_sgpr_workgroup_info 0
		.amdhsa_system_vgpr_workitem_id 0
		.amdhsa_next_free_vgpr 119
		.amdhsa_next_free_sgpr 98
		.amdhsa_reserve_vcc 1
		.amdhsa_reserve_flat_scratch 0
		.amdhsa_float_round_mode_32 0
		.amdhsa_float_round_mode_16_64 0
		.amdhsa_float_denorm_mode_32 3
		.amdhsa_float_denorm_mode_16_64 3
		.amdhsa_dx10_clamp 1
		.amdhsa_ieee_mode 1
		.amdhsa_fp16_overflow 0
		.amdhsa_exception_fp_ieee_invalid_op 0
		.amdhsa_exception_fp_denorm_src 0
		.amdhsa_exception_fp_ieee_div_zero 0
		.amdhsa_exception_fp_ieee_overflow 0
		.amdhsa_exception_fp_ieee_underflow 0
		.amdhsa_exception_fp_ieee_inexact 0
		.amdhsa_exception_int_div_zero 0
	.end_amdhsa_kernel
	.section	.text._ZN2at6native39vectorized_templated_elementwise_kernelILi8ENS0_13BinaryFunctorIfffZNS0_12_GLOBAL__N_121threshold_kernel_implIfEEvRNS_18TensorIteratorBaseET_S7_EUlffE_EESt5arrayIPcLm3EE23TrivialOffsetCalculatorILi2EjESD_ILi1EjENS0_6memory12LoadWithCastILi2EEENSG_13StoreWithCastILi1EEEN3c108BFloat16EJSM_fEEEviT0_T1_T2_T3_T4_T5_,"axG",@progbits,_ZN2at6native39vectorized_templated_elementwise_kernelILi8ENS0_13BinaryFunctorIfffZNS0_12_GLOBAL__N_121threshold_kernel_implIfEEvRNS_18TensorIteratorBaseET_S7_EUlffE_EESt5arrayIPcLm3EE23TrivialOffsetCalculatorILi2EjESD_ILi1EjENS0_6memory12LoadWithCastILi2EEENSG_13StoreWithCastILi1EEEN3c108BFloat16EJSM_fEEEviT0_T1_T2_T3_T4_T5_,comdat
.Lfunc_end173:
	.size	_ZN2at6native39vectorized_templated_elementwise_kernelILi8ENS0_13BinaryFunctorIfffZNS0_12_GLOBAL__N_121threshold_kernel_implIfEEvRNS_18TensorIteratorBaseET_S7_EUlffE_EESt5arrayIPcLm3EE23TrivialOffsetCalculatorILi2EjESD_ILi1EjENS0_6memory12LoadWithCastILi2EEENSG_13StoreWithCastILi1EEEN3c108BFloat16EJSM_fEEEviT0_T1_T2_T3_T4_T5_, .Lfunc_end173-_ZN2at6native39vectorized_templated_elementwise_kernelILi8ENS0_13BinaryFunctorIfffZNS0_12_GLOBAL__N_121threshold_kernel_implIfEEvRNS_18TensorIteratorBaseET_S7_EUlffE_EESt5arrayIPcLm3EE23TrivialOffsetCalculatorILi2EjESD_ILi1EjENS0_6memory12LoadWithCastILi2EEENSG_13StoreWithCastILi1EEEN3c108BFloat16EJSM_fEEEviT0_T1_T2_T3_T4_T5_
                                        ; -- End function
	.set _ZN2at6native39vectorized_templated_elementwise_kernelILi8ENS0_13BinaryFunctorIfffZNS0_12_GLOBAL__N_121threshold_kernel_implIfEEvRNS_18TensorIteratorBaseET_S7_EUlffE_EESt5arrayIPcLm3EE23TrivialOffsetCalculatorILi2EjESD_ILi1EjENS0_6memory12LoadWithCastILi2EEENSG_13StoreWithCastILi1EEEN3c108BFloat16EJSM_fEEEviT0_T1_T2_T3_T4_T5_.num_vgpr, max(48, .L_ZN2at6native25elementwise_kernel_helperILb1ENS0_13BinaryFunctorIfffZNS0_12_GLOBAL__N_121threshold_kernel_implIfEEvRNS_18TensorIteratorBaseET_S7_EUlffE_EENS0_6memory8policies11unroll_baseILi512ESt5arrayIPcLm3EE23TrivialOffsetCalculatorILi2EjESG_ILi1EjENSA_12LoadWithCastILi2EEENSA_13StoreWithCastILi1EEELi32ELi1EEEEEvT0_T1_.num_vgpr)
	.set _ZN2at6native39vectorized_templated_elementwise_kernelILi8ENS0_13BinaryFunctorIfffZNS0_12_GLOBAL__N_121threshold_kernel_implIfEEvRNS_18TensorIteratorBaseET_S7_EUlffE_EESt5arrayIPcLm3EE23TrivialOffsetCalculatorILi2EjESD_ILi1EjENS0_6memory12LoadWithCastILi2EEENSG_13StoreWithCastILi1EEEN3c108BFloat16EJSM_fEEEviT0_T1_T2_T3_T4_T5_.num_agpr, max(0, .L_ZN2at6native25elementwise_kernel_helperILb1ENS0_13BinaryFunctorIfffZNS0_12_GLOBAL__N_121threshold_kernel_implIfEEvRNS_18TensorIteratorBaseET_S7_EUlffE_EENS0_6memory8policies11unroll_baseILi512ESt5arrayIPcLm3EE23TrivialOffsetCalculatorILi2EjESG_ILi1EjENSA_12LoadWithCastILi2EEENSA_13StoreWithCastILi1EEELi32ELi1EEEEEvT0_T1_.num_agpr)
	.set _ZN2at6native39vectorized_templated_elementwise_kernelILi8ENS0_13BinaryFunctorIfffZNS0_12_GLOBAL__N_121threshold_kernel_implIfEEvRNS_18TensorIteratorBaseET_S7_EUlffE_EESt5arrayIPcLm3EE23TrivialOffsetCalculatorILi2EjESD_ILi1EjENS0_6memory12LoadWithCastILi2EEENSG_13StoreWithCastILi1EEEN3c108BFloat16EJSM_fEEEviT0_T1_T2_T3_T4_T5_.numbered_sgpr, max(33, .L_ZN2at6native25elementwise_kernel_helperILb1ENS0_13BinaryFunctorIfffZNS0_12_GLOBAL__N_121threshold_kernel_implIfEEvRNS_18TensorIteratorBaseET_S7_EUlffE_EENS0_6memory8policies11unroll_baseILi512ESt5arrayIPcLm3EE23TrivialOffsetCalculatorILi2EjESG_ILi1EjENSA_12LoadWithCastILi2EEENSA_13StoreWithCastILi1EEELi32ELi1EEEEEvT0_T1_.numbered_sgpr)
	.set _ZN2at6native39vectorized_templated_elementwise_kernelILi8ENS0_13BinaryFunctorIfffZNS0_12_GLOBAL__N_121threshold_kernel_implIfEEvRNS_18TensorIteratorBaseET_S7_EUlffE_EESt5arrayIPcLm3EE23TrivialOffsetCalculatorILi2EjESD_ILi1EjENS0_6memory12LoadWithCastILi2EEENSG_13StoreWithCastILi1EEEN3c108BFloat16EJSM_fEEEviT0_T1_T2_T3_T4_T5_.num_named_barrier, max(0, .L_ZN2at6native25elementwise_kernel_helperILb1ENS0_13BinaryFunctorIfffZNS0_12_GLOBAL__N_121threshold_kernel_implIfEEvRNS_18TensorIteratorBaseET_S7_EUlffE_EENS0_6memory8policies11unroll_baseILi512ESt5arrayIPcLm3EE23TrivialOffsetCalculatorILi2EjESG_ILi1EjENSA_12LoadWithCastILi2EEENSA_13StoreWithCastILi1EEELi32ELi1EEEEEvT0_T1_.num_named_barrier)
	.set _ZN2at6native39vectorized_templated_elementwise_kernelILi8ENS0_13BinaryFunctorIfffZNS0_12_GLOBAL__N_121threshold_kernel_implIfEEvRNS_18TensorIteratorBaseET_S7_EUlffE_EESt5arrayIPcLm3EE23TrivialOffsetCalculatorILi2EjESD_ILi1EjENS0_6memory12LoadWithCastILi2EEENSG_13StoreWithCastILi1EEEN3c108BFloat16EJSM_fEEEviT0_T1_T2_T3_T4_T5_.private_seg_size, 0+max(.L_ZN2at6native25elementwise_kernel_helperILb1ENS0_13BinaryFunctorIfffZNS0_12_GLOBAL__N_121threshold_kernel_implIfEEvRNS_18TensorIteratorBaseET_S7_EUlffE_EENS0_6memory8policies11unroll_baseILi512ESt5arrayIPcLm3EE23TrivialOffsetCalculatorILi2EjESG_ILi1EjENSA_12LoadWithCastILi2EEENSA_13StoreWithCastILi1EEELi32ELi1EEEEEvT0_T1_.private_seg_size)
	.set _ZN2at6native39vectorized_templated_elementwise_kernelILi8ENS0_13BinaryFunctorIfffZNS0_12_GLOBAL__N_121threshold_kernel_implIfEEvRNS_18TensorIteratorBaseET_S7_EUlffE_EESt5arrayIPcLm3EE23TrivialOffsetCalculatorILi2EjESD_ILi1EjENS0_6memory12LoadWithCastILi2EEENSG_13StoreWithCastILi1EEEN3c108BFloat16EJSM_fEEEviT0_T1_T2_T3_T4_T5_.uses_vcc, or(1, .L_ZN2at6native25elementwise_kernel_helperILb1ENS0_13BinaryFunctorIfffZNS0_12_GLOBAL__N_121threshold_kernel_implIfEEvRNS_18TensorIteratorBaseET_S7_EUlffE_EENS0_6memory8policies11unroll_baseILi512ESt5arrayIPcLm3EE23TrivialOffsetCalculatorILi2EjESG_ILi1EjENSA_12LoadWithCastILi2EEENSA_13StoreWithCastILi1EEELi32ELi1EEEEEvT0_T1_.uses_vcc)
	.set _ZN2at6native39vectorized_templated_elementwise_kernelILi8ENS0_13BinaryFunctorIfffZNS0_12_GLOBAL__N_121threshold_kernel_implIfEEvRNS_18TensorIteratorBaseET_S7_EUlffE_EESt5arrayIPcLm3EE23TrivialOffsetCalculatorILi2EjESD_ILi1EjENS0_6memory12LoadWithCastILi2EEENSG_13StoreWithCastILi1EEEN3c108BFloat16EJSM_fEEEviT0_T1_T2_T3_T4_T5_.uses_flat_scratch, or(0, .L_ZN2at6native25elementwise_kernel_helperILb1ENS0_13BinaryFunctorIfffZNS0_12_GLOBAL__N_121threshold_kernel_implIfEEvRNS_18TensorIteratorBaseET_S7_EUlffE_EENS0_6memory8policies11unroll_baseILi512ESt5arrayIPcLm3EE23TrivialOffsetCalculatorILi2EjESG_ILi1EjENSA_12LoadWithCastILi2EEENSA_13StoreWithCastILi1EEELi32ELi1EEEEEvT0_T1_.uses_flat_scratch)
	.set _ZN2at6native39vectorized_templated_elementwise_kernelILi8ENS0_13BinaryFunctorIfffZNS0_12_GLOBAL__N_121threshold_kernel_implIfEEvRNS_18TensorIteratorBaseET_S7_EUlffE_EESt5arrayIPcLm3EE23TrivialOffsetCalculatorILi2EjESD_ILi1EjENS0_6memory12LoadWithCastILi2EEENSG_13StoreWithCastILi1EEEN3c108BFloat16EJSM_fEEEviT0_T1_T2_T3_T4_T5_.has_dyn_sized_stack, or(0, .L_ZN2at6native25elementwise_kernel_helperILb1ENS0_13BinaryFunctorIfffZNS0_12_GLOBAL__N_121threshold_kernel_implIfEEvRNS_18TensorIteratorBaseET_S7_EUlffE_EENS0_6memory8policies11unroll_baseILi512ESt5arrayIPcLm3EE23TrivialOffsetCalculatorILi2EjESG_ILi1EjENSA_12LoadWithCastILi2EEENSA_13StoreWithCastILi1EEELi32ELi1EEEEEvT0_T1_.has_dyn_sized_stack)
	.set _ZN2at6native39vectorized_templated_elementwise_kernelILi8ENS0_13BinaryFunctorIfffZNS0_12_GLOBAL__N_121threshold_kernel_implIfEEvRNS_18TensorIteratorBaseET_S7_EUlffE_EESt5arrayIPcLm3EE23TrivialOffsetCalculatorILi2EjESD_ILi1EjENS0_6memory12LoadWithCastILi2EEENSG_13StoreWithCastILi1EEEN3c108BFloat16EJSM_fEEEviT0_T1_T2_T3_T4_T5_.has_recursion, or(0, .L_ZN2at6native25elementwise_kernel_helperILb1ENS0_13BinaryFunctorIfffZNS0_12_GLOBAL__N_121threshold_kernel_implIfEEvRNS_18TensorIteratorBaseET_S7_EUlffE_EENS0_6memory8policies11unroll_baseILi512ESt5arrayIPcLm3EE23TrivialOffsetCalculatorILi2EjESG_ILi1EjENSA_12LoadWithCastILi2EEENSA_13StoreWithCastILi1EEELi32ELi1EEEEEvT0_T1_.has_recursion)
	.set _ZN2at6native39vectorized_templated_elementwise_kernelILi8ENS0_13BinaryFunctorIfffZNS0_12_GLOBAL__N_121threshold_kernel_implIfEEvRNS_18TensorIteratorBaseET_S7_EUlffE_EESt5arrayIPcLm3EE23TrivialOffsetCalculatorILi2EjESD_ILi1EjENS0_6memory12LoadWithCastILi2EEENSG_13StoreWithCastILi1EEEN3c108BFloat16EJSM_fEEEviT0_T1_T2_T3_T4_T5_.has_indirect_call, or(0, .L_ZN2at6native25elementwise_kernel_helperILb1ENS0_13BinaryFunctorIfffZNS0_12_GLOBAL__N_121threshold_kernel_implIfEEvRNS_18TensorIteratorBaseET_S7_EUlffE_EENS0_6memory8policies11unroll_baseILi512ESt5arrayIPcLm3EE23TrivialOffsetCalculatorILi2EjESG_ILi1EjENSA_12LoadWithCastILi2EEENSA_13StoreWithCastILi1EEELi32ELi1EEEEEvT0_T1_.has_indirect_call)
	.section	.AMDGPU.csdata,"",@progbits
; Kernel info:
; codeLenInByte = 3232
; TotalNumSgprs: 102
; NumVgprs: 119
; ScratchSize: 272
; MemoryBound: 0
; FloatMode: 240
; IeeeMode: 1
; LDSByteSize: 0 bytes/workgroup (compile time only)
; SGPRBlocks: 12
; VGPRBlocks: 29
; NumSGPRsForWavesPerEU: 102
; NumVGPRsForWavesPerEU: 119
; Occupancy: 2
; WaveLimiterHint : 0
; COMPUTE_PGM_RSRC2:SCRATCH_EN: 1
; COMPUTE_PGM_RSRC2:USER_SGPR: 6
; COMPUTE_PGM_RSRC2:TRAP_HANDLER: 0
; COMPUTE_PGM_RSRC2:TGID_X_EN: 1
; COMPUTE_PGM_RSRC2:TGID_Y_EN: 0
; COMPUTE_PGM_RSRC2:TGID_Z_EN: 0
; COMPUTE_PGM_RSRC2:TIDIG_COMP_CNT: 0
	.section	.text._ZN2at6native39vectorized_templated_elementwise_kernelILi4ENS0_13BinaryFunctorIfffZNS0_12_GLOBAL__N_121threshold_kernel_implIfEEvRNS_18TensorIteratorBaseET_S7_EUlffE_EESt5arrayIPcLm3EE23TrivialOffsetCalculatorILi2EjESD_ILi1EjENS0_6memory12LoadWithCastILi2EEENSG_13StoreWithCastILi1EEEN3c108BFloat16EJSM_fEEEviT0_T1_T2_T3_T4_T5_,"axG",@progbits,_ZN2at6native39vectorized_templated_elementwise_kernelILi4ENS0_13BinaryFunctorIfffZNS0_12_GLOBAL__N_121threshold_kernel_implIfEEvRNS_18TensorIteratorBaseET_S7_EUlffE_EESt5arrayIPcLm3EE23TrivialOffsetCalculatorILi2EjESD_ILi1EjENS0_6memory12LoadWithCastILi2EEENSG_13StoreWithCastILi1EEEN3c108BFloat16EJSM_fEEEviT0_T1_T2_T3_T4_T5_,comdat
	.globl	_ZN2at6native39vectorized_templated_elementwise_kernelILi4ENS0_13BinaryFunctorIfffZNS0_12_GLOBAL__N_121threshold_kernel_implIfEEvRNS_18TensorIteratorBaseET_S7_EUlffE_EESt5arrayIPcLm3EE23TrivialOffsetCalculatorILi2EjESD_ILi1EjENS0_6memory12LoadWithCastILi2EEENSG_13StoreWithCastILi1EEEN3c108BFloat16EJSM_fEEEviT0_T1_T2_T3_T4_T5_ ; -- Begin function _ZN2at6native39vectorized_templated_elementwise_kernelILi4ENS0_13BinaryFunctorIfffZNS0_12_GLOBAL__N_121threshold_kernel_implIfEEvRNS_18TensorIteratorBaseET_S7_EUlffE_EESt5arrayIPcLm3EE23TrivialOffsetCalculatorILi2EjESD_ILi1EjENS0_6memory12LoadWithCastILi2EEENSG_13StoreWithCastILi1EEEN3c108BFloat16EJSM_fEEEviT0_T1_T2_T3_T4_T5_
	.p2align	8
	.type	_ZN2at6native39vectorized_templated_elementwise_kernelILi4ENS0_13BinaryFunctorIfffZNS0_12_GLOBAL__N_121threshold_kernel_implIfEEvRNS_18TensorIteratorBaseET_S7_EUlffE_EESt5arrayIPcLm3EE23TrivialOffsetCalculatorILi2EjESD_ILi1EjENS0_6memory12LoadWithCastILi2EEENSG_13StoreWithCastILi1EEEN3c108BFloat16EJSM_fEEEviT0_T1_T2_T3_T4_T5_,@function
_ZN2at6native39vectorized_templated_elementwise_kernelILi4ENS0_13BinaryFunctorIfffZNS0_12_GLOBAL__N_121threshold_kernel_implIfEEvRNS_18TensorIteratorBaseET_S7_EUlffE_EESt5arrayIPcLm3EE23TrivialOffsetCalculatorILi2EjESD_ILi1EjENS0_6memory12LoadWithCastILi2EEENSG_13StoreWithCastILi1EEEN3c108BFloat16EJSM_fEEEviT0_T1_T2_T3_T4_T5_: ; @_ZN2at6native39vectorized_templated_elementwise_kernelILi4ENS0_13BinaryFunctorIfffZNS0_12_GLOBAL__N_121threshold_kernel_implIfEEvRNS_18TensorIteratorBaseET_S7_EUlffE_EESt5arrayIPcLm3EE23TrivialOffsetCalculatorILi2EjESD_ILi1EjENS0_6memory12LoadWithCastILi2EEENSG_13StoreWithCastILi1EEEN3c108BFloat16EJSM_fEEEviT0_T1_T2_T3_T4_T5_
; %bb.0:
	s_add_u32 s0, s0, s7
	s_load_dword s7, s[4:5], 0x40
	s_load_dwordx8 s[24:31], s[4:5], 0x0
	s_load_dwordx2 s[34:35], s[4:5], 0x20
	s_addc_u32 s1, s1, 0
	s_not_b32 s8, s6
	s_waitcnt lgkmcnt(0)
	s_add_i32 s7, s7, s8
	s_lshl_b32 s8, s7, 14
	s_sub_i32 s7, s24, s8
	s_cmpk_gt_i32 s7, 0x3fff
	s_mov_b64 s[10:11], -1
	s_mov_b32 s32, 0
	s_cbranch_scc1 .LBB174_3
; %bb.1:
	s_andn2_b64 vcc, exec, s[10:11]
	s_cbranch_vccz .LBB174_4
.LBB174_2:
	s_endpgm
.LBB174_3:
	s_ashr_i32 s9, s8, 31
	s_lshl_b64 s[38:39], s[8:9], 1
	s_add_u32 s36, s30, s38
	s_addc_u32 s37, s31, s39
	s_lshl_b64 s[8:9], s[8:9], 2
	s_add_u32 s8, s34, s8
	s_addc_u32 s9, s35, s9
	v_lshlrev_b32_e32 v5, 4, v0
	v_mov_b32_e32 v6, s9
	v_add_co_u32_e32 v13, vcc, s8, v5
	s_movk_i32 s40, 0x2000
	v_addc_co_u32_e32 v14, vcc, 0, v6, vcc
	global_load_dwordx4 v[1:4], v5, s[8:9]
	v_add_co_u32_e32 v5, vcc, s40, v13
	v_addc_co_u32_e32 v6, vcc, 0, v14, vcc
	s_movk_i32 s27, 0x4000
	global_load_dwordx4 v[9:12], v[5:6], off
	v_add_co_u32_e32 v5, vcc, s27, v13
	v_addc_co_u32_e32 v6, vcc, 0, v14, vcc
	s_movk_i32 s24, 0x6000
	global_load_dwordx4 v[29:32], v[5:6], off
	v_add_co_u32_e32 v5, vcc, s24, v13
	v_addc_co_u32_e32 v6, vcc, 0, v14, vcc
	global_load_dwordx4 v[25:28], v[5:6], off
	s_mov_b32 s8, 0x8000
	v_add_co_u32_e32 v5, vcc, s8, v13
	v_addc_co_u32_e32 v6, vcc, 0, v14, vcc
	v_lshlrev_b32_e32 v38, 3, v0
	v_mov_b32_e32 v15, s37
	v_add_co_u32_e32 v43, vcc, s36, v38
	v_addc_co_u32_e32 v44, vcc, 0, v15, vcc
	v_add_co_u32_e32 v35, vcc, s40, v43
	global_load_dwordx4 v[5:8], v[5:6], off
	v_addc_co_u32_e32 v36, vcc, 0, v44, vcc
	global_load_dwordx2 v[33:34], v[35:36], off offset:-4096
	s_mov_b32 s8, 0xa000
	v_add_co_u32_e32 v39, vcc, s8, v13
	s_mov_b32 s9, 0xc000
	v_addc_co_u32_e32 v40, vcc, 0, v14, vcc
	v_add_co_u32_e32 v41, vcc, s9, v13
	s_mov_b32 s10, 0xe000
	v_addc_co_u32_e32 v42, vcc, 0, v14, vcc
	v_add_co_u32_e32 v45, vcc, s10, v13
	s_movk_i32 s33, 0x7fff
	v_addc_co_u32_e32 v46, vcc, 0, v14, vcc
	global_load_dwordx4 v[21:24], v[39:40], off
	global_load_dwordx4 v[17:20], v[41:42], off
	global_load_dwordx4 v[13:16], v[45:46], off
	v_mov_b32_e32 v37, 0x7fc00000
	s_add_u32 s38, s28, s38
	s_addc_u32 s39, s29, s39
	s_waitcnt vmcnt(8)
	v_bfe_u32 v40, v2, 16, 1
	v_bfe_u32 v41, v3, 16, 1
	v_add3_u32 v40, v2, v40, s33
	v_bfe_u32 v42, v4, 16, 1
	v_add3_u32 v41, v3, v41, s33
	v_and_b32_e32 v40, 0xffff0000, v40
	s_waitcnt vmcnt(7)
	v_bfe_u32 v45, v9, 16, 1
	v_bfe_u32 v49, v12, 16, 1
	v_add3_u32 v47, v9, v45, s33
	v_add3_u32 v45, v12, v49, s33
	v_bfe_u32 v48, v11, 16, 1
	v_add3_u32 v48, v11, v48, s33
	s_waitcnt vmcnt(6)
	v_bfe_u32 v50, v29, 16, 1
	v_bfe_u32 v51, v30, 16, 1
	;; [unrolled: 1-line block ×4, first 2 shown]
	v_add3_u32 v49, v29, v50, s33
	v_cmp_o_f32_e32 vcc, v29, v29
	v_add3_u32 v29, v30, v51, s33
	v_cmp_o_f32_e64 s[20:21], v30, v30
	v_add3_u32 v30, v32, v53, s33
	v_and_b32_e32 v55, 0xffff0000, v29
	v_add3_u32 v29, v31, v52, s33
	v_cmp_o_f32_e64 s[10:11], v31, v31
	v_and_b32_e32 v56, 0xffff0000, v30
	s_waitcnt vmcnt(5)
	v_bfe_u32 v30, v26, 16, 1
	v_bfe_u32 v31, v27, 16, 1
	v_add3_u32 v30, v26, v30, s33
	v_add3_u32 v31, v27, v31, s33
	v_cmp_o_f32_e64 s[14:15], v26, v26
	v_cmp_o_f32_e64 s[18:19], v27, v27
	global_load_dwordx2 v[26:27], v[35:36], off
	v_and_b32_e32 v53, 0xffff0000, v29
	v_bfe_u32 v29, v25, 16, 1
	v_add3_u32 v29, v25, v29, s33
	v_cmp_o_f32_e64 s[12:13], v25, v25
	v_bfe_u32 v25, v28, 16, 1
	v_add3_u32 v25, v28, v25, s33
	v_cmp_o_f32_e64 s[16:17], v28, v28
	v_add_co_u32_e64 v28, s[22:23], s27, v43
	v_and_b32_e32 v57, 0xffff0000, v29
	v_addc_co_u32_e64 v29, s[22:23], 0, v44, s[22:23]
	v_and_b32_e32 v58, 0xffff0000, v30
	v_and_b32_e32 v59, 0xffff0000, v31
	global_load_dwordx2 v[30:31], v[28:29], off offset:-4096
	global_load_dwordx2 v[35:36], v[28:29], off
	v_add_co_u32_e64 v28, s[22:23], s24, v43
	v_addc_co_u32_e64 v29, s[22:23], 0, v44, s[22:23]
	s_movk_i32 s22, 0x7000
	v_cmp_o_f32_e64 s[8:9], v32, v32
	v_and_b32_e32 v60, 0xffff0000, v25
	s_waitcnt vmcnt(7)
	v_bfe_u32 v25, v5, 16, 1
	v_add_co_u32_e64 v32, s[22:23], s22, v43
	v_and_b32_e32 v54, 0xffff0000, v49
	v_add3_u32 v61, v5, v25, s33
	v_bfe_u32 v25, v6, 16, 1
	s_waitcnt vmcnt(6)
	v_lshlrev_b32_e32 v49, 16, v33
	v_and_b32_e32 v50, 0xffff0000, v33
	v_addc_co_u32_e64 v33, s[22:23], 0, v44, s[22:23]
	v_add3_u32 v62, v6, v25, s33
	v_lshlrev_b32_e32 v51, 16, v34
	v_and_b32_e32 v25, 0xffff0000, v48
	v_cmp_o_f32_e64 s[22:23], v11, v11
	v_cndmask_b32_e64 v11, v37, v25, s[22:23]
	v_mov_b32_e32 v25, s26
	v_cmp_nge_f32_e64 s[22:23], s25, v51
	v_bfe_u32 v46, v10, 16, 1
	v_cndmask_b32_e64 v11, v25, v11, s[22:23]
	v_and_b32_e32 v44, 0xffff0000, v47
	v_cmp_o_f32_e64 s[22:23], v9, v9
	v_add3_u32 v46, v10, v46, s33
	v_cndmask_b32_e64 v9, v37, v44, s[22:23]
	v_cmp_nge_f32_e64 s[22:23], s25, v49
	v_cndmask_b32_e64 v44, v25, v9, s[22:23]
	v_and_b32_e32 v46, 0xffff0000, v46
	v_cmp_o_f32_e64 s[22:23], v10, v10
	v_cndmask_b32_e64 v10, v37, v46, s[22:23]
	v_cmp_nge_f32_e64 s[22:23], s25, v50
	v_cndmask_b32_e64 v10, v25, v10, s[22:23]
	v_bfe_u32 v9, v44, 16, 1
	v_bfe_u32 v46, v10, 16, 1
	v_add3_u32 v9, v44, v9, s33
	v_add3_u32 v46, v10, v46, s33
	v_lshrrev_b32_e32 v47, 16, v9
	v_and_b32_e32 v9, 0xffff0000, v46
	v_cmp_o_f32_e64 s[22:23], v10, v10
	v_cndmask_b32_e64 v10, v37, v9, s[22:23]
	v_mov_b32_e32 v9, 0x7fc0
	v_cmp_o_f32_e64 s[22:23], v44, v44
	v_cndmask_b32_e64 v44, v9, v47, s[22:23]
	v_or_b32_e32 v10, v10, v44
	v_and_b32_e32 v44, 0xffff0000, v45
	global_load_dwordx2 v[45:46], v[28:29], off offset:-4096
	global_load_dwordx2 v[47:48], v[28:29], off
	global_load_dwordx2 v[49:50], v[32:33], off
	global_load_dwordx2 v[51:52], v38, s[36:37]
	v_and_b32_e32 v34, 0xffff0000, v34
	v_cmp_o_f32_e64 s[22:23], v12, v12
	v_cndmask_b32_e64 v12, v37, v44, s[22:23]
	v_cmp_nge_f32_e64 s[22:23], s25, v34
	v_cndmask_b32_e64 v12, v25, v12, s[22:23]
	v_bfe_u32 v34, v12, 16, 1
	v_bfe_u32 v43, v11, 16, 1
	v_add3_u32 v34, v12, v34, s33
	v_add3_u32 v43, v11, v43, s33
	v_and_b32_e32 v34, 0xffff0000, v34
	v_cmp_o_f32_e64 s[22:23], v12, v12
	v_lshrrev_b32_e32 v43, 16, v43
	v_cndmask_b32_e64 v12, v37, v34, s[22:23]
	v_cmp_o_f32_e64 s[22:23], v11, v11
	v_cndmask_b32_e64 v11, v9, v43, s[22:23]
	v_or3_b32 v44, 0, v11, v12
	v_or3_b32 v43, v10, 0, 0
	v_mov_b32_e32 v10, s39
	v_add_co_u32_e64 v11, s[22:23], s38, v38
	v_addc_co_u32_e64 v10, s[22:23], 0, v10, s[22:23]
	v_add_co_u32_e64 v28, s[22:23], s40, v11
	v_addc_co_u32_e64 v29, s[22:23], 0, v10, s[22:23]
	s_waitcnt vmcnt(6)
	v_lshlrev_b32_e32 v12, 16, v26
	v_and_b32_e32 v26, 0xffff0000, v26
	global_store_dwordx2 v[28:29], v[43:44], off offset:-4096
	v_cndmask_b32_e32 v43, v37, v54, vcc
	v_cmp_nge_f32_e32 vcc, s25, v12
	v_cndmask_b32_e64 v44, v37, v55, s[20:21]
	v_cmp_nge_f32_e64 s[20:21], s25, v26
	v_cndmask_b32_e32 v12, v25, v43, vcc
	v_cndmask_b32_e64 v26, v25, v44, s[20:21]
	v_bfe_u32 v43, v12, 16, 1
	v_bfe_u32 v44, v26, 16, 1
	v_add3_u32 v43, v12, v43, s33
	v_add3_u32 v44, v26, v44, s33
	v_lshlrev_b32_e32 v32, 16, v27
	v_and_b32_e32 v27, 0xffff0000, v27
	v_lshrrev_b32_e32 v43, 16, v43
	v_cmp_o_f32_e32 vcc, v12, v12
	v_and_b32_e32 v44, 0xffff0000, v44
	v_cmp_o_f32_e64 s[20:21], v26, v26
	v_bfe_u32 v26, v22, 16, 1
	v_cndmask_b32_e64 v34, v37, v53, s[10:11]
	v_cmp_nge_f32_e64 s[10:11], s25, v32
	v_add3_u32 v53, v22, v26, s33
	v_cndmask_b32_e64 v26, v37, v44, s[20:21]
	v_cndmask_b32_e32 v43, v9, v43, vcc
	v_cndmask_b32_e64 v44, v37, v56, s[8:9]
	v_cmp_nge_f32_e32 vcc, s25, v27
	v_cndmask_b32_e64 v32, v25, v34, s[10:11]
	v_cndmask_b32_e32 v27, v25, v44, vcc
	v_bfe_u32 v34, v32, 16, 1
	v_bfe_u32 v44, v27, 16, 1
	v_add3_u32 v34, v32, v34, s33
	v_add3_u32 v44, v27, v44, s33
	v_lshrrev_b32_e32 v34, 16, v34
	v_cmp_o_f32_e64 s[10:11], v32, v32
	v_and_b32_e32 v44, 0xffff0000, v44
	v_cmp_o_f32_e32 vcc, v27, v27
	v_bfe_u32 v27, v24, 16, 1
	v_or_b32_e32 v26, v26, v43
	v_add3_u32 v54, v24, v27, s33
	v_cndmask_b32_e32 v27, v37, v44, vcc
	v_cndmask_b32_e64 v34, v9, v34, s[10:11]
	v_or3_b32 v27, 0, v34, v27
	v_or3_b32 v26, v26, 0, 0
	global_store_dwordx2 v[28:29], v[26:27], off
	v_bfe_u32 v26, v18, 16, 1
	s_waitcnt vmcnt(7)
	v_lshlrev_b32_e32 v28, 16, v31
	v_add3_u32 v44, v18, v26, s33
	v_lshlrev_b32_e32 v26, 16, v30
	v_cmp_nge_f32_e32 vcc, s25, v28
	v_bfe_u32 v28, v20, 16, 1
	v_add3_u32 v55, v20, v28, s33
	v_cndmask_b32_e64 v28, v37, v57, s[12:13]
	v_cmp_nge_f32_e64 s[8:9], s25, v26
	v_cndmask_b32_e64 v26, v25, v28, s[8:9]
	v_bfe_u32 v28, v26, 16, 1
	v_and_b32_e32 v27, 0xffff0000, v30
	v_add3_u32 v28, v26, v28, s33
	v_cmp_o_f32_e64 s[8:9], v26, v26
	v_bfe_u32 v26, v13, 16, 1
	v_add3_u32 v56, v13, v26, s33
	v_cndmask_b32_e64 v26, v37, v58, s[14:15]
	v_cmp_nge_f32_e64 s[10:11], s25, v27
	v_cndmask_b32_e64 v26, v25, v26, s[10:11]
	v_bfe_u32 v27, v26, 16, 1
	v_and_b32_e32 v29, 0xffff0000, v31
	v_cndmask_b32_e64 v31, v37, v59, s[18:19]
	v_add3_u32 v27, v26, v27, s33
	v_cmp_o_f32_e64 s[10:11], v26, v26
	v_bfe_u32 v26, v14, 16, 1
	v_add3_u32 v57, v14, v26, s33
	v_cndmask_b32_e32 v26, v25, v31, vcc
	v_cndmask_b32_e64 v31, v37, v60, s[16:17]
	v_cmp_nge_f32_e32 vcc, s25, v29
	v_lshrrev_b32_e32 v28, 16, v28
	v_and_b32_e32 v27, 0xffff0000, v27
	v_cndmask_b32_e32 v29, v25, v31, vcc
	v_cndmask_b32_e64 v27, v37, v27, s[10:11]
	v_cndmask_b32_e64 v28, v9, v28, s[8:9]
	v_bfe_u32 v31, v29, 16, 1
	v_or_b32_e32 v28, v27, v28
	v_bfe_u32 v27, v26, 16, 1
	v_add3_u32 v31, v29, v31, s33
	v_add3_u32 v27, v26, v27, s33
	v_and_b32_e32 v31, 0xffff0000, v31
	v_cmp_o_f32_e32 vcc, v29, v29
	v_lshrrev_b32_e32 v27, 16, v27
	v_cndmask_b32_e32 v29, v37, v31, vcc
	v_cmp_o_f32_e32 vcc, v26, v26
	v_cndmask_b32_e32 v26, v9, v27, vcc
	v_bfe_u32 v33, v7, 16, 1
	v_or3_b32 v27, 0, v26, v29
	v_or3_b32 v26, v28, 0, 0
	v_add_co_u32_e32 v28, vcc, s27, v11
	v_add3_u32 v33, v7, v33, s33
	v_addc_co_u32_e32 v29, vcc, 0, v10, vcc
	s_waitcnt vmcnt(6)
	v_lshlrev_b32_e32 v31, 16, v36
	v_and_b32_e32 v33, 0xffff0000, v33
	v_cmp_o_f32_e32 vcc, v7, v7
	v_cndmask_b32_e32 v7, v37, v33, vcc
	v_cmp_nge_f32_e32 vcc, s25, v31
	global_store_dwordx2 v[28:29], v[26:27], off offset:-4096
	v_lshlrev_b32_e32 v26, 16, v35
	v_cndmask_b32_e32 v7, v25, v7, vcc
	v_and_b32_e32 v33, 0xffff0000, v61
	v_cmp_o_f32_e32 vcc, v5, v5
	v_cndmask_b32_e32 v5, v37, v33, vcc
	v_cmp_nge_f32_e32 vcc, s25, v26
	v_and_b32_e32 v27, 0xffff0000, v35
	v_cndmask_b32_e32 v5, v25, v5, vcc
	v_and_b32_e32 v33, 0xffff0000, v62
	v_cmp_o_f32_e32 vcc, v6, v6
	v_cndmask_b32_e32 v6, v37, v33, vcc
	v_cmp_nge_f32_e32 vcc, s25, v27
	v_cndmask_b32_e32 v6, v25, v6, vcc
	v_bfe_u32 v27, v6, 16, 1
	v_add3_u32 v27, v6, v27, s33
	v_cmp_o_f32_e32 vcc, v6, v6
	v_bfe_u32 v6, v5, 16, 1
	v_bfe_u32 v32, v8, 16, 1
	v_and_b32_e32 v27, 0xffff0000, v27
	v_add3_u32 v6, v5, v6, s33
	v_add3_u32 v32, v8, v32, s33
	v_lshrrev_b32_e32 v6, 16, v6
	v_cndmask_b32_e32 v27, v37, v27, vcc
	v_cmp_o_f32_e32 vcc, v5, v5
	v_and_b32_e32 v35, 0xffff0000, v36
	v_cndmask_b32_e32 v5, v9, v6, vcc
	v_and_b32_e32 v6, 0xffff0000, v32
	v_cmp_o_f32_e32 vcc, v8, v8
	v_cndmask_b32_e32 v6, v37, v6, vcc
	v_cmp_nge_f32_e32 vcc, s25, v35
	v_cndmask_b32_e32 v6, v25, v6, vcc
	v_bfe_u32 v8, v6, 16, 1
	v_bfe_u32 v26, v7, 16, 1
	v_add3_u32 v8, v6, v8, s33
	v_add3_u32 v26, v7, v26, s33
	v_and_b32_e32 v8, 0xffff0000, v8
	v_cmp_o_f32_e32 vcc, v6, v6
	v_lshrrev_b32_e32 v26, 16, v26
	v_cndmask_b32_e32 v6, v37, v8, vcc
	v_cmp_o_f32_e32 vcc, v7, v7
	v_cndmask_b32_e32 v7, v9, v26, vcc
	v_cmp_o_f32_e32 vcc, v2, v2
	v_add3_u32 v42, v4, v42, s33
	v_bfe_u32 v12, v21, 16, 1
	v_and_b32_e32 v41, 0xffff0000, v41
	v_cndmask_b32_e32 v2, v37, v40, vcc
	v_cmp_o_f32_e32 vcc, v3, v3
	v_add3_u32 v12, v21, v12, s33
	v_or_b32_e32 v5, v27, v5
	v_and_b32_e32 v42, 0xffff0000, v42
	v_cndmask_b32_e32 v3, v37, v41, vcc
	v_cmp_o_f32_e32 vcc, v4, v4
	v_bfe_u32 v43, v23, 16, 1
	v_or3_b32 v6, 0, v7, v6
	v_or3_b32 v5, v5, 0, 0
	v_and_b32_e32 v12, 0xffff0000, v12
	v_cndmask_b32_e32 v4, v37, v42, vcc
	v_cmp_o_f32_e32 vcc, v21, v21
	v_add3_u32 v43, v23, v43, s33
	global_store_dwordx2 v[28:29], v[5:6], off
	s_waitcnt vmcnt(7)
	v_lshlrev_b32_e32 v26, 16, v45
	v_and_b32_e32 v27, 0xffff0000, v45
	v_lshlrev_b32_e32 v28, 16, v46
	v_and_b32_e32 v29, 0xffff0000, v46
	s_waitcnt vmcnt(6)
	v_lshlrev_b32_e32 v32, 16, v47
	v_and_b32_e32 v33, 0xffff0000, v47
	v_lshlrev_b32_e32 v35, 16, v48
	v_and_b32_e32 v45, 0xffff0000, v48
	;; [unrolled: 5-line block ×3, first 2 shown]
	v_and_b32_e32 v50, 0xffff0000, v53
	v_cndmask_b32_e32 v12, v37, v12, vcc
	v_cmp_o_f32_e32 vcc, v22, v22
	v_bfe_u32 v34, v17, 16, 1
	v_and_b32_e32 v43, 0xffff0000, v43
	v_cndmask_b32_e32 v21, v37, v50, vcc
	v_cmp_o_f32_e32 vcc, v23, v23
	v_add3_u32 v34, v17, v34, s33
	s_waitcnt vmcnt(4)
	v_lshlrev_b32_e32 v5, 16, v51
	v_and_b32_e32 v6, 0xffff0000, v51
	v_and_b32_e32 v51, 0xffff0000, v54
	v_cndmask_b32_e32 v22, v37, v43, vcc
	v_cmp_o_f32_e32 vcc, v24, v24
	v_bfe_u32 v30, v19, 16, 1
	v_and_b32_e32 v34, 0xffff0000, v34
	v_cndmask_b32_e32 v23, v37, v51, vcc
	v_cmp_o_f32_e32 vcc, v17, v17
	v_add3_u32 v30, v19, v30, s33
	v_and_b32_e32 v44, 0xffff0000, v44
	v_cndmask_b32_e32 v17, v37, v34, vcc
	v_cmp_o_f32_e32 vcc, v18, v18
	v_and_b32_e32 v30, 0xffff0000, v30
	v_cndmask_b32_e32 v18, v37, v44, vcc
	v_cmp_o_f32_e32 vcc, v19, v19
	v_lshlrev_b32_e32 v7, 16, v52
	v_and_b32_e32 v8, 0xffff0000, v52
	v_and_b32_e32 v52, 0xffff0000, v55
	v_cndmask_b32_e32 v19, v37, v30, vcc
	v_cmp_o_f32_e32 vcc, v20, v20
	v_bfe_u32 v36, v15, 16, 1
	v_and_b32_e32 v53, 0xffff0000, v56
	v_cndmask_b32_e32 v20, v37, v52, vcc
	v_cmp_o_f32_e32 vcc, v13, v13
	v_add3_u32 v36, v15, v36, s33
	v_bfe_u32 v31, v16, 16, 1
	v_and_b32_e32 v54, 0xffff0000, v57
	v_cndmask_b32_e32 v13, v37, v53, vcc
	v_cmp_o_f32_e32 vcc, v14, v14
	v_bfe_u32 v39, v1, 16, 1
	v_add3_u32 v31, v16, v31, s33
	v_and_b32_e32 v36, 0xffff0000, v36
	v_cndmask_b32_e32 v14, v37, v54, vcc
	v_cmp_o_f32_e32 vcc, v15, v15
	v_add3_u32 v39, v1, v39, s33
	v_and_b32_e32 v31, 0xffff0000, v31
	v_cndmask_b32_e32 v15, v37, v36, vcc
	v_cmp_o_f32_e32 vcc, v16, v16
	v_and_b32_e32 v39, 0xffff0000, v39
	v_cndmask_b32_e32 v16, v37, v31, vcc
	v_cmp_o_f32_e32 vcc, v1, v1
	v_cndmask_b32_e32 v1, v37, v39, vcc
	v_cmp_nge_f32_e32 vcc, s25, v5
	v_cndmask_b32_e32 v1, v25, v1, vcc
	v_cmp_nge_f32_e32 vcc, s25, v6
	;; [unrolled: 2-line block ×15, first 2 shown]
	v_bfe_u32 v22, v2, 16, 1
	v_cndmask_b32_e32 v15, v25, v15, vcc
	v_cmp_nge_f32_e32 vcc, s25, v49
	v_bfe_u32 v21, v1, 16, 1
	v_add3_u32 v22, v2, v22, s33
	v_cndmask_b32_e32 v16, v25, v16, vcc
	v_add3_u32 v21, v1, v21, s33
	v_and_b32_e32 v22, 0xffff0000, v22
	v_cmp_o_f32_e32 vcc, v2, v2
	v_lshrrev_b32_e32 v21, 16, v21
	v_cndmask_b32_e32 v2, v37, v22, vcc
	v_cmp_o_f32_e32 vcc, v1, v1
	v_cndmask_b32_e32 v1, v9, v21, vcc
	v_or_b32_e32 v1, v2, v1
	v_bfe_u32 v2, v4, 16, 1
	v_bfe_u32 v20, v3, 16, 1
	v_add3_u32 v2, v4, v2, s33
	v_add3_u32 v20, v3, v20, s33
	v_and_b32_e32 v2, 0xffff0000, v2
	v_cmp_o_f32_e32 vcc, v4, v4
	v_lshrrev_b32_e32 v20, 16, v20
	v_cndmask_b32_e32 v2, v37, v2, vcc
	v_cmp_o_f32_e32 vcc, v3, v3
	v_cndmask_b32_e32 v3, v9, v20, vcc
	v_or3_b32 v2, 0, v3, v2
	v_bfe_u32 v3, v8, 16, 1
	v_or3_b32 v1, v1, 0, 0
	v_add3_u32 v3, v8, v3, s33
	v_bfe_u32 v4, v7, 16, 1
	global_store_dwordx2 v38, v[1:2], s[38:39]
	v_bfe_u32 v2, v6, 16, 1
	v_and_b32_e32 v3, 0xffff0000, v3
	v_add3_u32 v4, v7, v4, s33
	v_cmp_o_f32_e32 vcc, v8, v8
	v_bfe_u32 v1, v5, 16, 1
	v_add3_u32 v2, v6, v2, s33
	v_lshrrev_b32_e32 v4, 16, v4
	v_cndmask_b32_e32 v3, v37, v3, vcc
	v_cmp_o_f32_e32 vcc, v7, v7
	v_add3_u32 v1, v5, v1, s33
	v_and_b32_e32 v2, 0xffff0000, v2
	v_cndmask_b32_e32 v4, v9, v4, vcc
	v_cmp_o_f32_e32 vcc, v6, v6
	v_lshrrev_b32_e32 v1, 16, v1
	v_cndmask_b32_e32 v2, v37, v2, vcc
	v_cmp_o_f32_e32 vcc, v5, v5
	v_cndmask_b32_e32 v1, v9, v1, vcc
	v_or_b32_e32 v1, v2, v1
	v_or3_b32 v2, 0, v4, v3
	v_add_co_u32_e32 v3, vcc, s24, v11
	v_bfe_u32 v6, v19, 16, 1
	v_or3_b32 v1, v1, 0, 0
	v_addc_co_u32_e32 v4, vcc, 0, v10, vcc
	v_bfe_u32 v5, v18, 16, 1
	v_add3_u32 v6, v19, v6, s33
	global_store_dwordx2 v[3:4], v[1:2], off offset:-4096
	v_bfe_u32 v2, v17, 16, 1
	v_add3_u32 v5, v18, v5, s33
	v_and_b32_e32 v6, 0xffff0000, v6
	v_cmp_o_f32_e32 vcc, v19, v19
	v_bfe_u32 v1, v12, 16, 1
	v_add3_u32 v2, v17, v2, s33
	v_lshrrev_b32_e32 v5, 16, v5
	v_cndmask_b32_e32 v6, v37, v6, vcc
	v_cmp_o_f32_e32 vcc, v18, v18
	v_add3_u32 v1, v12, v1, s33
	v_and_b32_e32 v2, 0xffff0000, v2
	v_cndmask_b32_e32 v5, v9, v5, vcc
	v_cmp_o_f32_e32 vcc, v17, v17
	v_lshrrev_b32_e32 v1, 16, v1
	v_cndmask_b32_e32 v2, v37, v2, vcc
	v_cmp_o_f32_e32 vcc, v12, v12
	v_cndmask_b32_e32 v1, v9, v1, vcc
	v_or_b32_e32 v1, v2, v1
	v_or3_b32 v2, 0, v5, v6
	v_or3_b32 v1, v1, 0, 0
	global_store_dwordx2 v[3:4], v[1:2], off
	v_bfe_u32 v4, v16, 16, 1
	v_add3_u32 v4, v16, v4, s33
	v_bfe_u32 v2, v14, 16, 1
	v_bfe_u32 v3, v15, 16, 1
	v_and_b32_e32 v4, 0xffff0000, v4
	v_cmp_o_f32_e32 vcc, v16, v16
	v_add3_u32 v2, v14, v2, s33
	v_add3_u32 v3, v15, v3, s33
	v_cndmask_b32_e32 v4, v37, v4, vcc
	v_cmp_o_f32_e32 vcc, v15, v15
	v_bfe_u32 v1, v13, 16, 1
	v_and_b32_e32 v2, 0xffff0000, v2
	v_cndmask_b32_sdwa v3, v9, v3, vcc dst_sel:DWORD dst_unused:UNUSED_PAD src0_sel:DWORD src1_sel:WORD_1
	v_cmp_o_f32_e32 vcc, v14, v14
	v_add3_u32 v1, v13, v1, s33
	v_cndmask_b32_e32 v2, v37, v2, vcc
	v_cmp_o_f32_e32 vcc, v13, v13
	v_cndmask_b32_sdwa v1, v9, v1, vcc dst_sel:DWORD dst_unused:UNUSED_PAD src0_sel:DWORD src1_sel:WORD_1
	v_or_b32_e32 v1, v2, v1
	v_or3_b32 v2, 0, v3, v4
	v_add_co_u32_e32 v3, vcc, 0x7000, v11
	v_or3_b32 v1, v1, 0, 0
	v_addc_co_u32_e32 v4, vcc, 0, v10, vcc
	global_store_dwordx2 v[3:4], v[1:2], off
	s_cbranch_execnz .LBB174_2
.LBB174_4:
	s_load_dword s10, s[4:5], 0x2c
	s_load_dwordx4 s[16:19], s[4:5], 0x30
	s_mov_b32 s12, s6
	v_mov_b32_e32 v31, v0
	v_mov_b32_e32 v0, s25
	s_waitcnt lgkmcnt(0)
	s_bfe_u32 s11, s10, 0x80008
	s_add_u32 s8, s4, 64
	s_addc_u32 s9, s5, 0
	s_getpc_b64 s[4:5]
	s_add_u32 s4, s4, _ZN2at6native25elementwise_kernel_helperILb1ENS0_13BinaryFunctorIfffZNS0_12_GLOBAL__N_121threshold_kernel_implIfEEvRNS_18TensorIteratorBaseET_S7_EUlffE_EENS0_6memory8policies11unroll_baseILi512ESt5arrayIPcLm3EE23TrivialOffsetCalculatorILi2EjESG_ILi1EjENSA_12LoadWithCastILi2EEENSA_13StoreWithCastILi1EEELi32ELi1EEEEEvT0_T1_@rel32@lo+4
	s_addc_u32 s5, s5, _ZN2at6native25elementwise_kernel_helperILb1ENS0_13BinaryFunctorIfffZNS0_12_GLOBAL__N_121threshold_kernel_implIfEEvRNS_18TensorIteratorBaseET_S7_EUlffE_EENS0_6memory8policies11unroll_baseILi512ESt5arrayIPcLm3EE23TrivialOffsetCalculatorILi2EjESG_ILi1EjENSA_12LoadWithCastILi2EEENSA_13StoreWithCastILi1EEELi32ELi1EEEEEvT0_T1_@rel32@hi+12
	v_mov_b32_e32 v1, s26
	v_mov_b32_e32 v2, s28
	;; [unrolled: 1-line block ×14, first 2 shown]
	s_swappc_b64 s[30:31], s[4:5]
	s_endpgm
	.section	.rodata,"a",@progbits
	.p2align	6, 0x0
	.amdhsa_kernel _ZN2at6native39vectorized_templated_elementwise_kernelILi4ENS0_13BinaryFunctorIfffZNS0_12_GLOBAL__N_121threshold_kernel_implIfEEvRNS_18TensorIteratorBaseET_S7_EUlffE_EESt5arrayIPcLm3EE23TrivialOffsetCalculatorILi2EjESD_ILi1EjENS0_6memory12LoadWithCastILi2EEENSG_13StoreWithCastILi1EEEN3c108BFloat16EJSM_fEEEviT0_T1_T2_T3_T4_T5_
		.amdhsa_group_segment_fixed_size 0
		.amdhsa_private_segment_fixed_size 272
		.amdhsa_kernarg_size 320
		.amdhsa_user_sgpr_count 6
		.amdhsa_user_sgpr_private_segment_buffer 1
		.amdhsa_user_sgpr_dispatch_ptr 0
		.amdhsa_user_sgpr_queue_ptr 0
		.amdhsa_user_sgpr_kernarg_segment_ptr 1
		.amdhsa_user_sgpr_dispatch_id 0
		.amdhsa_user_sgpr_flat_scratch_init 0
		.amdhsa_user_sgpr_private_segment_size 0
		.amdhsa_uses_dynamic_stack 0
		.amdhsa_system_sgpr_private_segment_wavefront_offset 1
		.amdhsa_system_sgpr_workgroup_id_x 1
		.amdhsa_system_sgpr_workgroup_id_y 0
		.amdhsa_system_sgpr_workgroup_id_z 0
		.amdhsa_system_sgpr_workgroup_info 0
		.amdhsa_system_vgpr_workitem_id 0
		.amdhsa_next_free_vgpr 119
		.amdhsa_next_free_sgpr 98
		.amdhsa_reserve_vcc 1
		.amdhsa_reserve_flat_scratch 0
		.amdhsa_float_round_mode_32 0
		.amdhsa_float_round_mode_16_64 0
		.amdhsa_float_denorm_mode_32 3
		.amdhsa_float_denorm_mode_16_64 3
		.amdhsa_dx10_clamp 1
		.amdhsa_ieee_mode 1
		.amdhsa_fp16_overflow 0
		.amdhsa_exception_fp_ieee_invalid_op 0
		.amdhsa_exception_fp_denorm_src 0
		.amdhsa_exception_fp_ieee_div_zero 0
		.amdhsa_exception_fp_ieee_overflow 0
		.amdhsa_exception_fp_ieee_underflow 0
		.amdhsa_exception_fp_ieee_inexact 0
		.amdhsa_exception_int_div_zero 0
	.end_amdhsa_kernel
	.section	.text._ZN2at6native39vectorized_templated_elementwise_kernelILi4ENS0_13BinaryFunctorIfffZNS0_12_GLOBAL__N_121threshold_kernel_implIfEEvRNS_18TensorIteratorBaseET_S7_EUlffE_EESt5arrayIPcLm3EE23TrivialOffsetCalculatorILi2EjESD_ILi1EjENS0_6memory12LoadWithCastILi2EEENSG_13StoreWithCastILi1EEEN3c108BFloat16EJSM_fEEEviT0_T1_T2_T3_T4_T5_,"axG",@progbits,_ZN2at6native39vectorized_templated_elementwise_kernelILi4ENS0_13BinaryFunctorIfffZNS0_12_GLOBAL__N_121threshold_kernel_implIfEEvRNS_18TensorIteratorBaseET_S7_EUlffE_EESt5arrayIPcLm3EE23TrivialOffsetCalculatorILi2EjESD_ILi1EjENS0_6memory12LoadWithCastILi2EEENSG_13StoreWithCastILi1EEEN3c108BFloat16EJSM_fEEEviT0_T1_T2_T3_T4_T5_,comdat
.Lfunc_end174:
	.size	_ZN2at6native39vectorized_templated_elementwise_kernelILi4ENS0_13BinaryFunctorIfffZNS0_12_GLOBAL__N_121threshold_kernel_implIfEEvRNS_18TensorIteratorBaseET_S7_EUlffE_EESt5arrayIPcLm3EE23TrivialOffsetCalculatorILi2EjESD_ILi1EjENS0_6memory12LoadWithCastILi2EEENSG_13StoreWithCastILi1EEEN3c108BFloat16EJSM_fEEEviT0_T1_T2_T3_T4_T5_, .Lfunc_end174-_ZN2at6native39vectorized_templated_elementwise_kernelILi4ENS0_13BinaryFunctorIfffZNS0_12_GLOBAL__N_121threshold_kernel_implIfEEvRNS_18TensorIteratorBaseET_S7_EUlffE_EESt5arrayIPcLm3EE23TrivialOffsetCalculatorILi2EjESD_ILi1EjENS0_6memory12LoadWithCastILi2EEENSG_13StoreWithCastILi1EEEN3c108BFloat16EJSM_fEEEviT0_T1_T2_T3_T4_T5_
                                        ; -- End function
	.set _ZN2at6native39vectorized_templated_elementwise_kernelILi4ENS0_13BinaryFunctorIfffZNS0_12_GLOBAL__N_121threshold_kernel_implIfEEvRNS_18TensorIteratorBaseET_S7_EUlffE_EESt5arrayIPcLm3EE23TrivialOffsetCalculatorILi2EjESD_ILi1EjENS0_6memory12LoadWithCastILi2EEENSG_13StoreWithCastILi1EEEN3c108BFloat16EJSM_fEEEviT0_T1_T2_T3_T4_T5_.num_vgpr, max(63, .L_ZN2at6native25elementwise_kernel_helperILb1ENS0_13BinaryFunctorIfffZNS0_12_GLOBAL__N_121threshold_kernel_implIfEEvRNS_18TensorIteratorBaseET_S7_EUlffE_EENS0_6memory8policies11unroll_baseILi512ESt5arrayIPcLm3EE23TrivialOffsetCalculatorILi2EjESG_ILi1EjENSA_12LoadWithCastILi2EEENSA_13StoreWithCastILi1EEELi32ELi1EEEEEvT0_T1_.num_vgpr)
	.set _ZN2at6native39vectorized_templated_elementwise_kernelILi4ENS0_13BinaryFunctorIfffZNS0_12_GLOBAL__N_121threshold_kernel_implIfEEvRNS_18TensorIteratorBaseET_S7_EUlffE_EESt5arrayIPcLm3EE23TrivialOffsetCalculatorILi2EjESD_ILi1EjENS0_6memory12LoadWithCastILi2EEENSG_13StoreWithCastILi1EEEN3c108BFloat16EJSM_fEEEviT0_T1_T2_T3_T4_T5_.num_agpr, max(0, .L_ZN2at6native25elementwise_kernel_helperILb1ENS0_13BinaryFunctorIfffZNS0_12_GLOBAL__N_121threshold_kernel_implIfEEvRNS_18TensorIteratorBaseET_S7_EUlffE_EENS0_6memory8policies11unroll_baseILi512ESt5arrayIPcLm3EE23TrivialOffsetCalculatorILi2EjESG_ILi1EjENSA_12LoadWithCastILi2EEENSA_13StoreWithCastILi1EEELi32ELi1EEEEEvT0_T1_.num_agpr)
	.set _ZN2at6native39vectorized_templated_elementwise_kernelILi4ENS0_13BinaryFunctorIfffZNS0_12_GLOBAL__N_121threshold_kernel_implIfEEvRNS_18TensorIteratorBaseET_S7_EUlffE_EESt5arrayIPcLm3EE23TrivialOffsetCalculatorILi2EjESD_ILi1EjENS0_6memory12LoadWithCastILi2EEENSG_13StoreWithCastILi1EEEN3c108BFloat16EJSM_fEEEviT0_T1_T2_T3_T4_T5_.numbered_sgpr, max(41, .L_ZN2at6native25elementwise_kernel_helperILb1ENS0_13BinaryFunctorIfffZNS0_12_GLOBAL__N_121threshold_kernel_implIfEEvRNS_18TensorIteratorBaseET_S7_EUlffE_EENS0_6memory8policies11unroll_baseILi512ESt5arrayIPcLm3EE23TrivialOffsetCalculatorILi2EjESG_ILi1EjENSA_12LoadWithCastILi2EEENSA_13StoreWithCastILi1EEELi32ELi1EEEEEvT0_T1_.numbered_sgpr)
	.set _ZN2at6native39vectorized_templated_elementwise_kernelILi4ENS0_13BinaryFunctorIfffZNS0_12_GLOBAL__N_121threshold_kernel_implIfEEvRNS_18TensorIteratorBaseET_S7_EUlffE_EESt5arrayIPcLm3EE23TrivialOffsetCalculatorILi2EjESD_ILi1EjENS0_6memory12LoadWithCastILi2EEENSG_13StoreWithCastILi1EEEN3c108BFloat16EJSM_fEEEviT0_T1_T2_T3_T4_T5_.num_named_barrier, max(0, .L_ZN2at6native25elementwise_kernel_helperILb1ENS0_13BinaryFunctorIfffZNS0_12_GLOBAL__N_121threshold_kernel_implIfEEvRNS_18TensorIteratorBaseET_S7_EUlffE_EENS0_6memory8policies11unroll_baseILi512ESt5arrayIPcLm3EE23TrivialOffsetCalculatorILi2EjESG_ILi1EjENSA_12LoadWithCastILi2EEENSA_13StoreWithCastILi1EEELi32ELi1EEEEEvT0_T1_.num_named_barrier)
	.set _ZN2at6native39vectorized_templated_elementwise_kernelILi4ENS0_13BinaryFunctorIfffZNS0_12_GLOBAL__N_121threshold_kernel_implIfEEvRNS_18TensorIteratorBaseET_S7_EUlffE_EESt5arrayIPcLm3EE23TrivialOffsetCalculatorILi2EjESD_ILi1EjENS0_6memory12LoadWithCastILi2EEENSG_13StoreWithCastILi1EEEN3c108BFloat16EJSM_fEEEviT0_T1_T2_T3_T4_T5_.private_seg_size, 0+max(.L_ZN2at6native25elementwise_kernel_helperILb1ENS0_13BinaryFunctorIfffZNS0_12_GLOBAL__N_121threshold_kernel_implIfEEvRNS_18TensorIteratorBaseET_S7_EUlffE_EENS0_6memory8policies11unroll_baseILi512ESt5arrayIPcLm3EE23TrivialOffsetCalculatorILi2EjESG_ILi1EjENSA_12LoadWithCastILi2EEENSA_13StoreWithCastILi1EEELi32ELi1EEEEEvT0_T1_.private_seg_size)
	.set _ZN2at6native39vectorized_templated_elementwise_kernelILi4ENS0_13BinaryFunctorIfffZNS0_12_GLOBAL__N_121threshold_kernel_implIfEEvRNS_18TensorIteratorBaseET_S7_EUlffE_EESt5arrayIPcLm3EE23TrivialOffsetCalculatorILi2EjESD_ILi1EjENS0_6memory12LoadWithCastILi2EEENSG_13StoreWithCastILi1EEEN3c108BFloat16EJSM_fEEEviT0_T1_T2_T3_T4_T5_.uses_vcc, or(1, .L_ZN2at6native25elementwise_kernel_helperILb1ENS0_13BinaryFunctorIfffZNS0_12_GLOBAL__N_121threshold_kernel_implIfEEvRNS_18TensorIteratorBaseET_S7_EUlffE_EENS0_6memory8policies11unroll_baseILi512ESt5arrayIPcLm3EE23TrivialOffsetCalculatorILi2EjESG_ILi1EjENSA_12LoadWithCastILi2EEENSA_13StoreWithCastILi1EEELi32ELi1EEEEEvT0_T1_.uses_vcc)
	.set _ZN2at6native39vectorized_templated_elementwise_kernelILi4ENS0_13BinaryFunctorIfffZNS0_12_GLOBAL__N_121threshold_kernel_implIfEEvRNS_18TensorIteratorBaseET_S7_EUlffE_EESt5arrayIPcLm3EE23TrivialOffsetCalculatorILi2EjESD_ILi1EjENS0_6memory12LoadWithCastILi2EEENSG_13StoreWithCastILi1EEEN3c108BFloat16EJSM_fEEEviT0_T1_T2_T3_T4_T5_.uses_flat_scratch, or(0, .L_ZN2at6native25elementwise_kernel_helperILb1ENS0_13BinaryFunctorIfffZNS0_12_GLOBAL__N_121threshold_kernel_implIfEEvRNS_18TensorIteratorBaseET_S7_EUlffE_EENS0_6memory8policies11unroll_baseILi512ESt5arrayIPcLm3EE23TrivialOffsetCalculatorILi2EjESG_ILi1EjENSA_12LoadWithCastILi2EEENSA_13StoreWithCastILi1EEELi32ELi1EEEEEvT0_T1_.uses_flat_scratch)
	.set _ZN2at6native39vectorized_templated_elementwise_kernelILi4ENS0_13BinaryFunctorIfffZNS0_12_GLOBAL__N_121threshold_kernel_implIfEEvRNS_18TensorIteratorBaseET_S7_EUlffE_EESt5arrayIPcLm3EE23TrivialOffsetCalculatorILi2EjESD_ILi1EjENS0_6memory12LoadWithCastILi2EEENSG_13StoreWithCastILi1EEEN3c108BFloat16EJSM_fEEEviT0_T1_T2_T3_T4_T5_.has_dyn_sized_stack, or(0, .L_ZN2at6native25elementwise_kernel_helperILb1ENS0_13BinaryFunctorIfffZNS0_12_GLOBAL__N_121threshold_kernel_implIfEEvRNS_18TensorIteratorBaseET_S7_EUlffE_EENS0_6memory8policies11unroll_baseILi512ESt5arrayIPcLm3EE23TrivialOffsetCalculatorILi2EjESG_ILi1EjENSA_12LoadWithCastILi2EEENSA_13StoreWithCastILi1EEELi32ELi1EEEEEvT0_T1_.has_dyn_sized_stack)
	.set _ZN2at6native39vectorized_templated_elementwise_kernelILi4ENS0_13BinaryFunctorIfffZNS0_12_GLOBAL__N_121threshold_kernel_implIfEEvRNS_18TensorIteratorBaseET_S7_EUlffE_EESt5arrayIPcLm3EE23TrivialOffsetCalculatorILi2EjESD_ILi1EjENS0_6memory12LoadWithCastILi2EEENSG_13StoreWithCastILi1EEEN3c108BFloat16EJSM_fEEEviT0_T1_T2_T3_T4_T5_.has_recursion, or(0, .L_ZN2at6native25elementwise_kernel_helperILb1ENS0_13BinaryFunctorIfffZNS0_12_GLOBAL__N_121threshold_kernel_implIfEEvRNS_18TensorIteratorBaseET_S7_EUlffE_EENS0_6memory8policies11unroll_baseILi512ESt5arrayIPcLm3EE23TrivialOffsetCalculatorILi2EjESG_ILi1EjENSA_12LoadWithCastILi2EEENSA_13StoreWithCastILi1EEELi32ELi1EEEEEvT0_T1_.has_recursion)
	.set _ZN2at6native39vectorized_templated_elementwise_kernelILi4ENS0_13BinaryFunctorIfffZNS0_12_GLOBAL__N_121threshold_kernel_implIfEEvRNS_18TensorIteratorBaseET_S7_EUlffE_EESt5arrayIPcLm3EE23TrivialOffsetCalculatorILi2EjESD_ILi1EjENS0_6memory12LoadWithCastILi2EEENSG_13StoreWithCastILi1EEEN3c108BFloat16EJSM_fEEEviT0_T1_T2_T3_T4_T5_.has_indirect_call, or(0, .L_ZN2at6native25elementwise_kernel_helperILb1ENS0_13BinaryFunctorIfffZNS0_12_GLOBAL__N_121threshold_kernel_implIfEEvRNS_18TensorIteratorBaseET_S7_EUlffE_EENS0_6memory8policies11unroll_baseILi512ESt5arrayIPcLm3EE23TrivialOffsetCalculatorILi2EjESG_ILi1EjENSA_12LoadWithCastILi2EEENSA_13StoreWithCastILi1EEELi32ELi1EEEEEvT0_T1_.has_indirect_call)
	.section	.AMDGPU.csdata,"",@progbits
; Kernel info:
; codeLenInByte = 3584
; TotalNumSgprs: 102
; NumVgprs: 119
; ScratchSize: 272
; MemoryBound: 0
; FloatMode: 240
; IeeeMode: 1
; LDSByteSize: 0 bytes/workgroup (compile time only)
; SGPRBlocks: 12
; VGPRBlocks: 29
; NumSGPRsForWavesPerEU: 102
; NumVGPRsForWavesPerEU: 119
; Occupancy: 2
; WaveLimiterHint : 1
; COMPUTE_PGM_RSRC2:SCRATCH_EN: 1
; COMPUTE_PGM_RSRC2:USER_SGPR: 6
; COMPUTE_PGM_RSRC2:TRAP_HANDLER: 0
; COMPUTE_PGM_RSRC2:TGID_X_EN: 1
; COMPUTE_PGM_RSRC2:TGID_Y_EN: 0
; COMPUTE_PGM_RSRC2:TGID_Z_EN: 0
; COMPUTE_PGM_RSRC2:TIDIG_COMP_CNT: 0
	.section	.text._ZN2at6native39vectorized_templated_elementwise_kernelILi2ENS0_13BinaryFunctorIfffZNS0_12_GLOBAL__N_121threshold_kernel_implIfEEvRNS_18TensorIteratorBaseET_S7_EUlffE_EESt5arrayIPcLm3EE23TrivialOffsetCalculatorILi2EjESD_ILi1EjENS0_6memory12LoadWithCastILi2EEENSG_13StoreWithCastILi1EEEN3c108BFloat16EJSM_fEEEviT0_T1_T2_T3_T4_T5_,"axG",@progbits,_ZN2at6native39vectorized_templated_elementwise_kernelILi2ENS0_13BinaryFunctorIfffZNS0_12_GLOBAL__N_121threshold_kernel_implIfEEvRNS_18TensorIteratorBaseET_S7_EUlffE_EESt5arrayIPcLm3EE23TrivialOffsetCalculatorILi2EjESD_ILi1EjENS0_6memory12LoadWithCastILi2EEENSG_13StoreWithCastILi1EEEN3c108BFloat16EJSM_fEEEviT0_T1_T2_T3_T4_T5_,comdat
	.globl	_ZN2at6native39vectorized_templated_elementwise_kernelILi2ENS0_13BinaryFunctorIfffZNS0_12_GLOBAL__N_121threshold_kernel_implIfEEvRNS_18TensorIteratorBaseET_S7_EUlffE_EESt5arrayIPcLm3EE23TrivialOffsetCalculatorILi2EjESD_ILi1EjENS0_6memory12LoadWithCastILi2EEENSG_13StoreWithCastILi1EEEN3c108BFloat16EJSM_fEEEviT0_T1_T2_T3_T4_T5_ ; -- Begin function _ZN2at6native39vectorized_templated_elementwise_kernelILi2ENS0_13BinaryFunctorIfffZNS0_12_GLOBAL__N_121threshold_kernel_implIfEEvRNS_18TensorIteratorBaseET_S7_EUlffE_EESt5arrayIPcLm3EE23TrivialOffsetCalculatorILi2EjESD_ILi1EjENS0_6memory12LoadWithCastILi2EEENSG_13StoreWithCastILi1EEEN3c108BFloat16EJSM_fEEEviT0_T1_T2_T3_T4_T5_
	.p2align	8
	.type	_ZN2at6native39vectorized_templated_elementwise_kernelILi2ENS0_13BinaryFunctorIfffZNS0_12_GLOBAL__N_121threshold_kernel_implIfEEvRNS_18TensorIteratorBaseET_S7_EUlffE_EESt5arrayIPcLm3EE23TrivialOffsetCalculatorILi2EjESD_ILi1EjENS0_6memory12LoadWithCastILi2EEENSG_13StoreWithCastILi1EEEN3c108BFloat16EJSM_fEEEviT0_T1_T2_T3_T4_T5_,@function
_ZN2at6native39vectorized_templated_elementwise_kernelILi2ENS0_13BinaryFunctorIfffZNS0_12_GLOBAL__N_121threshold_kernel_implIfEEvRNS_18TensorIteratorBaseET_S7_EUlffE_EESt5arrayIPcLm3EE23TrivialOffsetCalculatorILi2EjESD_ILi1EjENS0_6memory12LoadWithCastILi2EEENSG_13StoreWithCastILi1EEEN3c108BFloat16EJSM_fEEEviT0_T1_T2_T3_T4_T5_: ; @_ZN2at6native39vectorized_templated_elementwise_kernelILi2ENS0_13BinaryFunctorIfffZNS0_12_GLOBAL__N_121threshold_kernel_implIfEEvRNS_18TensorIteratorBaseET_S7_EUlffE_EESt5arrayIPcLm3EE23TrivialOffsetCalculatorILi2EjESD_ILi1EjENS0_6memory12LoadWithCastILi2EEENSG_13StoreWithCastILi1EEEN3c108BFloat16EJSM_fEEEviT0_T1_T2_T3_T4_T5_
; %bb.0:
	s_add_u32 s0, s0, s7
	s_load_dword s7, s[4:5], 0x40
	s_load_dwordx8 s[12:19], s[4:5], 0x0
	s_load_dwordx2 s[10:11], s[4:5], 0x20
	s_addc_u32 s1, s1, 0
	s_not_b32 s8, s6
	s_waitcnt lgkmcnt(0)
	s_add_i32 s7, s7, s8
	s_lshl_b32 s22, s7, 14
	s_sub_i32 s7, s12, s22
	s_cmpk_gt_i32 s7, 0x3fff
	s_mov_b64 s[8:9], -1
	s_mov_b32 s32, 0
	s_cbranch_scc1 .LBB175_3
; %bb.1:
	s_andn2_b64 vcc, exec, s[8:9]
	s_cbranch_vccz .LBB175_4
.LBB175_2:
	s_endpgm
.LBB175_3:
	s_ashr_i32 s23, s22, 31
	s_lshl_b64 s[8:9], s[22:23], 1
	s_add_u32 s20, s18, s8
	s_addc_u32 s21, s19, s9
	s_lshl_b64 s[22:23], s[22:23], 2
	s_add_u32 s22, s10, s22
	s_addc_u32 s23, s11, s23
	v_lshlrev_b32_e32 v34, 3, v0
	v_mov_b32_e32 v1, s23
	v_add_co_u32_e32 v17, vcc, s22, v34
	s_movk_i32 s24, 0x4000
	v_addc_co_u32_e32 v18, vcc, 0, v1, vcc
	v_add_co_u32_e32 v5, vcc, s24, v17
	v_addc_co_u32_e32 v6, vcc, 0, v18, vcc
	v_lshlrev_b32_e32 v24, 2, v0
	v_mov_b32_e32 v3, s21
	v_add_co_u32_e32 v13, vcc, s20, v24
	global_load_dwordx2 v[1:2], v[5:6], off offset:-4096
	s_movk_i32 s29, 0x1000
	v_addc_co_u32_e32 v14, vcc, 0, v3, vcc
	v_add_co_u32_e32 v3, vcc, s29, v13
	v_addc_co_u32_e32 v4, vcc, 0, v14, vcc
	global_load_dword v19, v[3:4], off offset:2048
	s_movk_i32 s28, 0x2000
	v_add_co_u32_e32 v3, vcc, s28, v13
	s_movk_i32 s27, 0x3000
	v_addc_co_u32_e32 v4, vcc, 0, v14, vcc
	v_add_co_u32_e32 v9, vcc, s27, v13
	v_addc_co_u32_e32 v10, vcc, 0, v14, vcc
	v_add_co_u32_e32 v7, vcc, s24, v13
	s_movk_i32 s26, 0x5000
	v_addc_co_u32_e32 v8, vcc, 0, v14, vcc
	v_add_co_u32_e32 v11, vcc, s26, v13
	s_movk_i32 s25, 0x6000
	;; [unrolled: 3-line block ×3, first 2 shown]
	v_addc_co_u32_e32 v16, vcc, 0, v14, vcc
	v_add_co_u32_e32 v13, vcc, s15, v13
	v_addc_co_u32_e32 v14, vcc, 0, v14, vcc
	global_load_dword v41, v[3:4], off offset:-4096
	global_load_dword v40, v[3:4], off
	global_load_dword v36, v[3:4], off offset:2048
	global_load_dword v25, v[7:8], off offset:-4096
	global_load_dword v30, v[7:8], off
	global_load_dword v29, v[7:8], off offset:2048
	;; [unrolled: 3-line block ×3, first 2 shown]
	v_add_co_u32_e32 v15, vcc, s28, v17
	v_addc_co_u32_e32 v16, vcc, 0, v18, vcc
	v_add_co_u32_e32 v7, vcc, s25, v17
	v_addc_co_u32_e32 v8, vcc, 0, v18, vcc
	global_load_dwordx2 v[44:45], v[5:6], off
	global_load_dwordx2 v[3:4], v[15:16], off offset:-4096
	global_load_dwordx2 v[46:47], v[15:16], off
	global_load_dwordx2 v[48:49], v[7:8], off offset:-4096
	s_mov_b32 s30, 0x8000
	v_add_co_u32_e32 v21, vcc, s30, v17
	v_addc_co_u32_e32 v22, vcc, 0, v18, vcc
	s_mov_b32 s30, 0xa000
	v_add_co_u32_e32 v32, vcc, s30, v17
	v_addc_co_u32_e32 v33, vcc, 0, v18, vcc
	;; [unrolled: 3-line block ×4, first 2 shown]
	s_mov_b32 s30, 0xf000
	s_movk_i32 s12, 0x7fff
	v_add_co_u32_e32 v54, vcc, s30, v17
	v_addc_co_u32_e32 v55, vcc, 0, v18, vcc
	v_mov_b32_e32 v23, 0x7fc00000
	v_mov_b32_e32 v35, s14
	global_load_dword v58, v[9:10], off offset:2048
	global_load_dword v39, v[11:12], off offset:2048
	global_load_dword v38, v[13:14], off
	global_load_dword v37, v[13:14], off offset:2048
	global_load_dword v43, v24, s[20:21]
	global_load_dword v42, v24, s[20:21] offset:2048
	v_mov_b32_e32 v31, 0x7fc0
	s_add_u32 s20, s16, s8
	s_addc_u32 s21, s17, s9
	s_waitcnt vmcnt(20)
	v_bfe_u32 v5, v1, 16, 1
	v_add3_u32 v5, v1, v5, s12
	v_and_b32_e32 v5, 0xffff0000, v5
	v_cmp_o_f32_e32 vcc, v1, v1
	v_bfe_u32 v6, v2, 16, 1
	v_cndmask_b32_e32 v1, v23, v5, vcc
	v_add3_u32 v6, v2, v6, s12
	v_and_b32_e32 v6, 0xffff0000, v6
	s_waitcnt vmcnt(19)
	v_lshlrev_b32_e32 v5, 16, v19
	v_cmp_nge_f32_e32 vcc, s13, v5
	v_cndmask_b32_e32 v1, v35, v1, vcc
	v_and_b32_e32 v9, 0xffff0000, v19
	v_cmp_o_f32_e32 vcc, v2, v2
	v_cndmask_b32_e32 v2, v23, v6, vcc
	v_cmp_nge_f32_e32 vcc, s13, v9
	v_cndmask_b32_e32 v2, v35, v2, vcc
	v_bfe_u32 v6, v2, 16, 1
	v_bfe_u32 v5, v1, 16, 1
	v_add3_u32 v6, v2, v6, s12
	v_add3_u32 v5, v1, v5, s12
	v_and_b32_e32 v6, 0xffff0000, v6
	v_cmp_o_f32_e32 vcc, v2, v2
	v_lshrrev_b32_e32 v5, 16, v5
	v_cndmask_b32_e32 v2, v23, v6, vcc
	v_cmp_o_f32_e32 vcc, v1, v1
	v_cndmask_b32_e32 v1, v31, v5, vcc
	v_or_b32_e32 v59, v2, v1
	global_load_dwordx2 v[1:2], v[7:8], off
	global_load_dwordx2 v[56:57], v[21:22], off offset:-4096
	global_load_dwordx2 v[19:20], v[21:22], off
	global_load_dwordx2 v[17:18], v[32:33], off offset:-4096
	;; [unrolled: 2-line block ×4, first 2 shown]
	global_load_dwordx2 v[5:6], v[52:53], off
	v_mov_b32_e32 v7, s21
	v_add_co_u32_e32 v33, vcc, s20, v24
	v_addc_co_u32_e32 v32, vcc, 0, v7, vcc
	global_load_dwordx2 v[7:8], v[54:55], off
	global_load_dwordx2 v[21:22], v34, s[22:23]
	v_add_co_u32_e32 v50, vcc, s29, v33
	v_addc_co_u32_e32 v51, vcc, 0, v32, vcc
	s_waitcnt vmcnt(29)
	v_lshlrev_b32_e32 v55, 16, v41
	v_and_b32_e32 v41, 0xffff0000, v41
	global_store_dword v[50:51], v59, off offset:2048
	s_waitcnt vmcnt(21)
	v_bfe_u32 v34, v44, 16, 1
	v_add3_u32 v34, v44, v34, s12
	s_waitcnt vmcnt(19)
	v_bfe_u32 v53, v46, 16, 1
	v_add3_u32 v53, v46, v53, s12
	v_bfe_u32 v54, v47, 16, 1
	v_and_b32_e32 v53, 0xffff0000, v53
	v_cmp_o_f32_e32 vcc, v46, v46
	v_add3_u32 v54, v47, v54, s12
	v_cndmask_b32_e32 v46, v23, v53, vcc
	v_cmp_nge_f32_e32 vcc, s13, v55
	v_cndmask_b32_e32 v46, v35, v46, vcc
	v_and_b32_e32 v54, 0xffff0000, v54
	v_cmp_o_f32_e32 vcc, v47, v47
	v_cndmask_b32_e32 v47, v23, v54, vcc
	v_cmp_nge_f32_e32 vcc, s13, v41
	v_cndmask_b32_e32 v41, v35, v47, vcc
	v_bfe_u32 v47, v41, 16, 1
	v_bfe_u32 v53, v46, 16, 1
	v_add3_u32 v47, v41, v47, s12
	v_add3_u32 v53, v46, v53, s12
	v_and_b32_e32 v47, 0xffff0000, v47
	v_cmp_o_f32_e32 vcc, v41, v41
	v_lshrrev_b32_e32 v53, 16, v53
	v_cndmask_b32_e32 v41, v23, v47, vcc
	v_cmp_o_f32_e32 vcc, v46, v46
	v_cndmask_b32_e32 v46, v31, v53, vcc
	v_or_b32_e32 v41, v41, v46
	v_add_co_u32_e32 v46, vcc, s28, v33
	v_addc_co_u32_e32 v47, vcc, 0, v32, vcc
	v_bfe_u32 v50, v45, 16, 1
	global_store_dword v[46:47], v41, off offset:-4096
	v_lshlrev_b32_e32 v41, 16, v40
	v_and_b32_e32 v34, 0xffff0000, v34
	v_cmp_o_f32_e32 vcc, v44, v44
	v_add3_u32 v50, v45, v50, s12
	v_cndmask_b32_e32 v34, v23, v34, vcc
	v_cmp_nge_f32_e32 vcc, s13, v41
	v_cndmask_b32_e32 v34, v35, v34, vcc
	v_and_b32_e32 v40, 0xffff0000, v40
	v_and_b32_e32 v44, 0xffff0000, v50
	v_cmp_o_f32_e32 vcc, v45, v45
	v_cndmask_b32_e32 v44, v23, v44, vcc
	v_cmp_nge_f32_e32 vcc, s13, v40
	v_cndmask_b32_e32 v40, v35, v44, vcc
	v_bfe_u32 v44, v40, 16, 1
	v_bfe_u32 v41, v34, 16, 1
	v_add3_u32 v44, v40, v44, s12
	v_add3_u32 v41, v34, v41, s12
	v_and_b32_e32 v44, 0xffff0000, v44
	v_cmp_o_f32_e32 vcc, v40, v40
	v_lshrrev_b32_e32 v41, 16, v41
	v_cndmask_b32_e32 v40, v23, v44, vcc
	v_cmp_o_f32_e32 vcc, v34, v34
	s_waitcnt vmcnt(19)
	v_bfe_u32 v51, v48, 16, 1
	v_cndmask_b32_e32 v34, v31, v41, vcc
	v_add3_u32 v51, v48, v51, s12
	v_or_b32_e32 v34, v40, v34
	v_bfe_u32 v52, v49, 16, 1
	global_store_dword v[46:47], v34, off
	v_lshlrev_b32_e32 v34, 16, v36
	v_and_b32_e32 v40, 0xffff0000, v51
	v_cmp_o_f32_e32 vcc, v48, v48
	v_add3_u32 v52, v49, v52, s12
	v_cndmask_b32_e32 v40, v23, v40, vcc
	v_cmp_nge_f32_e32 vcc, s13, v34
	v_cndmask_b32_e32 v34, v35, v40, vcc
	v_and_b32_e32 v36, 0xffff0000, v36
	v_and_b32_e32 v41, 0xffff0000, v52
	v_cmp_o_f32_e32 vcc, v49, v49
	v_cndmask_b32_e32 v41, v23, v41, vcc
	v_cmp_nge_f32_e32 vcc, s13, v36
	v_cndmask_b32_e32 v36, v35, v41, vcc
	v_bfe_u32 v41, v36, 16, 1
	v_bfe_u32 v40, v34, 16, 1
	v_add3_u32 v41, v36, v41, s12
	v_add3_u32 v40, v34, v40, s12
	v_and_b32_e32 v41, 0xffff0000, v41
	v_cmp_o_f32_e32 vcc, v36, v36
	v_lshrrev_b32_e32 v40, 16, v40
	v_cndmask_b32_e32 v36, v23, v41, vcc
	v_cmp_o_f32_e32 vcc, v34, v34
	v_cndmask_b32_e32 v34, v31, v40, vcc
	v_or_b32_e32 v34, v36, v34
	global_store_dword v[46:47], v34, off offset:2048
	s_waitcnt vmcnt(13)
	v_bfe_u32 v34, v56, 16, 1
	v_add3_u32 v34, v56, v34, s12
	v_bfe_u32 v36, v57, 16, 1
	v_lshlrev_b32_e32 v40, 16, v58
	v_and_b32_e32 v34, 0xffff0000, v34
	v_cmp_o_f32_e32 vcc, v56, v56
	v_add3_u32 v36, v57, v36, s12
	v_cndmask_b32_e32 v34, v23, v34, vcc
	v_cmp_nge_f32_e32 vcc, s13, v40
	v_cndmask_b32_e32 v34, v35, v34, vcc
	v_and_b32_e32 v41, 0xffff0000, v58
	v_and_b32_e32 v36, 0xffff0000, v36
	v_cmp_o_f32_e32 vcc, v57, v57
	v_cndmask_b32_e32 v36, v23, v36, vcc
	v_cmp_nge_f32_e32 vcc, s13, v41
	v_cndmask_b32_e32 v36, v35, v36, vcc
	v_bfe_u32 v41, v36, 16, 1
	v_bfe_u32 v40, v34, 16, 1
	v_add3_u32 v41, v36, v41, s12
	v_add3_u32 v40, v34, v40, s12
	v_and_b32_e32 v41, 0xffff0000, v41
	v_cmp_o_f32_e32 vcc, v36, v36
	v_lshrrev_b32_e32 v40, 16, v40
	v_cndmask_b32_e32 v36, v23, v41, vcc
	v_cmp_o_f32_e32 vcc, v34, v34
	v_cndmask_b32_e32 v34, v31, v40, vcc
	v_add_co_u32_e32 v40, vcc, s27, v33
	s_waitcnt vmcnt(4)
	v_bfe_u32 v59, v22, 16, 1
	v_addc_co_u32_e32 v41, vcc, 0, v32, vcc
	v_bfe_u32 v58, v21, 16, 1
	v_add3_u32 v59, v22, v59, s12
	v_add3_u32 v58, v21, v58, s12
	v_and_b32_e32 v59, 0xffff0000, v59
	v_cmp_o_f32_e32 vcc, v22, v22
	v_cmp_o_f32_e64 s[8:9], v21, v21
	v_lshlrev_b32_e32 v21, 16, v43
	v_and_b32_e32 v43, 0xffff0000, v43
	v_and_b32_e32 v22, 0xffff0000, v58
	v_cndmask_b32_e32 v58, v23, v59, vcc
	v_cmp_nge_f32_e32 vcc, s13, v43
	v_cndmask_b32_e64 v22, v23, v22, s[8:9]
	v_cmp_nge_f32_e64 s[8:9], s13, v21
	v_cndmask_b32_e32 v43, v35, v58, vcc
	v_cndmask_b32_e64 v21, v35, v22, s[8:9]
	v_bfe_u32 v58, v43, 16, 1
	v_bfe_u32 v22, v21, 16, 1
	v_add3_u32 v58, v43, v58, s12
	v_add3_u32 v22, v21, v22, s12
	v_and_b32_e32 v58, 0xffff0000, v58
	v_cmp_o_f32_e32 vcc, v43, v43
	v_or_b32_e32 v34, v36, v34
	v_lshrrev_b32_e32 v22, 16, v22
	v_cndmask_b32_e32 v43, v23, v58, vcc
	v_cmp_o_f32_e32 vcc, v21, v21
	global_store_dword v[40:41], v34, off offset:2048
	v_bfe_u32 v34, v3, 16, 1
	v_cndmask_b32_e32 v21, v31, v22, vcc
	v_add3_u32 v34, v3, v34, s12
	v_or_b32_e32 v21, v43, v21
	v_bfe_u32 v36, v4, 16, 1
	global_store_dword v24, v21, s[20:21]
	v_lshlrev_b32_e32 v21, 16, v42
	v_and_b32_e32 v22, 0xffff0000, v34
	v_cmp_o_f32_e32 vcc, v3, v3
	v_add3_u32 v36, v4, v36, s12
	v_cndmask_b32_e32 v3, v23, v22, vcc
	v_cmp_nge_f32_e32 vcc, s13, v21
	v_cndmask_b32_e32 v3, v35, v3, vcc
	v_and_b32_e32 v22, 0xffff0000, v36
	v_and_b32_e32 v42, 0xffff0000, v42
	v_cmp_o_f32_e32 vcc, v4, v4
	v_cndmask_b32_e32 v4, v23, v22, vcc
	v_cmp_nge_f32_e32 vcc, s13, v42
	v_cndmask_b32_e32 v4, v35, v4, vcc
	v_bfe_u32 v22, v4, 16, 1
	v_bfe_u32 v21, v3, 16, 1
	v_add3_u32 v22, v4, v22, s12
	v_add3_u32 v21, v3, v21, s12
	v_and_b32_e32 v22, 0xffff0000, v22
	v_cmp_o_f32_e32 vcc, v4, v4
	v_lshrrev_b32_e32 v21, 16, v21
	v_cndmask_b32_e32 v4, v23, v22, vcc
	v_cmp_o_f32_e32 vcc, v3, v3
	v_cndmask_b32_e32 v3, v31, v21, vcc
	v_or_b32_e32 v3, v4, v3
	v_bfe_u32 v4, v2, 16, 1
	v_bfe_u32 v40, v19, 16, 1
	v_add3_u32 v4, v2, v4, s12
	v_add3_u32 v40, v19, v40, s12
	v_bfe_u32 v41, v20, 16, 1
	v_and_b32_e32 v4, 0xffff0000, v4
	v_cmp_o_f32_e32 vcc, v2, v2
	v_add3_u32 v41, v20, v41, s12
	v_bfe_u32 v44, v17, 16, 1
	v_and_b32_e32 v34, 0xffff0000, v40
	v_cndmask_b32_e32 v2, v23, v4, vcc
	v_cmp_o_f32_e32 vcc, v19, v19
	v_add3_u32 v44, v17, v44, s12
	v_bfe_u32 v45, v18, 16, 1
	v_and_b32_e32 v36, 0xffff0000, v41
	v_cndmask_b32_e32 v19, v23, v34, vcc
	;; [unrolled: 5-line block ×14, first 2 shown]
	v_cmp_o_f32_e32 vcc, v6, v6
	v_add3_u32 v57, v8, v57, s12
	v_and_b32_e32 v53, 0xffff0000, v56
	global_store_dword v24, v3, s[20:21] offset:2048
	v_bfe_u32 v3, v1, 16, 1
	v_cndmask_b32_e32 v6, v23, v52, vcc
	v_cmp_o_f32_e32 vcc, v7, v7
	v_and_b32_e32 v54, 0xffff0000, v57
	v_add3_u32 v3, v1, v3, s12
	v_cndmask_b32_e32 v7, v23, v53, vcc
	v_cmp_o_f32_e32 vcc, v8, v8
	v_and_b32_e32 v3, 0xffff0000, v3
	v_and_b32_e32 v4, 0xffff0000, v25
	v_cndmask_b32_e32 v8, v23, v54, vcc
	v_lshlrev_b32_e32 v25, 16, v25
	v_cmp_o_f32_e32 vcc, v1, v1
	v_cndmask_b32_e32 v1, v23, v3, vcc
	v_cmp_nge_f32_e32 vcc, s13, v25
	v_lshlrev_b32_e32 v21, 16, v30
	v_cndmask_b32_e32 v1, v35, v1, vcc
	v_cmp_nge_f32_e32 vcc, s13, v4
	v_and_b32_e32 v22, 0xffff0000, v30
	v_cndmask_b32_e32 v2, v35, v2, vcc
	v_cmp_nge_f32_e32 vcc, s13, v21
	v_lshlrev_b32_e32 v24, 16, v29
	v_cndmask_b32_e32 v3, v35, v19, vcc
	v_cmp_nge_f32_e32 vcc, s13, v22
	v_and_b32_e32 v29, 0xffff0000, v29
	;; [unrolled: 6-line block ×8, first 2 shown]
	v_cndmask_b32_e32 v6, v35, v6, vcc
	v_cmp_nge_f32_e32 vcc, s13, v42
	v_bfe_u32 v20, v2, 16, 1
	v_cndmask_b32_e32 v7, v35, v7, vcc
	v_cmp_nge_f32_e32 vcc, s13, v37
	v_bfe_u32 v19, v1, 16, 1
	v_add3_u32 v20, v2, v20, s12
	v_cndmask_b32_e32 v8, v35, v8, vcc
	v_add3_u32 v19, v1, v19, s12
	v_and_b32_e32 v20, 0xffff0000, v20
	v_cmp_o_f32_e32 vcc, v2, v2
	v_lshrrev_b32_e32 v19, 16, v19
	v_cndmask_b32_e32 v2, v23, v20, vcc
	v_cmp_o_f32_e32 vcc, v1, v1
	v_cndmask_b32_e32 v1, v31, v19, vcc
	v_or_b32_e32 v19, v2, v1
	v_add_co_u32_e32 v1, vcc, s24, v33
	v_addc_co_u32_e32 v2, vcc, 0, v32, vcc
	v_bfe_u32 v20, v4, 16, 1
	global_store_dword v[1:2], v19, off offset:-4096
	v_bfe_u32 v19, v3, 16, 1
	v_add3_u32 v20, v4, v20, s12
	v_add3_u32 v19, v3, v19, s12
	v_and_b32_e32 v20, 0xffff0000, v20
	v_cmp_o_f32_e32 vcc, v4, v4
	v_lshrrev_b32_e32 v19, 16, v19
	v_cndmask_b32_e32 v4, v23, v20, vcc
	v_cmp_o_f32_e32 vcc, v3, v3
	v_cndmask_b32_e32 v3, v31, v19, vcc
	v_or_b32_e32 v3, v4, v3
	v_bfe_u32 v4, v18, 16, 1
	global_store_dword v[1:2], v3, off
	v_bfe_u32 v3, v17, 16, 1
	v_add3_u32 v4, v18, v4, s12
	v_add3_u32 v3, v17, v3, s12
	v_and_b32_e32 v4, 0xffff0000, v4
	v_cmp_o_f32_e32 vcc, v18, v18
	v_lshrrev_b32_e32 v3, 16, v3
	v_cndmask_b32_e32 v4, v23, v4, vcc
	v_cmp_o_f32_e32 vcc, v17, v17
	v_cndmask_b32_e32 v3, v31, v3, vcc
	v_or_b32_e32 v3, v4, v3
	global_store_dword v[1:2], v3, off offset:2048
	v_bfe_u32 v2, v16, 16, 1
	v_bfe_u32 v1, v15, 16, 1
	v_add3_u32 v2, v16, v2, s12
	v_add3_u32 v1, v15, v1, s12
	v_and_b32_e32 v2, 0xffff0000, v2
	v_cmp_o_f32_e32 vcc, v16, v16
	v_lshrrev_b32_e32 v1, 16, v1
	v_cndmask_b32_e32 v2, v23, v2, vcc
	v_cmp_o_f32_e32 vcc, v15, v15
	v_cndmask_b32_e32 v1, v31, v1, vcc
	v_or_b32_e32 v15, v2, v1
	v_add_co_u32_e32 v1, vcc, s26, v33
	v_addc_co_u32_e32 v2, vcc, 0, v32, vcc
	v_add_co_u32_e32 v3, vcc, s25, v33
	v_addc_co_u32_e32 v4, vcc, 0, v32, vcc
	global_store_dword v[3:4], v15, off offset:-4096
	v_bfe_u32 v15, v14, 16, 1
	v_add3_u32 v15, v14, v15, s12
	v_bfe_u32 v16, v13, 16, 1
	v_and_b32_e32 v15, 0xffff0000, v15
	v_add3_u32 v16, v13, v16, s12
	v_cmp_o_f32_e32 vcc, v14, v14
	v_lshrrev_b32_e32 v16, 16, v16
	v_cndmask_b32_e32 v14, v23, v15, vcc
	v_cmp_o_f32_e32 vcc, v13, v13
	v_cndmask_b32_e32 v13, v31, v16, vcc
	v_or_b32_e32 v13, v14, v13
	global_store_dword v[1:2], v13, off offset:2048
	v_bfe_u32 v2, v12, 16, 1
	v_bfe_u32 v1, v11, 16, 1
	v_add3_u32 v2, v12, v2, s12
	v_add3_u32 v1, v11, v1, s12
	v_and_b32_e32 v2, 0xffff0000, v2
	v_cmp_o_f32_e32 vcc, v12, v12
	v_lshrrev_b32_e32 v1, 16, v1
	v_cndmask_b32_e32 v2, v23, v2, vcc
	v_cmp_o_f32_e32 vcc, v11, v11
	v_cndmask_b32_e32 v1, v31, v1, vcc
	v_or_b32_e32 v1, v2, v1
	v_bfe_u32 v2, v10, 16, 1
	global_store_dword v[3:4], v1, off
	v_bfe_u32 v1, v9, 16, 1
	v_add3_u32 v2, v10, v2, s12
	v_add3_u32 v1, v9, v1, s12
	v_and_b32_e32 v2, 0xffff0000, v2
	v_cmp_o_f32_e32 vcc, v10, v10
	v_lshrrev_b32_e32 v1, 16, v1
	v_cndmask_b32_e32 v2, v23, v2, vcc
	v_cmp_o_f32_e32 vcc, v9, v9
	v_cndmask_b32_e32 v1, v31, v1, vcc
	v_or_b32_e32 v1, v2, v1
	v_bfe_u32 v2, v6, 16, 1
	global_store_dword v[3:4], v1, off offset:2048
	v_bfe_u32 v1, v5, 16, 1
	v_add3_u32 v2, v6, v2, s12
	v_add3_u32 v1, v5, v1, s12
	v_and_b32_e32 v2, 0xffff0000, v2
	v_cmp_o_f32_e32 vcc, v6, v6
	v_lshrrev_b32_e32 v1, 16, v1
	v_cndmask_b32_e32 v2, v23, v2, vcc
	v_cmp_o_f32_e32 vcc, v5, v5
	v_cndmask_b32_e32 v1, v31, v1, vcc
	v_or_b32_e32 v3, v2, v1
	v_add_co_u32_e32 v1, vcc, s15, v33
	v_bfe_u32 v4, v8, 16, 1
	v_addc_co_u32_e32 v2, vcc, 0, v32, vcc
	v_add3_u32 v4, v8, v4, s12
	global_store_dword v[1:2], v3, off
	v_bfe_u32 v3, v7, 16, 1
	v_and_b32_e32 v4, 0xffff0000, v4
	v_cmp_o_f32_e32 vcc, v8, v8
	v_add3_u32 v3, v7, v3, s12
	v_cndmask_b32_e32 v4, v23, v4, vcc
	v_cmp_o_f32_e32 vcc, v7, v7
	v_cndmask_b32_sdwa v3, v31, v3, vcc dst_sel:DWORD dst_unused:UNUSED_PAD src0_sel:DWORD src1_sel:WORD_1
	v_or_b32_e32 v3, v4, v3
	global_store_dword v[1:2], v3, off offset:2048
	s_cbranch_execnz .LBB175_2
.LBB175_4:
	s_load_dword s15, s[4:5], 0x2c
	s_load_dwordx4 s[20:23], s[4:5], 0x30
	s_mov_b32 s12, s6
	v_mov_b32_e32 v31, v0
	v_mov_b32_e32 v0, s13
	s_waitcnt lgkmcnt(0)
	s_bfe_u32 s24, s15, 0x80008
	s_add_u32 s8, s4, 64
	s_addc_u32 s9, s5, 0
	s_getpc_b64 s[4:5]
	s_add_u32 s4, s4, _ZN2at6native25elementwise_kernel_helperILb1ENS0_13BinaryFunctorIfffZNS0_12_GLOBAL__N_121threshold_kernel_implIfEEvRNS_18TensorIteratorBaseET_S7_EUlffE_EENS0_6memory8policies11unroll_baseILi512ESt5arrayIPcLm3EE23TrivialOffsetCalculatorILi2EjESG_ILi1EjENSA_12LoadWithCastILi2EEENSA_13StoreWithCastILi1EEELi32ELi1EEEEEvT0_T1_@rel32@lo+4
	s_addc_u32 s5, s5, _ZN2at6native25elementwise_kernel_helperILb1ENS0_13BinaryFunctorIfffZNS0_12_GLOBAL__N_121threshold_kernel_implIfEEvRNS_18TensorIteratorBaseET_S7_EUlffE_EENS0_6memory8policies11unroll_baseILi512ESt5arrayIPcLm3EE23TrivialOffsetCalculatorILi2EjESG_ILi1EjENSA_12LoadWithCastILi2EEENSA_13StoreWithCastILi1EEELi32ELi1EEEEEvT0_T1_@rel32@hi+12
	v_mov_b32_e32 v1, s14
	v_mov_b32_e32 v2, s16
	;; [unrolled: 1-line block ×14, first 2 shown]
	s_swappc_b64 s[30:31], s[4:5]
	s_endpgm
	.section	.rodata,"a",@progbits
	.p2align	6, 0x0
	.amdhsa_kernel _ZN2at6native39vectorized_templated_elementwise_kernelILi2ENS0_13BinaryFunctorIfffZNS0_12_GLOBAL__N_121threshold_kernel_implIfEEvRNS_18TensorIteratorBaseET_S7_EUlffE_EESt5arrayIPcLm3EE23TrivialOffsetCalculatorILi2EjESD_ILi1EjENS0_6memory12LoadWithCastILi2EEENSG_13StoreWithCastILi1EEEN3c108BFloat16EJSM_fEEEviT0_T1_T2_T3_T4_T5_
		.amdhsa_group_segment_fixed_size 0
		.amdhsa_private_segment_fixed_size 272
		.amdhsa_kernarg_size 320
		.amdhsa_user_sgpr_count 6
		.amdhsa_user_sgpr_private_segment_buffer 1
		.amdhsa_user_sgpr_dispatch_ptr 0
		.amdhsa_user_sgpr_queue_ptr 0
		.amdhsa_user_sgpr_kernarg_segment_ptr 1
		.amdhsa_user_sgpr_dispatch_id 0
		.amdhsa_user_sgpr_flat_scratch_init 0
		.amdhsa_user_sgpr_private_segment_size 0
		.amdhsa_uses_dynamic_stack 0
		.amdhsa_system_sgpr_private_segment_wavefront_offset 1
		.amdhsa_system_sgpr_workgroup_id_x 1
		.amdhsa_system_sgpr_workgroup_id_y 0
		.amdhsa_system_sgpr_workgroup_id_z 0
		.amdhsa_system_sgpr_workgroup_info 0
		.amdhsa_system_vgpr_workitem_id 0
		.amdhsa_next_free_vgpr 119
		.amdhsa_next_free_sgpr 98
		.amdhsa_reserve_vcc 1
		.amdhsa_reserve_flat_scratch 0
		.amdhsa_float_round_mode_32 0
		.amdhsa_float_round_mode_16_64 0
		.amdhsa_float_denorm_mode_32 3
		.amdhsa_float_denorm_mode_16_64 3
		.amdhsa_dx10_clamp 1
		.amdhsa_ieee_mode 1
		.amdhsa_fp16_overflow 0
		.amdhsa_exception_fp_ieee_invalid_op 0
		.amdhsa_exception_fp_denorm_src 0
		.amdhsa_exception_fp_ieee_div_zero 0
		.amdhsa_exception_fp_ieee_overflow 0
		.amdhsa_exception_fp_ieee_underflow 0
		.amdhsa_exception_fp_ieee_inexact 0
		.amdhsa_exception_int_div_zero 0
	.end_amdhsa_kernel
	.section	.text._ZN2at6native39vectorized_templated_elementwise_kernelILi2ENS0_13BinaryFunctorIfffZNS0_12_GLOBAL__N_121threshold_kernel_implIfEEvRNS_18TensorIteratorBaseET_S7_EUlffE_EESt5arrayIPcLm3EE23TrivialOffsetCalculatorILi2EjESD_ILi1EjENS0_6memory12LoadWithCastILi2EEENSG_13StoreWithCastILi1EEEN3c108BFloat16EJSM_fEEEviT0_T1_T2_T3_T4_T5_,"axG",@progbits,_ZN2at6native39vectorized_templated_elementwise_kernelILi2ENS0_13BinaryFunctorIfffZNS0_12_GLOBAL__N_121threshold_kernel_implIfEEvRNS_18TensorIteratorBaseET_S7_EUlffE_EESt5arrayIPcLm3EE23TrivialOffsetCalculatorILi2EjESD_ILi1EjENS0_6memory12LoadWithCastILi2EEENSG_13StoreWithCastILi1EEEN3c108BFloat16EJSM_fEEEviT0_T1_T2_T3_T4_T5_,comdat
.Lfunc_end175:
	.size	_ZN2at6native39vectorized_templated_elementwise_kernelILi2ENS0_13BinaryFunctorIfffZNS0_12_GLOBAL__N_121threshold_kernel_implIfEEvRNS_18TensorIteratorBaseET_S7_EUlffE_EESt5arrayIPcLm3EE23TrivialOffsetCalculatorILi2EjESD_ILi1EjENS0_6memory12LoadWithCastILi2EEENSG_13StoreWithCastILi1EEEN3c108BFloat16EJSM_fEEEviT0_T1_T2_T3_T4_T5_, .Lfunc_end175-_ZN2at6native39vectorized_templated_elementwise_kernelILi2ENS0_13BinaryFunctorIfffZNS0_12_GLOBAL__N_121threshold_kernel_implIfEEvRNS_18TensorIteratorBaseET_S7_EUlffE_EESt5arrayIPcLm3EE23TrivialOffsetCalculatorILi2EjESD_ILi1EjENS0_6memory12LoadWithCastILi2EEENSG_13StoreWithCastILi1EEEN3c108BFloat16EJSM_fEEEviT0_T1_T2_T3_T4_T5_
                                        ; -- End function
	.set _ZN2at6native39vectorized_templated_elementwise_kernelILi2ENS0_13BinaryFunctorIfffZNS0_12_GLOBAL__N_121threshold_kernel_implIfEEvRNS_18TensorIteratorBaseET_S7_EUlffE_EESt5arrayIPcLm3EE23TrivialOffsetCalculatorILi2EjESD_ILi1EjENS0_6memory12LoadWithCastILi2EEENSG_13StoreWithCastILi1EEEN3c108BFloat16EJSM_fEEEviT0_T1_T2_T3_T4_T5_.num_vgpr, max(60, .L_ZN2at6native25elementwise_kernel_helperILb1ENS0_13BinaryFunctorIfffZNS0_12_GLOBAL__N_121threshold_kernel_implIfEEvRNS_18TensorIteratorBaseET_S7_EUlffE_EENS0_6memory8policies11unroll_baseILi512ESt5arrayIPcLm3EE23TrivialOffsetCalculatorILi2EjESG_ILi1EjENSA_12LoadWithCastILi2EEENSA_13StoreWithCastILi1EEELi32ELi1EEEEEvT0_T1_.num_vgpr)
	.set _ZN2at6native39vectorized_templated_elementwise_kernelILi2ENS0_13BinaryFunctorIfffZNS0_12_GLOBAL__N_121threshold_kernel_implIfEEvRNS_18TensorIteratorBaseET_S7_EUlffE_EESt5arrayIPcLm3EE23TrivialOffsetCalculatorILi2EjESD_ILi1EjENS0_6memory12LoadWithCastILi2EEENSG_13StoreWithCastILi1EEEN3c108BFloat16EJSM_fEEEviT0_T1_T2_T3_T4_T5_.num_agpr, max(0, .L_ZN2at6native25elementwise_kernel_helperILb1ENS0_13BinaryFunctorIfffZNS0_12_GLOBAL__N_121threshold_kernel_implIfEEvRNS_18TensorIteratorBaseET_S7_EUlffE_EENS0_6memory8policies11unroll_baseILi512ESt5arrayIPcLm3EE23TrivialOffsetCalculatorILi2EjESG_ILi1EjENSA_12LoadWithCastILi2EEENSA_13StoreWithCastILi1EEELi32ELi1EEEEEvT0_T1_.num_agpr)
	.set _ZN2at6native39vectorized_templated_elementwise_kernelILi2ENS0_13BinaryFunctorIfffZNS0_12_GLOBAL__N_121threshold_kernel_implIfEEvRNS_18TensorIteratorBaseET_S7_EUlffE_EESt5arrayIPcLm3EE23TrivialOffsetCalculatorILi2EjESD_ILi1EjENS0_6memory12LoadWithCastILi2EEENSG_13StoreWithCastILi1EEEN3c108BFloat16EJSM_fEEEviT0_T1_T2_T3_T4_T5_.numbered_sgpr, max(33, .L_ZN2at6native25elementwise_kernel_helperILb1ENS0_13BinaryFunctorIfffZNS0_12_GLOBAL__N_121threshold_kernel_implIfEEvRNS_18TensorIteratorBaseET_S7_EUlffE_EENS0_6memory8policies11unroll_baseILi512ESt5arrayIPcLm3EE23TrivialOffsetCalculatorILi2EjESG_ILi1EjENSA_12LoadWithCastILi2EEENSA_13StoreWithCastILi1EEELi32ELi1EEEEEvT0_T1_.numbered_sgpr)
	.set _ZN2at6native39vectorized_templated_elementwise_kernelILi2ENS0_13BinaryFunctorIfffZNS0_12_GLOBAL__N_121threshold_kernel_implIfEEvRNS_18TensorIteratorBaseET_S7_EUlffE_EESt5arrayIPcLm3EE23TrivialOffsetCalculatorILi2EjESD_ILi1EjENS0_6memory12LoadWithCastILi2EEENSG_13StoreWithCastILi1EEEN3c108BFloat16EJSM_fEEEviT0_T1_T2_T3_T4_T5_.num_named_barrier, max(0, .L_ZN2at6native25elementwise_kernel_helperILb1ENS0_13BinaryFunctorIfffZNS0_12_GLOBAL__N_121threshold_kernel_implIfEEvRNS_18TensorIteratorBaseET_S7_EUlffE_EENS0_6memory8policies11unroll_baseILi512ESt5arrayIPcLm3EE23TrivialOffsetCalculatorILi2EjESG_ILi1EjENSA_12LoadWithCastILi2EEENSA_13StoreWithCastILi1EEELi32ELi1EEEEEvT0_T1_.num_named_barrier)
	.set _ZN2at6native39vectorized_templated_elementwise_kernelILi2ENS0_13BinaryFunctorIfffZNS0_12_GLOBAL__N_121threshold_kernel_implIfEEvRNS_18TensorIteratorBaseET_S7_EUlffE_EESt5arrayIPcLm3EE23TrivialOffsetCalculatorILi2EjESD_ILi1EjENS0_6memory12LoadWithCastILi2EEENSG_13StoreWithCastILi1EEEN3c108BFloat16EJSM_fEEEviT0_T1_T2_T3_T4_T5_.private_seg_size, 0+max(.L_ZN2at6native25elementwise_kernel_helperILb1ENS0_13BinaryFunctorIfffZNS0_12_GLOBAL__N_121threshold_kernel_implIfEEvRNS_18TensorIteratorBaseET_S7_EUlffE_EENS0_6memory8policies11unroll_baseILi512ESt5arrayIPcLm3EE23TrivialOffsetCalculatorILi2EjESG_ILi1EjENSA_12LoadWithCastILi2EEENSA_13StoreWithCastILi1EEELi32ELi1EEEEEvT0_T1_.private_seg_size)
	.set _ZN2at6native39vectorized_templated_elementwise_kernelILi2ENS0_13BinaryFunctorIfffZNS0_12_GLOBAL__N_121threshold_kernel_implIfEEvRNS_18TensorIteratorBaseET_S7_EUlffE_EESt5arrayIPcLm3EE23TrivialOffsetCalculatorILi2EjESD_ILi1EjENS0_6memory12LoadWithCastILi2EEENSG_13StoreWithCastILi1EEEN3c108BFloat16EJSM_fEEEviT0_T1_T2_T3_T4_T5_.uses_vcc, or(1, .L_ZN2at6native25elementwise_kernel_helperILb1ENS0_13BinaryFunctorIfffZNS0_12_GLOBAL__N_121threshold_kernel_implIfEEvRNS_18TensorIteratorBaseET_S7_EUlffE_EENS0_6memory8policies11unroll_baseILi512ESt5arrayIPcLm3EE23TrivialOffsetCalculatorILi2EjESG_ILi1EjENSA_12LoadWithCastILi2EEENSA_13StoreWithCastILi1EEELi32ELi1EEEEEvT0_T1_.uses_vcc)
	.set _ZN2at6native39vectorized_templated_elementwise_kernelILi2ENS0_13BinaryFunctorIfffZNS0_12_GLOBAL__N_121threshold_kernel_implIfEEvRNS_18TensorIteratorBaseET_S7_EUlffE_EESt5arrayIPcLm3EE23TrivialOffsetCalculatorILi2EjESD_ILi1EjENS0_6memory12LoadWithCastILi2EEENSG_13StoreWithCastILi1EEEN3c108BFloat16EJSM_fEEEviT0_T1_T2_T3_T4_T5_.uses_flat_scratch, or(0, .L_ZN2at6native25elementwise_kernel_helperILb1ENS0_13BinaryFunctorIfffZNS0_12_GLOBAL__N_121threshold_kernel_implIfEEvRNS_18TensorIteratorBaseET_S7_EUlffE_EENS0_6memory8policies11unroll_baseILi512ESt5arrayIPcLm3EE23TrivialOffsetCalculatorILi2EjESG_ILi1EjENSA_12LoadWithCastILi2EEENSA_13StoreWithCastILi1EEELi32ELi1EEEEEvT0_T1_.uses_flat_scratch)
	.set _ZN2at6native39vectorized_templated_elementwise_kernelILi2ENS0_13BinaryFunctorIfffZNS0_12_GLOBAL__N_121threshold_kernel_implIfEEvRNS_18TensorIteratorBaseET_S7_EUlffE_EESt5arrayIPcLm3EE23TrivialOffsetCalculatorILi2EjESD_ILi1EjENS0_6memory12LoadWithCastILi2EEENSG_13StoreWithCastILi1EEEN3c108BFloat16EJSM_fEEEviT0_T1_T2_T3_T4_T5_.has_dyn_sized_stack, or(0, .L_ZN2at6native25elementwise_kernel_helperILb1ENS0_13BinaryFunctorIfffZNS0_12_GLOBAL__N_121threshold_kernel_implIfEEvRNS_18TensorIteratorBaseET_S7_EUlffE_EENS0_6memory8policies11unroll_baseILi512ESt5arrayIPcLm3EE23TrivialOffsetCalculatorILi2EjESG_ILi1EjENSA_12LoadWithCastILi2EEENSA_13StoreWithCastILi1EEELi32ELi1EEEEEvT0_T1_.has_dyn_sized_stack)
	.set _ZN2at6native39vectorized_templated_elementwise_kernelILi2ENS0_13BinaryFunctorIfffZNS0_12_GLOBAL__N_121threshold_kernel_implIfEEvRNS_18TensorIteratorBaseET_S7_EUlffE_EESt5arrayIPcLm3EE23TrivialOffsetCalculatorILi2EjESD_ILi1EjENS0_6memory12LoadWithCastILi2EEENSG_13StoreWithCastILi1EEEN3c108BFloat16EJSM_fEEEviT0_T1_T2_T3_T4_T5_.has_recursion, or(0, .L_ZN2at6native25elementwise_kernel_helperILb1ENS0_13BinaryFunctorIfffZNS0_12_GLOBAL__N_121threshold_kernel_implIfEEvRNS_18TensorIteratorBaseET_S7_EUlffE_EENS0_6memory8policies11unroll_baseILi512ESt5arrayIPcLm3EE23TrivialOffsetCalculatorILi2EjESG_ILi1EjENSA_12LoadWithCastILi2EEENSA_13StoreWithCastILi1EEELi32ELi1EEEEEvT0_T1_.has_recursion)
	.set _ZN2at6native39vectorized_templated_elementwise_kernelILi2ENS0_13BinaryFunctorIfffZNS0_12_GLOBAL__N_121threshold_kernel_implIfEEvRNS_18TensorIteratorBaseET_S7_EUlffE_EESt5arrayIPcLm3EE23TrivialOffsetCalculatorILi2EjESD_ILi1EjENS0_6memory12LoadWithCastILi2EEENSG_13StoreWithCastILi1EEEN3c108BFloat16EJSM_fEEEviT0_T1_T2_T3_T4_T5_.has_indirect_call, or(0, .L_ZN2at6native25elementwise_kernel_helperILb1ENS0_13BinaryFunctorIfffZNS0_12_GLOBAL__N_121threshold_kernel_implIfEEvRNS_18TensorIteratorBaseET_S7_EUlffE_EENS0_6memory8policies11unroll_baseILi512ESt5arrayIPcLm3EE23TrivialOffsetCalculatorILi2EjESG_ILi1EjENSA_12LoadWithCastILi2EEENSA_13StoreWithCastILi1EEELi32ELi1EEEEEvT0_T1_.has_indirect_call)
	.section	.AMDGPU.csdata,"",@progbits
; Kernel info:
; codeLenInByte = 3492
; TotalNumSgprs: 102
; NumVgprs: 119
; ScratchSize: 272
; MemoryBound: 0
; FloatMode: 240
; IeeeMode: 1
; LDSByteSize: 0 bytes/workgroup (compile time only)
; SGPRBlocks: 12
; VGPRBlocks: 29
; NumSGPRsForWavesPerEU: 102
; NumVGPRsForWavesPerEU: 119
; Occupancy: 2
; WaveLimiterHint : 1
; COMPUTE_PGM_RSRC2:SCRATCH_EN: 1
; COMPUTE_PGM_RSRC2:USER_SGPR: 6
; COMPUTE_PGM_RSRC2:TRAP_HANDLER: 0
; COMPUTE_PGM_RSRC2:TGID_X_EN: 1
; COMPUTE_PGM_RSRC2:TGID_Y_EN: 0
; COMPUTE_PGM_RSRC2:TGID_Z_EN: 0
; COMPUTE_PGM_RSRC2:TIDIG_COMP_CNT: 0
	.section	.text._ZN2at6native39vectorized_templated_elementwise_kernelILi8ENS0_13BinaryFunctorIfffZNS0_12_GLOBAL__N_121threshold_kernel_implIfEEvRNS_18TensorIteratorBaseET_S7_EUlffE_EESt5arrayIPcLm3EE23TrivialOffsetCalculatorILi2EjESD_ILi1EjENS0_6memory12LoadWithCastILi2EEENSG_13StoreWithCastILi1EEEfJfN3c104HalfEEEEviT0_T1_T2_T3_T4_T5_,"axG",@progbits,_ZN2at6native39vectorized_templated_elementwise_kernelILi8ENS0_13BinaryFunctorIfffZNS0_12_GLOBAL__N_121threshold_kernel_implIfEEvRNS_18TensorIteratorBaseET_S7_EUlffE_EESt5arrayIPcLm3EE23TrivialOffsetCalculatorILi2EjESD_ILi1EjENS0_6memory12LoadWithCastILi2EEENSG_13StoreWithCastILi1EEEfJfN3c104HalfEEEEviT0_T1_T2_T3_T4_T5_,comdat
	.globl	_ZN2at6native39vectorized_templated_elementwise_kernelILi8ENS0_13BinaryFunctorIfffZNS0_12_GLOBAL__N_121threshold_kernel_implIfEEvRNS_18TensorIteratorBaseET_S7_EUlffE_EESt5arrayIPcLm3EE23TrivialOffsetCalculatorILi2EjESD_ILi1EjENS0_6memory12LoadWithCastILi2EEENSG_13StoreWithCastILi1EEEfJfN3c104HalfEEEEviT0_T1_T2_T3_T4_T5_ ; -- Begin function _ZN2at6native39vectorized_templated_elementwise_kernelILi8ENS0_13BinaryFunctorIfffZNS0_12_GLOBAL__N_121threshold_kernel_implIfEEvRNS_18TensorIteratorBaseET_S7_EUlffE_EESt5arrayIPcLm3EE23TrivialOffsetCalculatorILi2EjESD_ILi1EjENS0_6memory12LoadWithCastILi2EEENSG_13StoreWithCastILi1EEEfJfN3c104HalfEEEEviT0_T1_T2_T3_T4_T5_
	.p2align	8
	.type	_ZN2at6native39vectorized_templated_elementwise_kernelILi8ENS0_13BinaryFunctorIfffZNS0_12_GLOBAL__N_121threshold_kernel_implIfEEvRNS_18TensorIteratorBaseET_S7_EUlffE_EESt5arrayIPcLm3EE23TrivialOffsetCalculatorILi2EjESD_ILi1EjENS0_6memory12LoadWithCastILi2EEENSG_13StoreWithCastILi1EEEfJfN3c104HalfEEEEviT0_T1_T2_T3_T4_T5_,@function
_ZN2at6native39vectorized_templated_elementwise_kernelILi8ENS0_13BinaryFunctorIfffZNS0_12_GLOBAL__N_121threshold_kernel_implIfEEvRNS_18TensorIteratorBaseET_S7_EUlffE_EESt5arrayIPcLm3EE23TrivialOffsetCalculatorILi2EjESD_ILi1EjENS0_6memory12LoadWithCastILi2EEENSG_13StoreWithCastILi1EEEfJfN3c104HalfEEEEviT0_T1_T2_T3_T4_T5_: ; @_ZN2at6native39vectorized_templated_elementwise_kernelILi8ENS0_13BinaryFunctorIfffZNS0_12_GLOBAL__N_121threshold_kernel_implIfEEvRNS_18TensorIteratorBaseET_S7_EUlffE_EESt5arrayIPcLm3EE23TrivialOffsetCalculatorILi2EjESD_ILi1EjENS0_6memory12LoadWithCastILi2EEENSG_13StoreWithCastILi1EEEfJfN3c104HalfEEEEviT0_T1_T2_T3_T4_T5_
; %bb.0:
	s_add_u32 s0, s0, s7
	s_load_dword s7, s[4:5], 0x40
	s_load_dwordx8 s[12:19], s[4:5], 0x0
	s_load_dwordx2 s[20:21], s[4:5], 0x20
	s_addc_u32 s1, s1, 0
	s_not_b32 s8, s6
	s_waitcnt lgkmcnt(0)
	s_add_i32 s7, s7, s8
	s_lshl_b32 s8, s7, 14
	s_sub_i32 s7, s12, s8
	s_cmpk_gt_i32 s7, 0x3fff
	s_mov_b64 s[10:11], -1
	s_mov_b32 s32, 0
	s_cbranch_scc1 .LBB176_3
; %bb.1:
	s_andn2_b64 vcc, exec, s[10:11]
	s_cbranch_vccz .LBB176_4
.LBB176_2:
	s_endpgm
.LBB176_3:
	s_ashr_i32 s9, s8, 31
	s_lshl_b64 s[22:23], s[8:9], 2
	s_add_u32 s10, s18, s22
	s_addc_u32 s11, s19, s23
	s_lshl_b64 s[8:9], s[8:9], 1
	v_lshlrev_b32_e32 v7, 5, v0
	s_add_u32 s24, s20, s8
	v_mov_b32_e32 v1, s11
	v_add_co_u32_e32 v9, vcc, s10, v7
	s_addc_u32 s25, s21, s9
	v_lshlrev_b32_e32 v26, 4, v0
	v_addc_co_u32_e32 v8, vcc, 0, v1, vcc
	v_mov_b32_e32 v1, s25
	v_add_co_u32_e64 v30, s[8:9], s24, v26
	v_addc_co_u32_e64 v31, s[8:9], 0, v1, s[8:9]
	s_movk_i32 s8, 0x2000
	v_add_co_u32_e64 v1, s[8:9], s8, v30
	v_addc_co_u32_e64 v2, s[8:9], 0, v31, s[8:9]
	global_load_dwordx4 v[1:4], v[1:2], off
	v_add_co_u32_e32 v5, vcc, 0x4000, v9
	v_addc_co_u32_e64 v11, s[8:9], 0, v8, vcc
	v_mov_b32_e32 v10, v5
	global_load_dwordx4 v[10:13], v[10:11], off
	v_addc_co_u32_e32 v6, vcc, 0, v8, vcc
	global_load_dwordx4 v[14:17], v[5:6], off offset:16
	global_load_dwordx4 v[18:21], v26, s[24:25]
	global_load_dwordx4 v[22:25], v7, s[10:11]
	s_movk_i32 s12, 0x4000
	global_load_dwordx4 v[26:29], v7, s[10:11] offset:16
	v_add_co_u32_e64 v39, s[8:9], s12, v30
	s_movk_i32 s15, 0x6000
	v_addc_co_u32_e64 v40, s[8:9], 0, v31, s[8:9]
	v_add_co_u32_e64 v41, s[8:9], s15, v30
	v_add_co_u32_e32 v5, vcc, 0x8000, v9
	v_addc_co_u32_e64 v42, s[8:9], 0, v31, s[8:9]
	global_load_dwordx4 v[30:33], v[39:40], off
	global_load_dwordx4 v[34:37], v[41:42], off
	s_mov_b64 s[8:9], vcc
	v_mov_b32_e32 v38, v5
	v_addc_co_u32_e64 v39, s[8:9], 0, v8, s[8:9]
	global_load_dwordx4 v[38:41], v[38:39], off
	s_add_u32 s22, s16, s22
	s_mov_b64 s[10:11], vcc
	v_add_co_u32_e32 v54, vcc, 0xc000, v9
	s_addc_u32 s23, s17, s23
	v_addc_co_u32_e64 v55, s[8:9], 0, v8, vcc
	v_addc_co_u32_e32 v57, vcc, 0, v8, vcc
	v_addc_co_u32_e64 v6, s[10:11], 0, v8, s[10:11]
	v_mov_b32_e32 v8, s23
	v_add_co_u32_e32 v59, vcc, s22, v7
	v_addc_co_u32_e32 v60, vcc, 0, v8, vcc
	global_load_dwordx4 v[42:45], v[5:6], off offset:16
	v_add_co_u32_e32 v5, vcc, s12, v59
	v_addc_co_u32_e32 v6, vcc, 0, v60, vcc
	v_mov_b32_e32 v58, s14
	v_mov_b32_e32 v56, v54
	s_mov_b32 s8, 0x8000
	s_waitcnt vmcnt(9)
	v_cvt_f32_f16_e32 v8, v1
	v_cvt_f32_f16_sdwa v1, v1 dst_sel:DWORD dst_unused:UNUSED_PAD src0_sel:WORD_1
	v_cvt_f32_f16_e32 v46, v2
	v_cvt_f32_f16_sdwa v2, v2 dst_sel:DWORD dst_unused:UNUSED_PAD src0_sel:WORD_1
	s_waitcnt vmcnt(8)
	v_cmp_nge_f32_e32 vcc, s13, v10
	v_cndmask_b32_e32 v8, v58, v8, vcc
	v_cmp_nge_f32_e32 vcc, s13, v11
	v_cndmask_b32_e32 v9, v58, v1, vcc
	;; [unrolled: 2-line block ×3, first 2 shown]
	global_load_dwordx4 v[46:49], v[56:57], off
	global_load_dwordx4 v[50:53], v[54:55], off offset:16
	v_cmp_nge_f32_e32 vcc, s13, v13
	v_cvt_f32_f16_e32 v1, v3
	v_cndmask_b32_e32 v11, v58, v2, vcc
	v_cvt_f32_f16_sdwa v2, v3 dst_sel:DWORD dst_unused:UNUSED_PAD src0_sel:WORD_1
	v_cvt_f32_f16_e32 v3, v4
	v_cvt_f32_f16_sdwa v4, v4 dst_sel:DWORD dst_unused:UNUSED_PAD src0_sel:WORD_1
	s_waitcnt vmcnt(9)
	v_cmp_nge_f32_e32 vcc, s13, v14
	v_cndmask_b32_e32 v1, v58, v1, vcc
	v_cmp_nge_f32_e32 vcc, s13, v15
	v_cndmask_b32_e32 v2, v58, v2, vcc
	;; [unrolled: 2-line block ×3, first 2 shown]
	v_cmp_nge_f32_e32 vcc, s13, v17
	global_store_dwordx4 v[5:6], v[8:11], off
	v_cndmask_b32_e32 v4, v58, v4, vcc
	s_waitcnt vmcnt(9)
	v_cvt_f32_f16_e32 v8, v18
	global_store_dwordx4 v[5:6], v[1:4], off offset:16
	s_waitcnt vmcnt(9)
	v_cmp_nge_f32_e32 vcc, s13, v22
	v_cvt_f32_f16_sdwa v2, v18 dst_sel:DWORD dst_unused:UNUSED_PAD src0_sel:WORD_1
	v_cvt_f32_f16_e32 v3, v19
	v_cvt_f32_f16_sdwa v4, v19 dst_sel:DWORD dst_unused:UNUSED_PAD src0_sel:WORD_1
	v_cndmask_b32_e32 v1, v58, v8, vcc
	v_cmp_nge_f32_e32 vcc, s13, v23
	v_cndmask_b32_e32 v2, v58, v2, vcc
	v_cmp_nge_f32_e32 vcc, s13, v24
	;; [unrolled: 2-line block ×3, first 2 shown]
	v_cndmask_b32_e32 v4, v58, v4, vcc
	global_store_dwordx4 v7, v[1:4], s[22:23]
	s_waitcnt vmcnt(9)
	v_cmp_nge_f32_e32 vcc, s13, v26
	v_cvt_f32_f16_e32 v1, v20
	v_cvt_f32_f16_sdwa v2, v20 dst_sel:DWORD dst_unused:UNUSED_PAD src0_sel:WORD_1
	v_cvt_f32_f16_e32 v3, v21
	v_cvt_f32_f16_sdwa v4, v21 dst_sel:DWORD dst_unused:UNUSED_PAD src0_sel:WORD_1
	v_cndmask_b32_e32 v1, v58, v1, vcc
	v_cmp_nge_f32_e32 vcc, s13, v27
	v_cndmask_b32_e32 v2, v58, v2, vcc
	v_cmp_nge_f32_e32 vcc, s13, v28
	;; [unrolled: 2-line block ×3, first 2 shown]
	v_cndmask_b32_e32 v4, v58, v4, vcc
	global_store_dwordx4 v7, v[1:4], s[22:23] offset:16
	s_waitcnt vmcnt(7)
	v_cmp_nge_f32_e32 vcc, s13, v38
	v_cvt_f32_f16_e32 v1, v30
	v_cvt_f32_f16_sdwa v2, v30 dst_sel:DWORD dst_unused:UNUSED_PAD src0_sel:WORD_1
	v_cvt_f32_f16_e32 v3, v31
	v_cvt_f32_f16_sdwa v4, v31 dst_sel:DWORD dst_unused:UNUSED_PAD src0_sel:WORD_1
	v_cndmask_b32_e32 v1, v58, v1, vcc
	v_cmp_nge_f32_e32 vcc, s13, v39
	v_cndmask_b32_e32 v2, v58, v2, vcc
	v_cmp_nge_f32_e32 vcc, s13, v40
	;; [unrolled: 2-line block ×3, first 2 shown]
	v_cndmask_b32_e32 v4, v58, v4, vcc
	v_add_co_u32_e32 v13, vcc, s8, v59
	v_addc_co_u32_e32 v14, vcc, 0, v60, vcc
	global_store_dwordx4 v[13:14], v[1:4], off
	s_waitcnt vmcnt(7)
	v_cmp_nge_f32_e32 vcc, s13, v42
	v_cvt_f32_f16_e32 v1, v32
	v_cvt_f32_f16_sdwa v2, v32 dst_sel:DWORD dst_unused:UNUSED_PAD src0_sel:WORD_1
	v_cvt_f32_f16_e32 v3, v33
	v_cvt_f32_f16_sdwa v4, v33 dst_sel:DWORD dst_unused:UNUSED_PAD src0_sel:WORD_1
	v_cvt_f32_f16_e32 v5, v34
	v_cndmask_b32_e32 v1, v58, v1, vcc
	v_cmp_nge_f32_e32 vcc, s13, v43
	v_cvt_f32_f16_sdwa v6, v34 dst_sel:DWORD dst_unused:UNUSED_PAD src0_sel:WORD_1
	v_cndmask_b32_e32 v2, v58, v2, vcc
	v_cmp_nge_f32_e32 vcc, s13, v44
	v_cvt_f32_f16_e32 v7, v35
	v_cndmask_b32_e32 v3, v58, v3, vcc
	v_cmp_nge_f32_e32 vcc, s13, v45
	v_cvt_f32_f16_sdwa v8, v35 dst_sel:DWORD dst_unused:UNUSED_PAD src0_sel:WORD_1
	v_cndmask_b32_e32 v4, v58, v4, vcc
	v_cvt_f32_f16_e32 v9, v36
	v_cvt_f32_f16_sdwa v10, v36 dst_sel:DWORD dst_unused:UNUSED_PAD src0_sel:WORD_1
	v_cvt_f32_f16_e32 v11, v37
	s_waitcnt vmcnt(6)
	v_cmp_nge_f32_e32 vcc, s13, v46
	v_cndmask_b32_e32 v5, v58, v5, vcc
	v_cmp_nge_f32_e32 vcc, s13, v47
	v_cndmask_b32_e32 v6, v58, v6, vcc
	;; [unrolled: 2-line block ×3, first 2 shown]
	v_cmp_nge_f32_e32 vcc, s13, v49
	v_cvt_f32_f16_sdwa v12, v37 dst_sel:DWORD dst_unused:UNUSED_PAD src0_sel:WORD_1
	v_cndmask_b32_e32 v8, v58, v8, vcc
	s_waitcnt vmcnt(5)
	v_cmp_nge_f32_e32 vcc, s13, v50
	v_cndmask_b32_e32 v9, v58, v9, vcc
	v_cmp_nge_f32_e32 vcc, s13, v51
	v_cndmask_b32_e32 v10, v58, v10, vcc
	;; [unrolled: 2-line block ×4, first 2 shown]
	global_store_dwordx4 v[13:14], v[1:4], off offset:16
	s_nop 0
	v_add_co_u32_e32 v1, vcc, 0xc000, v59
	v_addc_co_u32_e32 v2, vcc, 0, v60, vcc
	global_store_dwordx4 v[1:2], v[5:8], off
	global_store_dwordx4 v[1:2], v[9:12], off offset:16
	s_cbranch_execnz .LBB176_2
.LBB176_4:
	s_load_dword s10, s[4:5], 0x2c
	s_load_dwordx4 s[24:27], s[4:5], 0x30
	s_mov_b32 s12, s6
	v_mov_b32_e32 v31, v0
	v_mov_b32_e32 v0, s13
	s_waitcnt lgkmcnt(0)
	s_bfe_u32 s11, s10, 0x80008
	s_add_u32 s8, s4, 64
	s_addc_u32 s9, s5, 0
	s_getpc_b64 s[4:5]
	s_add_u32 s4, s4, _ZN2at6native25elementwise_kernel_helperILb1ENS0_13BinaryFunctorIfffZNS0_12_GLOBAL__N_121threshold_kernel_implIfEEvRNS_18TensorIteratorBaseET_S7_EUlffE_EENS0_6memory8policies11unroll_baseILi512ESt5arrayIPcLm3EE23TrivialOffsetCalculatorILi2EjESG_ILi1EjENSA_12LoadWithCastILi2EEENSA_13StoreWithCastILi1EEELi32ELi1EEEEEvT0_T1_@rel32@lo+4
	s_addc_u32 s5, s5, _ZN2at6native25elementwise_kernel_helperILb1ENS0_13BinaryFunctorIfffZNS0_12_GLOBAL__N_121threshold_kernel_implIfEEvRNS_18TensorIteratorBaseET_S7_EUlffE_EENS0_6memory8policies11unroll_baseILi512ESt5arrayIPcLm3EE23TrivialOffsetCalculatorILi2EjESG_ILi1EjENSA_12LoadWithCastILi2EEENSA_13StoreWithCastILi1EEELi32ELi1EEEEEvT0_T1_@rel32@hi+12
	v_mov_b32_e32 v1, s14
	v_mov_b32_e32 v2, s16
	v_mov_b32_e32 v3, s17
	v_mov_b32_e32 v4, s18
	v_mov_b32_e32 v5, s19
	v_mov_b32_e32 v6, s20
	v_mov_b32_e32 v7, s21
	v_mov_b32_e32 v8, s7
	v_mov_b32_e32 v9, s10
	v_mov_b32_e32 v10, s11
	v_mov_b32_e32 v11, s24
	v_mov_b32_e32 v12, s25
	v_mov_b32_e32 v13, s26
	v_mov_b32_e32 v14, s27
	s_swappc_b64 s[30:31], s[4:5]
	s_endpgm
	.section	.rodata,"a",@progbits
	.p2align	6, 0x0
	.amdhsa_kernel _ZN2at6native39vectorized_templated_elementwise_kernelILi8ENS0_13BinaryFunctorIfffZNS0_12_GLOBAL__N_121threshold_kernel_implIfEEvRNS_18TensorIteratorBaseET_S7_EUlffE_EESt5arrayIPcLm3EE23TrivialOffsetCalculatorILi2EjESD_ILi1EjENS0_6memory12LoadWithCastILi2EEENSG_13StoreWithCastILi1EEEfJfN3c104HalfEEEEviT0_T1_T2_T3_T4_T5_
		.amdhsa_group_segment_fixed_size 0
		.amdhsa_private_segment_fixed_size 272
		.amdhsa_kernarg_size 320
		.amdhsa_user_sgpr_count 6
		.amdhsa_user_sgpr_private_segment_buffer 1
		.amdhsa_user_sgpr_dispatch_ptr 0
		.amdhsa_user_sgpr_queue_ptr 0
		.amdhsa_user_sgpr_kernarg_segment_ptr 1
		.amdhsa_user_sgpr_dispatch_id 0
		.amdhsa_user_sgpr_flat_scratch_init 0
		.amdhsa_user_sgpr_private_segment_size 0
		.amdhsa_uses_dynamic_stack 0
		.amdhsa_system_sgpr_private_segment_wavefront_offset 1
		.amdhsa_system_sgpr_workgroup_id_x 1
		.amdhsa_system_sgpr_workgroup_id_y 0
		.amdhsa_system_sgpr_workgroup_id_z 0
		.amdhsa_system_sgpr_workgroup_info 0
		.amdhsa_system_vgpr_workitem_id 0
		.amdhsa_next_free_vgpr 119
		.amdhsa_next_free_sgpr 98
		.amdhsa_reserve_vcc 1
		.amdhsa_reserve_flat_scratch 0
		.amdhsa_float_round_mode_32 0
		.amdhsa_float_round_mode_16_64 0
		.amdhsa_float_denorm_mode_32 3
		.amdhsa_float_denorm_mode_16_64 3
		.amdhsa_dx10_clamp 1
		.amdhsa_ieee_mode 1
		.amdhsa_fp16_overflow 0
		.amdhsa_exception_fp_ieee_invalid_op 0
		.amdhsa_exception_fp_denorm_src 0
		.amdhsa_exception_fp_ieee_div_zero 0
		.amdhsa_exception_fp_ieee_overflow 0
		.amdhsa_exception_fp_ieee_underflow 0
		.amdhsa_exception_fp_ieee_inexact 0
		.amdhsa_exception_int_div_zero 0
	.end_amdhsa_kernel
	.section	.text._ZN2at6native39vectorized_templated_elementwise_kernelILi8ENS0_13BinaryFunctorIfffZNS0_12_GLOBAL__N_121threshold_kernel_implIfEEvRNS_18TensorIteratorBaseET_S7_EUlffE_EESt5arrayIPcLm3EE23TrivialOffsetCalculatorILi2EjESD_ILi1EjENS0_6memory12LoadWithCastILi2EEENSG_13StoreWithCastILi1EEEfJfN3c104HalfEEEEviT0_T1_T2_T3_T4_T5_,"axG",@progbits,_ZN2at6native39vectorized_templated_elementwise_kernelILi8ENS0_13BinaryFunctorIfffZNS0_12_GLOBAL__N_121threshold_kernel_implIfEEvRNS_18TensorIteratorBaseET_S7_EUlffE_EESt5arrayIPcLm3EE23TrivialOffsetCalculatorILi2EjESD_ILi1EjENS0_6memory12LoadWithCastILi2EEENSG_13StoreWithCastILi1EEEfJfN3c104HalfEEEEviT0_T1_T2_T3_T4_T5_,comdat
.Lfunc_end176:
	.size	_ZN2at6native39vectorized_templated_elementwise_kernelILi8ENS0_13BinaryFunctorIfffZNS0_12_GLOBAL__N_121threshold_kernel_implIfEEvRNS_18TensorIteratorBaseET_S7_EUlffE_EESt5arrayIPcLm3EE23TrivialOffsetCalculatorILi2EjESD_ILi1EjENS0_6memory12LoadWithCastILi2EEENSG_13StoreWithCastILi1EEEfJfN3c104HalfEEEEviT0_T1_T2_T3_T4_T5_, .Lfunc_end176-_ZN2at6native39vectorized_templated_elementwise_kernelILi8ENS0_13BinaryFunctorIfffZNS0_12_GLOBAL__N_121threshold_kernel_implIfEEvRNS_18TensorIteratorBaseET_S7_EUlffE_EESt5arrayIPcLm3EE23TrivialOffsetCalculatorILi2EjESD_ILi1EjENS0_6memory12LoadWithCastILi2EEENSG_13StoreWithCastILi1EEEfJfN3c104HalfEEEEviT0_T1_T2_T3_T4_T5_
                                        ; -- End function
	.set _ZN2at6native39vectorized_templated_elementwise_kernelILi8ENS0_13BinaryFunctorIfffZNS0_12_GLOBAL__N_121threshold_kernel_implIfEEvRNS_18TensorIteratorBaseET_S7_EUlffE_EESt5arrayIPcLm3EE23TrivialOffsetCalculatorILi2EjESD_ILi1EjENS0_6memory12LoadWithCastILi2EEENSG_13StoreWithCastILi1EEEfJfN3c104HalfEEEEviT0_T1_T2_T3_T4_T5_.num_vgpr, max(61, .L_ZN2at6native25elementwise_kernel_helperILb1ENS0_13BinaryFunctorIfffZNS0_12_GLOBAL__N_121threshold_kernel_implIfEEvRNS_18TensorIteratorBaseET_S7_EUlffE_EENS0_6memory8policies11unroll_baseILi512ESt5arrayIPcLm3EE23TrivialOffsetCalculatorILi2EjESG_ILi1EjENSA_12LoadWithCastILi2EEENSA_13StoreWithCastILi1EEELi32ELi1EEEEEvT0_T1_.num_vgpr)
	.set _ZN2at6native39vectorized_templated_elementwise_kernelILi8ENS0_13BinaryFunctorIfffZNS0_12_GLOBAL__N_121threshold_kernel_implIfEEvRNS_18TensorIteratorBaseET_S7_EUlffE_EESt5arrayIPcLm3EE23TrivialOffsetCalculatorILi2EjESD_ILi1EjENS0_6memory12LoadWithCastILi2EEENSG_13StoreWithCastILi1EEEfJfN3c104HalfEEEEviT0_T1_T2_T3_T4_T5_.num_agpr, max(0, .L_ZN2at6native25elementwise_kernel_helperILb1ENS0_13BinaryFunctorIfffZNS0_12_GLOBAL__N_121threshold_kernel_implIfEEvRNS_18TensorIteratorBaseET_S7_EUlffE_EENS0_6memory8policies11unroll_baseILi512ESt5arrayIPcLm3EE23TrivialOffsetCalculatorILi2EjESG_ILi1EjENSA_12LoadWithCastILi2EEENSA_13StoreWithCastILi1EEELi32ELi1EEEEEvT0_T1_.num_agpr)
	.set _ZN2at6native39vectorized_templated_elementwise_kernelILi8ENS0_13BinaryFunctorIfffZNS0_12_GLOBAL__N_121threshold_kernel_implIfEEvRNS_18TensorIteratorBaseET_S7_EUlffE_EESt5arrayIPcLm3EE23TrivialOffsetCalculatorILi2EjESD_ILi1EjENS0_6memory12LoadWithCastILi2EEENSG_13StoreWithCastILi1EEEfJfN3c104HalfEEEEviT0_T1_T2_T3_T4_T5_.numbered_sgpr, max(33, .L_ZN2at6native25elementwise_kernel_helperILb1ENS0_13BinaryFunctorIfffZNS0_12_GLOBAL__N_121threshold_kernel_implIfEEvRNS_18TensorIteratorBaseET_S7_EUlffE_EENS0_6memory8policies11unroll_baseILi512ESt5arrayIPcLm3EE23TrivialOffsetCalculatorILi2EjESG_ILi1EjENSA_12LoadWithCastILi2EEENSA_13StoreWithCastILi1EEELi32ELi1EEEEEvT0_T1_.numbered_sgpr)
	.set _ZN2at6native39vectorized_templated_elementwise_kernelILi8ENS0_13BinaryFunctorIfffZNS0_12_GLOBAL__N_121threshold_kernel_implIfEEvRNS_18TensorIteratorBaseET_S7_EUlffE_EESt5arrayIPcLm3EE23TrivialOffsetCalculatorILi2EjESD_ILi1EjENS0_6memory12LoadWithCastILi2EEENSG_13StoreWithCastILi1EEEfJfN3c104HalfEEEEviT0_T1_T2_T3_T4_T5_.num_named_barrier, max(0, .L_ZN2at6native25elementwise_kernel_helperILb1ENS0_13BinaryFunctorIfffZNS0_12_GLOBAL__N_121threshold_kernel_implIfEEvRNS_18TensorIteratorBaseET_S7_EUlffE_EENS0_6memory8policies11unroll_baseILi512ESt5arrayIPcLm3EE23TrivialOffsetCalculatorILi2EjESG_ILi1EjENSA_12LoadWithCastILi2EEENSA_13StoreWithCastILi1EEELi32ELi1EEEEEvT0_T1_.num_named_barrier)
	.set _ZN2at6native39vectorized_templated_elementwise_kernelILi8ENS0_13BinaryFunctorIfffZNS0_12_GLOBAL__N_121threshold_kernel_implIfEEvRNS_18TensorIteratorBaseET_S7_EUlffE_EESt5arrayIPcLm3EE23TrivialOffsetCalculatorILi2EjESD_ILi1EjENS0_6memory12LoadWithCastILi2EEENSG_13StoreWithCastILi1EEEfJfN3c104HalfEEEEviT0_T1_T2_T3_T4_T5_.private_seg_size, 0+max(.L_ZN2at6native25elementwise_kernel_helperILb1ENS0_13BinaryFunctorIfffZNS0_12_GLOBAL__N_121threshold_kernel_implIfEEvRNS_18TensorIteratorBaseET_S7_EUlffE_EENS0_6memory8policies11unroll_baseILi512ESt5arrayIPcLm3EE23TrivialOffsetCalculatorILi2EjESG_ILi1EjENSA_12LoadWithCastILi2EEENSA_13StoreWithCastILi1EEELi32ELi1EEEEEvT0_T1_.private_seg_size)
	.set _ZN2at6native39vectorized_templated_elementwise_kernelILi8ENS0_13BinaryFunctorIfffZNS0_12_GLOBAL__N_121threshold_kernel_implIfEEvRNS_18TensorIteratorBaseET_S7_EUlffE_EESt5arrayIPcLm3EE23TrivialOffsetCalculatorILi2EjESD_ILi1EjENS0_6memory12LoadWithCastILi2EEENSG_13StoreWithCastILi1EEEfJfN3c104HalfEEEEviT0_T1_T2_T3_T4_T5_.uses_vcc, or(1, .L_ZN2at6native25elementwise_kernel_helperILb1ENS0_13BinaryFunctorIfffZNS0_12_GLOBAL__N_121threshold_kernel_implIfEEvRNS_18TensorIteratorBaseET_S7_EUlffE_EENS0_6memory8policies11unroll_baseILi512ESt5arrayIPcLm3EE23TrivialOffsetCalculatorILi2EjESG_ILi1EjENSA_12LoadWithCastILi2EEENSA_13StoreWithCastILi1EEELi32ELi1EEEEEvT0_T1_.uses_vcc)
	.set _ZN2at6native39vectorized_templated_elementwise_kernelILi8ENS0_13BinaryFunctorIfffZNS0_12_GLOBAL__N_121threshold_kernel_implIfEEvRNS_18TensorIteratorBaseET_S7_EUlffE_EESt5arrayIPcLm3EE23TrivialOffsetCalculatorILi2EjESD_ILi1EjENS0_6memory12LoadWithCastILi2EEENSG_13StoreWithCastILi1EEEfJfN3c104HalfEEEEviT0_T1_T2_T3_T4_T5_.uses_flat_scratch, or(0, .L_ZN2at6native25elementwise_kernel_helperILb1ENS0_13BinaryFunctorIfffZNS0_12_GLOBAL__N_121threshold_kernel_implIfEEvRNS_18TensorIteratorBaseET_S7_EUlffE_EENS0_6memory8policies11unroll_baseILi512ESt5arrayIPcLm3EE23TrivialOffsetCalculatorILi2EjESG_ILi1EjENSA_12LoadWithCastILi2EEENSA_13StoreWithCastILi1EEELi32ELi1EEEEEvT0_T1_.uses_flat_scratch)
	.set _ZN2at6native39vectorized_templated_elementwise_kernelILi8ENS0_13BinaryFunctorIfffZNS0_12_GLOBAL__N_121threshold_kernel_implIfEEvRNS_18TensorIteratorBaseET_S7_EUlffE_EESt5arrayIPcLm3EE23TrivialOffsetCalculatorILi2EjESD_ILi1EjENS0_6memory12LoadWithCastILi2EEENSG_13StoreWithCastILi1EEEfJfN3c104HalfEEEEviT0_T1_T2_T3_T4_T5_.has_dyn_sized_stack, or(0, .L_ZN2at6native25elementwise_kernel_helperILb1ENS0_13BinaryFunctorIfffZNS0_12_GLOBAL__N_121threshold_kernel_implIfEEvRNS_18TensorIteratorBaseET_S7_EUlffE_EENS0_6memory8policies11unroll_baseILi512ESt5arrayIPcLm3EE23TrivialOffsetCalculatorILi2EjESG_ILi1EjENSA_12LoadWithCastILi2EEENSA_13StoreWithCastILi1EEELi32ELi1EEEEEvT0_T1_.has_dyn_sized_stack)
	.set _ZN2at6native39vectorized_templated_elementwise_kernelILi8ENS0_13BinaryFunctorIfffZNS0_12_GLOBAL__N_121threshold_kernel_implIfEEvRNS_18TensorIteratorBaseET_S7_EUlffE_EESt5arrayIPcLm3EE23TrivialOffsetCalculatorILi2EjESD_ILi1EjENS0_6memory12LoadWithCastILi2EEENSG_13StoreWithCastILi1EEEfJfN3c104HalfEEEEviT0_T1_T2_T3_T4_T5_.has_recursion, or(0, .L_ZN2at6native25elementwise_kernel_helperILb1ENS0_13BinaryFunctorIfffZNS0_12_GLOBAL__N_121threshold_kernel_implIfEEvRNS_18TensorIteratorBaseET_S7_EUlffE_EENS0_6memory8policies11unroll_baseILi512ESt5arrayIPcLm3EE23TrivialOffsetCalculatorILi2EjESG_ILi1EjENSA_12LoadWithCastILi2EEENSA_13StoreWithCastILi1EEELi32ELi1EEEEEvT0_T1_.has_recursion)
	.set _ZN2at6native39vectorized_templated_elementwise_kernelILi8ENS0_13BinaryFunctorIfffZNS0_12_GLOBAL__N_121threshold_kernel_implIfEEvRNS_18TensorIteratorBaseET_S7_EUlffE_EESt5arrayIPcLm3EE23TrivialOffsetCalculatorILi2EjESD_ILi1EjENS0_6memory12LoadWithCastILi2EEENSG_13StoreWithCastILi1EEEfJfN3c104HalfEEEEviT0_T1_T2_T3_T4_T5_.has_indirect_call, or(0, .L_ZN2at6native25elementwise_kernel_helperILb1ENS0_13BinaryFunctorIfffZNS0_12_GLOBAL__N_121threshold_kernel_implIfEEvRNS_18TensorIteratorBaseET_S7_EUlffE_EENS0_6memory8policies11unroll_baseILi512ESt5arrayIPcLm3EE23TrivialOffsetCalculatorILi2EjESG_ILi1EjENSA_12LoadWithCastILi2EEENSA_13StoreWithCastILi1EEELi32ELi1EEEEEvT0_T1_.has_indirect_call)
	.section	.AMDGPU.csdata,"",@progbits
; Kernel info:
; codeLenInByte = 1140
; TotalNumSgprs: 102
; NumVgprs: 119
; ScratchSize: 272
; MemoryBound: 0
; FloatMode: 240
; IeeeMode: 1
; LDSByteSize: 0 bytes/workgroup (compile time only)
; SGPRBlocks: 12
; VGPRBlocks: 29
; NumSGPRsForWavesPerEU: 102
; NumVGPRsForWavesPerEU: 119
; Occupancy: 2
; WaveLimiterHint : 1
; COMPUTE_PGM_RSRC2:SCRATCH_EN: 1
; COMPUTE_PGM_RSRC2:USER_SGPR: 6
; COMPUTE_PGM_RSRC2:TRAP_HANDLER: 0
; COMPUTE_PGM_RSRC2:TGID_X_EN: 1
; COMPUTE_PGM_RSRC2:TGID_Y_EN: 0
; COMPUTE_PGM_RSRC2:TGID_Z_EN: 0
; COMPUTE_PGM_RSRC2:TIDIG_COMP_CNT: 0
	.section	.text._ZN2at6native39vectorized_templated_elementwise_kernelILi4ENS0_13BinaryFunctorIfffZNS0_12_GLOBAL__N_121threshold_kernel_implIfEEvRNS_18TensorIteratorBaseET_S7_EUlffE_EESt5arrayIPcLm3EE23TrivialOffsetCalculatorILi2EjESD_ILi1EjENS0_6memory12LoadWithCastILi2EEENSG_13StoreWithCastILi1EEEfJfN3c104HalfEEEEviT0_T1_T2_T3_T4_T5_,"axG",@progbits,_ZN2at6native39vectorized_templated_elementwise_kernelILi4ENS0_13BinaryFunctorIfffZNS0_12_GLOBAL__N_121threshold_kernel_implIfEEvRNS_18TensorIteratorBaseET_S7_EUlffE_EESt5arrayIPcLm3EE23TrivialOffsetCalculatorILi2EjESD_ILi1EjENS0_6memory12LoadWithCastILi2EEENSG_13StoreWithCastILi1EEEfJfN3c104HalfEEEEviT0_T1_T2_T3_T4_T5_,comdat
	.globl	_ZN2at6native39vectorized_templated_elementwise_kernelILi4ENS0_13BinaryFunctorIfffZNS0_12_GLOBAL__N_121threshold_kernel_implIfEEvRNS_18TensorIteratorBaseET_S7_EUlffE_EESt5arrayIPcLm3EE23TrivialOffsetCalculatorILi2EjESD_ILi1EjENS0_6memory12LoadWithCastILi2EEENSG_13StoreWithCastILi1EEEfJfN3c104HalfEEEEviT0_T1_T2_T3_T4_T5_ ; -- Begin function _ZN2at6native39vectorized_templated_elementwise_kernelILi4ENS0_13BinaryFunctorIfffZNS0_12_GLOBAL__N_121threshold_kernel_implIfEEvRNS_18TensorIteratorBaseET_S7_EUlffE_EESt5arrayIPcLm3EE23TrivialOffsetCalculatorILi2EjESD_ILi1EjENS0_6memory12LoadWithCastILi2EEENSG_13StoreWithCastILi1EEEfJfN3c104HalfEEEEviT0_T1_T2_T3_T4_T5_
	.p2align	8
	.type	_ZN2at6native39vectorized_templated_elementwise_kernelILi4ENS0_13BinaryFunctorIfffZNS0_12_GLOBAL__N_121threshold_kernel_implIfEEvRNS_18TensorIteratorBaseET_S7_EUlffE_EESt5arrayIPcLm3EE23TrivialOffsetCalculatorILi2EjESD_ILi1EjENS0_6memory12LoadWithCastILi2EEENSG_13StoreWithCastILi1EEEfJfN3c104HalfEEEEviT0_T1_T2_T3_T4_T5_,@function
_ZN2at6native39vectorized_templated_elementwise_kernelILi4ENS0_13BinaryFunctorIfffZNS0_12_GLOBAL__N_121threshold_kernel_implIfEEvRNS_18TensorIteratorBaseET_S7_EUlffE_EESt5arrayIPcLm3EE23TrivialOffsetCalculatorILi2EjESD_ILi1EjENS0_6memory12LoadWithCastILi2EEENSG_13StoreWithCastILi1EEEfJfN3c104HalfEEEEviT0_T1_T2_T3_T4_T5_: ; @_ZN2at6native39vectorized_templated_elementwise_kernelILi4ENS0_13BinaryFunctorIfffZNS0_12_GLOBAL__N_121threshold_kernel_implIfEEvRNS_18TensorIteratorBaseET_S7_EUlffE_EESt5arrayIPcLm3EE23TrivialOffsetCalculatorILi2EjESD_ILi1EjENS0_6memory12LoadWithCastILi2EEENSG_13StoreWithCastILi1EEEfJfN3c104HalfEEEEviT0_T1_T2_T3_T4_T5_
; %bb.0:
	s_add_u32 s0, s0, s7
	s_load_dword s7, s[4:5], 0x40
	s_load_dwordx8 s[12:19], s[4:5], 0x0
	s_load_dwordx2 s[20:21], s[4:5], 0x20
	s_addc_u32 s1, s1, 0
	s_not_b32 s8, s6
	s_waitcnt lgkmcnt(0)
	s_add_i32 s7, s7, s8
	s_lshl_b32 s8, s7, 14
	s_sub_i32 s7, s12, s8
	s_cmpk_gt_i32 s7, 0x3fff
	s_mov_b64 s[10:11], -1
	s_mov_b32 s32, 0
	s_cbranch_scc1 .LBB177_3
; %bb.1:
	s_andn2_b64 vcc, exec, s[10:11]
	s_cbranch_vccz .LBB177_4
.LBB177_2:
	s_endpgm
.LBB177_3:
	s_ashr_i32 s9, s8, 31
	s_lshl_b64 s[22:23], s[8:9], 2
	s_add_u32 s10, s18, s22
	s_addc_u32 s11, s19, s23
	v_lshlrev_b32_e32 v5, 4, v0
	s_lshl_b64 s[8:9], s[8:9], 1
	v_mov_b32_e32 v1, s11
	v_add_co_u32_e32 v7, vcc, s10, v5
	s_add_u32 s24, s20, s8
	v_addc_co_u32_e32 v6, vcc, 0, v1, vcc
	s_addc_u32 s25, s21, s9
	v_lshlrev_b32_e32 v8, 3, v0
	s_movk_i32 s12, 0x2000
	v_mov_b32_e32 v1, s25
	v_add_co_u32_e32 v23, vcc, s24, v8
	v_addc_co_u32_e32 v24, vcc, 0, v1, vcc
	v_add_co_u32_e64 v9, s[8:9], s12, v23
	v_addc_co_u32_e64 v10, s[8:9], 0, v24, s[8:9]
	global_load_dwordx2 v[25:26], v[9:10], off offset:-4096
	global_load_dwordx2 v[37:38], v[9:10], off
	v_add_co_u32_e32 v1, vcc, 0x2000, v7
	v_addc_co_u32_e32 v2, vcc, 0, v6, vcc
	global_load_dwordx4 v[1:4], v[1:2], off
	v_add_co_u32_e32 v11, vcc, 0x4000, v7
	v_addc_co_u32_e32 v12, vcc, 0, v6, vcc
	global_load_dwordx4 v[9:12], v[11:12], off
	s_movk_i32 s26, 0x4000
	global_load_dwordx4 v[13:16], v5, s[10:11]
	v_add_co_u32_e64 v29, s[10:11], s26, v23
	v_addc_co_u32_e64 v30, s[10:11], 0, v24, s[10:11]
	v_add_co_u32_e32 v17, vcc, 0x6000, v7
	global_load_dwordx2 v[39:40], v[29:30], off offset:-4096
	s_mov_b64 s[8:9], vcc
	v_addc_co_u32_e64 v18, s[8:9], 0, v6, s[8:9]
	s_movk_i32 s27, 0x7000
	global_load_dwordx4 v[17:20], v[17:18], off
	v_add_co_u32_e64 v21, s[8:9], s27, v23
	s_movk_i32 s15, 0x6000
	v_addc_co_u32_e64 v22, s[8:9], 0, v24, s[8:9]
	v_add_co_u32_e64 v31, s[8:9], s15, v23
	v_add_co_u32_e32 v27, vcc, 0x8000, v7
	v_addc_co_u32_e64 v32, s[8:9], 0, v24, s[8:9]
	s_mov_b64 s[8:9], vcc
	v_add_co_u32_e32 v41, vcc, 0xa000, v7
	v_addc_co_u32_e64 v28, s[8:9], 0, v6, s[8:9]
	s_mov_b64 s[8:9], vcc
	v_add_co_u32_e32 v51, vcc, 0xc000, v7
	v_addc_co_u32_e64 v42, s[8:9], 0, v6, s[8:9]
	global_load_dwordx2 v[43:44], v[21:22], off
	global_load_dwordx2 v[45:46], v[29:30], off
	global_load_dwordx2 v[47:48], v[31:32], off offset:-4096
	global_load_dwordx2 v[49:50], v[31:32], off
	s_nop 0
	global_load_dwordx4 v[21:24], v[27:28], off
	s_mov_b64 s[8:9], vcc
	v_add_co_u32_e32 v53, vcc, 0xe000, v7
	v_addc_co_u32_e64 v52, s[8:9], 0, v6, s[8:9]
	v_addc_co_u32_e32 v54, vcc, 0, v6, vcc
	v_mov_b32_e32 v57, s14
	s_add_u32 s8, s16, s22
	s_addc_u32 s9, s17, s23
	s_mov_b32 s10, 0x8000
	s_waitcnt vmcnt(11)
	v_cvt_f32_f16_e32 v6, v25
	v_cvt_f32_f16_sdwa v7, v25 dst_sel:DWORD dst_unused:UNUSED_PAD src0_sel:WORD_1
	v_cvt_f32_f16_e32 v25, v26
	v_cvt_f32_f16_sdwa v26, v26 dst_sel:DWORD dst_unused:UNUSED_PAD src0_sel:WORD_1
	s_waitcnt vmcnt(9)
	v_cmp_nge_f32_e32 vcc, s13, v1
	v_cndmask_b32_e32 v1, v57, v6, vcc
	v_cmp_nge_f32_e32 vcc, s13, v2
	v_cndmask_b32_e32 v2, v57, v7, vcc
	global_load_dwordx2 v[6:7], v8, s[24:25]
	v_cmp_nge_f32_e32 vcc, s13, v3
	v_cndmask_b32_e32 v3, v57, v25, vcc
	v_cmp_nge_f32_e32 vcc, s13, v4
	v_cndmask_b32_e32 v4, v57, v26, vcc
	global_load_dwordx4 v[25:28], v[41:42], off
	global_load_dwordx4 v[29:32], v[51:52], off
	;; [unrolled: 1-line block ×3, first 2 shown]
	v_mov_b32_e32 v8, s9
	v_add_co_u32_e32 v58, vcc, s8, v5
	v_addc_co_u32_e32 v59, vcc, 0, v8, vcc
	v_add_co_u32_e32 v55, vcc, s12, v58
	v_addc_co_u32_e32 v56, vcc, 0, v59, vcc
	global_store_dwordx4 v[55:56], v[1:4], off
	s_waitcnt vmcnt(13)
	v_cmp_nge_f32_e32 vcc, s13, v9
	v_cvt_f32_f16_e32 v1, v37
	v_cvt_f32_f16_sdwa v2, v37 dst_sel:DWORD dst_unused:UNUSED_PAD src0_sel:WORD_1
	v_cvt_f32_f16_e32 v3, v38
	v_cvt_f32_f16_sdwa v4, v38 dst_sel:DWORD dst_unused:UNUSED_PAD src0_sel:WORD_1
	v_cndmask_b32_e32 v1, v57, v1, vcc
	v_cmp_nge_f32_e32 vcc, s13, v10
	v_cndmask_b32_e32 v2, v57, v2, vcc
	v_cmp_nge_f32_e32 vcc, s13, v11
	v_cndmask_b32_e32 v3, v57, v3, vcc
	v_cmp_nge_f32_e32 vcc, s13, v12
	v_cndmask_b32_e32 v4, v57, v4, vcc
	v_add_co_u32_e32 v8, vcc, s26, v58
	v_addc_co_u32_e32 v9, vcc, 0, v59, vcc
	global_store_dwordx4 v[8:9], v[1:4], off
	s_waitcnt vmcnt(11)
	v_cmp_nge_f32_e32 vcc, s13, v17
	v_cvt_f32_f16_e32 v1, v39
	v_cvt_f32_f16_sdwa v2, v39 dst_sel:DWORD dst_unused:UNUSED_PAD src0_sel:WORD_1
	v_cvt_f32_f16_e32 v3, v40
	v_cvt_f32_f16_sdwa v4, v40 dst_sel:DWORD dst_unused:UNUSED_PAD src0_sel:WORD_1
	v_cndmask_b32_e32 v1, v57, v1, vcc
	v_cmp_nge_f32_e32 vcc, s13, v18
	v_cndmask_b32_e32 v2, v57, v2, vcc
	v_cmp_nge_f32_e32 vcc, s13, v19
	v_cndmask_b32_e32 v3, v57, v3, vcc
	v_cmp_nge_f32_e32 vcc, s13, v20
	v_cndmask_b32_e32 v4, v57, v4, vcc
	;; [unrolled: 16-line block ×3, first 2 shown]
	v_add_co_u32_e32 v8, vcc, s10, v58
	v_addc_co_u32_e32 v9, vcc, 0, v59, vcc
	global_store_dwordx4 v[8:9], v[1:4], off
	v_cmp_nge_f32_e32 vcc, s13, v13
	v_cvt_f32_f16_e32 v8, v47
	v_cvt_f32_f16_sdwa v9, v47 dst_sel:DWORD dst_unused:UNUSED_PAD src0_sel:WORD_1
	v_cvt_f32_f16_e32 v10, v48
	v_cvt_f32_f16_sdwa v11, v48 dst_sel:DWORD dst_unused:UNUSED_PAD src0_sel:WORD_1
	;; [unrolled: 2-line block ×6, first 2 shown]
	s_waitcnt vmcnt(7)
	v_cvt_f32_f16_e32 v1, v6
	v_cvt_f32_f16_sdwa v2, v6 dst_sel:DWORD dst_unused:UNUSED_PAD src0_sel:WORD_1
	v_cvt_f32_f16_e32 v3, v7
	v_cvt_f32_f16_sdwa v4, v7 dst_sel:DWORD dst_unused:UNUSED_PAD src0_sel:WORD_1
	v_cndmask_b32_e32 v1, v57, v1, vcc
	v_cmp_nge_f32_e32 vcc, s13, v14
	v_cndmask_b32_e32 v2, v57, v2, vcc
	v_cmp_nge_f32_e32 vcc, s13, v15
	v_cndmask_b32_e32 v3, v57, v3, vcc
	v_cmp_nge_f32_e32 vcc, s13, v16
	v_cndmask_b32_e32 v4, v57, v4, vcc
	s_waitcnt vmcnt(6)
	v_cmp_nge_f32_e32 vcc, s13, v25
	v_cndmask_b32_e32 v6, v57, v8, vcc
	v_cmp_nge_f32_e32 vcc, s13, v26
	v_cndmask_b32_e32 v7, v57, v9, vcc
	v_cmp_nge_f32_e32 vcc, s13, v27
	v_cndmask_b32_e32 v8, v57, v10, vcc
	v_cmp_nge_f32_e32 vcc, s13, v28
	v_cndmask_b32_e32 v9, v57, v11, vcc
	s_waitcnt vmcnt(5)
	v_cmp_nge_f32_e32 vcc, s13, v29
	;; [unrolled: 9-line block ×3, first 2 shown]
	v_cndmask_b32_e32 v14, v57, v20, vcc
	v_cmp_nge_f32_e32 vcc, s13, v34
	v_cndmask_b32_e32 v15, v57, v21, vcc
	v_cmp_nge_f32_e32 vcc, s13, v35
	;; [unrolled: 2-line block ×3, first 2 shown]
	s_mov_b32 s10, 0xa000
	v_cndmask_b32_e32 v17, v57, v23, vcc
	global_store_dwordx4 v5, v[1:4], s[8:9]
	s_nop 0
	v_add_co_u32_e32 v1, vcc, s10, v58
	v_addc_co_u32_e32 v2, vcc, 0, v59, vcc
	global_store_dwordx4 v[1:2], v[6:9], off
	v_add_co_u32_e32 v1, vcc, 0xc000, v58
	v_addc_co_u32_e32 v2, vcc, 0, v59, vcc
	global_store_dwordx4 v[1:2], v[10:13], off
	;; [unrolled: 3-line block ×3, first 2 shown]
	s_cbranch_execnz .LBB177_2
.LBB177_4:
	s_load_dword s10, s[4:5], 0x2c
	s_load_dwordx4 s[24:27], s[4:5], 0x30
	s_mov_b32 s12, s6
	v_mov_b32_e32 v31, v0
	v_mov_b32_e32 v0, s13
	s_waitcnt lgkmcnt(0)
	s_bfe_u32 s11, s10, 0x80008
	s_add_u32 s8, s4, 64
	s_addc_u32 s9, s5, 0
	s_getpc_b64 s[4:5]
	s_add_u32 s4, s4, _ZN2at6native25elementwise_kernel_helperILb1ENS0_13BinaryFunctorIfffZNS0_12_GLOBAL__N_121threshold_kernel_implIfEEvRNS_18TensorIteratorBaseET_S7_EUlffE_EENS0_6memory8policies11unroll_baseILi512ESt5arrayIPcLm3EE23TrivialOffsetCalculatorILi2EjESG_ILi1EjENSA_12LoadWithCastILi2EEENSA_13StoreWithCastILi1EEELi32ELi1EEEEEvT0_T1_@rel32@lo+4
	s_addc_u32 s5, s5, _ZN2at6native25elementwise_kernel_helperILb1ENS0_13BinaryFunctorIfffZNS0_12_GLOBAL__N_121threshold_kernel_implIfEEvRNS_18TensorIteratorBaseET_S7_EUlffE_EENS0_6memory8policies11unroll_baseILi512ESt5arrayIPcLm3EE23TrivialOffsetCalculatorILi2EjESG_ILi1EjENSA_12LoadWithCastILi2EEENSA_13StoreWithCastILi1EEELi32ELi1EEEEEvT0_T1_@rel32@hi+12
	v_mov_b32_e32 v1, s14
	v_mov_b32_e32 v2, s16
	;; [unrolled: 1-line block ×14, first 2 shown]
	s_swappc_b64 s[30:31], s[4:5]
	s_endpgm
	.section	.rodata,"a",@progbits
	.p2align	6, 0x0
	.amdhsa_kernel _ZN2at6native39vectorized_templated_elementwise_kernelILi4ENS0_13BinaryFunctorIfffZNS0_12_GLOBAL__N_121threshold_kernel_implIfEEvRNS_18TensorIteratorBaseET_S7_EUlffE_EESt5arrayIPcLm3EE23TrivialOffsetCalculatorILi2EjESD_ILi1EjENS0_6memory12LoadWithCastILi2EEENSG_13StoreWithCastILi1EEEfJfN3c104HalfEEEEviT0_T1_T2_T3_T4_T5_
		.amdhsa_group_segment_fixed_size 0
		.amdhsa_private_segment_fixed_size 272
		.amdhsa_kernarg_size 320
		.amdhsa_user_sgpr_count 6
		.amdhsa_user_sgpr_private_segment_buffer 1
		.amdhsa_user_sgpr_dispatch_ptr 0
		.amdhsa_user_sgpr_queue_ptr 0
		.amdhsa_user_sgpr_kernarg_segment_ptr 1
		.amdhsa_user_sgpr_dispatch_id 0
		.amdhsa_user_sgpr_flat_scratch_init 0
		.amdhsa_user_sgpr_private_segment_size 0
		.amdhsa_uses_dynamic_stack 0
		.amdhsa_system_sgpr_private_segment_wavefront_offset 1
		.amdhsa_system_sgpr_workgroup_id_x 1
		.amdhsa_system_sgpr_workgroup_id_y 0
		.amdhsa_system_sgpr_workgroup_id_z 0
		.amdhsa_system_sgpr_workgroup_info 0
		.amdhsa_system_vgpr_workitem_id 0
		.amdhsa_next_free_vgpr 119
		.amdhsa_next_free_sgpr 98
		.amdhsa_reserve_vcc 1
		.amdhsa_reserve_flat_scratch 0
		.amdhsa_float_round_mode_32 0
		.amdhsa_float_round_mode_16_64 0
		.amdhsa_float_denorm_mode_32 3
		.amdhsa_float_denorm_mode_16_64 3
		.amdhsa_dx10_clamp 1
		.amdhsa_ieee_mode 1
		.amdhsa_fp16_overflow 0
		.amdhsa_exception_fp_ieee_invalid_op 0
		.amdhsa_exception_fp_denorm_src 0
		.amdhsa_exception_fp_ieee_div_zero 0
		.amdhsa_exception_fp_ieee_overflow 0
		.amdhsa_exception_fp_ieee_underflow 0
		.amdhsa_exception_fp_ieee_inexact 0
		.amdhsa_exception_int_div_zero 0
	.end_amdhsa_kernel
	.section	.text._ZN2at6native39vectorized_templated_elementwise_kernelILi4ENS0_13BinaryFunctorIfffZNS0_12_GLOBAL__N_121threshold_kernel_implIfEEvRNS_18TensorIteratorBaseET_S7_EUlffE_EESt5arrayIPcLm3EE23TrivialOffsetCalculatorILi2EjESD_ILi1EjENS0_6memory12LoadWithCastILi2EEENSG_13StoreWithCastILi1EEEfJfN3c104HalfEEEEviT0_T1_T2_T3_T4_T5_,"axG",@progbits,_ZN2at6native39vectorized_templated_elementwise_kernelILi4ENS0_13BinaryFunctorIfffZNS0_12_GLOBAL__N_121threshold_kernel_implIfEEvRNS_18TensorIteratorBaseET_S7_EUlffE_EESt5arrayIPcLm3EE23TrivialOffsetCalculatorILi2EjESD_ILi1EjENS0_6memory12LoadWithCastILi2EEENSG_13StoreWithCastILi1EEEfJfN3c104HalfEEEEviT0_T1_T2_T3_T4_T5_,comdat
.Lfunc_end177:
	.size	_ZN2at6native39vectorized_templated_elementwise_kernelILi4ENS0_13BinaryFunctorIfffZNS0_12_GLOBAL__N_121threshold_kernel_implIfEEvRNS_18TensorIteratorBaseET_S7_EUlffE_EESt5arrayIPcLm3EE23TrivialOffsetCalculatorILi2EjESD_ILi1EjENS0_6memory12LoadWithCastILi2EEENSG_13StoreWithCastILi1EEEfJfN3c104HalfEEEEviT0_T1_T2_T3_T4_T5_, .Lfunc_end177-_ZN2at6native39vectorized_templated_elementwise_kernelILi4ENS0_13BinaryFunctorIfffZNS0_12_GLOBAL__N_121threshold_kernel_implIfEEvRNS_18TensorIteratorBaseET_S7_EUlffE_EESt5arrayIPcLm3EE23TrivialOffsetCalculatorILi2EjESD_ILi1EjENS0_6memory12LoadWithCastILi2EEENSG_13StoreWithCastILi1EEEfJfN3c104HalfEEEEviT0_T1_T2_T3_T4_T5_
                                        ; -- End function
	.set _ZN2at6native39vectorized_templated_elementwise_kernelILi4ENS0_13BinaryFunctorIfffZNS0_12_GLOBAL__N_121threshold_kernel_implIfEEvRNS_18TensorIteratorBaseET_S7_EUlffE_EESt5arrayIPcLm3EE23TrivialOffsetCalculatorILi2EjESD_ILi1EjENS0_6memory12LoadWithCastILi2EEENSG_13StoreWithCastILi1EEEfJfN3c104HalfEEEEviT0_T1_T2_T3_T4_T5_.num_vgpr, max(60, .L_ZN2at6native25elementwise_kernel_helperILb1ENS0_13BinaryFunctorIfffZNS0_12_GLOBAL__N_121threshold_kernel_implIfEEvRNS_18TensorIteratorBaseET_S7_EUlffE_EENS0_6memory8policies11unroll_baseILi512ESt5arrayIPcLm3EE23TrivialOffsetCalculatorILi2EjESG_ILi1EjENSA_12LoadWithCastILi2EEENSA_13StoreWithCastILi1EEELi32ELi1EEEEEvT0_T1_.num_vgpr)
	.set _ZN2at6native39vectorized_templated_elementwise_kernelILi4ENS0_13BinaryFunctorIfffZNS0_12_GLOBAL__N_121threshold_kernel_implIfEEvRNS_18TensorIteratorBaseET_S7_EUlffE_EESt5arrayIPcLm3EE23TrivialOffsetCalculatorILi2EjESD_ILi1EjENS0_6memory12LoadWithCastILi2EEENSG_13StoreWithCastILi1EEEfJfN3c104HalfEEEEviT0_T1_T2_T3_T4_T5_.num_agpr, max(0, .L_ZN2at6native25elementwise_kernel_helperILb1ENS0_13BinaryFunctorIfffZNS0_12_GLOBAL__N_121threshold_kernel_implIfEEvRNS_18TensorIteratorBaseET_S7_EUlffE_EENS0_6memory8policies11unroll_baseILi512ESt5arrayIPcLm3EE23TrivialOffsetCalculatorILi2EjESG_ILi1EjENSA_12LoadWithCastILi2EEENSA_13StoreWithCastILi1EEELi32ELi1EEEEEvT0_T1_.num_agpr)
	.set _ZN2at6native39vectorized_templated_elementwise_kernelILi4ENS0_13BinaryFunctorIfffZNS0_12_GLOBAL__N_121threshold_kernel_implIfEEvRNS_18TensorIteratorBaseET_S7_EUlffE_EESt5arrayIPcLm3EE23TrivialOffsetCalculatorILi2EjESD_ILi1EjENS0_6memory12LoadWithCastILi2EEENSG_13StoreWithCastILi1EEEfJfN3c104HalfEEEEviT0_T1_T2_T3_T4_T5_.numbered_sgpr, max(33, .L_ZN2at6native25elementwise_kernel_helperILb1ENS0_13BinaryFunctorIfffZNS0_12_GLOBAL__N_121threshold_kernel_implIfEEvRNS_18TensorIteratorBaseET_S7_EUlffE_EENS0_6memory8policies11unroll_baseILi512ESt5arrayIPcLm3EE23TrivialOffsetCalculatorILi2EjESG_ILi1EjENSA_12LoadWithCastILi2EEENSA_13StoreWithCastILi1EEELi32ELi1EEEEEvT0_T1_.numbered_sgpr)
	.set _ZN2at6native39vectorized_templated_elementwise_kernelILi4ENS0_13BinaryFunctorIfffZNS0_12_GLOBAL__N_121threshold_kernel_implIfEEvRNS_18TensorIteratorBaseET_S7_EUlffE_EESt5arrayIPcLm3EE23TrivialOffsetCalculatorILi2EjESD_ILi1EjENS0_6memory12LoadWithCastILi2EEENSG_13StoreWithCastILi1EEEfJfN3c104HalfEEEEviT0_T1_T2_T3_T4_T5_.num_named_barrier, max(0, .L_ZN2at6native25elementwise_kernel_helperILb1ENS0_13BinaryFunctorIfffZNS0_12_GLOBAL__N_121threshold_kernel_implIfEEvRNS_18TensorIteratorBaseET_S7_EUlffE_EENS0_6memory8policies11unroll_baseILi512ESt5arrayIPcLm3EE23TrivialOffsetCalculatorILi2EjESG_ILi1EjENSA_12LoadWithCastILi2EEENSA_13StoreWithCastILi1EEELi32ELi1EEEEEvT0_T1_.num_named_barrier)
	.set _ZN2at6native39vectorized_templated_elementwise_kernelILi4ENS0_13BinaryFunctorIfffZNS0_12_GLOBAL__N_121threshold_kernel_implIfEEvRNS_18TensorIteratorBaseET_S7_EUlffE_EESt5arrayIPcLm3EE23TrivialOffsetCalculatorILi2EjESD_ILi1EjENS0_6memory12LoadWithCastILi2EEENSG_13StoreWithCastILi1EEEfJfN3c104HalfEEEEviT0_T1_T2_T3_T4_T5_.private_seg_size, 0+max(.L_ZN2at6native25elementwise_kernel_helperILb1ENS0_13BinaryFunctorIfffZNS0_12_GLOBAL__N_121threshold_kernel_implIfEEvRNS_18TensorIteratorBaseET_S7_EUlffE_EENS0_6memory8policies11unroll_baseILi512ESt5arrayIPcLm3EE23TrivialOffsetCalculatorILi2EjESG_ILi1EjENSA_12LoadWithCastILi2EEENSA_13StoreWithCastILi1EEELi32ELi1EEEEEvT0_T1_.private_seg_size)
	.set _ZN2at6native39vectorized_templated_elementwise_kernelILi4ENS0_13BinaryFunctorIfffZNS0_12_GLOBAL__N_121threshold_kernel_implIfEEvRNS_18TensorIteratorBaseET_S7_EUlffE_EESt5arrayIPcLm3EE23TrivialOffsetCalculatorILi2EjESD_ILi1EjENS0_6memory12LoadWithCastILi2EEENSG_13StoreWithCastILi1EEEfJfN3c104HalfEEEEviT0_T1_T2_T3_T4_T5_.uses_vcc, or(1, .L_ZN2at6native25elementwise_kernel_helperILb1ENS0_13BinaryFunctorIfffZNS0_12_GLOBAL__N_121threshold_kernel_implIfEEvRNS_18TensorIteratorBaseET_S7_EUlffE_EENS0_6memory8policies11unroll_baseILi512ESt5arrayIPcLm3EE23TrivialOffsetCalculatorILi2EjESG_ILi1EjENSA_12LoadWithCastILi2EEENSA_13StoreWithCastILi1EEELi32ELi1EEEEEvT0_T1_.uses_vcc)
	.set _ZN2at6native39vectorized_templated_elementwise_kernelILi4ENS0_13BinaryFunctorIfffZNS0_12_GLOBAL__N_121threshold_kernel_implIfEEvRNS_18TensorIteratorBaseET_S7_EUlffE_EESt5arrayIPcLm3EE23TrivialOffsetCalculatorILi2EjESD_ILi1EjENS0_6memory12LoadWithCastILi2EEENSG_13StoreWithCastILi1EEEfJfN3c104HalfEEEEviT0_T1_T2_T3_T4_T5_.uses_flat_scratch, or(0, .L_ZN2at6native25elementwise_kernel_helperILb1ENS0_13BinaryFunctorIfffZNS0_12_GLOBAL__N_121threshold_kernel_implIfEEvRNS_18TensorIteratorBaseET_S7_EUlffE_EENS0_6memory8policies11unroll_baseILi512ESt5arrayIPcLm3EE23TrivialOffsetCalculatorILi2EjESG_ILi1EjENSA_12LoadWithCastILi2EEENSA_13StoreWithCastILi1EEELi32ELi1EEEEEvT0_T1_.uses_flat_scratch)
	.set _ZN2at6native39vectorized_templated_elementwise_kernelILi4ENS0_13BinaryFunctorIfffZNS0_12_GLOBAL__N_121threshold_kernel_implIfEEvRNS_18TensorIteratorBaseET_S7_EUlffE_EESt5arrayIPcLm3EE23TrivialOffsetCalculatorILi2EjESD_ILi1EjENS0_6memory12LoadWithCastILi2EEENSG_13StoreWithCastILi1EEEfJfN3c104HalfEEEEviT0_T1_T2_T3_T4_T5_.has_dyn_sized_stack, or(0, .L_ZN2at6native25elementwise_kernel_helperILb1ENS0_13BinaryFunctorIfffZNS0_12_GLOBAL__N_121threshold_kernel_implIfEEvRNS_18TensorIteratorBaseET_S7_EUlffE_EENS0_6memory8policies11unroll_baseILi512ESt5arrayIPcLm3EE23TrivialOffsetCalculatorILi2EjESG_ILi1EjENSA_12LoadWithCastILi2EEENSA_13StoreWithCastILi1EEELi32ELi1EEEEEvT0_T1_.has_dyn_sized_stack)
	.set _ZN2at6native39vectorized_templated_elementwise_kernelILi4ENS0_13BinaryFunctorIfffZNS0_12_GLOBAL__N_121threshold_kernel_implIfEEvRNS_18TensorIteratorBaseET_S7_EUlffE_EESt5arrayIPcLm3EE23TrivialOffsetCalculatorILi2EjESD_ILi1EjENS0_6memory12LoadWithCastILi2EEENSG_13StoreWithCastILi1EEEfJfN3c104HalfEEEEviT0_T1_T2_T3_T4_T5_.has_recursion, or(0, .L_ZN2at6native25elementwise_kernel_helperILb1ENS0_13BinaryFunctorIfffZNS0_12_GLOBAL__N_121threshold_kernel_implIfEEvRNS_18TensorIteratorBaseET_S7_EUlffE_EENS0_6memory8policies11unroll_baseILi512ESt5arrayIPcLm3EE23TrivialOffsetCalculatorILi2EjESG_ILi1EjENSA_12LoadWithCastILi2EEENSA_13StoreWithCastILi1EEELi32ELi1EEEEEvT0_T1_.has_recursion)
	.set _ZN2at6native39vectorized_templated_elementwise_kernelILi4ENS0_13BinaryFunctorIfffZNS0_12_GLOBAL__N_121threshold_kernel_implIfEEvRNS_18TensorIteratorBaseET_S7_EUlffE_EESt5arrayIPcLm3EE23TrivialOffsetCalculatorILi2EjESD_ILi1EjENS0_6memory12LoadWithCastILi2EEENSG_13StoreWithCastILi1EEEfJfN3c104HalfEEEEviT0_T1_T2_T3_T4_T5_.has_indirect_call, or(0, .L_ZN2at6native25elementwise_kernel_helperILb1ENS0_13BinaryFunctorIfffZNS0_12_GLOBAL__N_121threshold_kernel_implIfEEvRNS_18TensorIteratorBaseET_S7_EUlffE_EENS0_6memory8policies11unroll_baseILi512ESt5arrayIPcLm3EE23TrivialOffsetCalculatorILi2EjESG_ILi1EjENSA_12LoadWithCastILi2EEENSA_13StoreWithCastILi1EEELi32ELi1EEEEEvT0_T1_.has_indirect_call)
	.section	.AMDGPU.csdata,"",@progbits
; Kernel info:
; codeLenInByte = 1260
; TotalNumSgprs: 102
; NumVgprs: 119
; ScratchSize: 272
; MemoryBound: 0
; FloatMode: 240
; IeeeMode: 1
; LDSByteSize: 0 bytes/workgroup (compile time only)
; SGPRBlocks: 12
; VGPRBlocks: 29
; NumSGPRsForWavesPerEU: 102
; NumVGPRsForWavesPerEU: 119
; Occupancy: 2
; WaveLimiterHint : 1
; COMPUTE_PGM_RSRC2:SCRATCH_EN: 1
; COMPUTE_PGM_RSRC2:USER_SGPR: 6
; COMPUTE_PGM_RSRC2:TRAP_HANDLER: 0
; COMPUTE_PGM_RSRC2:TGID_X_EN: 1
; COMPUTE_PGM_RSRC2:TGID_Y_EN: 0
; COMPUTE_PGM_RSRC2:TGID_Z_EN: 0
; COMPUTE_PGM_RSRC2:TIDIG_COMP_CNT: 0
	.section	.text._ZN2at6native39vectorized_templated_elementwise_kernelILi2ENS0_13BinaryFunctorIfffZNS0_12_GLOBAL__N_121threshold_kernel_implIfEEvRNS_18TensorIteratorBaseET_S7_EUlffE_EESt5arrayIPcLm3EE23TrivialOffsetCalculatorILi2EjESD_ILi1EjENS0_6memory12LoadWithCastILi2EEENSG_13StoreWithCastILi1EEEfJfN3c104HalfEEEEviT0_T1_T2_T3_T4_T5_,"axG",@progbits,_ZN2at6native39vectorized_templated_elementwise_kernelILi2ENS0_13BinaryFunctorIfffZNS0_12_GLOBAL__N_121threshold_kernel_implIfEEvRNS_18TensorIteratorBaseET_S7_EUlffE_EESt5arrayIPcLm3EE23TrivialOffsetCalculatorILi2EjESD_ILi1EjENS0_6memory12LoadWithCastILi2EEENSG_13StoreWithCastILi1EEEfJfN3c104HalfEEEEviT0_T1_T2_T3_T4_T5_,comdat
	.globl	_ZN2at6native39vectorized_templated_elementwise_kernelILi2ENS0_13BinaryFunctorIfffZNS0_12_GLOBAL__N_121threshold_kernel_implIfEEvRNS_18TensorIteratorBaseET_S7_EUlffE_EESt5arrayIPcLm3EE23TrivialOffsetCalculatorILi2EjESD_ILi1EjENS0_6memory12LoadWithCastILi2EEENSG_13StoreWithCastILi1EEEfJfN3c104HalfEEEEviT0_T1_T2_T3_T4_T5_ ; -- Begin function _ZN2at6native39vectorized_templated_elementwise_kernelILi2ENS0_13BinaryFunctorIfffZNS0_12_GLOBAL__N_121threshold_kernel_implIfEEvRNS_18TensorIteratorBaseET_S7_EUlffE_EESt5arrayIPcLm3EE23TrivialOffsetCalculatorILi2EjESD_ILi1EjENS0_6memory12LoadWithCastILi2EEENSG_13StoreWithCastILi1EEEfJfN3c104HalfEEEEviT0_T1_T2_T3_T4_T5_
	.p2align	8
	.type	_ZN2at6native39vectorized_templated_elementwise_kernelILi2ENS0_13BinaryFunctorIfffZNS0_12_GLOBAL__N_121threshold_kernel_implIfEEvRNS_18TensorIteratorBaseET_S7_EUlffE_EESt5arrayIPcLm3EE23TrivialOffsetCalculatorILi2EjESD_ILi1EjENS0_6memory12LoadWithCastILi2EEENSG_13StoreWithCastILi1EEEfJfN3c104HalfEEEEviT0_T1_T2_T3_T4_T5_,@function
_ZN2at6native39vectorized_templated_elementwise_kernelILi2ENS0_13BinaryFunctorIfffZNS0_12_GLOBAL__N_121threshold_kernel_implIfEEvRNS_18TensorIteratorBaseET_S7_EUlffE_EESt5arrayIPcLm3EE23TrivialOffsetCalculatorILi2EjESD_ILi1EjENS0_6memory12LoadWithCastILi2EEENSG_13StoreWithCastILi1EEEfJfN3c104HalfEEEEviT0_T1_T2_T3_T4_T5_: ; @_ZN2at6native39vectorized_templated_elementwise_kernelILi2ENS0_13BinaryFunctorIfffZNS0_12_GLOBAL__N_121threshold_kernel_implIfEEvRNS_18TensorIteratorBaseET_S7_EUlffE_EESt5arrayIPcLm3EE23TrivialOffsetCalculatorILi2EjESD_ILi1EjENS0_6memory12LoadWithCastILi2EEENSG_13StoreWithCastILi1EEEfJfN3c104HalfEEEEviT0_T1_T2_T3_T4_T5_
; %bb.0:
	s_add_u32 s0, s0, s7
	s_load_dword s7, s[4:5], 0x40
	s_load_dwordx8 s[12:19], s[4:5], 0x0
	s_load_dwordx2 s[10:11], s[4:5], 0x20
	s_addc_u32 s1, s1, 0
	s_not_b32 s8, s6
	s_waitcnt lgkmcnt(0)
	s_add_i32 s7, s7, s8
	s_lshl_b32 s8, s7, 14
	s_sub_i32 s7, s12, s8
	s_cmpk_gt_i32 s7, 0x3fff
	s_mov_b64 s[20:21], -1
	s_mov_b32 s32, 0
	s_cbranch_scc1 .LBB178_3
; %bb.1:
	s_andn2_b64 vcc, exec, s[20:21]
	s_cbranch_vccz .LBB178_4
.LBB178_2:
	s_endpgm
.LBB178_3:
	s_ashr_i32 s9, s8, 31
	s_lshl_b64 s[20:21], s[8:9], 2
	s_add_u32 s22, s18, s20
	s_addc_u32 s23, s19, s21
	s_lshl_b64 s[8:9], s[8:9], 1
	s_add_u32 s24, s10, s8
	s_addc_u32 s25, s11, s9
	v_lshlrev_b32_e32 v4, 2, v0
	global_load_dword v3, v4, s[24:25] offset:2048
	v_lshlrev_b32_e32 v1, 3, v0
	v_mov_b32_e32 v5, s23
	v_add_co_u32_e32 v39, vcc, s22, v1
	v_addc_co_u32_e32 v40, vcc, 0, v5, vcc
	v_add_co_u32_e32 v5, vcc, 0x1000, v39
	v_addc_co_u32_e32 v6, vcc, 0, v40, vcc
	;; [unrolled: 2-line block ×3, first 2 shown]
	v_mov_b32_e32 v10, s25
	v_add_co_u32_e32 v9, vcc, 0x3000, v39
	v_add_co_u32_e64 v41, s[8:9], s24, v4
	v_addc_co_u32_e64 v42, s[8:9], 0, v10, s[8:9]
	v_addc_co_u32_e32 v10, vcc, 0, v40, vcc
	global_load_dwordx2 v[23:24], v[5:6], off
	global_load_dwordx2 v[25:26], v[7:8], off
	;; [unrolled: 1-line block ×3, first 2 shown]
	s_movk_i32 s28, 0x1000
	v_add_co_u32_e32 v11, vcc, s28, v41
	s_movk_i32 s27, 0x3000
	v_addc_co_u32_e32 v12, vcc, 0, v42, vcc
	v_add_co_u32_e32 v13, vcc, s27, v41
	s_movk_i32 s26, 0x5000
	v_addc_co_u32_e32 v14, vcc, 0, v42, vcc
	v_add_co_u32_e32 v15, vcc, s26, v41
	s_movk_i32 s15, 0x7000
	s_movk_i32 s12, 0x2000
	v_addc_co_u32_e32 v16, vcc, 0, v42, vcc
	v_add_co_u32_e32 v17, vcc, s15, v41
	v_add_co_u32_e64 v21, s[8:9], s12, v41
	v_addc_co_u32_e32 v18, vcc, 0, v42, vcc
	v_addc_co_u32_e64 v22, s[8:9], 0, v42, s[8:9]
	global_load_dword v55, v[11:12], off offset:2048
	global_load_dword v9, v[13:14], off offset:2048
	;; [unrolled: 1-line block ×3, first 2 shown]
	global_load_dword v6, v[17:18], off
	global_load_dword v5, v[17:18], off offset:2048
	global_load_dword v56, v[21:22], off offset:-4096
	global_load_dword v8, v4, s[24:25]
	v_add_co_u32_e32 v19, vcc, 0x4000, v39
	v_addc_co_u32_e32 v20, vcc, 0, v40, vcc
	v_add_co_u32_e32 v10, vcc, 0x5000, v39
	global_load_dword v57, v[21:22], off
	global_load_dword v58, v[21:22], off offset:2048
	v_addc_co_u32_e32 v11, vcc, 0, v40, vcc
	v_add_co_u32_e32 v12, vcc, 0x6000, v39
	v_addc_co_u32_e32 v13, vcc, 0, v40, vcc
	global_load_dwordx2 v[18:19], v[19:20], off
	s_movk_i32 s15, 0x4000
	global_load_dwordx2 v[10:11], v[10:11], off
	v_add_co_u32_e64 v37, s[8:9], s15, v41
	v_addc_co_u32_e64 v38, s[8:9], 0, v42, s[8:9]
	global_load_dword v59, v[37:38], off offset:-4096
	s_movk_i32 s24, 0x6000
	global_load_dwordx2 v[12:13], v[12:13], off
	v_mov_b32_e32 v2, s14
	s_add_u32 s8, s16, s20
	s_addc_u32 s9, s17, s21
	s_mov_b32 s20, 0xd000
	s_waitcnt vmcnt(16)
	v_cvt_f32_f16_e32 v47, v3
	v_cvt_f32_f16_sdwa v48, v3 dst_sel:DWORD dst_unused:UNUSED_PAD src0_sel:WORD_1
	v_add_co_u32_e32 v3, vcc, 0x7000, v39
	v_addc_co_u32_e32 v4, vcc, 0, v40, vcc
	v_add_co_u32_e32 v14, vcc, 0x8000, v39
	v_addc_co_u32_e32 v15, vcc, 0, v40, vcc
	;; [unrolled: 2-line block ×6, first 2 shown]
	v_add_co_u32_e32 v20, vcc, 0xd000, v39
	global_load_dwordx2 v[3:4], v[3:4], off
	v_addc_co_u32_e32 v21, vcc, 0, v40, vcc
	v_add_co_u32_e32 v35, vcc, 0xe000, v39
	v_addc_co_u32_e32 v36, vcc, 0, v40, vcc
	v_add_co_u32_e32 v39, vcc, 0xf000, v39
	;; [unrolled: 2-line block ×3, first 2 shown]
	v_addc_co_u32_e32 v42, vcc, 0, v42, vcc
	global_load_dword v60, v[37:38], off
	global_load_dword v61, v[37:38], off offset:2048
	global_load_dword v62, v[41:42], off offset:-4096
	global_load_dword v63, v[41:42], off
	global_load_dword v64, v[41:42], off offset:2048
	global_load_dwordx2 v[43:44], v[14:15], off
	global_load_dwordx2 v[45:46], v1, s[22:23]
	s_waitcnt vmcnt(23)
	v_cmp_nge_f32_e32 vcc, s13, v23
	v_cndmask_b32_e32 v14, v2, v47, vcc
	v_cmp_nge_f32_e32 vcc, s13, v24
	v_cndmask_b32_e32 v15, v2, v48, vcc
	global_load_dwordx2 v[22:23], v[16:17], off
	global_load_dwordx2 v[37:38], v[29:30], off
	;; [unrolled: 1-line block ×7, first 2 shown]
	v_mov_b32_e32 v16, s9
	v_add_co_u32_e32 v20, vcc, s8, v1
	v_addc_co_u32_e32 v21, vcc, 0, v16, vcc
	v_add_co_u32_e32 v16, vcc, s12, v20
	v_addc_co_u32_e32 v17, vcc, 0, v21, vcc
	s_waitcnt vmcnt(22)
	v_cvt_f32_f16_e32 v24, v56
	global_store_dwordx2 v[16:17], v[14:15], off offset:-4096
	v_cvt_f32_f16_sdwa v15, v56 dst_sel:DWORD dst_unused:UNUSED_PAD src0_sel:WORD_1
	v_cmp_nge_f32_e32 vcc, s13, v25
	v_cndmask_b32_e32 v14, v2, v24, vcc
	v_cmp_nge_f32_e32 vcc, s13, v26
	v_cndmask_b32_e32 v15, v2, v15, vcc
	v_cvt_f32_f16_e32 v24, v55
	global_store_dwordx2 v[16:17], v[14:15], off
	v_cvt_f32_f16_sdwa v15, v55 dst_sel:DWORD dst_unused:UNUSED_PAD src0_sel:WORD_1
	v_cmp_nge_f32_e32 vcc, s13, v27
	v_cndmask_b32_e32 v14, v2, v24, vcc
	v_cmp_nge_f32_e32 vcc, s13, v28
	v_cndmask_b32_e32 v15, v2, v15, vcc
	v_add_co_u32_e32 v16, vcc, s15, v20
	v_addc_co_u32_e32 v17, vcc, 0, v21, vcc
	s_waitcnt vmcnt(22)
	v_cvt_f32_f16_e32 v24, v57
	global_store_dwordx2 v[16:17], v[14:15], off offset:-4096
	v_cvt_f32_f16_sdwa v15, v57 dst_sel:DWORD dst_unused:UNUSED_PAD src0_sel:WORD_1
	s_waitcnt vmcnt(21)
	v_cmp_nge_f32_e32 vcc, s13, v18
	v_cndmask_b32_e32 v14, v2, v24, vcc
	v_cmp_nge_f32_e32 vcc, s13, v19
	v_cndmask_b32_e32 v15, v2, v15, vcc
	v_cvt_f32_f16_e32 v18, v58
	global_store_dwordx2 v[16:17], v[14:15], off
	v_cvt_f32_f16_sdwa v14, v58 dst_sel:DWORD dst_unused:UNUSED_PAD src0_sel:WORD_1
	s_waitcnt vmcnt(21)
	v_cmp_nge_f32_e32 vcc, s13, v10
	v_cndmask_b32_e32 v10, v2, v18, vcc
	v_cmp_nge_f32_e32 vcc, s13, v11
	v_cndmask_b32_e32 v11, v2, v14, vcc
	v_add_co_u32_e32 v14, vcc, s24, v20
	v_addc_co_u32_e32 v15, vcc, 0, v21, vcc
	s_waitcnt vmcnt(20)
	v_cvt_f32_f16_e32 v16, v59
	global_store_dwordx2 v[14:15], v[10:11], off offset:-4096
	v_cvt_f32_f16_sdwa v11, v59 dst_sel:DWORD dst_unused:UNUSED_PAD src0_sel:WORD_1
	s_waitcnt vmcnt(20)
	v_cmp_nge_f32_e32 vcc, s13, v12
	v_cvt_f32_f16_e32 v12, v9
	v_cvt_f32_f16_sdwa v9, v9 dst_sel:DWORD dst_unused:UNUSED_PAD src0_sel:WORD_1
	v_cndmask_b32_e32 v10, v2, v16, vcc
	v_cmp_nge_f32_e32 vcc, s13, v13
	v_cndmask_b32_e32 v11, v2, v11, vcc
	s_mov_b32 s12, 0x8000
	global_store_dwordx2 v[14:15], v[10:11], off
	v_cvt_f32_f16_e32 v13, v7
	v_cvt_f32_f16_e32 v25, v5
	v_cvt_f32_f16_sdwa v26, v5 dst_sel:DWORD dst_unused:UNUSED_PAD src0_sel:WORD_1
	s_waitcnt vmcnt(20)
	v_cmp_nge_f32_e32 vcc, s13, v3
	v_cndmask_b32_e32 v3, v2, v12, vcc
	v_cmp_nge_f32_e32 vcc, s13, v4
	v_cndmask_b32_e32 v4, v2, v9, vcc
	v_add_co_u32_e32 v9, vcc, s12, v20
	v_addc_co_u32_e32 v10, vcc, 0, v21, vcc
	global_store_dwordx2 v[9:10], v[3:4], off offset:-4096
	s_waitcnt vmcnt(20)
	v_cvt_f32_f16_e32 v11, v60
	v_cvt_f32_f16_sdwa v4, v60 dst_sel:DWORD dst_unused:UNUSED_PAD src0_sel:WORD_1
	s_waitcnt vmcnt(18)
	v_cvt_f32_f16_sdwa v12, v62 dst_sel:DWORD dst_unused:UNUSED_PAD src0_sel:WORD_1
	v_cvt_f32_f16_sdwa v14, v7 dst_sel:DWORD dst_unused:UNUSED_PAD src0_sel:WORD_1
	v_cvt_f32_f16_e32 v19, v6
	s_waitcnt vmcnt(15)
	v_cmp_nge_f32_e32 vcc, s13, v43
	v_cndmask_b32_e32 v3, v2, v11, vcc
	v_cmp_nge_f32_e32 vcc, s13, v44
	v_cndmask_b32_e32 v4, v2, v4, vcc
	global_store_dwordx2 v[9:10], v[3:4], off
	v_cvt_f32_f16_e32 v3, v8
	v_cvt_f32_f16_sdwa v4, v8 dst_sel:DWORD dst_unused:UNUSED_PAD src0_sel:WORD_1
	v_cvt_f32_f16_e32 v9, v61
	v_cvt_f32_f16_sdwa v10, v61 dst_sel:DWORD dst_unused:UNUSED_PAD src0_sel:WORD_1
	s_waitcnt vmcnt(15)
	v_cmp_nge_f32_e32 vcc, s13, v45
	v_cvt_f32_f16_e32 v11, v62
	v_cndmask_b32_e32 v3, v2, v3, vcc
	v_cmp_nge_f32_e32 vcc, s13, v46
	v_cndmask_b32_e32 v4, v2, v4, vcc
	s_waitcnt vmcnt(14)
	v_cmp_nge_f32_e32 vcc, s13, v22
	v_cndmask_b32_e32 v5, v2, v9, vcc
	v_cmp_nge_f32_e32 vcc, s13, v23
	v_cvt_f32_f16_sdwa v24, v6 dst_sel:DWORD dst_unused:UNUSED_PAD src0_sel:WORD_1
	v_cndmask_b32_e32 v6, v2, v10, vcc
	s_waitcnt vmcnt(13)
	v_cmp_nge_f32_e32 vcc, s13, v37
	v_cvt_f32_f16_e32 v15, v63
	v_cndmask_b32_e32 v7, v2, v11, vcc
	v_cmp_nge_f32_e32 vcc, s13, v38
	v_cvt_f32_f16_sdwa v16, v63 dst_sel:DWORD dst_unused:UNUSED_PAD src0_sel:WORD_1
	v_cndmask_b32_e32 v8, v2, v12, vcc
	s_waitcnt vmcnt(12)
	v_cmp_nge_f32_e32 vcc, s13, v41
	v_cvt_f32_f16_e32 v17, v64
	v_cndmask_b32_e32 v9, v2, v13, vcc
	v_cmp_nge_f32_e32 vcc, s13, v42
	v_cvt_f32_f16_sdwa v18, v64 dst_sel:DWORD dst_unused:UNUSED_PAD src0_sel:WORD_1
	v_cndmask_b32_e32 v10, v2, v14, vcc
	s_waitcnt vmcnt(11)
	v_cmp_nge_f32_e32 vcc, s13, v47
	v_cndmask_b32_e32 v11, v2, v15, vcc
	v_cmp_nge_f32_e32 vcc, s13, v48
	v_cndmask_b32_e32 v12, v2, v16, vcc
	s_waitcnt vmcnt(10)
	v_cmp_nge_f32_e32 vcc, s13, v49
	v_cndmask_b32_e32 v13, v2, v17, vcc
	v_cmp_nge_f32_e32 vcc, s13, v50
	;; [unrolled: 5-line block ×4, first 2 shown]
	s_mov_b32 s12, 0xa000
	v_cndmask_b32_e32 v18, v2, v26, vcc
	global_store_dwordx2 v1, v[3:4], s[8:9]
	v_add_co_u32_e32 v1, vcc, s12, v20
	s_mov_b32 s15, 0xc000
	v_addc_co_u32_e32 v2, vcc, 0, v21, vcc
	global_store_dwordx2 v[1:2], v[5:6], off offset:-4096
	global_store_dwordx2 v[1:2], v[7:8], off
	v_add_co_u32_e32 v1, vcc, s15, v20
	v_addc_co_u32_e32 v2, vcc, 0, v21, vcc
	global_store_dwordx2 v[1:2], v[9:10], off offset:-4096
	global_store_dwordx2 v[1:2], v[11:12], off
	v_add_co_u32_e32 v1, vcc, s20, v20
	v_addc_co_u32_e32 v2, vcc, 0, v21, vcc
	global_store_dwordx2 v[1:2], v[13:14], off
	v_add_co_u32_e32 v1, vcc, 0xe000, v20
	v_addc_co_u32_e32 v2, vcc, 0, v21, vcc
	;; [unrolled: 3-line block ×3, first 2 shown]
	global_store_dwordx2 v[1:2], v[17:18], off
	s_cbranch_execnz .LBB178_2
.LBB178_4:
	s_load_dword s15, s[4:5], 0x2c
	s_load_dwordx4 s[20:23], s[4:5], 0x30
	s_mov_b32 s12, s6
	v_mov_b32_e32 v31, v0
	v_mov_b32_e32 v0, s13
	s_waitcnt lgkmcnt(0)
	s_bfe_u32 s24, s15, 0x80008
	s_add_u32 s8, s4, 64
	s_addc_u32 s9, s5, 0
	s_getpc_b64 s[4:5]
	s_add_u32 s4, s4, _ZN2at6native25elementwise_kernel_helperILb1ENS0_13BinaryFunctorIfffZNS0_12_GLOBAL__N_121threshold_kernel_implIfEEvRNS_18TensorIteratorBaseET_S7_EUlffE_EENS0_6memory8policies11unroll_baseILi512ESt5arrayIPcLm3EE23TrivialOffsetCalculatorILi2EjESG_ILi1EjENSA_12LoadWithCastILi2EEENSA_13StoreWithCastILi1EEELi32ELi1EEEEEvT0_T1_@rel32@lo+4
	s_addc_u32 s5, s5, _ZN2at6native25elementwise_kernel_helperILb1ENS0_13BinaryFunctorIfffZNS0_12_GLOBAL__N_121threshold_kernel_implIfEEvRNS_18TensorIteratorBaseET_S7_EUlffE_EENS0_6memory8policies11unroll_baseILi512ESt5arrayIPcLm3EE23TrivialOffsetCalculatorILi2EjESG_ILi1EjENSA_12LoadWithCastILi2EEENSA_13StoreWithCastILi1EEELi32ELi1EEEEEvT0_T1_@rel32@hi+12
	v_mov_b32_e32 v1, s14
	v_mov_b32_e32 v2, s16
	;; [unrolled: 1-line block ×14, first 2 shown]
	s_swappc_b64 s[30:31], s[4:5]
	s_endpgm
	.section	.rodata,"a",@progbits
	.p2align	6, 0x0
	.amdhsa_kernel _ZN2at6native39vectorized_templated_elementwise_kernelILi2ENS0_13BinaryFunctorIfffZNS0_12_GLOBAL__N_121threshold_kernel_implIfEEvRNS_18TensorIteratorBaseET_S7_EUlffE_EESt5arrayIPcLm3EE23TrivialOffsetCalculatorILi2EjESD_ILi1EjENS0_6memory12LoadWithCastILi2EEENSG_13StoreWithCastILi1EEEfJfN3c104HalfEEEEviT0_T1_T2_T3_T4_T5_
		.amdhsa_group_segment_fixed_size 0
		.amdhsa_private_segment_fixed_size 272
		.amdhsa_kernarg_size 320
		.amdhsa_user_sgpr_count 6
		.amdhsa_user_sgpr_private_segment_buffer 1
		.amdhsa_user_sgpr_dispatch_ptr 0
		.amdhsa_user_sgpr_queue_ptr 0
		.amdhsa_user_sgpr_kernarg_segment_ptr 1
		.amdhsa_user_sgpr_dispatch_id 0
		.amdhsa_user_sgpr_flat_scratch_init 0
		.amdhsa_user_sgpr_private_segment_size 0
		.amdhsa_uses_dynamic_stack 0
		.amdhsa_system_sgpr_private_segment_wavefront_offset 1
		.amdhsa_system_sgpr_workgroup_id_x 1
		.amdhsa_system_sgpr_workgroup_id_y 0
		.amdhsa_system_sgpr_workgroup_id_z 0
		.amdhsa_system_sgpr_workgroup_info 0
		.amdhsa_system_vgpr_workitem_id 0
		.amdhsa_next_free_vgpr 119
		.amdhsa_next_free_sgpr 98
		.amdhsa_reserve_vcc 1
		.amdhsa_reserve_flat_scratch 0
		.amdhsa_float_round_mode_32 0
		.amdhsa_float_round_mode_16_64 0
		.amdhsa_float_denorm_mode_32 3
		.amdhsa_float_denorm_mode_16_64 3
		.amdhsa_dx10_clamp 1
		.amdhsa_ieee_mode 1
		.amdhsa_fp16_overflow 0
		.amdhsa_exception_fp_ieee_invalid_op 0
		.amdhsa_exception_fp_denorm_src 0
		.amdhsa_exception_fp_ieee_div_zero 0
		.amdhsa_exception_fp_ieee_overflow 0
		.amdhsa_exception_fp_ieee_underflow 0
		.amdhsa_exception_fp_ieee_inexact 0
		.amdhsa_exception_int_div_zero 0
	.end_amdhsa_kernel
	.section	.text._ZN2at6native39vectorized_templated_elementwise_kernelILi2ENS0_13BinaryFunctorIfffZNS0_12_GLOBAL__N_121threshold_kernel_implIfEEvRNS_18TensorIteratorBaseET_S7_EUlffE_EESt5arrayIPcLm3EE23TrivialOffsetCalculatorILi2EjESD_ILi1EjENS0_6memory12LoadWithCastILi2EEENSG_13StoreWithCastILi1EEEfJfN3c104HalfEEEEviT0_T1_T2_T3_T4_T5_,"axG",@progbits,_ZN2at6native39vectorized_templated_elementwise_kernelILi2ENS0_13BinaryFunctorIfffZNS0_12_GLOBAL__N_121threshold_kernel_implIfEEvRNS_18TensorIteratorBaseET_S7_EUlffE_EESt5arrayIPcLm3EE23TrivialOffsetCalculatorILi2EjESD_ILi1EjENS0_6memory12LoadWithCastILi2EEENSG_13StoreWithCastILi1EEEfJfN3c104HalfEEEEviT0_T1_T2_T3_T4_T5_,comdat
.Lfunc_end178:
	.size	_ZN2at6native39vectorized_templated_elementwise_kernelILi2ENS0_13BinaryFunctorIfffZNS0_12_GLOBAL__N_121threshold_kernel_implIfEEvRNS_18TensorIteratorBaseET_S7_EUlffE_EESt5arrayIPcLm3EE23TrivialOffsetCalculatorILi2EjESD_ILi1EjENS0_6memory12LoadWithCastILi2EEENSG_13StoreWithCastILi1EEEfJfN3c104HalfEEEEviT0_T1_T2_T3_T4_T5_, .Lfunc_end178-_ZN2at6native39vectorized_templated_elementwise_kernelILi2ENS0_13BinaryFunctorIfffZNS0_12_GLOBAL__N_121threshold_kernel_implIfEEvRNS_18TensorIteratorBaseET_S7_EUlffE_EESt5arrayIPcLm3EE23TrivialOffsetCalculatorILi2EjESD_ILi1EjENS0_6memory12LoadWithCastILi2EEENSG_13StoreWithCastILi1EEEfJfN3c104HalfEEEEviT0_T1_T2_T3_T4_T5_
                                        ; -- End function
	.set _ZN2at6native39vectorized_templated_elementwise_kernelILi2ENS0_13BinaryFunctorIfffZNS0_12_GLOBAL__N_121threshold_kernel_implIfEEvRNS_18TensorIteratorBaseET_S7_EUlffE_EESt5arrayIPcLm3EE23TrivialOffsetCalculatorILi2EjESD_ILi1EjENS0_6memory12LoadWithCastILi2EEENSG_13StoreWithCastILi1EEEfJfN3c104HalfEEEEviT0_T1_T2_T3_T4_T5_.num_vgpr, max(65, .L_ZN2at6native25elementwise_kernel_helperILb1ENS0_13BinaryFunctorIfffZNS0_12_GLOBAL__N_121threshold_kernel_implIfEEvRNS_18TensorIteratorBaseET_S7_EUlffE_EENS0_6memory8policies11unroll_baseILi512ESt5arrayIPcLm3EE23TrivialOffsetCalculatorILi2EjESG_ILi1EjENSA_12LoadWithCastILi2EEENSA_13StoreWithCastILi1EEELi32ELi1EEEEEvT0_T1_.num_vgpr)
	.set _ZN2at6native39vectorized_templated_elementwise_kernelILi2ENS0_13BinaryFunctorIfffZNS0_12_GLOBAL__N_121threshold_kernel_implIfEEvRNS_18TensorIteratorBaseET_S7_EUlffE_EESt5arrayIPcLm3EE23TrivialOffsetCalculatorILi2EjESD_ILi1EjENS0_6memory12LoadWithCastILi2EEENSG_13StoreWithCastILi1EEEfJfN3c104HalfEEEEviT0_T1_T2_T3_T4_T5_.num_agpr, max(0, .L_ZN2at6native25elementwise_kernel_helperILb1ENS0_13BinaryFunctorIfffZNS0_12_GLOBAL__N_121threshold_kernel_implIfEEvRNS_18TensorIteratorBaseET_S7_EUlffE_EENS0_6memory8policies11unroll_baseILi512ESt5arrayIPcLm3EE23TrivialOffsetCalculatorILi2EjESG_ILi1EjENSA_12LoadWithCastILi2EEENSA_13StoreWithCastILi1EEELi32ELi1EEEEEvT0_T1_.num_agpr)
	.set _ZN2at6native39vectorized_templated_elementwise_kernelILi2ENS0_13BinaryFunctorIfffZNS0_12_GLOBAL__N_121threshold_kernel_implIfEEvRNS_18TensorIteratorBaseET_S7_EUlffE_EESt5arrayIPcLm3EE23TrivialOffsetCalculatorILi2EjESD_ILi1EjENS0_6memory12LoadWithCastILi2EEENSG_13StoreWithCastILi1EEEfJfN3c104HalfEEEEviT0_T1_T2_T3_T4_T5_.numbered_sgpr, max(33, .L_ZN2at6native25elementwise_kernel_helperILb1ENS0_13BinaryFunctorIfffZNS0_12_GLOBAL__N_121threshold_kernel_implIfEEvRNS_18TensorIteratorBaseET_S7_EUlffE_EENS0_6memory8policies11unroll_baseILi512ESt5arrayIPcLm3EE23TrivialOffsetCalculatorILi2EjESG_ILi1EjENSA_12LoadWithCastILi2EEENSA_13StoreWithCastILi1EEELi32ELi1EEEEEvT0_T1_.numbered_sgpr)
	.set _ZN2at6native39vectorized_templated_elementwise_kernelILi2ENS0_13BinaryFunctorIfffZNS0_12_GLOBAL__N_121threshold_kernel_implIfEEvRNS_18TensorIteratorBaseET_S7_EUlffE_EESt5arrayIPcLm3EE23TrivialOffsetCalculatorILi2EjESD_ILi1EjENS0_6memory12LoadWithCastILi2EEENSG_13StoreWithCastILi1EEEfJfN3c104HalfEEEEviT0_T1_T2_T3_T4_T5_.num_named_barrier, max(0, .L_ZN2at6native25elementwise_kernel_helperILb1ENS0_13BinaryFunctorIfffZNS0_12_GLOBAL__N_121threshold_kernel_implIfEEvRNS_18TensorIteratorBaseET_S7_EUlffE_EENS0_6memory8policies11unroll_baseILi512ESt5arrayIPcLm3EE23TrivialOffsetCalculatorILi2EjESG_ILi1EjENSA_12LoadWithCastILi2EEENSA_13StoreWithCastILi1EEELi32ELi1EEEEEvT0_T1_.num_named_barrier)
	.set _ZN2at6native39vectorized_templated_elementwise_kernelILi2ENS0_13BinaryFunctorIfffZNS0_12_GLOBAL__N_121threshold_kernel_implIfEEvRNS_18TensorIteratorBaseET_S7_EUlffE_EESt5arrayIPcLm3EE23TrivialOffsetCalculatorILi2EjESD_ILi1EjENS0_6memory12LoadWithCastILi2EEENSG_13StoreWithCastILi1EEEfJfN3c104HalfEEEEviT0_T1_T2_T3_T4_T5_.private_seg_size, 0+max(.L_ZN2at6native25elementwise_kernel_helperILb1ENS0_13BinaryFunctorIfffZNS0_12_GLOBAL__N_121threshold_kernel_implIfEEvRNS_18TensorIteratorBaseET_S7_EUlffE_EENS0_6memory8policies11unroll_baseILi512ESt5arrayIPcLm3EE23TrivialOffsetCalculatorILi2EjESG_ILi1EjENSA_12LoadWithCastILi2EEENSA_13StoreWithCastILi1EEELi32ELi1EEEEEvT0_T1_.private_seg_size)
	.set _ZN2at6native39vectorized_templated_elementwise_kernelILi2ENS0_13BinaryFunctorIfffZNS0_12_GLOBAL__N_121threshold_kernel_implIfEEvRNS_18TensorIteratorBaseET_S7_EUlffE_EESt5arrayIPcLm3EE23TrivialOffsetCalculatorILi2EjESD_ILi1EjENS0_6memory12LoadWithCastILi2EEENSG_13StoreWithCastILi1EEEfJfN3c104HalfEEEEviT0_T1_T2_T3_T4_T5_.uses_vcc, or(1, .L_ZN2at6native25elementwise_kernel_helperILb1ENS0_13BinaryFunctorIfffZNS0_12_GLOBAL__N_121threshold_kernel_implIfEEvRNS_18TensorIteratorBaseET_S7_EUlffE_EENS0_6memory8policies11unroll_baseILi512ESt5arrayIPcLm3EE23TrivialOffsetCalculatorILi2EjESG_ILi1EjENSA_12LoadWithCastILi2EEENSA_13StoreWithCastILi1EEELi32ELi1EEEEEvT0_T1_.uses_vcc)
	.set _ZN2at6native39vectorized_templated_elementwise_kernelILi2ENS0_13BinaryFunctorIfffZNS0_12_GLOBAL__N_121threshold_kernel_implIfEEvRNS_18TensorIteratorBaseET_S7_EUlffE_EESt5arrayIPcLm3EE23TrivialOffsetCalculatorILi2EjESD_ILi1EjENS0_6memory12LoadWithCastILi2EEENSG_13StoreWithCastILi1EEEfJfN3c104HalfEEEEviT0_T1_T2_T3_T4_T5_.uses_flat_scratch, or(0, .L_ZN2at6native25elementwise_kernel_helperILb1ENS0_13BinaryFunctorIfffZNS0_12_GLOBAL__N_121threshold_kernel_implIfEEvRNS_18TensorIteratorBaseET_S7_EUlffE_EENS0_6memory8policies11unroll_baseILi512ESt5arrayIPcLm3EE23TrivialOffsetCalculatorILi2EjESG_ILi1EjENSA_12LoadWithCastILi2EEENSA_13StoreWithCastILi1EEELi32ELi1EEEEEvT0_T1_.uses_flat_scratch)
	.set _ZN2at6native39vectorized_templated_elementwise_kernelILi2ENS0_13BinaryFunctorIfffZNS0_12_GLOBAL__N_121threshold_kernel_implIfEEvRNS_18TensorIteratorBaseET_S7_EUlffE_EESt5arrayIPcLm3EE23TrivialOffsetCalculatorILi2EjESD_ILi1EjENS0_6memory12LoadWithCastILi2EEENSG_13StoreWithCastILi1EEEfJfN3c104HalfEEEEviT0_T1_T2_T3_T4_T5_.has_dyn_sized_stack, or(0, .L_ZN2at6native25elementwise_kernel_helperILb1ENS0_13BinaryFunctorIfffZNS0_12_GLOBAL__N_121threshold_kernel_implIfEEvRNS_18TensorIteratorBaseET_S7_EUlffE_EENS0_6memory8policies11unroll_baseILi512ESt5arrayIPcLm3EE23TrivialOffsetCalculatorILi2EjESG_ILi1EjENSA_12LoadWithCastILi2EEENSA_13StoreWithCastILi1EEELi32ELi1EEEEEvT0_T1_.has_dyn_sized_stack)
	.set _ZN2at6native39vectorized_templated_elementwise_kernelILi2ENS0_13BinaryFunctorIfffZNS0_12_GLOBAL__N_121threshold_kernel_implIfEEvRNS_18TensorIteratorBaseET_S7_EUlffE_EESt5arrayIPcLm3EE23TrivialOffsetCalculatorILi2EjESD_ILi1EjENS0_6memory12LoadWithCastILi2EEENSG_13StoreWithCastILi1EEEfJfN3c104HalfEEEEviT0_T1_T2_T3_T4_T5_.has_recursion, or(0, .L_ZN2at6native25elementwise_kernel_helperILb1ENS0_13BinaryFunctorIfffZNS0_12_GLOBAL__N_121threshold_kernel_implIfEEvRNS_18TensorIteratorBaseET_S7_EUlffE_EENS0_6memory8policies11unroll_baseILi512ESt5arrayIPcLm3EE23TrivialOffsetCalculatorILi2EjESG_ILi1EjENSA_12LoadWithCastILi2EEENSA_13StoreWithCastILi1EEELi32ELi1EEEEEvT0_T1_.has_recursion)
	.set _ZN2at6native39vectorized_templated_elementwise_kernelILi2ENS0_13BinaryFunctorIfffZNS0_12_GLOBAL__N_121threshold_kernel_implIfEEvRNS_18TensorIteratorBaseET_S7_EUlffE_EESt5arrayIPcLm3EE23TrivialOffsetCalculatorILi2EjESD_ILi1EjENS0_6memory12LoadWithCastILi2EEENSG_13StoreWithCastILi1EEEfJfN3c104HalfEEEEviT0_T1_T2_T3_T4_T5_.has_indirect_call, or(0, .L_ZN2at6native25elementwise_kernel_helperILb1ENS0_13BinaryFunctorIfffZNS0_12_GLOBAL__N_121threshold_kernel_implIfEEvRNS_18TensorIteratorBaseET_S7_EUlffE_EENS0_6memory8policies11unroll_baseILi512ESt5arrayIPcLm3EE23TrivialOffsetCalculatorILi2EjESG_ILi1EjENSA_12LoadWithCastILi2EEENSA_13StoreWithCastILi1EEELi32ELi1EEEEEvT0_T1_.has_indirect_call)
	.section	.AMDGPU.csdata,"",@progbits
; Kernel info:
; codeLenInByte = 1612
; TotalNumSgprs: 102
; NumVgprs: 119
; ScratchSize: 272
; MemoryBound: 0
; FloatMode: 240
; IeeeMode: 1
; LDSByteSize: 0 bytes/workgroup (compile time only)
; SGPRBlocks: 12
; VGPRBlocks: 29
; NumSGPRsForWavesPerEU: 102
; NumVGPRsForWavesPerEU: 119
; Occupancy: 2
; WaveLimiterHint : 1
; COMPUTE_PGM_RSRC2:SCRATCH_EN: 1
; COMPUTE_PGM_RSRC2:USER_SGPR: 6
; COMPUTE_PGM_RSRC2:TRAP_HANDLER: 0
; COMPUTE_PGM_RSRC2:TGID_X_EN: 1
; COMPUTE_PGM_RSRC2:TGID_Y_EN: 0
; COMPUTE_PGM_RSRC2:TGID_Z_EN: 0
; COMPUTE_PGM_RSRC2:TIDIG_COMP_CNT: 0
	.section	.text._ZN2at6native39vectorized_templated_elementwise_kernelILi8ENS0_13BinaryFunctorIfffZNS0_12_GLOBAL__N_121threshold_kernel_implIfEEvRNS_18TensorIteratorBaseET_S7_EUlffE_EESt5arrayIPcLm3EE23TrivialOffsetCalculatorILi2EjESD_ILi1EjENS0_6memory12LoadWithCastILi2EEENSG_13StoreWithCastILi1EEEfJN3c104HalfEfEEEviT0_T1_T2_T3_T4_T5_,"axG",@progbits,_ZN2at6native39vectorized_templated_elementwise_kernelILi8ENS0_13BinaryFunctorIfffZNS0_12_GLOBAL__N_121threshold_kernel_implIfEEvRNS_18TensorIteratorBaseET_S7_EUlffE_EESt5arrayIPcLm3EE23TrivialOffsetCalculatorILi2EjESD_ILi1EjENS0_6memory12LoadWithCastILi2EEENSG_13StoreWithCastILi1EEEfJN3c104HalfEfEEEviT0_T1_T2_T3_T4_T5_,comdat
	.globl	_ZN2at6native39vectorized_templated_elementwise_kernelILi8ENS0_13BinaryFunctorIfffZNS0_12_GLOBAL__N_121threshold_kernel_implIfEEvRNS_18TensorIteratorBaseET_S7_EUlffE_EESt5arrayIPcLm3EE23TrivialOffsetCalculatorILi2EjESD_ILi1EjENS0_6memory12LoadWithCastILi2EEENSG_13StoreWithCastILi1EEEfJN3c104HalfEfEEEviT0_T1_T2_T3_T4_T5_ ; -- Begin function _ZN2at6native39vectorized_templated_elementwise_kernelILi8ENS0_13BinaryFunctorIfffZNS0_12_GLOBAL__N_121threshold_kernel_implIfEEvRNS_18TensorIteratorBaseET_S7_EUlffE_EESt5arrayIPcLm3EE23TrivialOffsetCalculatorILi2EjESD_ILi1EjENS0_6memory12LoadWithCastILi2EEENSG_13StoreWithCastILi1EEEfJN3c104HalfEfEEEviT0_T1_T2_T3_T4_T5_
	.p2align	8
	.type	_ZN2at6native39vectorized_templated_elementwise_kernelILi8ENS0_13BinaryFunctorIfffZNS0_12_GLOBAL__N_121threshold_kernel_implIfEEvRNS_18TensorIteratorBaseET_S7_EUlffE_EESt5arrayIPcLm3EE23TrivialOffsetCalculatorILi2EjESD_ILi1EjENS0_6memory12LoadWithCastILi2EEENSG_13StoreWithCastILi1EEEfJN3c104HalfEfEEEviT0_T1_T2_T3_T4_T5_,@function
_ZN2at6native39vectorized_templated_elementwise_kernelILi8ENS0_13BinaryFunctorIfffZNS0_12_GLOBAL__N_121threshold_kernel_implIfEEvRNS_18TensorIteratorBaseET_S7_EUlffE_EESt5arrayIPcLm3EE23TrivialOffsetCalculatorILi2EjESD_ILi1EjENS0_6memory12LoadWithCastILi2EEENSG_13StoreWithCastILi1EEEfJN3c104HalfEfEEEviT0_T1_T2_T3_T4_T5_: ; @_ZN2at6native39vectorized_templated_elementwise_kernelILi8ENS0_13BinaryFunctorIfffZNS0_12_GLOBAL__N_121threshold_kernel_implIfEEvRNS_18TensorIteratorBaseET_S7_EUlffE_EESt5arrayIPcLm3EE23TrivialOffsetCalculatorILi2EjESD_ILi1EjENS0_6memory12LoadWithCastILi2EEENSG_13StoreWithCastILi1EEEfJN3c104HalfEfEEEviT0_T1_T2_T3_T4_T5_
; %bb.0:
	s_add_u32 s0, s0, s7
	s_load_dword s7, s[4:5], 0x40
	s_load_dwordx8 s[16:23], s[4:5], 0x0
	s_load_dwordx2 s[14:15], s[4:5], 0x20
	s_addc_u32 s1, s1, 0
	s_not_b32 s8, s6
	s_waitcnt lgkmcnt(0)
	s_add_i32 s7, s7, s8
	s_lshl_b32 s10, s7, 14
	s_sub_i32 s7, s16, s10
	s_cmpk_gt_i32 s7, 0x3fff
	s_mov_b64 s[8:9], -1
	s_mov_b32 s32, 0
	s_cbranch_scc1 .LBB179_3
; %bb.1:
	s_andn2_b64 vcc, exec, s[8:9]
	s_cbranch_vccz .LBB179_4
.LBB179_2:
	s_endpgm
.LBB179_3:
	s_ashr_i32 s11, s10, 31
	s_lshl_b64 s[8:9], s[10:11], 1
	s_add_u32 s8, s22, s8
	s_addc_u32 s9, s23, s9
	v_lshlrev_b32_e32 v26, 4, v0
	v_mov_b32_e32 v1, s9
	v_add_co_u32_e32 v6, vcc, s8, v26
	v_addc_co_u32_e32 v7, vcc, 0, v1, vcc
	s_movk_i32 s12, 0x2000
	v_add_co_u32_e32 v1, vcc, s12, v6
	v_addc_co_u32_e32 v2, vcc, 0, v7, vcc
	global_load_dwordx4 v[1:4], v[1:2], off
	s_lshl_b64 s[10:11], s[10:11], 2
	s_add_u32 s12, s14, s10
	s_addc_u32 s13, s15, s11
	v_lshlrev_b32_e32 v5, 5, v0
	v_mov_b32_e32 v8, s13
	v_add_co_u32_e32 v42, vcc, s12, v5
	s_movk_i32 s16, 0x4000
	v_addc_co_u32_e32 v43, vcc, 0, v8, vcc
	v_add_co_u32_e32 v24, vcc, s16, v42
	v_addc_co_u32_e32 v25, vcc, 0, v43, vcc
	global_load_dwordx4 v[8:11], v[24:25], off
	global_load_dwordx4 v[12:15], v[24:25], off offset:16
	global_load_dwordx4 v[16:19], v26, s[8:9]
	global_load_dwordx4 v[20:23], v5, s[12:13]
	v_add_co_u32_e32 v28, vcc, s16, v6
	v_addc_co_u32_e32 v29, vcc, 0, v7, vcc
	global_load_dwordx4 v[28:31], v[28:29], off
	s_mov_b32 s19, 0x8000
	global_load_dwordx4 v[24:27], v5, s[12:13] offset:16
	v_add_co_u32_e32 v40, vcc, s19, v42
	v_addc_co_u32_e32 v41, vcc, 0, v43, vcc
	s_movk_i32 s8, 0x6000
	global_load_dwordx4 v[32:35], v[40:41], off
	v_add_co_u32_e32 v6, vcc, s8, v6
	s_mov_b32 s9, 0xc000
	v_addc_co_u32_e32 v7, vcc, 0, v7, vcc
	global_load_dwordx4 v[36:39], v[6:7], off
	v_add_co_u32_e32 v6, vcc, s9, v42
	v_addc_co_u32_e32 v7, vcc, 0, v43, vcc
	global_load_dwordx4 v[40:43], v[40:41], off offset:16
	s_add_u32 s24, s20, s10
	s_addc_u32 s25, s21, s11
	v_mov_b32_e32 v44, s25
	v_add_co_u32_e32 v51, vcc, s24, v5
	v_addc_co_u32_e32 v52, vcc, 0, v44, vcc
	global_load_dwordx4 v[44:47], v[6:7], off
	v_mov_b32_e32 v50, s18
	v_add_co_u32_e32 v48, vcc, s16, v51
	s_waitcnt vmcnt(10)
	v_cvt_f32_f16_sdwa v49, v1 dst_sel:DWORD dst_unused:UNUSED_PAD src0_sel:WORD_1
	v_cvt_f32_f16_e32 v53, v2
	v_cvt_f32_f16_sdwa v54, v2 dst_sel:DWORD dst_unused:UNUSED_PAD src0_sel:WORD_1
	v_cvt_f32_f16_e32 v55, v1
	v_cvt_f32_f16_e32 v56, v3
	v_cvt_f32_f16_sdwa v57, v3 dst_sel:DWORD dst_unused:UNUSED_PAD src0_sel:WORD_1
	v_cvt_f32_f16_e32 v58, v4
	v_cvt_f32_f16_sdwa v59, v4 dst_sel:DWORD dst_unused:UNUSED_PAD src0_sel:WORD_1
	global_load_dwordx4 v[1:4], v[6:7], off offset:16
	v_cmp_nge_f32_e64 s[8:9], s17, v49
	v_cmp_nge_f32_e64 s[10:11], s17, v53
	;; [unrolled: 1-line block ×3, first 2 shown]
	s_waitcnt vmcnt(10)
	v_cndmask_b32_e64 v7, v50, v9, s[8:9]
	v_cmp_nge_f32_e64 s[8:9], s17, v54
	v_cndmask_b32_e64 v9, v50, v11, s[8:9]
	v_cmp_nge_f32_e64 s[8:9], s17, v56
	v_cndmask_b32_e64 v6, v50, v8, s[12:13]
	v_cndmask_b32_e64 v8, v50, v10, s[10:11]
	s_waitcnt vmcnt(9)
	v_cndmask_b32_e64 v10, v50, v12, s[8:9]
	v_cmp_nge_f32_e64 s[8:9], s17, v57
	v_cndmask_b32_e64 v11, v50, v13, s[8:9]
	v_cmp_nge_f32_e64 s[8:9], s17, v58
	;; [unrolled: 2-line block ×3, first 2 shown]
	v_addc_co_u32_e32 v49, vcc, 0, v52, vcc
	v_cndmask_b32_e64 v13, v50, v15, s[8:9]
	global_store_dwordx4 v[48:49], v[6:9], off
	global_store_dwordx4 v[48:49], v[10:13], off offset:16
	s_waitcnt vmcnt(10)
	v_cvt_f32_f16_e32 v6, v16
	v_cvt_f32_f16_sdwa v7, v16 dst_sel:DWORD dst_unused:UNUSED_PAD src0_sel:WORD_1
	v_cvt_f32_f16_e32 v8, v17
	v_cvt_f32_f16_sdwa v9, v17 dst_sel:DWORD dst_unused:UNUSED_PAD src0_sel:WORD_1
	v_cmp_nge_f32_e32 vcc, s17, v6
	v_cvt_f32_f16_e32 v10, v18
	s_waitcnt vmcnt(9)
	v_cndmask_b32_e32 v6, v50, v20, vcc
	v_cmp_nge_f32_e32 vcc, s17, v7
	v_cvt_f32_f16_sdwa v11, v18 dst_sel:DWORD dst_unused:UNUSED_PAD src0_sel:WORD_1
	v_cndmask_b32_e32 v7, v50, v21, vcc
	v_cmp_nge_f32_e32 vcc, s17, v8
	v_cvt_f32_f16_e32 v12, v19
	v_cndmask_b32_e32 v8, v50, v22, vcc
	v_cmp_nge_f32_e32 vcc, s17, v9
	v_cvt_f32_f16_sdwa v13, v19 dst_sel:DWORD dst_unused:UNUSED_PAD src0_sel:WORD_1
	v_cndmask_b32_e32 v9, v50, v23, vcc
	v_cmp_nge_f32_e32 vcc, s17, v10
	s_waitcnt vmcnt(8)
	v_cvt_f32_f16_e32 v14, v28
	s_waitcnt vmcnt(7)
	v_cndmask_b32_e32 v10, v50, v24, vcc
	v_cmp_nge_f32_e32 vcc, s17, v11
	v_cvt_f32_f16_sdwa v15, v28 dst_sel:DWORD dst_unused:UNUSED_PAD src0_sel:WORD_1
	v_cndmask_b32_e32 v11, v50, v25, vcc
	v_cmp_nge_f32_e32 vcc, s17, v12
	v_cvt_f32_f16_e32 v16, v29
	v_cndmask_b32_e32 v12, v50, v26, vcc
	v_cmp_nge_f32_e32 vcc, s17, v13
	v_cvt_f32_f16_sdwa v17, v29 dst_sel:DWORD dst_unused:UNUSED_PAD src0_sel:WORD_1
	v_cndmask_b32_e32 v13, v50, v27, vcc
	v_cmp_nge_f32_e32 vcc, s17, v14
	v_cvt_f32_f16_e32 v18, v30
	s_waitcnt vmcnt(6)
	v_cndmask_b32_e32 v14, v50, v32, vcc
	v_cmp_nge_f32_e32 vcc, s17, v15
	v_cvt_f32_f16_sdwa v19, v30 dst_sel:DWORD dst_unused:UNUSED_PAD src0_sel:WORD_1
	v_cndmask_b32_e32 v15, v50, v33, vcc
	v_cmp_nge_f32_e32 vcc, s17, v16
	v_cvt_f32_f16_e32 v20, v31
	v_cndmask_b32_e32 v16, v50, v34, vcc
	v_cmp_nge_f32_e32 vcc, s17, v17
	v_cvt_f32_f16_sdwa v21, v31 dst_sel:DWORD dst_unused:UNUSED_PAD src0_sel:WORD_1
	v_cndmask_b32_e32 v17, v50, v35, vcc
	v_cmp_nge_f32_e32 vcc, s17, v18
	s_waitcnt vmcnt(5)
	v_cvt_f32_f16_e32 v22, v36
	s_waitcnt vmcnt(4)
	v_cndmask_b32_e32 v18, v50, v40, vcc
	v_cmp_nge_f32_e32 vcc, s17, v19
	v_cvt_f32_f16_sdwa v23, v36 dst_sel:DWORD dst_unused:UNUSED_PAD src0_sel:WORD_1
	v_cndmask_b32_e32 v19, v50, v41, vcc
	v_cmp_nge_f32_e32 vcc, s17, v20
	v_cvt_f32_f16_e32 v24, v37
	v_cndmask_b32_e32 v20, v50, v42, vcc
	v_cmp_nge_f32_e32 vcc, s17, v21
	v_cvt_f32_f16_sdwa v25, v37 dst_sel:DWORD dst_unused:UNUSED_PAD src0_sel:WORD_1
	v_cndmask_b32_e32 v21, v50, v43, vcc
	v_cmp_nge_f32_e32 vcc, s17, v22
	v_cvt_f32_f16_e32 v26, v38
	s_waitcnt vmcnt(3)
	v_cndmask_b32_e32 v22, v50, v44, vcc
	v_cmp_nge_f32_e32 vcc, s17, v23
	v_cvt_f32_f16_sdwa v27, v38 dst_sel:DWORD dst_unused:UNUSED_PAD src0_sel:WORD_1
	v_cndmask_b32_e32 v23, v50, v45, vcc
	v_cmp_nge_f32_e32 vcc, s17, v24
	v_cvt_f32_f16_e32 v28, v39
	v_cndmask_b32_e32 v24, v50, v46, vcc
	v_cmp_nge_f32_e32 vcc, s17, v25
	v_cvt_f32_f16_sdwa v29, v39 dst_sel:DWORD dst_unused:UNUSED_PAD src0_sel:WORD_1
	v_cndmask_b32_e32 v25, v50, v47, vcc
	v_cmp_nge_f32_e32 vcc, s17, v26
	s_waitcnt vmcnt(2)
	v_cndmask_b32_e32 v1, v50, v1, vcc
	v_cmp_nge_f32_e32 vcc, s17, v27
	v_cndmask_b32_e32 v2, v50, v2, vcc
	v_cmp_nge_f32_e32 vcc, s17, v28
	;; [unrolled: 2-line block ×3, first 2 shown]
	v_cndmask_b32_e32 v4, v50, v4, vcc
	global_store_dwordx4 v5, v[6:9], s[24:25]
	global_store_dwordx4 v5, v[10:13], s[24:25] offset:16
	v_add_co_u32_e32 v5, vcc, s19, v51
	v_addc_co_u32_e32 v6, vcc, 0, v52, vcc
	global_store_dwordx4 v[5:6], v[14:17], off
	global_store_dwordx4 v[5:6], v[18:21], off offset:16
	v_add_co_u32_e32 v5, vcc, 0xc000, v51
	v_addc_co_u32_e32 v6, vcc, 0, v52, vcc
	global_store_dwordx4 v[5:6], v[22:25], off
	global_store_dwordx4 v[5:6], v[1:4], off offset:16
	s_cbranch_execnz .LBB179_2
.LBB179_4:
	s_load_dword s10, s[4:5], 0x2c
	s_load_dwordx4 s[24:27], s[4:5], 0x30
	s_mov_b32 s12, s6
	v_mov_b32_e32 v31, v0
	v_mov_b32_e32 v0, s17
	s_waitcnt lgkmcnt(0)
	s_bfe_u32 s11, s10, 0x80008
	s_add_u32 s8, s4, 64
	s_addc_u32 s9, s5, 0
	s_getpc_b64 s[4:5]
	s_add_u32 s4, s4, _ZN2at6native25elementwise_kernel_helperILb1ENS0_13BinaryFunctorIfffZNS0_12_GLOBAL__N_121threshold_kernel_implIfEEvRNS_18TensorIteratorBaseET_S7_EUlffE_EENS0_6memory8policies11unroll_baseILi512ESt5arrayIPcLm3EE23TrivialOffsetCalculatorILi2EjESG_ILi1EjENSA_12LoadWithCastILi2EEENSA_13StoreWithCastILi1EEELi32ELi1EEEEEvT0_T1_@rel32@lo+4
	s_addc_u32 s5, s5, _ZN2at6native25elementwise_kernel_helperILb1ENS0_13BinaryFunctorIfffZNS0_12_GLOBAL__N_121threshold_kernel_implIfEEvRNS_18TensorIteratorBaseET_S7_EUlffE_EENS0_6memory8policies11unroll_baseILi512ESt5arrayIPcLm3EE23TrivialOffsetCalculatorILi2EjESG_ILi1EjENSA_12LoadWithCastILi2EEENSA_13StoreWithCastILi1EEELi32ELi1EEEEEvT0_T1_@rel32@hi+12
	v_mov_b32_e32 v1, s18
	v_mov_b32_e32 v2, s20
	;; [unrolled: 1-line block ×14, first 2 shown]
	s_swappc_b64 s[30:31], s[4:5]
	s_endpgm
	.section	.rodata,"a",@progbits
	.p2align	6, 0x0
	.amdhsa_kernel _ZN2at6native39vectorized_templated_elementwise_kernelILi8ENS0_13BinaryFunctorIfffZNS0_12_GLOBAL__N_121threshold_kernel_implIfEEvRNS_18TensorIteratorBaseET_S7_EUlffE_EESt5arrayIPcLm3EE23TrivialOffsetCalculatorILi2EjESD_ILi1EjENS0_6memory12LoadWithCastILi2EEENSG_13StoreWithCastILi1EEEfJN3c104HalfEfEEEviT0_T1_T2_T3_T4_T5_
		.amdhsa_group_segment_fixed_size 0
		.amdhsa_private_segment_fixed_size 272
		.amdhsa_kernarg_size 320
		.amdhsa_user_sgpr_count 6
		.amdhsa_user_sgpr_private_segment_buffer 1
		.amdhsa_user_sgpr_dispatch_ptr 0
		.amdhsa_user_sgpr_queue_ptr 0
		.amdhsa_user_sgpr_kernarg_segment_ptr 1
		.amdhsa_user_sgpr_dispatch_id 0
		.amdhsa_user_sgpr_flat_scratch_init 0
		.amdhsa_user_sgpr_private_segment_size 0
		.amdhsa_uses_dynamic_stack 0
		.amdhsa_system_sgpr_private_segment_wavefront_offset 1
		.amdhsa_system_sgpr_workgroup_id_x 1
		.amdhsa_system_sgpr_workgroup_id_y 0
		.amdhsa_system_sgpr_workgroup_id_z 0
		.amdhsa_system_sgpr_workgroup_info 0
		.amdhsa_system_vgpr_workitem_id 0
		.amdhsa_next_free_vgpr 119
		.amdhsa_next_free_sgpr 98
		.amdhsa_reserve_vcc 1
		.amdhsa_reserve_flat_scratch 0
		.amdhsa_float_round_mode_32 0
		.amdhsa_float_round_mode_16_64 0
		.amdhsa_float_denorm_mode_32 3
		.amdhsa_float_denorm_mode_16_64 3
		.amdhsa_dx10_clamp 1
		.amdhsa_ieee_mode 1
		.amdhsa_fp16_overflow 0
		.amdhsa_exception_fp_ieee_invalid_op 0
		.amdhsa_exception_fp_denorm_src 0
		.amdhsa_exception_fp_ieee_div_zero 0
		.amdhsa_exception_fp_ieee_overflow 0
		.amdhsa_exception_fp_ieee_underflow 0
		.amdhsa_exception_fp_ieee_inexact 0
		.amdhsa_exception_int_div_zero 0
	.end_amdhsa_kernel
	.section	.text._ZN2at6native39vectorized_templated_elementwise_kernelILi8ENS0_13BinaryFunctorIfffZNS0_12_GLOBAL__N_121threshold_kernel_implIfEEvRNS_18TensorIteratorBaseET_S7_EUlffE_EESt5arrayIPcLm3EE23TrivialOffsetCalculatorILi2EjESD_ILi1EjENS0_6memory12LoadWithCastILi2EEENSG_13StoreWithCastILi1EEEfJN3c104HalfEfEEEviT0_T1_T2_T3_T4_T5_,"axG",@progbits,_ZN2at6native39vectorized_templated_elementwise_kernelILi8ENS0_13BinaryFunctorIfffZNS0_12_GLOBAL__N_121threshold_kernel_implIfEEvRNS_18TensorIteratorBaseET_S7_EUlffE_EESt5arrayIPcLm3EE23TrivialOffsetCalculatorILi2EjESD_ILi1EjENS0_6memory12LoadWithCastILi2EEENSG_13StoreWithCastILi1EEEfJN3c104HalfEfEEEviT0_T1_T2_T3_T4_T5_,comdat
.Lfunc_end179:
	.size	_ZN2at6native39vectorized_templated_elementwise_kernelILi8ENS0_13BinaryFunctorIfffZNS0_12_GLOBAL__N_121threshold_kernel_implIfEEvRNS_18TensorIteratorBaseET_S7_EUlffE_EESt5arrayIPcLm3EE23TrivialOffsetCalculatorILi2EjESD_ILi1EjENS0_6memory12LoadWithCastILi2EEENSG_13StoreWithCastILi1EEEfJN3c104HalfEfEEEviT0_T1_T2_T3_T4_T5_, .Lfunc_end179-_ZN2at6native39vectorized_templated_elementwise_kernelILi8ENS0_13BinaryFunctorIfffZNS0_12_GLOBAL__N_121threshold_kernel_implIfEEvRNS_18TensorIteratorBaseET_S7_EUlffE_EESt5arrayIPcLm3EE23TrivialOffsetCalculatorILi2EjESD_ILi1EjENS0_6memory12LoadWithCastILi2EEENSG_13StoreWithCastILi1EEEfJN3c104HalfEfEEEviT0_T1_T2_T3_T4_T5_
                                        ; -- End function
	.set _ZN2at6native39vectorized_templated_elementwise_kernelILi8ENS0_13BinaryFunctorIfffZNS0_12_GLOBAL__N_121threshold_kernel_implIfEEvRNS_18TensorIteratorBaseET_S7_EUlffE_EESt5arrayIPcLm3EE23TrivialOffsetCalculatorILi2EjESD_ILi1EjENS0_6memory12LoadWithCastILi2EEENSG_13StoreWithCastILi1EEEfJN3c104HalfEfEEEviT0_T1_T2_T3_T4_T5_.num_vgpr, max(60, .L_ZN2at6native25elementwise_kernel_helperILb1ENS0_13BinaryFunctorIfffZNS0_12_GLOBAL__N_121threshold_kernel_implIfEEvRNS_18TensorIteratorBaseET_S7_EUlffE_EENS0_6memory8policies11unroll_baseILi512ESt5arrayIPcLm3EE23TrivialOffsetCalculatorILi2EjESG_ILi1EjENSA_12LoadWithCastILi2EEENSA_13StoreWithCastILi1EEELi32ELi1EEEEEvT0_T1_.num_vgpr)
	.set _ZN2at6native39vectorized_templated_elementwise_kernelILi8ENS0_13BinaryFunctorIfffZNS0_12_GLOBAL__N_121threshold_kernel_implIfEEvRNS_18TensorIteratorBaseET_S7_EUlffE_EESt5arrayIPcLm3EE23TrivialOffsetCalculatorILi2EjESD_ILi1EjENS0_6memory12LoadWithCastILi2EEENSG_13StoreWithCastILi1EEEfJN3c104HalfEfEEEviT0_T1_T2_T3_T4_T5_.num_agpr, max(0, .L_ZN2at6native25elementwise_kernel_helperILb1ENS0_13BinaryFunctorIfffZNS0_12_GLOBAL__N_121threshold_kernel_implIfEEvRNS_18TensorIteratorBaseET_S7_EUlffE_EENS0_6memory8policies11unroll_baseILi512ESt5arrayIPcLm3EE23TrivialOffsetCalculatorILi2EjESG_ILi1EjENSA_12LoadWithCastILi2EEENSA_13StoreWithCastILi1EEELi32ELi1EEEEEvT0_T1_.num_agpr)
	.set _ZN2at6native39vectorized_templated_elementwise_kernelILi8ENS0_13BinaryFunctorIfffZNS0_12_GLOBAL__N_121threshold_kernel_implIfEEvRNS_18TensorIteratorBaseET_S7_EUlffE_EESt5arrayIPcLm3EE23TrivialOffsetCalculatorILi2EjESD_ILi1EjENS0_6memory12LoadWithCastILi2EEENSG_13StoreWithCastILi1EEEfJN3c104HalfEfEEEviT0_T1_T2_T3_T4_T5_.numbered_sgpr, max(33, .L_ZN2at6native25elementwise_kernel_helperILb1ENS0_13BinaryFunctorIfffZNS0_12_GLOBAL__N_121threshold_kernel_implIfEEvRNS_18TensorIteratorBaseET_S7_EUlffE_EENS0_6memory8policies11unroll_baseILi512ESt5arrayIPcLm3EE23TrivialOffsetCalculatorILi2EjESG_ILi1EjENSA_12LoadWithCastILi2EEENSA_13StoreWithCastILi1EEELi32ELi1EEEEEvT0_T1_.numbered_sgpr)
	.set _ZN2at6native39vectorized_templated_elementwise_kernelILi8ENS0_13BinaryFunctorIfffZNS0_12_GLOBAL__N_121threshold_kernel_implIfEEvRNS_18TensorIteratorBaseET_S7_EUlffE_EESt5arrayIPcLm3EE23TrivialOffsetCalculatorILi2EjESD_ILi1EjENS0_6memory12LoadWithCastILi2EEENSG_13StoreWithCastILi1EEEfJN3c104HalfEfEEEviT0_T1_T2_T3_T4_T5_.num_named_barrier, max(0, .L_ZN2at6native25elementwise_kernel_helperILb1ENS0_13BinaryFunctorIfffZNS0_12_GLOBAL__N_121threshold_kernel_implIfEEvRNS_18TensorIteratorBaseET_S7_EUlffE_EENS0_6memory8policies11unroll_baseILi512ESt5arrayIPcLm3EE23TrivialOffsetCalculatorILi2EjESG_ILi1EjENSA_12LoadWithCastILi2EEENSA_13StoreWithCastILi1EEELi32ELi1EEEEEvT0_T1_.num_named_barrier)
	.set _ZN2at6native39vectorized_templated_elementwise_kernelILi8ENS0_13BinaryFunctorIfffZNS0_12_GLOBAL__N_121threshold_kernel_implIfEEvRNS_18TensorIteratorBaseET_S7_EUlffE_EESt5arrayIPcLm3EE23TrivialOffsetCalculatorILi2EjESD_ILi1EjENS0_6memory12LoadWithCastILi2EEENSG_13StoreWithCastILi1EEEfJN3c104HalfEfEEEviT0_T1_T2_T3_T4_T5_.private_seg_size, 0+max(.L_ZN2at6native25elementwise_kernel_helperILb1ENS0_13BinaryFunctorIfffZNS0_12_GLOBAL__N_121threshold_kernel_implIfEEvRNS_18TensorIteratorBaseET_S7_EUlffE_EENS0_6memory8policies11unroll_baseILi512ESt5arrayIPcLm3EE23TrivialOffsetCalculatorILi2EjESG_ILi1EjENSA_12LoadWithCastILi2EEENSA_13StoreWithCastILi1EEELi32ELi1EEEEEvT0_T1_.private_seg_size)
	.set _ZN2at6native39vectorized_templated_elementwise_kernelILi8ENS0_13BinaryFunctorIfffZNS0_12_GLOBAL__N_121threshold_kernel_implIfEEvRNS_18TensorIteratorBaseET_S7_EUlffE_EESt5arrayIPcLm3EE23TrivialOffsetCalculatorILi2EjESD_ILi1EjENS0_6memory12LoadWithCastILi2EEENSG_13StoreWithCastILi1EEEfJN3c104HalfEfEEEviT0_T1_T2_T3_T4_T5_.uses_vcc, or(1, .L_ZN2at6native25elementwise_kernel_helperILb1ENS0_13BinaryFunctorIfffZNS0_12_GLOBAL__N_121threshold_kernel_implIfEEvRNS_18TensorIteratorBaseET_S7_EUlffE_EENS0_6memory8policies11unroll_baseILi512ESt5arrayIPcLm3EE23TrivialOffsetCalculatorILi2EjESG_ILi1EjENSA_12LoadWithCastILi2EEENSA_13StoreWithCastILi1EEELi32ELi1EEEEEvT0_T1_.uses_vcc)
	.set _ZN2at6native39vectorized_templated_elementwise_kernelILi8ENS0_13BinaryFunctorIfffZNS0_12_GLOBAL__N_121threshold_kernel_implIfEEvRNS_18TensorIteratorBaseET_S7_EUlffE_EESt5arrayIPcLm3EE23TrivialOffsetCalculatorILi2EjESD_ILi1EjENS0_6memory12LoadWithCastILi2EEENSG_13StoreWithCastILi1EEEfJN3c104HalfEfEEEviT0_T1_T2_T3_T4_T5_.uses_flat_scratch, or(0, .L_ZN2at6native25elementwise_kernel_helperILb1ENS0_13BinaryFunctorIfffZNS0_12_GLOBAL__N_121threshold_kernel_implIfEEvRNS_18TensorIteratorBaseET_S7_EUlffE_EENS0_6memory8policies11unroll_baseILi512ESt5arrayIPcLm3EE23TrivialOffsetCalculatorILi2EjESG_ILi1EjENSA_12LoadWithCastILi2EEENSA_13StoreWithCastILi1EEELi32ELi1EEEEEvT0_T1_.uses_flat_scratch)
	.set _ZN2at6native39vectorized_templated_elementwise_kernelILi8ENS0_13BinaryFunctorIfffZNS0_12_GLOBAL__N_121threshold_kernel_implIfEEvRNS_18TensorIteratorBaseET_S7_EUlffE_EESt5arrayIPcLm3EE23TrivialOffsetCalculatorILi2EjESD_ILi1EjENS0_6memory12LoadWithCastILi2EEENSG_13StoreWithCastILi1EEEfJN3c104HalfEfEEEviT0_T1_T2_T3_T4_T5_.has_dyn_sized_stack, or(0, .L_ZN2at6native25elementwise_kernel_helperILb1ENS0_13BinaryFunctorIfffZNS0_12_GLOBAL__N_121threshold_kernel_implIfEEvRNS_18TensorIteratorBaseET_S7_EUlffE_EENS0_6memory8policies11unroll_baseILi512ESt5arrayIPcLm3EE23TrivialOffsetCalculatorILi2EjESG_ILi1EjENSA_12LoadWithCastILi2EEENSA_13StoreWithCastILi1EEELi32ELi1EEEEEvT0_T1_.has_dyn_sized_stack)
	.set _ZN2at6native39vectorized_templated_elementwise_kernelILi8ENS0_13BinaryFunctorIfffZNS0_12_GLOBAL__N_121threshold_kernel_implIfEEvRNS_18TensorIteratorBaseET_S7_EUlffE_EESt5arrayIPcLm3EE23TrivialOffsetCalculatorILi2EjESD_ILi1EjENS0_6memory12LoadWithCastILi2EEENSG_13StoreWithCastILi1EEEfJN3c104HalfEfEEEviT0_T1_T2_T3_T4_T5_.has_recursion, or(0, .L_ZN2at6native25elementwise_kernel_helperILb1ENS0_13BinaryFunctorIfffZNS0_12_GLOBAL__N_121threshold_kernel_implIfEEvRNS_18TensorIteratorBaseET_S7_EUlffE_EENS0_6memory8policies11unroll_baseILi512ESt5arrayIPcLm3EE23TrivialOffsetCalculatorILi2EjESG_ILi1EjENSA_12LoadWithCastILi2EEENSA_13StoreWithCastILi1EEELi32ELi1EEEEEvT0_T1_.has_recursion)
	.set _ZN2at6native39vectorized_templated_elementwise_kernelILi8ENS0_13BinaryFunctorIfffZNS0_12_GLOBAL__N_121threshold_kernel_implIfEEvRNS_18TensorIteratorBaseET_S7_EUlffE_EESt5arrayIPcLm3EE23TrivialOffsetCalculatorILi2EjESD_ILi1EjENS0_6memory12LoadWithCastILi2EEENSG_13StoreWithCastILi1EEEfJN3c104HalfEfEEEviT0_T1_T2_T3_T4_T5_.has_indirect_call, or(0, .L_ZN2at6native25elementwise_kernel_helperILb1ENS0_13BinaryFunctorIfffZNS0_12_GLOBAL__N_121threshold_kernel_implIfEEvRNS_18TensorIteratorBaseET_S7_EUlffE_EENS0_6memory8policies11unroll_baseILi512ESt5arrayIPcLm3EE23TrivialOffsetCalculatorILi2EjESG_ILi1EjENSA_12LoadWithCastILi2EEENSA_13StoreWithCastILi1EEELi32ELi1EEEEEvT0_T1_.has_indirect_call)
	.section	.AMDGPU.csdata,"",@progbits
; Kernel info:
; codeLenInByte = 1124
; TotalNumSgprs: 102
; NumVgprs: 119
; ScratchSize: 272
; MemoryBound: 0
; FloatMode: 240
; IeeeMode: 1
; LDSByteSize: 0 bytes/workgroup (compile time only)
; SGPRBlocks: 12
; VGPRBlocks: 29
; NumSGPRsForWavesPerEU: 102
; NumVGPRsForWavesPerEU: 119
; Occupancy: 2
; WaveLimiterHint : 1
; COMPUTE_PGM_RSRC2:SCRATCH_EN: 1
; COMPUTE_PGM_RSRC2:USER_SGPR: 6
; COMPUTE_PGM_RSRC2:TRAP_HANDLER: 0
; COMPUTE_PGM_RSRC2:TGID_X_EN: 1
; COMPUTE_PGM_RSRC2:TGID_Y_EN: 0
; COMPUTE_PGM_RSRC2:TGID_Z_EN: 0
; COMPUTE_PGM_RSRC2:TIDIG_COMP_CNT: 0
	.section	.text._ZN2at6native39vectorized_templated_elementwise_kernelILi4ENS0_13BinaryFunctorIfffZNS0_12_GLOBAL__N_121threshold_kernel_implIfEEvRNS_18TensorIteratorBaseET_S7_EUlffE_EESt5arrayIPcLm3EE23TrivialOffsetCalculatorILi2EjESD_ILi1EjENS0_6memory12LoadWithCastILi2EEENSG_13StoreWithCastILi1EEEfJN3c104HalfEfEEEviT0_T1_T2_T3_T4_T5_,"axG",@progbits,_ZN2at6native39vectorized_templated_elementwise_kernelILi4ENS0_13BinaryFunctorIfffZNS0_12_GLOBAL__N_121threshold_kernel_implIfEEvRNS_18TensorIteratorBaseET_S7_EUlffE_EESt5arrayIPcLm3EE23TrivialOffsetCalculatorILi2EjESD_ILi1EjENS0_6memory12LoadWithCastILi2EEENSG_13StoreWithCastILi1EEEfJN3c104HalfEfEEEviT0_T1_T2_T3_T4_T5_,comdat
	.globl	_ZN2at6native39vectorized_templated_elementwise_kernelILi4ENS0_13BinaryFunctorIfffZNS0_12_GLOBAL__N_121threshold_kernel_implIfEEvRNS_18TensorIteratorBaseET_S7_EUlffE_EESt5arrayIPcLm3EE23TrivialOffsetCalculatorILi2EjESD_ILi1EjENS0_6memory12LoadWithCastILi2EEENSG_13StoreWithCastILi1EEEfJN3c104HalfEfEEEviT0_T1_T2_T3_T4_T5_ ; -- Begin function _ZN2at6native39vectorized_templated_elementwise_kernelILi4ENS0_13BinaryFunctorIfffZNS0_12_GLOBAL__N_121threshold_kernel_implIfEEvRNS_18TensorIteratorBaseET_S7_EUlffE_EESt5arrayIPcLm3EE23TrivialOffsetCalculatorILi2EjESD_ILi1EjENS0_6memory12LoadWithCastILi2EEENSG_13StoreWithCastILi1EEEfJN3c104HalfEfEEEviT0_T1_T2_T3_T4_T5_
	.p2align	8
	.type	_ZN2at6native39vectorized_templated_elementwise_kernelILi4ENS0_13BinaryFunctorIfffZNS0_12_GLOBAL__N_121threshold_kernel_implIfEEvRNS_18TensorIteratorBaseET_S7_EUlffE_EESt5arrayIPcLm3EE23TrivialOffsetCalculatorILi2EjESD_ILi1EjENS0_6memory12LoadWithCastILi2EEENSG_13StoreWithCastILi1EEEfJN3c104HalfEfEEEviT0_T1_T2_T3_T4_T5_,@function
_ZN2at6native39vectorized_templated_elementwise_kernelILi4ENS0_13BinaryFunctorIfffZNS0_12_GLOBAL__N_121threshold_kernel_implIfEEvRNS_18TensorIteratorBaseET_S7_EUlffE_EESt5arrayIPcLm3EE23TrivialOffsetCalculatorILi2EjESD_ILi1EjENS0_6memory12LoadWithCastILi2EEENSG_13StoreWithCastILi1EEEfJN3c104HalfEfEEEviT0_T1_T2_T3_T4_T5_: ; @_ZN2at6native39vectorized_templated_elementwise_kernelILi4ENS0_13BinaryFunctorIfffZNS0_12_GLOBAL__N_121threshold_kernel_implIfEEvRNS_18TensorIteratorBaseET_S7_EUlffE_EESt5arrayIPcLm3EE23TrivialOffsetCalculatorILi2EjESD_ILi1EjENS0_6memory12LoadWithCastILi2EEENSG_13StoreWithCastILi1EEEfJN3c104HalfEfEEEviT0_T1_T2_T3_T4_T5_
; %bb.0:
	s_add_u32 s0, s0, s7
	s_load_dword s7, s[4:5], 0x40
	s_load_dwordx8 s[12:19], s[4:5], 0x0
	s_load_dwordx2 s[10:11], s[4:5], 0x20
	s_addc_u32 s1, s1, 0
	s_not_b32 s8, s6
	s_waitcnt lgkmcnt(0)
	s_add_i32 s7, s7, s8
	s_lshl_b32 s20, s7, 14
	s_sub_i32 s7, s12, s20
	s_cmpk_gt_i32 s7, 0x3fff
	s_mov_b64 s[8:9], -1
	s_mov_b32 s32, 0
	s_cbranch_scc1 .LBB180_3
; %bb.1:
	s_andn2_b64 vcc, exec, s[8:9]
	s_cbranch_vccz .LBB180_4
.LBB180_2:
	s_endpgm
.LBB180_3:
	s_ashr_i32 s21, s20, 31
	s_lshl_b64 s[8:9], s[20:21], 1
	s_add_u32 s8, s18, s8
	s_addc_u32 s9, s19, s9
	v_lshlrev_b32_e32 v5, 3, v0
	v_mov_b32_e32 v1, s9
	v_add_co_u32_e32 v6, vcc, s8, v5
	v_addc_co_u32_e32 v7, vcc, 0, v1, vcc
	s_movk_i32 s12, 0x2000
	v_add_co_u32_e32 v12, vcc, s12, v6
	s_lshl_b64 s[20:21], s[20:21], 2
	v_addc_co_u32_e32 v13, vcc, 0, v7, vcc
	s_add_u32 s22, s10, s20
	global_load_dwordx2 v[1:2], v[12:13], off offset:-4096
	global_load_dwordx2 v[40:41], v[12:13], off
	v_lshlrev_b32_e32 v3, 4, v0
	s_addc_u32 s23, s11, s21
	v_mov_b32_e32 v4, s23
	v_add_co_u32_e32 v26, vcc, s22, v3
	v_addc_co_u32_e32 v27, vcc, 0, v4, vcc
	v_add_co_u32_e32 v8, vcc, s12, v26
	v_addc_co_u32_e32 v9, vcc, 0, v27, vcc
	global_load_dwordx4 v[8:11], v[8:9], off
	s_movk_i32 s15, 0x4000
	v_add_co_u32_e32 v12, vcc, s15, v26
	v_addc_co_u32_e32 v13, vcc, 0, v27, vcc
	global_load_dwordx4 v[12:15], v[12:13], off
	v_add_co_u32_e32 v20, vcc, s15, v6
	v_addc_co_u32_e32 v21, vcc, 0, v7, vcc
	global_load_dwordx2 v[42:43], v[20:21], off offset:-4096
	s_movk_i32 s25, 0x6000
	v_add_co_u32_e32 v16, vcc, s25, v26
	v_addc_co_u32_e32 v17, vcc, 0, v27, vcc
	global_load_dwordx4 v[16:19], v[16:17], off
	v_add_co_u32_e32 v22, vcc, s25, v6
	s_movk_i32 s26, 0x7000
	v_addc_co_u32_e32 v23, vcc, 0, v7, vcc
	global_load_dwordx2 v[44:45], v[20:21], off
	global_load_dwordx2 v[46:47], v[22:23], off offset:-4096
	global_load_dwordx2 v[48:49], v[22:23], off
	v_add_co_u32_e32 v6, vcc, s26, v6
	s_mov_b32 s27, 0x8000
	v_addc_co_u32_e32 v7, vcc, 0, v7, vcc
	v_add_co_u32_e32 v24, vcc, s27, v26
	v_addc_co_u32_e32 v25, vcc, 0, v27, vcc
	global_load_dwordx4 v[20:23], v[24:25], off
	global_load_dwordx2 v[50:51], v[6:7], off
	global_load_dwordx2 v[52:53], v5, s[8:9]
	s_mov_b32 s24, 0xa000
	v_add_co_u32_e32 v28, vcc, s24, v26
	s_mov_b32 s28, 0xc000
	v_addc_co_u32_e32 v29, vcc, 0, v27, vcc
	v_add_co_u32_e32 v54, vcc, s28, v26
	s_mov_b32 s29, 0xe000
	v_addc_co_u32_e32 v55, vcc, 0, v27, vcc
	v_add_co_u32_e32 v56, vcc, s29, v26
	v_addc_co_u32_e32 v57, vcc, 0, v27, vcc
	global_load_dwordx4 v[24:27], v3, s[22:23]
	v_mov_b32_e32 v4, s14
	global_load_dwordx4 v[28:31], v[28:29], off
	s_nop 0
	global_load_dwordx4 v[32:35], v[54:55], off
	global_load_dwordx4 v[36:39], v[56:57], off
	s_add_u32 s20, s16, s20
	s_addc_u32 s21, s17, s21
	s_waitcnt vmcnt(15)
	v_cvt_f32_f16_e32 v5, v1
	v_cvt_f32_f16_sdwa v1, v1 dst_sel:DWORD dst_unused:UNUSED_PAD src0_sel:WORD_1
	v_cvt_f32_f16_e32 v7, v2
	v_cvt_f32_f16_sdwa v2, v2 dst_sel:DWORD dst_unused:UNUSED_PAD src0_sel:WORD_1
	v_cmp_nge_f32_e32 vcc, s13, v5
	s_waitcnt vmcnt(13)
	v_cndmask_b32_e32 v5, v4, v8, vcc
	v_cmp_nge_f32_e32 vcc, s13, v1
	v_cndmask_b32_e32 v6, v4, v9, vcc
	v_cmp_nge_f32_e32 vcc, s13, v7
	;; [unrolled: 2-line block ×3, first 2 shown]
	v_cndmask_b32_e32 v8, v4, v11, vcc
	v_mov_b32_e32 v1, s21
	v_add_co_u32_e32 v58, vcc, s20, v3
	v_addc_co_u32_e32 v59, vcc, 0, v1, vcc
	v_add_co_u32_e32 v1, vcc, s12, v58
	v_addc_co_u32_e32 v2, vcc, 0, v59, vcc
	global_store_dwordx4 v[1:2], v[5:8], off
	v_cvt_f32_f16_e32 v1, v40
	v_cvt_f32_f16_sdwa v2, v40 dst_sel:DWORD dst_unused:UNUSED_PAD src0_sel:WORD_1
	v_cvt_f32_f16_e32 v7, v41
	v_cvt_f32_f16_sdwa v8, v41 dst_sel:DWORD dst_unused:UNUSED_PAD src0_sel:WORD_1
	v_cmp_nge_f32_e32 vcc, s13, v1
	s_waitcnt vmcnt(13)
	v_cndmask_b32_e32 v5, v4, v12, vcc
	v_cmp_nge_f32_e32 vcc, s13, v2
	v_cndmask_b32_e32 v6, v4, v13, vcc
	v_cmp_nge_f32_e32 vcc, s13, v7
	v_cndmask_b32_e32 v7, v4, v14, vcc
	v_cmp_nge_f32_e32 vcc, s13, v8
	v_cndmask_b32_e32 v8, v4, v15, vcc
	v_add_co_u32_e32 v1, vcc, s15, v58
	v_addc_co_u32_e32 v2, vcc, 0, v59, vcc
	global_store_dwordx4 v[1:2], v[5:8], off
	s_waitcnt vmcnt(13)
	v_cvt_f32_f16_e32 v1, v42
	v_cvt_f32_f16_sdwa v2, v42 dst_sel:DWORD dst_unused:UNUSED_PAD src0_sel:WORD_1
	v_cvt_f32_f16_e32 v7, v43
	v_cvt_f32_f16_sdwa v8, v43 dst_sel:DWORD dst_unused:UNUSED_PAD src0_sel:WORD_1
	v_cmp_nge_f32_e32 vcc, s13, v1
	s_waitcnt vmcnt(12)
	v_cndmask_b32_e32 v5, v4, v16, vcc
	v_cmp_nge_f32_e32 vcc, s13, v2
	v_cndmask_b32_e32 v6, v4, v17, vcc
	v_cmp_nge_f32_e32 vcc, s13, v7
	v_cndmask_b32_e32 v7, v4, v18, vcc
	v_cmp_nge_f32_e32 vcc, s13, v8
	v_cndmask_b32_e32 v8, v4, v19, vcc
	v_add_co_u32_e32 v1, vcc, s25, v58
	v_addc_co_u32_e32 v2, vcc, 0, v59, vcc
	global_store_dwordx4 v[1:2], v[5:8], off
	s_waitcnt vmcnt(12)
	;; [unrolled: 17-line block ×3, first 2 shown]
	v_cvt_f32_f16_e32 v1, v52
	v_cvt_f32_f16_sdwa v2, v52 dst_sel:DWORD dst_unused:UNUSED_PAD src0_sel:WORD_1
	v_cvt_f32_f16_e32 v7, v53
	v_cvt_f32_f16_sdwa v8, v53 dst_sel:DWORD dst_unused:UNUSED_PAD src0_sel:WORD_1
	v_cmp_nge_f32_e32 vcc, s13, v1
	v_cvt_f32_f16_e32 v1, v46
	s_waitcnt vmcnt(7)
	v_cndmask_b32_e32 v5, v4, v24, vcc
	v_cmp_nge_f32_e32 vcc, s13, v2
	v_cvt_f32_f16_sdwa v2, v46 dst_sel:DWORD dst_unused:UNUSED_PAD src0_sel:WORD_1
	v_cndmask_b32_e32 v6, v4, v25, vcc
	v_cmp_nge_f32_e32 vcc, s13, v7
	v_cvt_f32_f16_e32 v11, v47
	v_cndmask_b32_e32 v7, v4, v26, vcc
	v_cmp_nge_f32_e32 vcc, s13, v8
	v_cvt_f32_f16_sdwa v12, v47 dst_sel:DWORD dst_unused:UNUSED_PAD src0_sel:WORD_1
	v_cndmask_b32_e32 v8, v4, v27, vcc
	v_cmp_nge_f32_e32 vcc, s13, v1
	v_cvt_f32_f16_e32 v1, v48
	s_waitcnt vmcnt(6)
	v_cndmask_b32_e32 v9, v4, v28, vcc
	v_cmp_nge_f32_e32 vcc, s13, v2
	v_cvt_f32_f16_sdwa v2, v48 dst_sel:DWORD dst_unused:UNUSED_PAD src0_sel:WORD_1
	v_cndmask_b32_e32 v10, v4, v29, vcc
	v_cmp_nge_f32_e32 vcc, s13, v11
	v_cvt_f32_f16_e32 v15, v49
	v_cndmask_b32_e32 v11, v4, v30, vcc
	v_cmp_nge_f32_e32 vcc, s13, v12
	v_cvt_f32_f16_sdwa v16, v49 dst_sel:DWORD dst_unused:UNUSED_PAD src0_sel:WORD_1
	v_cndmask_b32_e32 v12, v4, v31, vcc
	;; [unrolled: 13-line block ×3, first 2 shown]
	v_cmp_nge_f32_e32 vcc, s13, v1
	s_waitcnt vmcnt(4)
	v_cndmask_b32_e32 v17, v4, v36, vcc
	v_cmp_nge_f32_e32 vcc, s13, v2
	v_cndmask_b32_e32 v18, v4, v37, vcc
	v_cmp_nge_f32_e32 vcc, s13, v19
	;; [unrolled: 2-line block ×3, first 2 shown]
	v_cndmask_b32_e32 v20, v4, v39, vcc
	v_add_co_u32_e32 v1, vcc, s24, v58
	v_addc_co_u32_e32 v2, vcc, 0, v59, vcc
	global_store_dwordx4 v[1:2], v[9:12], off
	v_add_co_u32_e32 v1, vcc, 0xc000, v58
	v_addc_co_u32_e32 v2, vcc, 0, v59, vcc
	global_store_dwordx4 v[1:2], v[13:16], off
	v_add_co_u32_e32 v1, vcc, 0xe000, v58
	v_addc_co_u32_e32 v2, vcc, 0, v59, vcc
	global_store_dwordx4 v3, v[5:8], s[20:21]
	global_store_dwordx4 v[1:2], v[17:20], off
	s_cbranch_execnz .LBB180_2
.LBB180_4:
	s_load_dword s15, s[4:5], 0x2c
	s_load_dwordx4 s[20:23], s[4:5], 0x30
	s_mov_b32 s12, s6
	v_mov_b32_e32 v31, v0
	v_mov_b32_e32 v0, s13
	s_waitcnt lgkmcnt(0)
	s_bfe_u32 s24, s15, 0x80008
	s_add_u32 s8, s4, 64
	s_addc_u32 s9, s5, 0
	s_getpc_b64 s[4:5]
	s_add_u32 s4, s4, _ZN2at6native25elementwise_kernel_helperILb1ENS0_13BinaryFunctorIfffZNS0_12_GLOBAL__N_121threshold_kernel_implIfEEvRNS_18TensorIteratorBaseET_S7_EUlffE_EENS0_6memory8policies11unroll_baseILi512ESt5arrayIPcLm3EE23TrivialOffsetCalculatorILi2EjESG_ILi1EjENSA_12LoadWithCastILi2EEENSA_13StoreWithCastILi1EEELi32ELi1EEEEEvT0_T1_@rel32@lo+4
	s_addc_u32 s5, s5, _ZN2at6native25elementwise_kernel_helperILb1ENS0_13BinaryFunctorIfffZNS0_12_GLOBAL__N_121threshold_kernel_implIfEEvRNS_18TensorIteratorBaseET_S7_EUlffE_EENS0_6memory8policies11unroll_baseILi512ESt5arrayIPcLm3EE23TrivialOffsetCalculatorILi2EjESG_ILi1EjENSA_12LoadWithCastILi2EEENSA_13StoreWithCastILi1EEELi32ELi1EEEEEvT0_T1_@rel32@hi+12
	v_mov_b32_e32 v1, s14
	v_mov_b32_e32 v2, s16
	;; [unrolled: 1-line block ×14, first 2 shown]
	s_swappc_b64 s[30:31], s[4:5]
	s_endpgm
	.section	.rodata,"a",@progbits
	.p2align	6, 0x0
	.amdhsa_kernel _ZN2at6native39vectorized_templated_elementwise_kernelILi4ENS0_13BinaryFunctorIfffZNS0_12_GLOBAL__N_121threshold_kernel_implIfEEvRNS_18TensorIteratorBaseET_S7_EUlffE_EESt5arrayIPcLm3EE23TrivialOffsetCalculatorILi2EjESD_ILi1EjENS0_6memory12LoadWithCastILi2EEENSG_13StoreWithCastILi1EEEfJN3c104HalfEfEEEviT0_T1_T2_T3_T4_T5_
		.amdhsa_group_segment_fixed_size 0
		.amdhsa_private_segment_fixed_size 272
		.amdhsa_kernarg_size 320
		.amdhsa_user_sgpr_count 6
		.amdhsa_user_sgpr_private_segment_buffer 1
		.amdhsa_user_sgpr_dispatch_ptr 0
		.amdhsa_user_sgpr_queue_ptr 0
		.amdhsa_user_sgpr_kernarg_segment_ptr 1
		.amdhsa_user_sgpr_dispatch_id 0
		.amdhsa_user_sgpr_flat_scratch_init 0
		.amdhsa_user_sgpr_private_segment_size 0
		.amdhsa_uses_dynamic_stack 0
		.amdhsa_system_sgpr_private_segment_wavefront_offset 1
		.amdhsa_system_sgpr_workgroup_id_x 1
		.amdhsa_system_sgpr_workgroup_id_y 0
		.amdhsa_system_sgpr_workgroup_id_z 0
		.amdhsa_system_sgpr_workgroup_info 0
		.amdhsa_system_vgpr_workitem_id 0
		.amdhsa_next_free_vgpr 119
		.amdhsa_next_free_sgpr 98
		.amdhsa_reserve_vcc 1
		.amdhsa_reserve_flat_scratch 0
		.amdhsa_float_round_mode_32 0
		.amdhsa_float_round_mode_16_64 0
		.amdhsa_float_denorm_mode_32 3
		.amdhsa_float_denorm_mode_16_64 3
		.amdhsa_dx10_clamp 1
		.amdhsa_ieee_mode 1
		.amdhsa_fp16_overflow 0
		.amdhsa_exception_fp_ieee_invalid_op 0
		.amdhsa_exception_fp_denorm_src 0
		.amdhsa_exception_fp_ieee_div_zero 0
		.amdhsa_exception_fp_ieee_overflow 0
		.amdhsa_exception_fp_ieee_underflow 0
		.amdhsa_exception_fp_ieee_inexact 0
		.amdhsa_exception_int_div_zero 0
	.end_amdhsa_kernel
	.section	.text._ZN2at6native39vectorized_templated_elementwise_kernelILi4ENS0_13BinaryFunctorIfffZNS0_12_GLOBAL__N_121threshold_kernel_implIfEEvRNS_18TensorIteratorBaseET_S7_EUlffE_EESt5arrayIPcLm3EE23TrivialOffsetCalculatorILi2EjESD_ILi1EjENS0_6memory12LoadWithCastILi2EEENSG_13StoreWithCastILi1EEEfJN3c104HalfEfEEEviT0_T1_T2_T3_T4_T5_,"axG",@progbits,_ZN2at6native39vectorized_templated_elementwise_kernelILi4ENS0_13BinaryFunctorIfffZNS0_12_GLOBAL__N_121threshold_kernel_implIfEEvRNS_18TensorIteratorBaseET_S7_EUlffE_EESt5arrayIPcLm3EE23TrivialOffsetCalculatorILi2EjESD_ILi1EjENS0_6memory12LoadWithCastILi2EEENSG_13StoreWithCastILi1EEEfJN3c104HalfEfEEEviT0_T1_T2_T3_T4_T5_,comdat
.Lfunc_end180:
	.size	_ZN2at6native39vectorized_templated_elementwise_kernelILi4ENS0_13BinaryFunctorIfffZNS0_12_GLOBAL__N_121threshold_kernel_implIfEEvRNS_18TensorIteratorBaseET_S7_EUlffE_EESt5arrayIPcLm3EE23TrivialOffsetCalculatorILi2EjESD_ILi1EjENS0_6memory12LoadWithCastILi2EEENSG_13StoreWithCastILi1EEEfJN3c104HalfEfEEEviT0_T1_T2_T3_T4_T5_, .Lfunc_end180-_ZN2at6native39vectorized_templated_elementwise_kernelILi4ENS0_13BinaryFunctorIfffZNS0_12_GLOBAL__N_121threshold_kernel_implIfEEvRNS_18TensorIteratorBaseET_S7_EUlffE_EESt5arrayIPcLm3EE23TrivialOffsetCalculatorILi2EjESD_ILi1EjENS0_6memory12LoadWithCastILi2EEENSG_13StoreWithCastILi1EEEfJN3c104HalfEfEEEviT0_T1_T2_T3_T4_T5_
                                        ; -- End function
	.set _ZN2at6native39vectorized_templated_elementwise_kernelILi4ENS0_13BinaryFunctorIfffZNS0_12_GLOBAL__N_121threshold_kernel_implIfEEvRNS_18TensorIteratorBaseET_S7_EUlffE_EESt5arrayIPcLm3EE23TrivialOffsetCalculatorILi2EjESD_ILi1EjENS0_6memory12LoadWithCastILi2EEENSG_13StoreWithCastILi1EEEfJN3c104HalfEfEEEviT0_T1_T2_T3_T4_T5_.num_vgpr, max(60, .L_ZN2at6native25elementwise_kernel_helperILb1ENS0_13BinaryFunctorIfffZNS0_12_GLOBAL__N_121threshold_kernel_implIfEEvRNS_18TensorIteratorBaseET_S7_EUlffE_EENS0_6memory8policies11unroll_baseILi512ESt5arrayIPcLm3EE23TrivialOffsetCalculatorILi2EjESG_ILi1EjENSA_12LoadWithCastILi2EEENSA_13StoreWithCastILi1EEELi32ELi1EEEEEvT0_T1_.num_vgpr)
	.set _ZN2at6native39vectorized_templated_elementwise_kernelILi4ENS0_13BinaryFunctorIfffZNS0_12_GLOBAL__N_121threshold_kernel_implIfEEvRNS_18TensorIteratorBaseET_S7_EUlffE_EESt5arrayIPcLm3EE23TrivialOffsetCalculatorILi2EjESD_ILi1EjENS0_6memory12LoadWithCastILi2EEENSG_13StoreWithCastILi1EEEfJN3c104HalfEfEEEviT0_T1_T2_T3_T4_T5_.num_agpr, max(0, .L_ZN2at6native25elementwise_kernel_helperILb1ENS0_13BinaryFunctorIfffZNS0_12_GLOBAL__N_121threshold_kernel_implIfEEvRNS_18TensorIteratorBaseET_S7_EUlffE_EENS0_6memory8policies11unroll_baseILi512ESt5arrayIPcLm3EE23TrivialOffsetCalculatorILi2EjESG_ILi1EjENSA_12LoadWithCastILi2EEENSA_13StoreWithCastILi1EEELi32ELi1EEEEEvT0_T1_.num_agpr)
	.set _ZN2at6native39vectorized_templated_elementwise_kernelILi4ENS0_13BinaryFunctorIfffZNS0_12_GLOBAL__N_121threshold_kernel_implIfEEvRNS_18TensorIteratorBaseET_S7_EUlffE_EESt5arrayIPcLm3EE23TrivialOffsetCalculatorILi2EjESD_ILi1EjENS0_6memory12LoadWithCastILi2EEENSG_13StoreWithCastILi1EEEfJN3c104HalfEfEEEviT0_T1_T2_T3_T4_T5_.numbered_sgpr, max(33, .L_ZN2at6native25elementwise_kernel_helperILb1ENS0_13BinaryFunctorIfffZNS0_12_GLOBAL__N_121threshold_kernel_implIfEEvRNS_18TensorIteratorBaseET_S7_EUlffE_EENS0_6memory8policies11unroll_baseILi512ESt5arrayIPcLm3EE23TrivialOffsetCalculatorILi2EjESG_ILi1EjENSA_12LoadWithCastILi2EEENSA_13StoreWithCastILi1EEELi32ELi1EEEEEvT0_T1_.numbered_sgpr)
	.set _ZN2at6native39vectorized_templated_elementwise_kernelILi4ENS0_13BinaryFunctorIfffZNS0_12_GLOBAL__N_121threshold_kernel_implIfEEvRNS_18TensorIteratorBaseET_S7_EUlffE_EESt5arrayIPcLm3EE23TrivialOffsetCalculatorILi2EjESD_ILi1EjENS0_6memory12LoadWithCastILi2EEENSG_13StoreWithCastILi1EEEfJN3c104HalfEfEEEviT0_T1_T2_T3_T4_T5_.num_named_barrier, max(0, .L_ZN2at6native25elementwise_kernel_helperILb1ENS0_13BinaryFunctorIfffZNS0_12_GLOBAL__N_121threshold_kernel_implIfEEvRNS_18TensorIteratorBaseET_S7_EUlffE_EENS0_6memory8policies11unroll_baseILi512ESt5arrayIPcLm3EE23TrivialOffsetCalculatorILi2EjESG_ILi1EjENSA_12LoadWithCastILi2EEENSA_13StoreWithCastILi1EEELi32ELi1EEEEEvT0_T1_.num_named_barrier)
	.set _ZN2at6native39vectorized_templated_elementwise_kernelILi4ENS0_13BinaryFunctorIfffZNS0_12_GLOBAL__N_121threshold_kernel_implIfEEvRNS_18TensorIteratorBaseET_S7_EUlffE_EESt5arrayIPcLm3EE23TrivialOffsetCalculatorILi2EjESD_ILi1EjENS0_6memory12LoadWithCastILi2EEENSG_13StoreWithCastILi1EEEfJN3c104HalfEfEEEviT0_T1_T2_T3_T4_T5_.private_seg_size, 0+max(.L_ZN2at6native25elementwise_kernel_helperILb1ENS0_13BinaryFunctorIfffZNS0_12_GLOBAL__N_121threshold_kernel_implIfEEvRNS_18TensorIteratorBaseET_S7_EUlffE_EENS0_6memory8policies11unroll_baseILi512ESt5arrayIPcLm3EE23TrivialOffsetCalculatorILi2EjESG_ILi1EjENSA_12LoadWithCastILi2EEENSA_13StoreWithCastILi1EEELi32ELi1EEEEEvT0_T1_.private_seg_size)
	.set _ZN2at6native39vectorized_templated_elementwise_kernelILi4ENS0_13BinaryFunctorIfffZNS0_12_GLOBAL__N_121threshold_kernel_implIfEEvRNS_18TensorIteratorBaseET_S7_EUlffE_EESt5arrayIPcLm3EE23TrivialOffsetCalculatorILi2EjESD_ILi1EjENS0_6memory12LoadWithCastILi2EEENSG_13StoreWithCastILi1EEEfJN3c104HalfEfEEEviT0_T1_T2_T3_T4_T5_.uses_vcc, or(1, .L_ZN2at6native25elementwise_kernel_helperILb1ENS0_13BinaryFunctorIfffZNS0_12_GLOBAL__N_121threshold_kernel_implIfEEvRNS_18TensorIteratorBaseET_S7_EUlffE_EENS0_6memory8policies11unroll_baseILi512ESt5arrayIPcLm3EE23TrivialOffsetCalculatorILi2EjESG_ILi1EjENSA_12LoadWithCastILi2EEENSA_13StoreWithCastILi1EEELi32ELi1EEEEEvT0_T1_.uses_vcc)
	.set _ZN2at6native39vectorized_templated_elementwise_kernelILi4ENS0_13BinaryFunctorIfffZNS0_12_GLOBAL__N_121threshold_kernel_implIfEEvRNS_18TensorIteratorBaseET_S7_EUlffE_EESt5arrayIPcLm3EE23TrivialOffsetCalculatorILi2EjESD_ILi1EjENS0_6memory12LoadWithCastILi2EEENSG_13StoreWithCastILi1EEEfJN3c104HalfEfEEEviT0_T1_T2_T3_T4_T5_.uses_flat_scratch, or(0, .L_ZN2at6native25elementwise_kernel_helperILb1ENS0_13BinaryFunctorIfffZNS0_12_GLOBAL__N_121threshold_kernel_implIfEEvRNS_18TensorIteratorBaseET_S7_EUlffE_EENS0_6memory8policies11unroll_baseILi512ESt5arrayIPcLm3EE23TrivialOffsetCalculatorILi2EjESG_ILi1EjENSA_12LoadWithCastILi2EEENSA_13StoreWithCastILi1EEELi32ELi1EEEEEvT0_T1_.uses_flat_scratch)
	.set _ZN2at6native39vectorized_templated_elementwise_kernelILi4ENS0_13BinaryFunctorIfffZNS0_12_GLOBAL__N_121threshold_kernel_implIfEEvRNS_18TensorIteratorBaseET_S7_EUlffE_EESt5arrayIPcLm3EE23TrivialOffsetCalculatorILi2EjESD_ILi1EjENS0_6memory12LoadWithCastILi2EEENSG_13StoreWithCastILi1EEEfJN3c104HalfEfEEEviT0_T1_T2_T3_T4_T5_.has_dyn_sized_stack, or(0, .L_ZN2at6native25elementwise_kernel_helperILb1ENS0_13BinaryFunctorIfffZNS0_12_GLOBAL__N_121threshold_kernel_implIfEEvRNS_18TensorIteratorBaseET_S7_EUlffE_EENS0_6memory8policies11unroll_baseILi512ESt5arrayIPcLm3EE23TrivialOffsetCalculatorILi2EjESG_ILi1EjENSA_12LoadWithCastILi2EEENSA_13StoreWithCastILi1EEELi32ELi1EEEEEvT0_T1_.has_dyn_sized_stack)
	.set _ZN2at6native39vectorized_templated_elementwise_kernelILi4ENS0_13BinaryFunctorIfffZNS0_12_GLOBAL__N_121threshold_kernel_implIfEEvRNS_18TensorIteratorBaseET_S7_EUlffE_EESt5arrayIPcLm3EE23TrivialOffsetCalculatorILi2EjESD_ILi1EjENS0_6memory12LoadWithCastILi2EEENSG_13StoreWithCastILi1EEEfJN3c104HalfEfEEEviT0_T1_T2_T3_T4_T5_.has_recursion, or(0, .L_ZN2at6native25elementwise_kernel_helperILb1ENS0_13BinaryFunctorIfffZNS0_12_GLOBAL__N_121threshold_kernel_implIfEEvRNS_18TensorIteratorBaseET_S7_EUlffE_EENS0_6memory8policies11unroll_baseILi512ESt5arrayIPcLm3EE23TrivialOffsetCalculatorILi2EjESG_ILi1EjENSA_12LoadWithCastILi2EEENSA_13StoreWithCastILi1EEELi32ELi1EEEEEvT0_T1_.has_recursion)
	.set _ZN2at6native39vectorized_templated_elementwise_kernelILi4ENS0_13BinaryFunctorIfffZNS0_12_GLOBAL__N_121threshold_kernel_implIfEEvRNS_18TensorIteratorBaseET_S7_EUlffE_EESt5arrayIPcLm3EE23TrivialOffsetCalculatorILi2EjESD_ILi1EjENS0_6memory12LoadWithCastILi2EEENSG_13StoreWithCastILi1EEEfJN3c104HalfEfEEEviT0_T1_T2_T3_T4_T5_.has_indirect_call, or(0, .L_ZN2at6native25elementwise_kernel_helperILb1ENS0_13BinaryFunctorIfffZNS0_12_GLOBAL__N_121threshold_kernel_implIfEEvRNS_18TensorIteratorBaseET_S7_EUlffE_EENS0_6memory8policies11unroll_baseILi512ESt5arrayIPcLm3EE23TrivialOffsetCalculatorILi2EjESG_ILi1EjENSA_12LoadWithCastILi2EEENSA_13StoreWithCastILi1EEELi32ELi1EEEEEvT0_T1_.has_indirect_call)
	.section	.AMDGPU.csdata,"",@progbits
; Kernel info:
; codeLenInByte = 1192
; TotalNumSgprs: 102
; NumVgprs: 119
; ScratchSize: 272
; MemoryBound: 0
; FloatMode: 240
; IeeeMode: 1
; LDSByteSize: 0 bytes/workgroup (compile time only)
; SGPRBlocks: 12
; VGPRBlocks: 29
; NumSGPRsForWavesPerEU: 102
; NumVGPRsForWavesPerEU: 119
; Occupancy: 2
; WaveLimiterHint : 1
; COMPUTE_PGM_RSRC2:SCRATCH_EN: 1
; COMPUTE_PGM_RSRC2:USER_SGPR: 6
; COMPUTE_PGM_RSRC2:TRAP_HANDLER: 0
; COMPUTE_PGM_RSRC2:TGID_X_EN: 1
; COMPUTE_PGM_RSRC2:TGID_Y_EN: 0
; COMPUTE_PGM_RSRC2:TGID_Z_EN: 0
; COMPUTE_PGM_RSRC2:TIDIG_COMP_CNT: 0
	.section	.text._ZN2at6native39vectorized_templated_elementwise_kernelILi2ENS0_13BinaryFunctorIfffZNS0_12_GLOBAL__N_121threshold_kernel_implIfEEvRNS_18TensorIteratorBaseET_S7_EUlffE_EESt5arrayIPcLm3EE23TrivialOffsetCalculatorILi2EjESD_ILi1EjENS0_6memory12LoadWithCastILi2EEENSG_13StoreWithCastILi1EEEfJN3c104HalfEfEEEviT0_T1_T2_T3_T4_T5_,"axG",@progbits,_ZN2at6native39vectorized_templated_elementwise_kernelILi2ENS0_13BinaryFunctorIfffZNS0_12_GLOBAL__N_121threshold_kernel_implIfEEvRNS_18TensorIteratorBaseET_S7_EUlffE_EESt5arrayIPcLm3EE23TrivialOffsetCalculatorILi2EjESD_ILi1EjENS0_6memory12LoadWithCastILi2EEENSG_13StoreWithCastILi1EEEfJN3c104HalfEfEEEviT0_T1_T2_T3_T4_T5_,comdat
	.globl	_ZN2at6native39vectorized_templated_elementwise_kernelILi2ENS0_13BinaryFunctorIfffZNS0_12_GLOBAL__N_121threshold_kernel_implIfEEvRNS_18TensorIteratorBaseET_S7_EUlffE_EESt5arrayIPcLm3EE23TrivialOffsetCalculatorILi2EjESD_ILi1EjENS0_6memory12LoadWithCastILi2EEENSG_13StoreWithCastILi1EEEfJN3c104HalfEfEEEviT0_T1_T2_T3_T4_T5_ ; -- Begin function _ZN2at6native39vectorized_templated_elementwise_kernelILi2ENS0_13BinaryFunctorIfffZNS0_12_GLOBAL__N_121threshold_kernel_implIfEEvRNS_18TensorIteratorBaseET_S7_EUlffE_EESt5arrayIPcLm3EE23TrivialOffsetCalculatorILi2EjESD_ILi1EjENS0_6memory12LoadWithCastILi2EEENSG_13StoreWithCastILi1EEEfJN3c104HalfEfEEEviT0_T1_T2_T3_T4_T5_
	.p2align	8
	.type	_ZN2at6native39vectorized_templated_elementwise_kernelILi2ENS0_13BinaryFunctorIfffZNS0_12_GLOBAL__N_121threshold_kernel_implIfEEvRNS_18TensorIteratorBaseET_S7_EUlffE_EESt5arrayIPcLm3EE23TrivialOffsetCalculatorILi2EjESD_ILi1EjENS0_6memory12LoadWithCastILi2EEENSG_13StoreWithCastILi1EEEfJN3c104HalfEfEEEviT0_T1_T2_T3_T4_T5_,@function
_ZN2at6native39vectorized_templated_elementwise_kernelILi2ENS0_13BinaryFunctorIfffZNS0_12_GLOBAL__N_121threshold_kernel_implIfEEvRNS_18TensorIteratorBaseET_S7_EUlffE_EESt5arrayIPcLm3EE23TrivialOffsetCalculatorILi2EjESD_ILi1EjENS0_6memory12LoadWithCastILi2EEENSG_13StoreWithCastILi1EEEfJN3c104HalfEfEEEviT0_T1_T2_T3_T4_T5_: ; @_ZN2at6native39vectorized_templated_elementwise_kernelILi2ENS0_13BinaryFunctorIfffZNS0_12_GLOBAL__N_121threshold_kernel_implIfEEvRNS_18TensorIteratorBaseET_S7_EUlffE_EESt5arrayIPcLm3EE23TrivialOffsetCalculatorILi2EjESD_ILi1EjENS0_6memory12LoadWithCastILi2EEENSG_13StoreWithCastILi1EEEfJN3c104HalfEfEEEviT0_T1_T2_T3_T4_T5_
; %bb.0:
	s_add_u32 s0, s0, s7
	s_load_dword s7, s[4:5], 0x40
	s_load_dwordx8 s[12:19], s[4:5], 0x0
	s_load_dwordx2 s[10:11], s[4:5], 0x20
	s_addc_u32 s1, s1, 0
	s_not_b32 s8, s6
	s_waitcnt lgkmcnt(0)
	s_add_i32 s7, s7, s8
	s_lshl_b32 s8, s7, 14
	s_sub_i32 s7, s12, s8
	s_cmpk_gt_i32 s7, 0x3fff
	s_mov_b64 s[20:21], -1
	s_mov_b32 s32, 0
	s_cbranch_scc1 .LBB181_3
; %bb.1:
	s_andn2_b64 vcc, exec, s[20:21]
	s_cbranch_vccz .LBB181_4
.LBB181_2:
	s_endpgm
.LBB181_3:
	s_ashr_i32 s9, s8, 31
	s_lshl_b64 s[20:21], s[8:9], 1
	s_add_u32 s22, s18, s20
	s_addc_u32 s23, s19, s21
	v_lshlrev_b32_e32 v7, 2, v0
	v_mov_b32_e32 v1, s23
	v_add_co_u32_e32 v5, vcc, s22, v7
	v_addc_co_u32_e32 v6, vcc, 0, v1, vcc
	s_movk_i32 s12, 0x2000
	s_lshl_b64 s[8:9], s[8:9], 2
	s_add_u32 s20, s10, s8
	global_load_dword v32, v7, s[22:23] offset:2048
	v_add_co_u32_e32 v10, vcc, s12, v5
	s_addc_u32 s21, s11, s9
	v_lshlrev_b32_e32 v1, 3, v0
	v_addc_co_u32_e32 v11, vcc, 0, v6, vcc
	v_mov_b32_e32 v2, s21
	global_load_dword v33, v[10:11], off offset:-4096
	v_add_co_u32_e32 v36, vcc, s20, v1
	v_addc_co_u32_e32 v37, vcc, 0, v2, vcc
	v_add_co_u32_e32 v2, vcc, s12, v36
	v_addc_co_u32_e32 v3, vcc, 0, v37, vcc
	global_load_dwordx2 v[12:13], v[2:3], off offset:-4096
	global_load_dwordx2 v[14:15], v[2:3], off
	s_movk_i32 s15, 0x1000
	v_add_co_u32_e32 v3, vcc, s15, v5
	s_movk_i32 s26, 0x3000
	v_addc_co_u32_e32 v4, vcc, 0, v6, vcc
	v_add_co_u32_e32 v16, vcc, s26, v5
	s_movk_i32 s27, 0x5000
	v_addc_co_u32_e32 v17, vcc, 0, v6, vcc
	;; [unrolled: 3-line block ×3, first 2 shown]
	v_add_co_u32_e32 v20, vcc, s28, v5
	global_load_dword v48, v[3:4], off offset:2048
	s_movk_i32 s25, 0x4000
	v_addc_co_u32_e32 v21, vcc, 0, v6, vcc
	v_add_co_u32_e32 v22, vcc, s25, v5
	s_movk_i32 s24, 0x6000
	v_addc_co_u32_e32 v23, vcc, 0, v6, vcc
	v_add_co_u32_e32 v24, vcc, s24, v5
	v_addc_co_u32_e32 v25, vcc, 0, v6, vcc
	v_add_co_u32_e32 v26, vcc, s25, v36
	v_addc_co_u32_e32 v27, vcc, 0, v37, vcc
	global_load_dwordx2 v[28:29], v[26:27], off offset:-4096
	global_load_dword v49, v[10:11], off
	global_load_dword v50, v[10:11], off offset:2048
	global_load_dword v51, v[22:23], off offset:-4096
	global_load_dword v52, v[22:23], off
	global_load_dword v53, v[22:23], off offset:2048
	global_load_dword v9, v[24:25], off offset:-4096
	global_load_dword v6, v[24:25], off
	global_load_dword v5, v[24:25], off offset:2048
	global_load_dwordx2 v[30:31], v[26:27], off
	global_load_dword v54, v[16:17], off offset:2048
	global_load_dword v8, v[18:19], off offset:2048
	global_load_dword v4, v[20:21], off
	global_load_dword v3, v[20:21], off offset:2048
	global_load_dword v55, v7, s[22:23]
	v_add_co_u32_e32 v10, vcc, s24, v36
	v_addc_co_u32_e32 v11, vcc, 0, v37, vcc
	v_mov_b32_e32 v2, s14
	s_mov_b32 s23, 0x8000
	global_load_dwordx2 v[16:17], v[10:11], off offset:-4096
	s_mov_b32 s22, 0xa000
	s_mov_b32 s15, 0xc000
	;; [unrolled: 1-line block ×4, first 2 shown]
	s_add_u32 s8, s16, s8
	s_addc_u32 s9, s17, s9
	s_waitcnt vmcnt(20)
	v_cvt_f32_f16_e32 v18, v32
	v_cvt_f32_f16_sdwa v7, v32 dst_sel:DWORD dst_unused:UNUSED_PAD src0_sel:WORD_1
	v_cmp_nge_f32_e32 vcc, s13, v18
	s_waitcnt vmcnt(19)
	v_cvt_f32_f16_e32 v20, v33
	v_cvt_f32_f16_sdwa v19, v33 dst_sel:DWORD dst_unused:UNUSED_PAD src0_sel:WORD_1
	s_waitcnt vmcnt(18)
	v_cndmask_b32_e32 v12, v2, v12, vcc
	v_cmp_nge_f32_e32 vcc, s13, v7
	v_cndmask_b32_e32 v13, v2, v13, vcc
	v_cmp_nge_f32_e32 vcc, s13, v20
	s_waitcnt vmcnt(17)
	v_cndmask_b32_e32 v14, v2, v14, vcc
	v_cmp_nge_f32_e32 vcc, s13, v19
	v_cndmask_b32_e32 v15, v2, v15, vcc
	v_add_co_u32_e32 v18, vcc, s23, v36
	v_addc_co_u32_e32 v19, vcc, 0, v37, vcc
	global_load_dwordx2 v[20:21], v[18:19], off offset:-4096
	v_add_co_u32_e32 v22, vcc, s22, v36
	global_load_dwordx2 v[10:11], v[10:11], off
	v_addc_co_u32_e32 v23, vcc, 0, v37, vcc
	global_load_dwordx2 v[18:19], v[18:19], off
	v_add_co_u32_e32 v24, vcc, s15, v36
	v_addc_co_u32_e32 v25, vcc, 0, v37, vcc
	v_add_co_u32_e32 v26, vcc, s27, v36
	v_addc_co_u32_e32 v27, vcc, 0, v37, vcc
	global_load_dwordx2 v[32:33], v[26:27], off
	global_load_dwordx2 v[34:35], v1, s[20:21]
	v_add_co_u32_e32 v26, vcc, s26, v36
	v_addc_co_u32_e32 v27, vcc, 0, v37, vcc
	global_load_dwordx2 v[36:37], v[22:23], off offset:-4096
	global_load_dwordx2 v[38:39], v[22:23], off
	global_load_dwordx2 v[40:41], v[24:25], off offset:-4096
	global_load_dwordx2 v[42:43], v[24:25], off
	global_load_dwordx2 v[44:45], v[26:27], off offset:-4096
	global_load_dwordx2 v[46:47], v[26:27], off
	v_mov_b32_e32 v7, s9
	v_add_co_u32_e32 v24, vcc, s8, v1
	v_addc_co_u32_e32 v25, vcc, 0, v7, vcc
	s_waitcnt vmcnt(27)
	v_cvt_f32_f16_e32 v7, v48
	v_add_co_u32_e32 v22, vcc, s12, v24
	v_addc_co_u32_e32 v23, vcc, 0, v25, vcc
	global_store_dwordx2 v[22:23], v[12:13], off offset:-4096
	global_store_dwordx2 v[22:23], v[14:15], off
	v_cvt_f32_f16_sdwa v13, v48 dst_sel:DWORD dst_unused:UNUSED_PAD src0_sel:WORD_1
	v_cmp_nge_f32_e32 vcc, s13, v7
	s_waitcnt vmcnt(27)
	v_cvt_f32_f16_e32 v7, v49
	v_cvt_f32_f16_sdwa v15, v49 dst_sel:DWORD dst_unused:UNUSED_PAD src0_sel:WORD_1
	v_cndmask_b32_e32 v12, v2, v28, vcc
	v_cmp_nge_f32_e32 vcc, s13, v13
	v_cndmask_b32_e32 v13, v2, v29, vcc
	v_cmp_nge_f32_e32 vcc, s13, v7
	s_waitcnt vmcnt(19)
	v_cndmask_b32_e32 v14, v2, v30, vcc
	v_cmp_nge_f32_e32 vcc, s13, v15
	v_cvt_f32_f16_e32 v7, v50
	v_cndmask_b32_e32 v15, v2, v31, vcc
	v_add_co_u32_e32 v22, vcc, s25, v24
	v_addc_co_u32_e32 v23, vcc, 0, v25, vcc
	global_store_dwordx2 v[22:23], v[12:13], off offset:-4096
	global_store_dwordx2 v[22:23], v[14:15], off
	v_cvt_f32_f16_sdwa v13, v50 dst_sel:DWORD dst_unused:UNUSED_PAD src0_sel:WORD_1
	v_cmp_nge_f32_e32 vcc, s13, v7
	v_cvt_f32_f16_e32 v7, v51
	v_cvt_f32_f16_sdwa v14, v51 dst_sel:DWORD dst_unused:UNUSED_PAD src0_sel:WORD_1
	s_waitcnt vmcnt(15)
	v_cndmask_b32_e32 v12, v2, v16, vcc
	v_cmp_nge_f32_e32 vcc, s13, v13
	v_cndmask_b32_e32 v13, v2, v17, vcc
	v_cmp_nge_f32_e32 vcc, s13, v7
	v_cvt_f32_f16_e32 v7, v54
	v_cvt_f32_f16_e32 v16, v55
	;; [unrolled: 1-line block ×3, first 2 shown]
	s_mov_b32 s12, 0xd000
	s_waitcnt vmcnt(13)
	v_cndmask_b32_e32 v10, v2, v10, vcc
	v_cmp_nge_f32_e32 vcc, s13, v14
	v_cndmask_b32_e32 v11, v2, v11, vcc
	v_add_co_u32_e32 v14, vcc, s24, v24
	v_addc_co_u32_e32 v15, vcc, 0, v25, vcc
	global_store_dwordx2 v[14:15], v[12:13], off offset:-4096
	global_store_dwordx2 v[14:15], v[10:11], off
	v_cvt_f32_f16_sdwa v11, v54 dst_sel:DWORD dst_unused:UNUSED_PAD src0_sel:WORD_1
	v_cvt_f32_f16_e32 v12, v52
	v_cvt_f32_f16_sdwa v13, v52 dst_sel:DWORD dst_unused:UNUSED_PAD src0_sel:WORD_1
	v_cmp_nge_f32_e32 vcc, s13, v7
	v_cndmask_b32_e32 v10, v2, v20, vcc
	v_cmp_nge_f32_e32 vcc, s13, v11
	v_cndmask_b32_e32 v11, v2, v21, vcc
	v_cmp_nge_f32_e32 vcc, s13, v12
	s_waitcnt vmcnt(14)
	v_cndmask_b32_e32 v12, v2, v18, vcc
	v_cmp_nge_f32_e32 vcc, s13, v13
	v_cndmask_b32_e32 v13, v2, v19, vcc
	v_add_co_u32_e32 v14, vcc, s23, v24
	v_cvt_f32_f16_sdwa v7, v55 dst_sel:DWORD dst_unused:UNUSED_PAD src0_sel:WORD_1
	v_addc_co_u32_e32 v15, vcc, 0, v25, vcc
	global_store_dwordx2 v[14:15], v[10:11], off offset:-4096
	global_store_dwordx2 v[14:15], v[12:13], off
	v_cvt_f32_f16_e32 v12, v53
	v_cvt_f32_f16_sdwa v13, v53 dst_sel:DWORD dst_unused:UNUSED_PAD src0_sel:WORD_1
	v_cmp_nge_f32_e32 vcc, s13, v16
	s_waitcnt vmcnt(14)
	v_cndmask_b32_e32 v10, v2, v34, vcc
	v_cmp_nge_f32_e32 vcc, s13, v7
	v_cvt_f32_f16_e32 v7, v9
	v_cvt_f32_f16_sdwa v14, v9 dst_sel:DWORD dst_unused:UNUSED_PAD src0_sel:WORD_1
	v_cndmask_b32_e32 v11, v2, v35, vcc
	v_cmp_nge_f32_e32 vcc, s13, v12
	v_cvt_f32_f16_e32 v15, v8
	s_waitcnt vmcnt(13)
	v_cndmask_b32_e32 v12, v2, v36, vcc
	v_cmp_nge_f32_e32 vcc, s13, v13
	v_cvt_f32_f16_sdwa v9, v8 dst_sel:DWORD dst_unused:UNUSED_PAD src0_sel:WORD_1
	v_cndmask_b32_e32 v13, v2, v37, vcc
	v_cmp_nge_f32_e32 vcc, s13, v7
	v_cvt_f32_f16_sdwa v16, v6 dst_sel:DWORD dst_unused:UNUSED_PAD src0_sel:WORD_1
	v_cvt_f32_f16_e32 v6, v6
	s_waitcnt vmcnt(12)
	v_cndmask_b32_e32 v7, v2, v38, vcc
	v_cmp_nge_f32_e32 vcc, s13, v14
	v_cndmask_b32_e32 v8, v2, v39, vcc
	v_cmp_nge_f32_e32 vcc, s13, v15
	s_waitcnt vmcnt(11)
	v_cndmask_b32_e32 v14, v2, v40, vcc
	v_cmp_nge_f32_e32 vcc, s13, v9
	v_cvt_f32_f16_sdwa v9, v5 dst_sel:DWORD dst_unused:UNUSED_PAD src0_sel:WORD_1
	v_cndmask_b32_e32 v15, v2, v41, vcc
	v_cmp_nge_f32_e32 vcc, s13, v6
	v_cvt_f32_f16_sdwa v18, v4 dst_sel:DWORD dst_unused:UNUSED_PAD src0_sel:WORD_1
	v_cvt_f32_f16_e32 v4, v4
	s_waitcnt vmcnt(10)
	v_cndmask_b32_e32 v5, v2, v42, vcc
	v_cmp_nge_f32_e32 vcc, s13, v16
	v_cndmask_b32_e32 v6, v2, v43, vcc
	v_cmp_nge_f32_e32 vcc, s13, v17
	v_cvt_f32_f16_e32 v19, v3
	s_waitcnt vmcnt(9)
	v_cndmask_b32_e32 v16, v2, v44, vcc
	v_cmp_nge_f32_e32 vcc, s13, v9
	v_cvt_f32_f16_sdwa v9, v3 dst_sel:DWORD dst_unused:UNUSED_PAD src0_sel:WORD_1
	v_cndmask_b32_e32 v17, v2, v45, vcc
	v_cmp_nge_f32_e32 vcc, s13, v4
	s_waitcnt vmcnt(8)
	v_cndmask_b32_e32 v3, v2, v46, vcc
	v_cmp_nge_f32_e32 vcc, s13, v18
	v_cndmask_b32_e32 v4, v2, v47, vcc
	v_cmp_nge_f32_e32 vcc, s13, v19
	;; [unrolled: 2-line block ×3, first 2 shown]
	v_cndmask_b32_e32 v19, v2, v33, vcc
	global_store_dwordx2 v1, v[10:11], s[8:9]
	v_add_co_u32_e32 v1, vcc, s22, v24
	v_addc_co_u32_e32 v2, vcc, 0, v25, vcc
	global_store_dwordx2 v[1:2], v[12:13], off offset:-4096
	global_store_dwordx2 v[1:2], v[7:8], off
	v_add_co_u32_e32 v1, vcc, s15, v24
	v_addc_co_u32_e32 v2, vcc, 0, v25, vcc
	global_store_dwordx2 v[1:2], v[14:15], off offset:-4096
	global_store_dwordx2 v[1:2], v[5:6], off
	v_add_co_u32_e32 v1, vcc, s12, v24
	v_addc_co_u32_e32 v2, vcc, 0, v25, vcc
	global_store_dwordx2 v[1:2], v[16:17], off
	v_add_co_u32_e32 v1, vcc, 0xe000, v24
	v_addc_co_u32_e32 v2, vcc, 0, v25, vcc
	;; [unrolled: 3-line block ×3, first 2 shown]
	global_store_dwordx2 v[1:2], v[18:19], off
	s_cbranch_execnz .LBB181_2
.LBB181_4:
	s_load_dword s15, s[4:5], 0x2c
	s_load_dwordx4 s[20:23], s[4:5], 0x30
	s_mov_b32 s12, s6
	v_mov_b32_e32 v31, v0
	v_mov_b32_e32 v0, s13
	s_waitcnt lgkmcnt(0)
	s_bfe_u32 s24, s15, 0x80008
	s_add_u32 s8, s4, 64
	s_addc_u32 s9, s5, 0
	s_getpc_b64 s[4:5]
	s_add_u32 s4, s4, _ZN2at6native25elementwise_kernel_helperILb1ENS0_13BinaryFunctorIfffZNS0_12_GLOBAL__N_121threshold_kernel_implIfEEvRNS_18TensorIteratorBaseET_S7_EUlffE_EENS0_6memory8policies11unroll_baseILi512ESt5arrayIPcLm3EE23TrivialOffsetCalculatorILi2EjESG_ILi1EjENSA_12LoadWithCastILi2EEENSA_13StoreWithCastILi1EEELi32ELi1EEEEEvT0_T1_@rel32@lo+4
	s_addc_u32 s5, s5, _ZN2at6native25elementwise_kernel_helperILb1ENS0_13BinaryFunctorIfffZNS0_12_GLOBAL__N_121threshold_kernel_implIfEEvRNS_18TensorIteratorBaseET_S7_EUlffE_EENS0_6memory8policies11unroll_baseILi512ESt5arrayIPcLm3EE23TrivialOffsetCalculatorILi2EjESG_ILi1EjENSA_12LoadWithCastILi2EEENSA_13StoreWithCastILi1EEELi32ELi1EEEEEvT0_T1_@rel32@hi+12
	v_mov_b32_e32 v1, s14
	v_mov_b32_e32 v2, s16
	;; [unrolled: 1-line block ×14, first 2 shown]
	s_swappc_b64 s[30:31], s[4:5]
	s_endpgm
	.section	.rodata,"a",@progbits
	.p2align	6, 0x0
	.amdhsa_kernel _ZN2at6native39vectorized_templated_elementwise_kernelILi2ENS0_13BinaryFunctorIfffZNS0_12_GLOBAL__N_121threshold_kernel_implIfEEvRNS_18TensorIteratorBaseET_S7_EUlffE_EESt5arrayIPcLm3EE23TrivialOffsetCalculatorILi2EjESD_ILi1EjENS0_6memory12LoadWithCastILi2EEENSG_13StoreWithCastILi1EEEfJN3c104HalfEfEEEviT0_T1_T2_T3_T4_T5_
		.amdhsa_group_segment_fixed_size 0
		.amdhsa_private_segment_fixed_size 272
		.amdhsa_kernarg_size 320
		.amdhsa_user_sgpr_count 6
		.amdhsa_user_sgpr_private_segment_buffer 1
		.amdhsa_user_sgpr_dispatch_ptr 0
		.amdhsa_user_sgpr_queue_ptr 0
		.amdhsa_user_sgpr_kernarg_segment_ptr 1
		.amdhsa_user_sgpr_dispatch_id 0
		.amdhsa_user_sgpr_flat_scratch_init 0
		.amdhsa_user_sgpr_private_segment_size 0
		.amdhsa_uses_dynamic_stack 0
		.amdhsa_system_sgpr_private_segment_wavefront_offset 1
		.amdhsa_system_sgpr_workgroup_id_x 1
		.amdhsa_system_sgpr_workgroup_id_y 0
		.amdhsa_system_sgpr_workgroup_id_z 0
		.amdhsa_system_sgpr_workgroup_info 0
		.amdhsa_system_vgpr_workitem_id 0
		.amdhsa_next_free_vgpr 119
		.amdhsa_next_free_sgpr 98
		.amdhsa_reserve_vcc 1
		.amdhsa_reserve_flat_scratch 0
		.amdhsa_float_round_mode_32 0
		.amdhsa_float_round_mode_16_64 0
		.amdhsa_float_denorm_mode_32 3
		.amdhsa_float_denorm_mode_16_64 3
		.amdhsa_dx10_clamp 1
		.amdhsa_ieee_mode 1
		.amdhsa_fp16_overflow 0
		.amdhsa_exception_fp_ieee_invalid_op 0
		.amdhsa_exception_fp_denorm_src 0
		.amdhsa_exception_fp_ieee_div_zero 0
		.amdhsa_exception_fp_ieee_overflow 0
		.amdhsa_exception_fp_ieee_underflow 0
		.amdhsa_exception_fp_ieee_inexact 0
		.amdhsa_exception_int_div_zero 0
	.end_amdhsa_kernel
	.section	.text._ZN2at6native39vectorized_templated_elementwise_kernelILi2ENS0_13BinaryFunctorIfffZNS0_12_GLOBAL__N_121threshold_kernel_implIfEEvRNS_18TensorIteratorBaseET_S7_EUlffE_EESt5arrayIPcLm3EE23TrivialOffsetCalculatorILi2EjESD_ILi1EjENS0_6memory12LoadWithCastILi2EEENSG_13StoreWithCastILi1EEEfJN3c104HalfEfEEEviT0_T1_T2_T3_T4_T5_,"axG",@progbits,_ZN2at6native39vectorized_templated_elementwise_kernelILi2ENS0_13BinaryFunctorIfffZNS0_12_GLOBAL__N_121threshold_kernel_implIfEEvRNS_18TensorIteratorBaseET_S7_EUlffE_EESt5arrayIPcLm3EE23TrivialOffsetCalculatorILi2EjESD_ILi1EjENS0_6memory12LoadWithCastILi2EEENSG_13StoreWithCastILi1EEEfJN3c104HalfEfEEEviT0_T1_T2_T3_T4_T5_,comdat
.Lfunc_end181:
	.size	_ZN2at6native39vectorized_templated_elementwise_kernelILi2ENS0_13BinaryFunctorIfffZNS0_12_GLOBAL__N_121threshold_kernel_implIfEEvRNS_18TensorIteratorBaseET_S7_EUlffE_EESt5arrayIPcLm3EE23TrivialOffsetCalculatorILi2EjESD_ILi1EjENS0_6memory12LoadWithCastILi2EEENSG_13StoreWithCastILi1EEEfJN3c104HalfEfEEEviT0_T1_T2_T3_T4_T5_, .Lfunc_end181-_ZN2at6native39vectorized_templated_elementwise_kernelILi2ENS0_13BinaryFunctorIfffZNS0_12_GLOBAL__N_121threshold_kernel_implIfEEvRNS_18TensorIteratorBaseET_S7_EUlffE_EESt5arrayIPcLm3EE23TrivialOffsetCalculatorILi2EjESD_ILi1EjENS0_6memory12LoadWithCastILi2EEENSG_13StoreWithCastILi1EEEfJN3c104HalfEfEEEviT0_T1_T2_T3_T4_T5_
                                        ; -- End function
	.set _ZN2at6native39vectorized_templated_elementwise_kernelILi2ENS0_13BinaryFunctorIfffZNS0_12_GLOBAL__N_121threshold_kernel_implIfEEvRNS_18TensorIteratorBaseET_S7_EUlffE_EESt5arrayIPcLm3EE23TrivialOffsetCalculatorILi2EjESD_ILi1EjENS0_6memory12LoadWithCastILi2EEENSG_13StoreWithCastILi1EEEfJN3c104HalfEfEEEviT0_T1_T2_T3_T4_T5_.num_vgpr, max(56, .L_ZN2at6native25elementwise_kernel_helperILb1ENS0_13BinaryFunctorIfffZNS0_12_GLOBAL__N_121threshold_kernel_implIfEEvRNS_18TensorIteratorBaseET_S7_EUlffE_EENS0_6memory8policies11unroll_baseILi512ESt5arrayIPcLm3EE23TrivialOffsetCalculatorILi2EjESG_ILi1EjENSA_12LoadWithCastILi2EEENSA_13StoreWithCastILi1EEELi32ELi1EEEEEvT0_T1_.num_vgpr)
	.set _ZN2at6native39vectorized_templated_elementwise_kernelILi2ENS0_13BinaryFunctorIfffZNS0_12_GLOBAL__N_121threshold_kernel_implIfEEvRNS_18TensorIteratorBaseET_S7_EUlffE_EESt5arrayIPcLm3EE23TrivialOffsetCalculatorILi2EjESD_ILi1EjENS0_6memory12LoadWithCastILi2EEENSG_13StoreWithCastILi1EEEfJN3c104HalfEfEEEviT0_T1_T2_T3_T4_T5_.num_agpr, max(0, .L_ZN2at6native25elementwise_kernel_helperILb1ENS0_13BinaryFunctorIfffZNS0_12_GLOBAL__N_121threshold_kernel_implIfEEvRNS_18TensorIteratorBaseET_S7_EUlffE_EENS0_6memory8policies11unroll_baseILi512ESt5arrayIPcLm3EE23TrivialOffsetCalculatorILi2EjESG_ILi1EjENSA_12LoadWithCastILi2EEENSA_13StoreWithCastILi1EEELi32ELi1EEEEEvT0_T1_.num_agpr)
	.set _ZN2at6native39vectorized_templated_elementwise_kernelILi2ENS0_13BinaryFunctorIfffZNS0_12_GLOBAL__N_121threshold_kernel_implIfEEvRNS_18TensorIteratorBaseET_S7_EUlffE_EESt5arrayIPcLm3EE23TrivialOffsetCalculatorILi2EjESD_ILi1EjENS0_6memory12LoadWithCastILi2EEENSG_13StoreWithCastILi1EEEfJN3c104HalfEfEEEviT0_T1_T2_T3_T4_T5_.numbered_sgpr, max(33, .L_ZN2at6native25elementwise_kernel_helperILb1ENS0_13BinaryFunctorIfffZNS0_12_GLOBAL__N_121threshold_kernel_implIfEEvRNS_18TensorIteratorBaseET_S7_EUlffE_EENS0_6memory8policies11unroll_baseILi512ESt5arrayIPcLm3EE23TrivialOffsetCalculatorILi2EjESG_ILi1EjENSA_12LoadWithCastILi2EEENSA_13StoreWithCastILi1EEELi32ELi1EEEEEvT0_T1_.numbered_sgpr)
	.set _ZN2at6native39vectorized_templated_elementwise_kernelILi2ENS0_13BinaryFunctorIfffZNS0_12_GLOBAL__N_121threshold_kernel_implIfEEvRNS_18TensorIteratorBaseET_S7_EUlffE_EESt5arrayIPcLm3EE23TrivialOffsetCalculatorILi2EjESD_ILi1EjENS0_6memory12LoadWithCastILi2EEENSG_13StoreWithCastILi1EEEfJN3c104HalfEfEEEviT0_T1_T2_T3_T4_T5_.num_named_barrier, max(0, .L_ZN2at6native25elementwise_kernel_helperILb1ENS0_13BinaryFunctorIfffZNS0_12_GLOBAL__N_121threshold_kernel_implIfEEvRNS_18TensorIteratorBaseET_S7_EUlffE_EENS0_6memory8policies11unroll_baseILi512ESt5arrayIPcLm3EE23TrivialOffsetCalculatorILi2EjESG_ILi1EjENSA_12LoadWithCastILi2EEENSA_13StoreWithCastILi1EEELi32ELi1EEEEEvT0_T1_.num_named_barrier)
	.set _ZN2at6native39vectorized_templated_elementwise_kernelILi2ENS0_13BinaryFunctorIfffZNS0_12_GLOBAL__N_121threshold_kernel_implIfEEvRNS_18TensorIteratorBaseET_S7_EUlffE_EESt5arrayIPcLm3EE23TrivialOffsetCalculatorILi2EjESD_ILi1EjENS0_6memory12LoadWithCastILi2EEENSG_13StoreWithCastILi1EEEfJN3c104HalfEfEEEviT0_T1_T2_T3_T4_T5_.private_seg_size, 0+max(.L_ZN2at6native25elementwise_kernel_helperILb1ENS0_13BinaryFunctorIfffZNS0_12_GLOBAL__N_121threshold_kernel_implIfEEvRNS_18TensorIteratorBaseET_S7_EUlffE_EENS0_6memory8policies11unroll_baseILi512ESt5arrayIPcLm3EE23TrivialOffsetCalculatorILi2EjESG_ILi1EjENSA_12LoadWithCastILi2EEENSA_13StoreWithCastILi1EEELi32ELi1EEEEEvT0_T1_.private_seg_size)
	.set _ZN2at6native39vectorized_templated_elementwise_kernelILi2ENS0_13BinaryFunctorIfffZNS0_12_GLOBAL__N_121threshold_kernel_implIfEEvRNS_18TensorIteratorBaseET_S7_EUlffE_EESt5arrayIPcLm3EE23TrivialOffsetCalculatorILi2EjESD_ILi1EjENS0_6memory12LoadWithCastILi2EEENSG_13StoreWithCastILi1EEEfJN3c104HalfEfEEEviT0_T1_T2_T3_T4_T5_.uses_vcc, or(1, .L_ZN2at6native25elementwise_kernel_helperILb1ENS0_13BinaryFunctorIfffZNS0_12_GLOBAL__N_121threshold_kernel_implIfEEvRNS_18TensorIteratorBaseET_S7_EUlffE_EENS0_6memory8policies11unroll_baseILi512ESt5arrayIPcLm3EE23TrivialOffsetCalculatorILi2EjESG_ILi1EjENSA_12LoadWithCastILi2EEENSA_13StoreWithCastILi1EEELi32ELi1EEEEEvT0_T1_.uses_vcc)
	.set _ZN2at6native39vectorized_templated_elementwise_kernelILi2ENS0_13BinaryFunctorIfffZNS0_12_GLOBAL__N_121threshold_kernel_implIfEEvRNS_18TensorIteratorBaseET_S7_EUlffE_EESt5arrayIPcLm3EE23TrivialOffsetCalculatorILi2EjESD_ILi1EjENS0_6memory12LoadWithCastILi2EEENSG_13StoreWithCastILi1EEEfJN3c104HalfEfEEEviT0_T1_T2_T3_T4_T5_.uses_flat_scratch, or(0, .L_ZN2at6native25elementwise_kernel_helperILb1ENS0_13BinaryFunctorIfffZNS0_12_GLOBAL__N_121threshold_kernel_implIfEEvRNS_18TensorIteratorBaseET_S7_EUlffE_EENS0_6memory8policies11unroll_baseILi512ESt5arrayIPcLm3EE23TrivialOffsetCalculatorILi2EjESG_ILi1EjENSA_12LoadWithCastILi2EEENSA_13StoreWithCastILi1EEELi32ELi1EEEEEvT0_T1_.uses_flat_scratch)
	.set _ZN2at6native39vectorized_templated_elementwise_kernelILi2ENS0_13BinaryFunctorIfffZNS0_12_GLOBAL__N_121threshold_kernel_implIfEEvRNS_18TensorIteratorBaseET_S7_EUlffE_EESt5arrayIPcLm3EE23TrivialOffsetCalculatorILi2EjESD_ILi1EjENS0_6memory12LoadWithCastILi2EEENSG_13StoreWithCastILi1EEEfJN3c104HalfEfEEEviT0_T1_T2_T3_T4_T5_.has_dyn_sized_stack, or(0, .L_ZN2at6native25elementwise_kernel_helperILb1ENS0_13BinaryFunctorIfffZNS0_12_GLOBAL__N_121threshold_kernel_implIfEEvRNS_18TensorIteratorBaseET_S7_EUlffE_EENS0_6memory8policies11unroll_baseILi512ESt5arrayIPcLm3EE23TrivialOffsetCalculatorILi2EjESG_ILi1EjENSA_12LoadWithCastILi2EEENSA_13StoreWithCastILi1EEELi32ELi1EEEEEvT0_T1_.has_dyn_sized_stack)
	.set _ZN2at6native39vectorized_templated_elementwise_kernelILi2ENS0_13BinaryFunctorIfffZNS0_12_GLOBAL__N_121threshold_kernel_implIfEEvRNS_18TensorIteratorBaseET_S7_EUlffE_EESt5arrayIPcLm3EE23TrivialOffsetCalculatorILi2EjESD_ILi1EjENS0_6memory12LoadWithCastILi2EEENSG_13StoreWithCastILi1EEEfJN3c104HalfEfEEEviT0_T1_T2_T3_T4_T5_.has_recursion, or(0, .L_ZN2at6native25elementwise_kernel_helperILb1ENS0_13BinaryFunctorIfffZNS0_12_GLOBAL__N_121threshold_kernel_implIfEEvRNS_18TensorIteratorBaseET_S7_EUlffE_EENS0_6memory8policies11unroll_baseILi512ESt5arrayIPcLm3EE23TrivialOffsetCalculatorILi2EjESG_ILi1EjENSA_12LoadWithCastILi2EEENSA_13StoreWithCastILi1EEELi32ELi1EEEEEvT0_T1_.has_recursion)
	.set _ZN2at6native39vectorized_templated_elementwise_kernelILi2ENS0_13BinaryFunctorIfffZNS0_12_GLOBAL__N_121threshold_kernel_implIfEEvRNS_18TensorIteratorBaseET_S7_EUlffE_EESt5arrayIPcLm3EE23TrivialOffsetCalculatorILi2EjESD_ILi1EjENS0_6memory12LoadWithCastILi2EEENSG_13StoreWithCastILi1EEEfJN3c104HalfEfEEEviT0_T1_T2_T3_T4_T5_.has_indirect_call, or(0, .L_ZN2at6native25elementwise_kernel_helperILb1ENS0_13BinaryFunctorIfffZNS0_12_GLOBAL__N_121threshold_kernel_implIfEEvRNS_18TensorIteratorBaseET_S7_EUlffE_EENS0_6memory8policies11unroll_baseILi512ESt5arrayIPcLm3EE23TrivialOffsetCalculatorILi2EjESG_ILi1EjENSA_12LoadWithCastILi2EEENSA_13StoreWithCastILi1EEELi32ELi1EEEEEvT0_T1_.has_indirect_call)
	.section	.AMDGPU.csdata,"",@progbits
; Kernel info:
; codeLenInByte = 1476
; TotalNumSgprs: 102
; NumVgprs: 119
; ScratchSize: 272
; MemoryBound: 0
; FloatMode: 240
; IeeeMode: 1
; LDSByteSize: 0 bytes/workgroup (compile time only)
; SGPRBlocks: 12
; VGPRBlocks: 29
; NumSGPRsForWavesPerEU: 102
; NumVGPRsForWavesPerEU: 119
; Occupancy: 2
; WaveLimiterHint : 1
; COMPUTE_PGM_RSRC2:SCRATCH_EN: 1
; COMPUTE_PGM_RSRC2:USER_SGPR: 6
; COMPUTE_PGM_RSRC2:TRAP_HANDLER: 0
; COMPUTE_PGM_RSRC2:TGID_X_EN: 1
; COMPUTE_PGM_RSRC2:TGID_Y_EN: 0
; COMPUTE_PGM_RSRC2:TGID_Z_EN: 0
; COMPUTE_PGM_RSRC2:TIDIG_COMP_CNT: 0
	.section	.text._ZN2at6native39vectorized_templated_elementwise_kernelILi8ENS0_13BinaryFunctorIfffZNS0_12_GLOBAL__N_121threshold_kernel_implIfEEvRNS_18TensorIteratorBaseET_S7_EUlffE_EESt5arrayIPcLm3EE23TrivialOffsetCalculatorILi2EjESD_ILi1EjENS0_6memory12LoadWithCastILi2EEENSG_13StoreWithCastILi1EEEN3c104HalfEJSM_fEEEviT0_T1_T2_T3_T4_T5_,"axG",@progbits,_ZN2at6native39vectorized_templated_elementwise_kernelILi8ENS0_13BinaryFunctorIfffZNS0_12_GLOBAL__N_121threshold_kernel_implIfEEvRNS_18TensorIteratorBaseET_S7_EUlffE_EESt5arrayIPcLm3EE23TrivialOffsetCalculatorILi2EjESD_ILi1EjENS0_6memory12LoadWithCastILi2EEENSG_13StoreWithCastILi1EEEN3c104HalfEJSM_fEEEviT0_T1_T2_T3_T4_T5_,comdat
	.globl	_ZN2at6native39vectorized_templated_elementwise_kernelILi8ENS0_13BinaryFunctorIfffZNS0_12_GLOBAL__N_121threshold_kernel_implIfEEvRNS_18TensorIteratorBaseET_S7_EUlffE_EESt5arrayIPcLm3EE23TrivialOffsetCalculatorILi2EjESD_ILi1EjENS0_6memory12LoadWithCastILi2EEENSG_13StoreWithCastILi1EEEN3c104HalfEJSM_fEEEviT0_T1_T2_T3_T4_T5_ ; -- Begin function _ZN2at6native39vectorized_templated_elementwise_kernelILi8ENS0_13BinaryFunctorIfffZNS0_12_GLOBAL__N_121threshold_kernel_implIfEEvRNS_18TensorIteratorBaseET_S7_EUlffE_EESt5arrayIPcLm3EE23TrivialOffsetCalculatorILi2EjESD_ILi1EjENS0_6memory12LoadWithCastILi2EEENSG_13StoreWithCastILi1EEEN3c104HalfEJSM_fEEEviT0_T1_T2_T3_T4_T5_
	.p2align	8
	.type	_ZN2at6native39vectorized_templated_elementwise_kernelILi8ENS0_13BinaryFunctorIfffZNS0_12_GLOBAL__N_121threshold_kernel_implIfEEvRNS_18TensorIteratorBaseET_S7_EUlffE_EESt5arrayIPcLm3EE23TrivialOffsetCalculatorILi2EjESD_ILi1EjENS0_6memory12LoadWithCastILi2EEENSG_13StoreWithCastILi1EEEN3c104HalfEJSM_fEEEviT0_T1_T2_T3_T4_T5_,@function
_ZN2at6native39vectorized_templated_elementwise_kernelILi8ENS0_13BinaryFunctorIfffZNS0_12_GLOBAL__N_121threshold_kernel_implIfEEvRNS_18TensorIteratorBaseET_S7_EUlffE_EESt5arrayIPcLm3EE23TrivialOffsetCalculatorILi2EjESD_ILi1EjENS0_6memory12LoadWithCastILi2EEENSG_13StoreWithCastILi1EEEN3c104HalfEJSM_fEEEviT0_T1_T2_T3_T4_T5_: ; @_ZN2at6native39vectorized_templated_elementwise_kernelILi8ENS0_13BinaryFunctorIfffZNS0_12_GLOBAL__N_121threshold_kernel_implIfEEvRNS_18TensorIteratorBaseET_S7_EUlffE_EESt5arrayIPcLm3EE23TrivialOffsetCalculatorILi2EjESD_ILi1EjENS0_6memory12LoadWithCastILi2EEENSG_13StoreWithCastILi1EEEN3c104HalfEJSM_fEEEviT0_T1_T2_T3_T4_T5_
; %bb.0:
	s_add_u32 s0, s0, s7
	s_load_dword s7, s[4:5], 0x40
	s_load_dwordx8 s[12:19], s[4:5], 0x0
	s_load_dwordx2 s[10:11], s[4:5], 0x20
	s_addc_u32 s1, s1, 0
	s_not_b32 s8, s6
	s_waitcnt lgkmcnt(0)
	s_add_i32 s7, s7, s8
	s_lshl_b32 s22, s7, 14
	s_sub_i32 s7, s12, s22
	s_cmpk_gt_i32 s7, 0x3fff
	s_mov_b64 s[8:9], -1
	s_mov_b32 s32, 0
	s_cbranch_scc1 .LBB182_3
; %bb.1:
	s_andn2_b64 vcc, exec, s[8:9]
	s_cbranch_vccz .LBB182_4
.LBB182_2:
	s_endpgm
.LBB182_3:
	s_ashr_i32 s23, s22, 31
	s_lshl_b64 s[8:9], s[22:23], 1
	s_add_u32 s20, s18, s8
	s_addc_u32 s21, s19, s9
	v_lshlrev_b32_e32 v5, 4, v0
	v_mov_b32_e32 v1, s21
	v_add_co_u32_e32 v7, vcc, s20, v5
	v_addc_co_u32_e32 v8, vcc, 0, v1, vcc
	s_movk_i32 s15, 0x2000
	v_add_co_u32_e32 v1, vcc, s15, v7
	v_addc_co_u32_e32 v2, vcc, 0, v8, vcc
	s_lshl_b64 s[22:23], s[22:23], 2
	global_load_dwordx4 v[1:4], v[1:2], off
	s_add_u32 s22, s10, s22
	v_lshlrev_b32_e32 v9, 5, v0
	s_addc_u32 s23, s11, s23
	v_mov_b32_e32 v6, s23
	v_add_co_u32_e32 v26, vcc, s22, v9
	s_movk_i32 s12, 0x4000
	v_addc_co_u32_e32 v27, vcc, 0, v6, vcc
	v_add_co_u32_e32 v18, vcc, s12, v26
	v_addc_co_u32_e32 v19, vcc, 0, v27, vcc
	global_load_dwordx4 v[10:13], v[18:19], off
	global_load_dwordx4 v[14:17], v[18:19], off offset:16
	v_add_co_u32_e32 v22, vcc, s12, v7
	s_movk_i32 s24, 0x6000
	v_addc_co_u32_e32 v23, vcc, 0, v8, vcc
	v_add_co_u32_e32 v7, vcc, s24, v7
	s_mov_b32 s25, 0x8000
	v_addc_co_u32_e32 v8, vcc, 0, v8, vcc
	v_add_co_u32_e32 v38, vcc, s25, v26
	s_mov_b32 s26, 0xc000
	v_addc_co_u32_e32 v39, vcc, 0, v27, vcc
	global_load_dwordx4 v[18:21], v5, s[20:21]
	v_add_co_u32_e32 v40, vcc, s26, v26
	global_load_dwordx4 v[22:25], v[22:23], off
	s_add_u32 s20, s16, s8
	s_addc_u32 s21, s17, s9
	v_addc_co_u32_e32 v41, vcc, 0, v27, vcc
	v_mov_b32_e32 v26, s21
	v_add_co_u32_e32 v48, vcc, s20, v5
	v_addc_co_u32_e32 v49, vcc, 0, v26, vcc
	v_mov_b32_e32 v6, s14
	v_add_co_u32_e32 v46, vcc, s15, v48
	v_addc_co_u32_e32 v47, vcc, 0, v49, vcc
	s_waitcnt vmcnt(4)
	v_cvt_f32_f16_sdwa v26, v1 dst_sel:DWORD dst_unused:UNUSED_PAD src0_sel:WORD_1
	v_cvt_f32_f16_e32 v1, v1
	v_cvt_f32_f16_sdwa v27, v2 dst_sel:DWORD dst_unused:UNUSED_PAD src0_sel:WORD_1
	v_cvt_f32_f16_e32 v2, v2
	v_cvt_f32_f16_sdwa v28, v3 dst_sel:DWORD dst_unused:UNUSED_PAD src0_sel:WORD_1
	v_cmp_nge_f32_e64 s[8:9], s13, v26
	v_cvt_f32_f16_e32 v3, v3
	v_cvt_f32_f16_sdwa v29, v4 dst_sel:DWORD dst_unused:UNUSED_PAD src0_sel:WORD_1
	v_cvt_f32_f16_e32 v4, v4
	s_waitcnt vmcnt(3)
	v_cndmask_b32_e64 v11, v6, v11, s[8:9]
	v_cmp_nge_f32_e64 s[8:9], s13, v1
	v_cndmask_b32_e64 v1, v6, v10, s[8:9]
	v_cmp_nge_f32_e64 s[8:9], s13, v27
	;; [unrolled: 2-line block ×4, first 2 shown]
	s_waitcnt vmcnt(2)
	v_cndmask_b32_e64 v12, v6, v15, s[8:9]
	v_cmp_nge_f32_e64 s[8:9], s13, v3
	v_cvt_f16_f32_e32 v1, v1
	v_cvt_f16_f32_e32 v2, v2
	;; [unrolled: 1-line block ×4, first 2 shown]
	v_cndmask_b32_e64 v3, v6, v14, s[8:9]
	v_cmp_nge_f32_e64 s[8:9], s13, v29
	v_cndmask_b32_e64 v13, v6, v17, s[8:9]
	v_cmp_nge_f32_e64 s[8:9], s13, v4
	v_cndmask_b32_e64 v4, v6, v16, s[8:9]
	v_cvt_f16_f32_e32 v4, v4
	v_cvt_f16_f32_e32 v14, v13
	;; [unrolled: 1-line block ×4, first 2 shown]
	v_pack_b32_f16 v2, v2, v10
	v_pack_b32_f16 v1, v1, v11
	global_load_dwordx4 v[10:13], v9, s[22:23]
	v_pack_b32_f16 v4, v4, v14
	v_pack_b32_f16 v3, v3, v15
	global_load_dwordx4 v[14:17], v[38:39], off
	global_load_dwordx4 v[26:29], v[38:39], off offset:16
	global_load_dwordx4 v[30:33], v[7:8], off
	global_load_dwordx4 v[34:37], v[40:41], off
                                        ; kill: killed $vgpr38 killed $vgpr39
                                        ; kill: killed $vgpr7 killed $vgpr8
	s_nop 0
	global_load_dwordx4 v[38:41], v[40:41], off offset:16
	s_nop 0
	global_load_dwordx4 v[42:45], v9, s[22:23] offset:16
	s_waitcnt vmcnt(8)
	v_cvt_f32_f16_sdwa v7, v20 dst_sel:DWORD dst_unused:UNUSED_PAD src0_sel:WORD_1
	global_store_dwordx4 v[46:47], v[1:4], off
	v_cvt_f32_f16_e32 v8, v20
	v_cvt_f32_f16_sdwa v2, v18 dst_sel:DWORD dst_unused:UNUSED_PAD src0_sel:WORD_1
	v_cvt_f32_f16_e32 v3, v18
	v_cvt_f32_f16_e32 v1, v19
	v_cvt_f32_f16_e32 v9, v21
	v_cmp_nge_f32_e64 s[8:9], s13, v2
	v_cmp_nge_f32_e32 vcc, s13, v1
	v_cvt_f32_f16_sdwa v1, v19 dst_sel:DWORD dst_unused:UNUSED_PAD src0_sel:WORD_1
	s_waitcnt vmcnt(7)
	v_cndmask_b32_e64 v2, v6, v11, s[8:9]
	v_cmp_nge_f32_e64 s[8:9], s13, v3
	v_cndmask_b32_e64 v3, v6, v10, s[8:9]
	v_cvt_f32_f16_sdwa v10, v21 dst_sel:DWORD dst_unused:UNUSED_PAD src0_sel:WORD_1
	v_cndmask_b32_e32 v4, v6, v12, vcc
	v_cmp_nge_f32_e32 vcc, s13, v7
	s_waitcnt vmcnt(1)
	v_cndmask_b32_e32 v7, v6, v43, vcc
	v_cmp_nge_f32_e32 vcc, s13, v8
	v_cndmask_b32_e32 v8, v6, v42, vcc
	v_cmp_nge_f32_e32 vcc, s13, v10
	v_cmp_nge_f32_e64 s[8:9], s13, v1
	v_cndmask_b32_e32 v10, v6, v45, vcc
	v_cmp_nge_f32_e32 vcc, s13, v9
	v_cndmask_b32_e64 v1, v6, v13, s[8:9]
	v_cndmask_b32_e32 v9, v6, v44, vcc
	v_cvt_f16_f32_e32 v8, v8
	v_cvt_f16_f32_e32 v9, v9
	;; [unrolled: 1-line block ×8, first 2 shown]
	v_pack_b32_f16 v4, v9, v10
	v_pack_b32_f16 v3, v8, v7
	;; [unrolled: 1-line block ×4, first 2 shown]
	global_store_dwordx4 v5, v[1:4], s[20:21]
	v_cvt_f32_f16_sdwa v5, v24 dst_sel:DWORD dst_unused:UNUSED_PAD src0_sel:WORD_1
	v_cvt_f32_f16_sdwa v1, v22 dst_sel:DWORD dst_unused:UNUSED_PAD src0_sel:WORD_1
	v_cvt_f32_f16_e32 v2, v22
	v_cvt_f32_f16_sdwa v4, v23 dst_sel:DWORD dst_unused:UNUSED_PAD src0_sel:WORD_1
	v_cvt_f32_f16_e32 v3, v23
	v_cmp_nge_f32_e32 vcc, s13, v1
	v_cndmask_b32_e32 v1, v6, v15, vcc
	v_cmp_nge_f32_e32 vcc, s13, v2
	v_cvt_f32_f16_e32 v7, v24
	v_cndmask_b32_e32 v2, v6, v14, vcc
	v_cmp_nge_f32_e32 vcc, s13, v4
	v_cvt_f32_f16_sdwa v9, v25 dst_sel:DWORD dst_unused:UNUSED_PAD src0_sel:WORD_1
	v_cndmask_b32_e32 v4, v6, v17, vcc
	v_cmp_nge_f32_e32 vcc, s13, v3
	v_cvt_f32_f16_e32 v8, v25
	v_cndmask_b32_e32 v3, v6, v16, vcc
	v_cmp_nge_f32_e32 vcc, s13, v5
	v_cvt_f32_f16_sdwa v10, v30 dst_sel:DWORD dst_unused:UNUSED_PAD src0_sel:WORD_1
	;; [unrolled: 6-line block ×5, first 2 shown]
	v_cvt_f16_f32_e32 v18, v2
	v_cvt_f16_f32_e32 v2, v3
	v_cvt_f16_f32_e32 v3, v4
	v_cndmask_b32_e32 v13, v6, v37, vcc
	v_cmp_nge_f32_e32 vcc, s13, v12
	v_cvt_f32_f16_e32 v16, v33
	v_cndmask_b32_e32 v12, v6, v36, vcc
	v_cmp_nge_f32_e32 vcc, s13, v14
	v_cndmask_b32_e32 v14, v6, v39, vcc
	v_cmp_nge_f32_e32 vcc, s13, v15
	;; [unrolled: 2-line block ×3, first 2 shown]
	v_pack_b32_f16 v2, v2, v3
	v_cvt_f16_f32_e32 v3, v7
	v_cvt_f16_f32_e32 v5, v5
	;; [unrolled: 1-line block ×3, first 2 shown]
	v_cndmask_b32_e32 v4, v6, v41, vcc
	v_cmp_nge_f32_e32 vcc, s13, v16
	v_cvt_f16_f32_e32 v7, v8
	v_cvt_f16_f32_e32 v8, v9
	v_cndmask_b32_e32 v6, v6, v40, vcc
	v_cvt_f16_f32_e32 v9, v11
	v_cvt_f16_f32_e32 v10, v10
	;; [unrolled: 1-line block ×8, first 2 shown]
	v_pack_b32_f16 v3, v3, v5
	v_add_co_u32_e32 v5, vcc, s12, v48
	v_pack_b32_f16 v1, v18, v1
	v_pack_b32_f16 v4, v7, v8
	v_addc_co_u32_e32 v6, vcc, 0, v49, vcc
	global_store_dwordx4 v[5:6], v[1:4], off
	v_add_co_u32_e32 v5, vcc, 0x6000, v48
	v_pack_b32_f16 v2, v11, v12
	v_pack_b32_f16 v1, v9, v10
	;; [unrolled: 1-line block ×4, first 2 shown]
	v_addc_co_u32_e32 v6, vcc, 0, v49, vcc
	global_store_dwordx4 v[5:6], v[1:4], off
	s_cbranch_execnz .LBB182_2
.LBB182_4:
	s_load_dword s15, s[4:5], 0x2c
	s_load_dwordx4 s[20:23], s[4:5], 0x30
	s_mov_b32 s12, s6
	v_mov_b32_e32 v31, v0
	v_mov_b32_e32 v0, s13
	s_waitcnt lgkmcnt(0)
	s_bfe_u32 s24, s15, 0x80008
	s_add_u32 s8, s4, 64
	s_addc_u32 s9, s5, 0
	s_getpc_b64 s[4:5]
	s_add_u32 s4, s4, _ZN2at6native25elementwise_kernel_helperILb1ENS0_13BinaryFunctorIfffZNS0_12_GLOBAL__N_121threshold_kernel_implIfEEvRNS_18TensorIteratorBaseET_S7_EUlffE_EENS0_6memory8policies11unroll_baseILi512ESt5arrayIPcLm3EE23TrivialOffsetCalculatorILi2EjESG_ILi1EjENSA_12LoadWithCastILi2EEENSA_13StoreWithCastILi1EEELi32ELi1EEEEEvT0_T1_@rel32@lo+4
	s_addc_u32 s5, s5, _ZN2at6native25elementwise_kernel_helperILb1ENS0_13BinaryFunctorIfffZNS0_12_GLOBAL__N_121threshold_kernel_implIfEEvRNS_18TensorIteratorBaseET_S7_EUlffE_EENS0_6memory8policies11unroll_baseILi512ESt5arrayIPcLm3EE23TrivialOffsetCalculatorILi2EjESG_ILi1EjENSA_12LoadWithCastILi2EEENSA_13StoreWithCastILi1EEELi32ELi1EEEEEvT0_T1_@rel32@hi+12
	v_mov_b32_e32 v1, s14
	v_mov_b32_e32 v2, s16
	;; [unrolled: 1-line block ×14, first 2 shown]
	s_swappc_b64 s[30:31], s[4:5]
	s_endpgm
	.section	.rodata,"a",@progbits
	.p2align	6, 0x0
	.amdhsa_kernel _ZN2at6native39vectorized_templated_elementwise_kernelILi8ENS0_13BinaryFunctorIfffZNS0_12_GLOBAL__N_121threshold_kernel_implIfEEvRNS_18TensorIteratorBaseET_S7_EUlffE_EESt5arrayIPcLm3EE23TrivialOffsetCalculatorILi2EjESD_ILi1EjENS0_6memory12LoadWithCastILi2EEENSG_13StoreWithCastILi1EEEN3c104HalfEJSM_fEEEviT0_T1_T2_T3_T4_T5_
		.amdhsa_group_segment_fixed_size 0
		.amdhsa_private_segment_fixed_size 272
		.amdhsa_kernarg_size 320
		.amdhsa_user_sgpr_count 6
		.amdhsa_user_sgpr_private_segment_buffer 1
		.amdhsa_user_sgpr_dispatch_ptr 0
		.amdhsa_user_sgpr_queue_ptr 0
		.amdhsa_user_sgpr_kernarg_segment_ptr 1
		.amdhsa_user_sgpr_dispatch_id 0
		.amdhsa_user_sgpr_flat_scratch_init 0
		.amdhsa_user_sgpr_private_segment_size 0
		.amdhsa_uses_dynamic_stack 0
		.amdhsa_system_sgpr_private_segment_wavefront_offset 1
		.amdhsa_system_sgpr_workgroup_id_x 1
		.amdhsa_system_sgpr_workgroup_id_y 0
		.amdhsa_system_sgpr_workgroup_id_z 0
		.amdhsa_system_sgpr_workgroup_info 0
		.amdhsa_system_vgpr_workitem_id 0
		.amdhsa_next_free_vgpr 119
		.amdhsa_next_free_sgpr 98
		.amdhsa_reserve_vcc 1
		.amdhsa_reserve_flat_scratch 0
		.amdhsa_float_round_mode_32 0
		.amdhsa_float_round_mode_16_64 0
		.amdhsa_float_denorm_mode_32 3
		.amdhsa_float_denorm_mode_16_64 3
		.amdhsa_dx10_clamp 1
		.amdhsa_ieee_mode 1
		.amdhsa_fp16_overflow 0
		.amdhsa_exception_fp_ieee_invalid_op 0
		.amdhsa_exception_fp_denorm_src 0
		.amdhsa_exception_fp_ieee_div_zero 0
		.amdhsa_exception_fp_ieee_overflow 0
		.amdhsa_exception_fp_ieee_underflow 0
		.amdhsa_exception_fp_ieee_inexact 0
		.amdhsa_exception_int_div_zero 0
	.end_amdhsa_kernel
	.section	.text._ZN2at6native39vectorized_templated_elementwise_kernelILi8ENS0_13BinaryFunctorIfffZNS0_12_GLOBAL__N_121threshold_kernel_implIfEEvRNS_18TensorIteratorBaseET_S7_EUlffE_EESt5arrayIPcLm3EE23TrivialOffsetCalculatorILi2EjESD_ILi1EjENS0_6memory12LoadWithCastILi2EEENSG_13StoreWithCastILi1EEEN3c104HalfEJSM_fEEEviT0_T1_T2_T3_T4_T5_,"axG",@progbits,_ZN2at6native39vectorized_templated_elementwise_kernelILi8ENS0_13BinaryFunctorIfffZNS0_12_GLOBAL__N_121threshold_kernel_implIfEEvRNS_18TensorIteratorBaseET_S7_EUlffE_EESt5arrayIPcLm3EE23TrivialOffsetCalculatorILi2EjESD_ILi1EjENS0_6memory12LoadWithCastILi2EEENSG_13StoreWithCastILi1EEEN3c104HalfEJSM_fEEEviT0_T1_T2_T3_T4_T5_,comdat
.Lfunc_end182:
	.size	_ZN2at6native39vectorized_templated_elementwise_kernelILi8ENS0_13BinaryFunctorIfffZNS0_12_GLOBAL__N_121threshold_kernel_implIfEEvRNS_18TensorIteratorBaseET_S7_EUlffE_EESt5arrayIPcLm3EE23TrivialOffsetCalculatorILi2EjESD_ILi1EjENS0_6memory12LoadWithCastILi2EEENSG_13StoreWithCastILi1EEEN3c104HalfEJSM_fEEEviT0_T1_T2_T3_T4_T5_, .Lfunc_end182-_ZN2at6native39vectorized_templated_elementwise_kernelILi8ENS0_13BinaryFunctorIfffZNS0_12_GLOBAL__N_121threshold_kernel_implIfEEvRNS_18TensorIteratorBaseET_S7_EUlffE_EESt5arrayIPcLm3EE23TrivialOffsetCalculatorILi2EjESD_ILi1EjENS0_6memory12LoadWithCastILi2EEENSG_13StoreWithCastILi1EEEN3c104HalfEJSM_fEEEviT0_T1_T2_T3_T4_T5_
                                        ; -- End function
	.set _ZN2at6native39vectorized_templated_elementwise_kernelILi8ENS0_13BinaryFunctorIfffZNS0_12_GLOBAL__N_121threshold_kernel_implIfEEvRNS_18TensorIteratorBaseET_S7_EUlffE_EESt5arrayIPcLm3EE23TrivialOffsetCalculatorILi2EjESD_ILi1EjENS0_6memory12LoadWithCastILi2EEENSG_13StoreWithCastILi1EEEN3c104HalfEJSM_fEEEviT0_T1_T2_T3_T4_T5_.num_vgpr, max(50, .L_ZN2at6native25elementwise_kernel_helperILb1ENS0_13BinaryFunctorIfffZNS0_12_GLOBAL__N_121threshold_kernel_implIfEEvRNS_18TensorIteratorBaseET_S7_EUlffE_EENS0_6memory8policies11unroll_baseILi512ESt5arrayIPcLm3EE23TrivialOffsetCalculatorILi2EjESG_ILi1EjENSA_12LoadWithCastILi2EEENSA_13StoreWithCastILi1EEELi32ELi1EEEEEvT0_T1_.num_vgpr)
	.set _ZN2at6native39vectorized_templated_elementwise_kernelILi8ENS0_13BinaryFunctorIfffZNS0_12_GLOBAL__N_121threshold_kernel_implIfEEvRNS_18TensorIteratorBaseET_S7_EUlffE_EESt5arrayIPcLm3EE23TrivialOffsetCalculatorILi2EjESD_ILi1EjENS0_6memory12LoadWithCastILi2EEENSG_13StoreWithCastILi1EEEN3c104HalfEJSM_fEEEviT0_T1_T2_T3_T4_T5_.num_agpr, max(0, .L_ZN2at6native25elementwise_kernel_helperILb1ENS0_13BinaryFunctorIfffZNS0_12_GLOBAL__N_121threshold_kernel_implIfEEvRNS_18TensorIteratorBaseET_S7_EUlffE_EENS0_6memory8policies11unroll_baseILi512ESt5arrayIPcLm3EE23TrivialOffsetCalculatorILi2EjESG_ILi1EjENSA_12LoadWithCastILi2EEENSA_13StoreWithCastILi1EEELi32ELi1EEEEEvT0_T1_.num_agpr)
	.set _ZN2at6native39vectorized_templated_elementwise_kernelILi8ENS0_13BinaryFunctorIfffZNS0_12_GLOBAL__N_121threshold_kernel_implIfEEvRNS_18TensorIteratorBaseET_S7_EUlffE_EESt5arrayIPcLm3EE23TrivialOffsetCalculatorILi2EjESD_ILi1EjENS0_6memory12LoadWithCastILi2EEENSG_13StoreWithCastILi1EEEN3c104HalfEJSM_fEEEviT0_T1_T2_T3_T4_T5_.numbered_sgpr, max(33, .L_ZN2at6native25elementwise_kernel_helperILb1ENS0_13BinaryFunctorIfffZNS0_12_GLOBAL__N_121threshold_kernel_implIfEEvRNS_18TensorIteratorBaseET_S7_EUlffE_EENS0_6memory8policies11unroll_baseILi512ESt5arrayIPcLm3EE23TrivialOffsetCalculatorILi2EjESG_ILi1EjENSA_12LoadWithCastILi2EEENSA_13StoreWithCastILi1EEELi32ELi1EEEEEvT0_T1_.numbered_sgpr)
	.set _ZN2at6native39vectorized_templated_elementwise_kernelILi8ENS0_13BinaryFunctorIfffZNS0_12_GLOBAL__N_121threshold_kernel_implIfEEvRNS_18TensorIteratorBaseET_S7_EUlffE_EESt5arrayIPcLm3EE23TrivialOffsetCalculatorILi2EjESD_ILi1EjENS0_6memory12LoadWithCastILi2EEENSG_13StoreWithCastILi1EEEN3c104HalfEJSM_fEEEviT0_T1_T2_T3_T4_T5_.num_named_barrier, max(0, .L_ZN2at6native25elementwise_kernel_helperILb1ENS0_13BinaryFunctorIfffZNS0_12_GLOBAL__N_121threshold_kernel_implIfEEvRNS_18TensorIteratorBaseET_S7_EUlffE_EENS0_6memory8policies11unroll_baseILi512ESt5arrayIPcLm3EE23TrivialOffsetCalculatorILi2EjESG_ILi1EjENSA_12LoadWithCastILi2EEENSA_13StoreWithCastILi1EEELi32ELi1EEEEEvT0_T1_.num_named_barrier)
	.set _ZN2at6native39vectorized_templated_elementwise_kernelILi8ENS0_13BinaryFunctorIfffZNS0_12_GLOBAL__N_121threshold_kernel_implIfEEvRNS_18TensorIteratorBaseET_S7_EUlffE_EESt5arrayIPcLm3EE23TrivialOffsetCalculatorILi2EjESD_ILi1EjENS0_6memory12LoadWithCastILi2EEENSG_13StoreWithCastILi1EEEN3c104HalfEJSM_fEEEviT0_T1_T2_T3_T4_T5_.private_seg_size, 0+max(.L_ZN2at6native25elementwise_kernel_helperILb1ENS0_13BinaryFunctorIfffZNS0_12_GLOBAL__N_121threshold_kernel_implIfEEvRNS_18TensorIteratorBaseET_S7_EUlffE_EENS0_6memory8policies11unroll_baseILi512ESt5arrayIPcLm3EE23TrivialOffsetCalculatorILi2EjESG_ILi1EjENSA_12LoadWithCastILi2EEENSA_13StoreWithCastILi1EEELi32ELi1EEEEEvT0_T1_.private_seg_size)
	.set _ZN2at6native39vectorized_templated_elementwise_kernelILi8ENS0_13BinaryFunctorIfffZNS0_12_GLOBAL__N_121threshold_kernel_implIfEEvRNS_18TensorIteratorBaseET_S7_EUlffE_EESt5arrayIPcLm3EE23TrivialOffsetCalculatorILi2EjESD_ILi1EjENS0_6memory12LoadWithCastILi2EEENSG_13StoreWithCastILi1EEEN3c104HalfEJSM_fEEEviT0_T1_T2_T3_T4_T5_.uses_vcc, or(1, .L_ZN2at6native25elementwise_kernel_helperILb1ENS0_13BinaryFunctorIfffZNS0_12_GLOBAL__N_121threshold_kernel_implIfEEvRNS_18TensorIteratorBaseET_S7_EUlffE_EENS0_6memory8policies11unroll_baseILi512ESt5arrayIPcLm3EE23TrivialOffsetCalculatorILi2EjESG_ILi1EjENSA_12LoadWithCastILi2EEENSA_13StoreWithCastILi1EEELi32ELi1EEEEEvT0_T1_.uses_vcc)
	.set _ZN2at6native39vectorized_templated_elementwise_kernelILi8ENS0_13BinaryFunctorIfffZNS0_12_GLOBAL__N_121threshold_kernel_implIfEEvRNS_18TensorIteratorBaseET_S7_EUlffE_EESt5arrayIPcLm3EE23TrivialOffsetCalculatorILi2EjESD_ILi1EjENS0_6memory12LoadWithCastILi2EEENSG_13StoreWithCastILi1EEEN3c104HalfEJSM_fEEEviT0_T1_T2_T3_T4_T5_.uses_flat_scratch, or(0, .L_ZN2at6native25elementwise_kernel_helperILb1ENS0_13BinaryFunctorIfffZNS0_12_GLOBAL__N_121threshold_kernel_implIfEEvRNS_18TensorIteratorBaseET_S7_EUlffE_EENS0_6memory8policies11unroll_baseILi512ESt5arrayIPcLm3EE23TrivialOffsetCalculatorILi2EjESG_ILi1EjENSA_12LoadWithCastILi2EEENSA_13StoreWithCastILi1EEELi32ELi1EEEEEvT0_T1_.uses_flat_scratch)
	.set _ZN2at6native39vectorized_templated_elementwise_kernelILi8ENS0_13BinaryFunctorIfffZNS0_12_GLOBAL__N_121threshold_kernel_implIfEEvRNS_18TensorIteratorBaseET_S7_EUlffE_EESt5arrayIPcLm3EE23TrivialOffsetCalculatorILi2EjESD_ILi1EjENS0_6memory12LoadWithCastILi2EEENSG_13StoreWithCastILi1EEEN3c104HalfEJSM_fEEEviT0_T1_T2_T3_T4_T5_.has_dyn_sized_stack, or(0, .L_ZN2at6native25elementwise_kernel_helperILb1ENS0_13BinaryFunctorIfffZNS0_12_GLOBAL__N_121threshold_kernel_implIfEEvRNS_18TensorIteratorBaseET_S7_EUlffE_EENS0_6memory8policies11unroll_baseILi512ESt5arrayIPcLm3EE23TrivialOffsetCalculatorILi2EjESG_ILi1EjENSA_12LoadWithCastILi2EEENSA_13StoreWithCastILi1EEELi32ELi1EEEEEvT0_T1_.has_dyn_sized_stack)
	.set _ZN2at6native39vectorized_templated_elementwise_kernelILi8ENS0_13BinaryFunctorIfffZNS0_12_GLOBAL__N_121threshold_kernel_implIfEEvRNS_18TensorIteratorBaseET_S7_EUlffE_EESt5arrayIPcLm3EE23TrivialOffsetCalculatorILi2EjESD_ILi1EjENS0_6memory12LoadWithCastILi2EEENSG_13StoreWithCastILi1EEEN3c104HalfEJSM_fEEEviT0_T1_T2_T3_T4_T5_.has_recursion, or(0, .L_ZN2at6native25elementwise_kernel_helperILb1ENS0_13BinaryFunctorIfffZNS0_12_GLOBAL__N_121threshold_kernel_implIfEEvRNS_18TensorIteratorBaseET_S7_EUlffE_EENS0_6memory8policies11unroll_baseILi512ESt5arrayIPcLm3EE23TrivialOffsetCalculatorILi2EjESG_ILi1EjENSA_12LoadWithCastILi2EEENSA_13StoreWithCastILi1EEELi32ELi1EEEEEvT0_T1_.has_recursion)
	.set _ZN2at6native39vectorized_templated_elementwise_kernelILi8ENS0_13BinaryFunctorIfffZNS0_12_GLOBAL__N_121threshold_kernel_implIfEEvRNS_18TensorIteratorBaseET_S7_EUlffE_EESt5arrayIPcLm3EE23TrivialOffsetCalculatorILi2EjESD_ILi1EjENS0_6memory12LoadWithCastILi2EEENSG_13StoreWithCastILi1EEEN3c104HalfEJSM_fEEEviT0_T1_T2_T3_T4_T5_.has_indirect_call, or(0, .L_ZN2at6native25elementwise_kernel_helperILb1ENS0_13BinaryFunctorIfffZNS0_12_GLOBAL__N_121threshold_kernel_implIfEEvRNS_18TensorIteratorBaseET_S7_EUlffE_EENS0_6memory8policies11unroll_baseILi512ESt5arrayIPcLm3EE23TrivialOffsetCalculatorILi2EjESG_ILi1EjENSA_12LoadWithCastILi2EEENSA_13StoreWithCastILi1EEELi32ELi1EEEEEvT0_T1_.has_indirect_call)
	.section	.AMDGPU.csdata,"",@progbits
; Kernel info:
; codeLenInByte = 1356
; TotalNumSgprs: 102
; NumVgprs: 119
; ScratchSize: 272
; MemoryBound: 0
; FloatMode: 240
; IeeeMode: 1
; LDSByteSize: 0 bytes/workgroup (compile time only)
; SGPRBlocks: 12
; VGPRBlocks: 29
; NumSGPRsForWavesPerEU: 102
; NumVGPRsForWavesPerEU: 119
; Occupancy: 2
; WaveLimiterHint : 0
; COMPUTE_PGM_RSRC2:SCRATCH_EN: 1
; COMPUTE_PGM_RSRC2:USER_SGPR: 6
; COMPUTE_PGM_RSRC2:TRAP_HANDLER: 0
; COMPUTE_PGM_RSRC2:TGID_X_EN: 1
; COMPUTE_PGM_RSRC2:TGID_Y_EN: 0
; COMPUTE_PGM_RSRC2:TGID_Z_EN: 0
; COMPUTE_PGM_RSRC2:TIDIG_COMP_CNT: 0
	.section	.text._ZN2at6native39vectorized_templated_elementwise_kernelILi4ENS0_13BinaryFunctorIfffZNS0_12_GLOBAL__N_121threshold_kernel_implIfEEvRNS_18TensorIteratorBaseET_S7_EUlffE_EESt5arrayIPcLm3EE23TrivialOffsetCalculatorILi2EjESD_ILi1EjENS0_6memory12LoadWithCastILi2EEENSG_13StoreWithCastILi1EEEN3c104HalfEJSM_fEEEviT0_T1_T2_T3_T4_T5_,"axG",@progbits,_ZN2at6native39vectorized_templated_elementwise_kernelILi4ENS0_13BinaryFunctorIfffZNS0_12_GLOBAL__N_121threshold_kernel_implIfEEvRNS_18TensorIteratorBaseET_S7_EUlffE_EESt5arrayIPcLm3EE23TrivialOffsetCalculatorILi2EjESD_ILi1EjENS0_6memory12LoadWithCastILi2EEENSG_13StoreWithCastILi1EEEN3c104HalfEJSM_fEEEviT0_T1_T2_T3_T4_T5_,comdat
	.globl	_ZN2at6native39vectorized_templated_elementwise_kernelILi4ENS0_13BinaryFunctorIfffZNS0_12_GLOBAL__N_121threshold_kernel_implIfEEvRNS_18TensorIteratorBaseET_S7_EUlffE_EESt5arrayIPcLm3EE23TrivialOffsetCalculatorILi2EjESD_ILi1EjENS0_6memory12LoadWithCastILi2EEENSG_13StoreWithCastILi1EEEN3c104HalfEJSM_fEEEviT0_T1_T2_T3_T4_T5_ ; -- Begin function _ZN2at6native39vectorized_templated_elementwise_kernelILi4ENS0_13BinaryFunctorIfffZNS0_12_GLOBAL__N_121threshold_kernel_implIfEEvRNS_18TensorIteratorBaseET_S7_EUlffE_EESt5arrayIPcLm3EE23TrivialOffsetCalculatorILi2EjESD_ILi1EjENS0_6memory12LoadWithCastILi2EEENSG_13StoreWithCastILi1EEEN3c104HalfEJSM_fEEEviT0_T1_T2_T3_T4_T5_
	.p2align	8
	.type	_ZN2at6native39vectorized_templated_elementwise_kernelILi4ENS0_13BinaryFunctorIfffZNS0_12_GLOBAL__N_121threshold_kernel_implIfEEvRNS_18TensorIteratorBaseET_S7_EUlffE_EESt5arrayIPcLm3EE23TrivialOffsetCalculatorILi2EjESD_ILi1EjENS0_6memory12LoadWithCastILi2EEENSG_13StoreWithCastILi1EEEN3c104HalfEJSM_fEEEviT0_T1_T2_T3_T4_T5_,@function
_ZN2at6native39vectorized_templated_elementwise_kernelILi4ENS0_13BinaryFunctorIfffZNS0_12_GLOBAL__N_121threshold_kernel_implIfEEvRNS_18TensorIteratorBaseET_S7_EUlffE_EESt5arrayIPcLm3EE23TrivialOffsetCalculatorILi2EjESD_ILi1EjENS0_6memory12LoadWithCastILi2EEENSG_13StoreWithCastILi1EEEN3c104HalfEJSM_fEEEviT0_T1_T2_T3_T4_T5_: ; @_ZN2at6native39vectorized_templated_elementwise_kernelILi4ENS0_13BinaryFunctorIfffZNS0_12_GLOBAL__N_121threshold_kernel_implIfEEvRNS_18TensorIteratorBaseET_S7_EUlffE_EESt5arrayIPcLm3EE23TrivialOffsetCalculatorILi2EjESD_ILi1EjENS0_6memory12LoadWithCastILi2EEENSG_13StoreWithCastILi1EEEN3c104HalfEJSM_fEEEviT0_T1_T2_T3_T4_T5_
; %bb.0:
	s_add_u32 s0, s0, s7
	s_load_dword s7, s[4:5], 0x40
	s_load_dwordx8 s[24:31], s[4:5], 0x0
	s_load_dwordx2 s[22:23], s[4:5], 0x20
	s_addc_u32 s1, s1, 0
	s_not_b32 s8, s6
	s_waitcnt lgkmcnt(0)
	s_add_i32 s7, s7, s8
	s_lshl_b32 s8, s7, 14
	s_sub_i32 s7, s24, s8
	s_cmpk_gt_i32 s7, 0x3fff
	s_mov_b64 s[10:11], -1
	s_mov_b32 s32, 0
	s_cbranch_scc1 .LBB183_3
; %bb.1:
	s_andn2_b64 vcc, exec, s[10:11]
	s_cbranch_vccz .LBB183_4
.LBB183_2:
	s_endpgm
.LBB183_3:
	s_ashr_i32 s9, s8, 31
	s_lshl_b64 s[34:35], s[8:9], 1
	s_add_u32 s10, s30, s34
	s_addc_u32 s11, s31, s35
	v_lshlrev_b32_e32 v1, 3, v0
	v_mov_b32_e32 v3, s11
	v_add_co_u32_e32 v2, vcc, s10, v1
	s_movk_i32 s24, 0x2000
	v_addc_co_u32_e32 v3, vcc, 0, v3, vcc
	v_add_co_u32_e32 v4, vcc, s24, v2
	global_load_dwordx2 v[11:12], v1, s[10:11]
	v_addc_co_u32_e32 v5, vcc, 0, v3, vcc
	s_movk_i32 s27, 0x4000
	global_load_dwordx2 v[13:14], v[4:5], off offset:-4096
	global_load_dwordx2 v[15:16], v[4:5], off
	v_add_co_u32_e32 v27, vcc, s27, v2
	s_lshl_b64 s[8:9], s[8:9], 2
	v_addc_co_u32_e32 v28, vcc, 0, v3, vcc
	global_load_dwordx2 v[29:30], v[27:28], off offset:-4096
	s_add_u32 s10, s22, s8
	v_lshlrev_b32_e32 v6, 4, v0
	s_addc_u32 s11, s23, s9
	global_load_dwordx4 v[7:10], v6, s[10:11]
	v_add_co_u32_e64 v5, s[8:9], s10, v6
	v_mov_b32_e32 v6, s11
	v_addc_co_u32_e64 v18, s[8:9], 0, v6, s[8:9]
	v_add_co_u32_e64 v19, s[10:11], s24, v5
	v_add_co_u32_e32 v21, vcc, s27, v5
	v_addc_co_u32_e64 v20, s[8:9], 0, v18, s[10:11]
	v_mov_b32_e32 v4, s26
	v_addc_co_u32_e32 v22, vcc, 0, v18, vcc
	s_movk_i32 s33, 0x6000
	s_waitcnt vmcnt(4)
	v_cvt_f32_f16_e32 v6, v12
	v_cvt_f32_f16_sdwa v17, v11 dst_sel:DWORD dst_unused:UNUSED_PAD src0_sel:WORD_1
	v_cvt_f32_f16_sdwa v12, v12 dst_sel:DWORD dst_unused:UNUSED_PAD src0_sel:WORD_1
	v_cvt_f32_f16_e32 v11, v11
	s_waitcnt vmcnt(3)
	v_cvt_f32_f16_e32 v23, v13
	v_cvt_f32_f16_e32 v24, v14
	v_cmp_nge_f32_e64 s[8:9], s25, v6
	v_cmp_nge_f32_e64 s[10:11], s25, v17
	;; [unrolled: 1-line block ×3, first 2 shown]
	v_cvt_f32_f16_sdwa v31, v13 dst_sel:DWORD dst_unused:UNUSED_PAD src0_sel:WORD_1
	v_cmp_nge_f32_e64 s[12:13], s25, v11
	v_cmp_nge_f32_e32 vcc, s25, v23
	s_waitcnt vmcnt(2)
	v_cvt_f32_f16_sdwa v33, v15 dst_sel:DWORD dst_unused:UNUSED_PAD src0_sel:WORD_1
	v_cvt_f32_f16_e32 v15, v15
	v_cvt_f32_f16_sdwa v17, v16 dst_sel:DWORD dst_unused:UNUSED_PAD src0_sel:WORD_1
	s_waitcnt vmcnt(0)
	v_cndmask_b32_e64 v6, v4, v8, s[10:11]
	v_cndmask_b32_e64 v8, v4, v10, s[14:15]
	v_cndmask_b32_e64 v9, v4, v9, s[8:9]
	global_load_dwordx4 v[10:13], v[19:20], off
	v_cmp_nge_f32_e64 s[8:9], s25, v24
	global_load_dwordx4 v[23:26], v[21:22], off
	v_cvt_f32_f16_e32 v16, v16
	v_cvt_f32_f16_sdwa v14, v14 dst_sel:DWORD dst_unused:UNUSED_PAD src0_sel:WORD_1
	v_cndmask_b32_e64 v7, v4, v7, s[12:13]
	v_cmp_nge_f32_e64 s[12:13], s25, v31
	v_add_co_u32_e64 v31, s[14:15], s33, v5
	v_addc_co_u32_e64 v32, s[14:15], 0, v18, s[14:15]
	v_cmp_nge_f32_e64 s[14:15], s25, v15
	v_cmp_nge_f32_e64 s[16:17], s25, v16
	;; [unrolled: 1-line block ×5, first 2 shown]
	v_cvt_f32_f16_e32 v34, v29
	s_waitcnt vmcnt(1)
	v_cndmask_b32_e64 v19, v4, v11, s[12:13]
	v_cndmask_b32_e32 v21, v4, v10, vcc
	v_cndmask_b32_e64 v22, v4, v12, s[8:9]
	s_waitcnt vmcnt(0)
	v_cndmask_b32_e64 v14, v4, v24, s[20:21]
	v_cndmask_b32_e64 v16, v4, v23, s[14:15]
	;; [unrolled: 1-line block ×4, first 2 shown]
	v_cvt_f32_f16_e32 v10, v30
	v_cvt_f32_f16_sdwa v11, v30 dst_sel:DWORD dst_unused:UNUSED_PAD src0_sel:WORD_1
	v_cvt_f32_f16_sdwa v12, v29 dst_sel:DWORD dst_unused:UNUSED_PAD src0_sel:WORD_1
	global_load_dwordx4 v[23:26], v[31:32], off
	global_load_dwordx2 v[29:30], v[27:28], off
	v_cndmask_b32_e64 v20, v4, v13, s[10:11]
	v_cmp_nge_f32_e64 s[8:9], s25, v10
	v_cmp_nge_f32_e64 s[10:11], s25, v11
	v_cmp_nge_f32_e32 vcc, s25, v34
	v_cmp_nge_f32_e64 s[12:13], s25, v12
	s_mov_b32 s14, 0xa000
	v_cvt_f16_f32_e32 v15, v15
	v_cvt_f16_f32_e32 v14, v14
	s_waitcnt vmcnt(1)
	v_cndmask_b32_e64 v11, v4, v26, s[10:11]
	v_cndmask_b32_e64 v13, v4, v25, s[8:9]
	s_waitcnt vmcnt(0)
	v_cvt_f32_f16_e32 v25, v29
	v_cvt_f32_f16_e32 v26, v30
	s_mov_b32 s8, 0x8000
	v_cndmask_b32_e32 v12, v4, v23, vcc
	v_add_co_u32_e32 v23, vcc, s8, v5
	v_cndmask_b32_e64 v10, v4, v24, s[12:13]
	v_addc_co_u32_e32 v24, vcc, 0, v18, vcc
	v_cmp_nge_f32_e32 vcc, s25, v25
	v_cmp_nge_f32_e64 s[8:9], s25, v26
	global_load_dwordx4 v[24:27], v[23:24], off
	v_cvt_f32_f16_sdwa v28, v29 dst_sel:DWORD dst_unused:UNUSED_PAD src0_sel:WORD_1
	v_cvt_f32_f16_sdwa v29, v30 dst_sel:DWORD dst_unused:UNUSED_PAD src0_sel:WORD_1
	v_cmp_nge_f32_e64 s[12:13], s25, v28
	v_cmp_nge_f32_e64 s[10:11], s25, v29
	s_waitcnt vmcnt(0)
	v_cndmask_b32_e64 v23, v4, v25, s[12:13]
	v_cndmask_b32_e32 v25, v4, v24, vcc
	v_add_co_u32_e32 v31, vcc, s33, v2
	v_addc_co_u32_e32 v32, vcc, 0, v3, vcc
	v_cndmask_b32_e64 v24, v4, v27, s[10:11]
	global_load_dwordx2 v[27:28], v[31:32], off offset:-4096
	v_cndmask_b32_e64 v26, v4, v26, s[8:9]
	s_waitcnt vmcnt(0)
	v_cvt_f32_f16_e32 v29, v27
	v_cvt_f32_f16_sdwa v27, v27 dst_sel:DWORD dst_unused:UNUSED_PAD src0_sel:WORD_1
	v_cvt_f32_f16_e32 v30, v28
	v_cvt_f32_f16_sdwa v28, v28 dst_sel:DWORD dst_unused:UNUSED_PAD src0_sel:WORD_1
	v_cmp_nge_f32_e32 vcc, s25, v29
	v_cmp_nge_f32_e64 s[12:13], s25, v27
	v_add_co_u32_e64 v27, s[14:15], s14, v5
	v_cmp_nge_f32_e64 s[10:11], s25, v28
	v_addc_co_u32_e64 v28, s[14:15], 0, v18, s[14:15]
	v_cmp_nge_f32_e64 s[8:9], s25, v30
	global_load_dwordx4 v[27:30], v[27:28], off
	s_mov_b32 s14, 0xc000
	s_waitcnt vmcnt(0)
	v_cndmask_b32_e64 v33, v4, v28, s[12:13]
	v_cndmask_b32_e32 v34, v4, v27, vcc
	global_load_dwordx2 v[27:28], v[31:32], off
	v_cndmask_b32_e64 v36, v4, v29, s[8:9]
	v_cndmask_b32_e64 v35, v4, v30, s[10:11]
	s_waitcnt vmcnt(0)
	v_cvt_f32_f16_e32 v29, v27
	v_cvt_f32_f16_sdwa v27, v27 dst_sel:DWORD dst_unused:UNUSED_PAD src0_sel:WORD_1
	v_cvt_f32_f16_e32 v30, v28
	v_cvt_f32_f16_sdwa v28, v28 dst_sel:DWORD dst_unused:UNUSED_PAD src0_sel:WORD_1
	v_cmp_nge_f32_e32 vcc, s25, v29
	v_cmp_nge_f32_e64 s[12:13], s25, v27
	v_add_co_u32_e64 v27, s[14:15], s14, v5
	v_cmp_nge_f32_e64 s[10:11], s25, v28
	v_addc_co_u32_e64 v28, s[14:15], 0, v18, s[14:15]
	v_cmp_nge_f32_e64 s[8:9], s25, v30
	global_load_dwordx4 v[27:30], v[27:28], off
	s_waitcnt vmcnt(0)
	v_cndmask_b32_e64 v38, v4, v29, s[8:9]
	s_movk_i32 s8, 0x7000
	v_cndmask_b32_e32 v32, v4, v27, vcc
	v_add_co_u32_e32 v2, vcc, s8, v2
	v_addc_co_u32_e32 v3, vcc, 0, v3, vcc
	global_load_dwordx2 v[2:3], v[2:3], off
	s_mov_b32 s8, 0xe000
	v_add_co_u32_e32 v27, vcc, s8, v5
	v_cndmask_b32_e64 v31, v4, v28, s[12:13]
	v_addc_co_u32_e32 v28, vcc, 0, v18, vcc
	v_cndmask_b32_e64 v37, v4, v30, s[10:11]
	global_load_dwordx4 v[27:30], v[27:28], off
	s_waitcnt vmcnt(1)
	v_cvt_f32_f16_e32 v5, v2
	v_cvt_f32_f16_e32 v18, v3
	v_cvt_f32_f16_sdwa v3, v3 dst_sel:DWORD dst_unused:UNUSED_PAD src0_sel:WORD_1
	v_cvt_f32_f16_sdwa v2, v2 dst_sel:DWORD dst_unused:UNUSED_PAD src0_sel:WORD_1
	v_cmp_nge_f32_e32 vcc, s25, v5
	v_cmp_nge_f32_e64 s[8:9], s25, v18
	v_cmp_nge_f32_e64 s[10:11], s25, v3
	;; [unrolled: 1-line block ×3, first 2 shown]
	s_waitcnt vmcnt(0)
	v_cndmask_b32_e64 v18, v4, v28, s[12:13]
	v_cndmask_b32_e32 v27, v4, v27, vcc
	v_cndmask_b32_e64 v28, v4, v30, s[10:11]
	v_cndmask_b32_e64 v29, v4, v29, s[8:9]
	v_cvt_f16_f32_e32 v3, v22
	v_cvt_f16_f32_e32 v4, v20
	s_add_u32 s8, s28, s34
	v_cvt_f16_f32_e32 v2, v21
	v_cvt_f16_f32_e32 v5, v19
	s_addc_u32 s9, s29, s35
	v_pack_b32_f16 v3, v3, v4
	v_mov_b32_e32 v4, s9
	v_add_co_u32_e32 v19, vcc, s8, v1
	v_addc_co_u32_e32 v20, vcc, 0, v4, vcc
	v_add_co_u32_e32 v4, vcc, s24, v19
	v_pack_b32_f16 v2, v2, v5
	v_addc_co_u32_e32 v5, vcc, 0, v20, vcc
	global_store_dwordx2 v[4:5], v[2:3], off offset:-4096
	v_cvt_f16_f32_e32 v2, v16
	v_cvt_f16_f32_e32 v3, v17
	;; [unrolled: 1-line block ×3, first 2 shown]
	v_pack_b32_f16 v2, v2, v14
	v_pack_b32_f16 v3, v3, v15
	global_store_dwordx2 v[4:5], v[2:3], off
	v_cvt_f16_f32_e32 v2, v9
	v_cvt_f16_f32_e32 v3, v8
	;; [unrolled: 1-line block ×8, first 2 shown]
	v_pack_b32_f16 v3, v2, v3
	v_pack_b32_f16 v2, v4, v5
	global_store_dwordx2 v1, v[2:3], s[8:9]
	v_pack_b32_f16 v2, v7, v8
	v_pack_b32_f16 v1, v6, v9
	v_cvt_f16_f32_e32 v5, v25
	v_cvt_f16_f32_e32 v6, v26
	;; [unrolled: 1-line block ×4, first 2 shown]
	v_add_co_u32_e32 v3, vcc, s27, v19
	v_addc_co_u32_e32 v4, vcc, 0, v20, vcc
	global_store_dwordx2 v[3:4], v[1:2], off offset:-4096
	v_pack_b32_f16 v2, v6, v7
	v_pack_b32_f16 v1, v5, v8
	v_cvt_f16_f32_e32 v5, v34
	v_cvt_f16_f32_e32 v6, v33
	;; [unrolled: 1-line block ×11, first 2 shown]
	global_store_dwordx2 v[3:4], v[1:2], off
	v_add_co_u32_e32 v3, vcc, s33, v19
	v_pack_b32_f16 v2, v7, v8
	v_pack_b32_f16 v1, v5, v6
	v_addc_co_u32_e32 v4, vcc, 0, v20, vcc
	global_store_dwordx2 v[3:4], v[1:2], off offset:-4096
	v_pack_b32_f16 v2, v11, v12
	v_pack_b32_f16 v1, v9, v10
	global_store_dwordx2 v[3:4], v[1:2], off
	v_add_co_u32_e32 v3, vcc, 0x7000, v19
	v_pack_b32_f16 v2, v15, v16
	v_pack_b32_f16 v1, v13, v14
	v_addc_co_u32_e32 v4, vcc, 0, v20, vcc
	global_store_dwordx2 v[3:4], v[1:2], off
	s_cbranch_execnz .LBB183_2
.LBB183_4:
	s_load_dword s10, s[4:5], 0x2c
	s_load_dwordx4 s[16:19], s[4:5], 0x30
	s_mov_b32 s12, s6
	v_mov_b32_e32 v31, v0
	v_mov_b32_e32 v0, s25
	s_waitcnt lgkmcnt(0)
	s_bfe_u32 s11, s10, 0x80008
	s_add_u32 s8, s4, 64
	s_addc_u32 s9, s5, 0
	s_getpc_b64 s[4:5]
	s_add_u32 s4, s4, _ZN2at6native25elementwise_kernel_helperILb1ENS0_13BinaryFunctorIfffZNS0_12_GLOBAL__N_121threshold_kernel_implIfEEvRNS_18TensorIteratorBaseET_S7_EUlffE_EENS0_6memory8policies11unroll_baseILi512ESt5arrayIPcLm3EE23TrivialOffsetCalculatorILi2EjESG_ILi1EjENSA_12LoadWithCastILi2EEENSA_13StoreWithCastILi1EEELi32ELi1EEEEEvT0_T1_@rel32@lo+4
	s_addc_u32 s5, s5, _ZN2at6native25elementwise_kernel_helperILb1ENS0_13BinaryFunctorIfffZNS0_12_GLOBAL__N_121threshold_kernel_implIfEEvRNS_18TensorIteratorBaseET_S7_EUlffE_EENS0_6memory8policies11unroll_baseILi512ESt5arrayIPcLm3EE23TrivialOffsetCalculatorILi2EjESG_ILi1EjENSA_12LoadWithCastILi2EEENSA_13StoreWithCastILi1EEELi32ELi1EEEEEvT0_T1_@rel32@hi+12
	v_mov_b32_e32 v1, s26
	v_mov_b32_e32 v2, s28
	;; [unrolled: 1-line block ×14, first 2 shown]
	s_swappc_b64 s[30:31], s[4:5]
	s_endpgm
	.section	.rodata,"a",@progbits
	.p2align	6, 0x0
	.amdhsa_kernel _ZN2at6native39vectorized_templated_elementwise_kernelILi4ENS0_13BinaryFunctorIfffZNS0_12_GLOBAL__N_121threshold_kernel_implIfEEvRNS_18TensorIteratorBaseET_S7_EUlffE_EESt5arrayIPcLm3EE23TrivialOffsetCalculatorILi2EjESD_ILi1EjENS0_6memory12LoadWithCastILi2EEENSG_13StoreWithCastILi1EEEN3c104HalfEJSM_fEEEviT0_T1_T2_T3_T4_T5_
		.amdhsa_group_segment_fixed_size 0
		.amdhsa_private_segment_fixed_size 272
		.amdhsa_kernarg_size 320
		.amdhsa_user_sgpr_count 6
		.amdhsa_user_sgpr_private_segment_buffer 1
		.amdhsa_user_sgpr_dispatch_ptr 0
		.amdhsa_user_sgpr_queue_ptr 0
		.amdhsa_user_sgpr_kernarg_segment_ptr 1
		.amdhsa_user_sgpr_dispatch_id 0
		.amdhsa_user_sgpr_flat_scratch_init 0
		.amdhsa_user_sgpr_private_segment_size 0
		.amdhsa_uses_dynamic_stack 0
		.amdhsa_system_sgpr_private_segment_wavefront_offset 1
		.amdhsa_system_sgpr_workgroup_id_x 1
		.amdhsa_system_sgpr_workgroup_id_y 0
		.amdhsa_system_sgpr_workgroup_id_z 0
		.amdhsa_system_sgpr_workgroup_info 0
		.amdhsa_system_vgpr_workitem_id 0
		.amdhsa_next_free_vgpr 119
		.amdhsa_next_free_sgpr 98
		.amdhsa_reserve_vcc 1
		.amdhsa_reserve_flat_scratch 0
		.amdhsa_float_round_mode_32 0
		.amdhsa_float_round_mode_16_64 0
		.amdhsa_float_denorm_mode_32 3
		.amdhsa_float_denorm_mode_16_64 3
		.amdhsa_dx10_clamp 1
		.amdhsa_ieee_mode 1
		.amdhsa_fp16_overflow 0
		.amdhsa_exception_fp_ieee_invalid_op 0
		.amdhsa_exception_fp_denorm_src 0
		.amdhsa_exception_fp_ieee_div_zero 0
		.amdhsa_exception_fp_ieee_overflow 0
		.amdhsa_exception_fp_ieee_underflow 0
		.amdhsa_exception_fp_ieee_inexact 0
		.amdhsa_exception_int_div_zero 0
	.end_amdhsa_kernel
	.section	.text._ZN2at6native39vectorized_templated_elementwise_kernelILi4ENS0_13BinaryFunctorIfffZNS0_12_GLOBAL__N_121threshold_kernel_implIfEEvRNS_18TensorIteratorBaseET_S7_EUlffE_EESt5arrayIPcLm3EE23TrivialOffsetCalculatorILi2EjESD_ILi1EjENS0_6memory12LoadWithCastILi2EEENSG_13StoreWithCastILi1EEEN3c104HalfEJSM_fEEEviT0_T1_T2_T3_T4_T5_,"axG",@progbits,_ZN2at6native39vectorized_templated_elementwise_kernelILi4ENS0_13BinaryFunctorIfffZNS0_12_GLOBAL__N_121threshold_kernel_implIfEEvRNS_18TensorIteratorBaseET_S7_EUlffE_EESt5arrayIPcLm3EE23TrivialOffsetCalculatorILi2EjESD_ILi1EjENS0_6memory12LoadWithCastILi2EEENSG_13StoreWithCastILi1EEEN3c104HalfEJSM_fEEEviT0_T1_T2_T3_T4_T5_,comdat
.Lfunc_end183:
	.size	_ZN2at6native39vectorized_templated_elementwise_kernelILi4ENS0_13BinaryFunctorIfffZNS0_12_GLOBAL__N_121threshold_kernel_implIfEEvRNS_18TensorIteratorBaseET_S7_EUlffE_EESt5arrayIPcLm3EE23TrivialOffsetCalculatorILi2EjESD_ILi1EjENS0_6memory12LoadWithCastILi2EEENSG_13StoreWithCastILi1EEEN3c104HalfEJSM_fEEEviT0_T1_T2_T3_T4_T5_, .Lfunc_end183-_ZN2at6native39vectorized_templated_elementwise_kernelILi4ENS0_13BinaryFunctorIfffZNS0_12_GLOBAL__N_121threshold_kernel_implIfEEvRNS_18TensorIteratorBaseET_S7_EUlffE_EESt5arrayIPcLm3EE23TrivialOffsetCalculatorILi2EjESD_ILi1EjENS0_6memory12LoadWithCastILi2EEENSG_13StoreWithCastILi1EEEN3c104HalfEJSM_fEEEviT0_T1_T2_T3_T4_T5_
                                        ; -- End function
	.set _ZN2at6native39vectorized_templated_elementwise_kernelILi4ENS0_13BinaryFunctorIfffZNS0_12_GLOBAL__N_121threshold_kernel_implIfEEvRNS_18TensorIteratorBaseET_S7_EUlffE_EESt5arrayIPcLm3EE23TrivialOffsetCalculatorILi2EjESD_ILi1EjENS0_6memory12LoadWithCastILi2EEENSG_13StoreWithCastILi1EEEN3c104HalfEJSM_fEEEviT0_T1_T2_T3_T4_T5_.num_vgpr, max(39, .L_ZN2at6native25elementwise_kernel_helperILb1ENS0_13BinaryFunctorIfffZNS0_12_GLOBAL__N_121threshold_kernel_implIfEEvRNS_18TensorIteratorBaseET_S7_EUlffE_EENS0_6memory8policies11unroll_baseILi512ESt5arrayIPcLm3EE23TrivialOffsetCalculatorILi2EjESG_ILi1EjENSA_12LoadWithCastILi2EEENSA_13StoreWithCastILi1EEELi32ELi1EEEEEvT0_T1_.num_vgpr)
	.set _ZN2at6native39vectorized_templated_elementwise_kernelILi4ENS0_13BinaryFunctorIfffZNS0_12_GLOBAL__N_121threshold_kernel_implIfEEvRNS_18TensorIteratorBaseET_S7_EUlffE_EESt5arrayIPcLm3EE23TrivialOffsetCalculatorILi2EjESD_ILi1EjENS0_6memory12LoadWithCastILi2EEENSG_13StoreWithCastILi1EEEN3c104HalfEJSM_fEEEviT0_T1_T2_T3_T4_T5_.num_agpr, max(0, .L_ZN2at6native25elementwise_kernel_helperILb1ENS0_13BinaryFunctorIfffZNS0_12_GLOBAL__N_121threshold_kernel_implIfEEvRNS_18TensorIteratorBaseET_S7_EUlffE_EENS0_6memory8policies11unroll_baseILi512ESt5arrayIPcLm3EE23TrivialOffsetCalculatorILi2EjESG_ILi1EjENSA_12LoadWithCastILi2EEENSA_13StoreWithCastILi1EEELi32ELi1EEEEEvT0_T1_.num_agpr)
	.set _ZN2at6native39vectorized_templated_elementwise_kernelILi4ENS0_13BinaryFunctorIfffZNS0_12_GLOBAL__N_121threshold_kernel_implIfEEvRNS_18TensorIteratorBaseET_S7_EUlffE_EESt5arrayIPcLm3EE23TrivialOffsetCalculatorILi2EjESD_ILi1EjENS0_6memory12LoadWithCastILi2EEENSG_13StoreWithCastILi1EEEN3c104HalfEJSM_fEEEviT0_T1_T2_T3_T4_T5_.numbered_sgpr, max(36, .L_ZN2at6native25elementwise_kernel_helperILb1ENS0_13BinaryFunctorIfffZNS0_12_GLOBAL__N_121threshold_kernel_implIfEEvRNS_18TensorIteratorBaseET_S7_EUlffE_EENS0_6memory8policies11unroll_baseILi512ESt5arrayIPcLm3EE23TrivialOffsetCalculatorILi2EjESG_ILi1EjENSA_12LoadWithCastILi2EEENSA_13StoreWithCastILi1EEELi32ELi1EEEEEvT0_T1_.numbered_sgpr)
	.set _ZN2at6native39vectorized_templated_elementwise_kernelILi4ENS0_13BinaryFunctorIfffZNS0_12_GLOBAL__N_121threshold_kernel_implIfEEvRNS_18TensorIteratorBaseET_S7_EUlffE_EESt5arrayIPcLm3EE23TrivialOffsetCalculatorILi2EjESD_ILi1EjENS0_6memory12LoadWithCastILi2EEENSG_13StoreWithCastILi1EEEN3c104HalfEJSM_fEEEviT0_T1_T2_T3_T4_T5_.num_named_barrier, max(0, .L_ZN2at6native25elementwise_kernel_helperILb1ENS0_13BinaryFunctorIfffZNS0_12_GLOBAL__N_121threshold_kernel_implIfEEvRNS_18TensorIteratorBaseET_S7_EUlffE_EENS0_6memory8policies11unroll_baseILi512ESt5arrayIPcLm3EE23TrivialOffsetCalculatorILi2EjESG_ILi1EjENSA_12LoadWithCastILi2EEENSA_13StoreWithCastILi1EEELi32ELi1EEEEEvT0_T1_.num_named_barrier)
	.set _ZN2at6native39vectorized_templated_elementwise_kernelILi4ENS0_13BinaryFunctorIfffZNS0_12_GLOBAL__N_121threshold_kernel_implIfEEvRNS_18TensorIteratorBaseET_S7_EUlffE_EESt5arrayIPcLm3EE23TrivialOffsetCalculatorILi2EjESD_ILi1EjENS0_6memory12LoadWithCastILi2EEENSG_13StoreWithCastILi1EEEN3c104HalfEJSM_fEEEviT0_T1_T2_T3_T4_T5_.private_seg_size, 0+max(.L_ZN2at6native25elementwise_kernel_helperILb1ENS0_13BinaryFunctorIfffZNS0_12_GLOBAL__N_121threshold_kernel_implIfEEvRNS_18TensorIteratorBaseET_S7_EUlffE_EENS0_6memory8policies11unroll_baseILi512ESt5arrayIPcLm3EE23TrivialOffsetCalculatorILi2EjESG_ILi1EjENSA_12LoadWithCastILi2EEENSA_13StoreWithCastILi1EEELi32ELi1EEEEEvT0_T1_.private_seg_size)
	.set _ZN2at6native39vectorized_templated_elementwise_kernelILi4ENS0_13BinaryFunctorIfffZNS0_12_GLOBAL__N_121threshold_kernel_implIfEEvRNS_18TensorIteratorBaseET_S7_EUlffE_EESt5arrayIPcLm3EE23TrivialOffsetCalculatorILi2EjESD_ILi1EjENS0_6memory12LoadWithCastILi2EEENSG_13StoreWithCastILi1EEEN3c104HalfEJSM_fEEEviT0_T1_T2_T3_T4_T5_.uses_vcc, or(1, .L_ZN2at6native25elementwise_kernel_helperILb1ENS0_13BinaryFunctorIfffZNS0_12_GLOBAL__N_121threshold_kernel_implIfEEvRNS_18TensorIteratorBaseET_S7_EUlffE_EENS0_6memory8policies11unroll_baseILi512ESt5arrayIPcLm3EE23TrivialOffsetCalculatorILi2EjESG_ILi1EjENSA_12LoadWithCastILi2EEENSA_13StoreWithCastILi1EEELi32ELi1EEEEEvT0_T1_.uses_vcc)
	.set _ZN2at6native39vectorized_templated_elementwise_kernelILi4ENS0_13BinaryFunctorIfffZNS0_12_GLOBAL__N_121threshold_kernel_implIfEEvRNS_18TensorIteratorBaseET_S7_EUlffE_EESt5arrayIPcLm3EE23TrivialOffsetCalculatorILi2EjESD_ILi1EjENS0_6memory12LoadWithCastILi2EEENSG_13StoreWithCastILi1EEEN3c104HalfEJSM_fEEEviT0_T1_T2_T3_T4_T5_.uses_flat_scratch, or(0, .L_ZN2at6native25elementwise_kernel_helperILb1ENS0_13BinaryFunctorIfffZNS0_12_GLOBAL__N_121threshold_kernel_implIfEEvRNS_18TensorIteratorBaseET_S7_EUlffE_EENS0_6memory8policies11unroll_baseILi512ESt5arrayIPcLm3EE23TrivialOffsetCalculatorILi2EjESG_ILi1EjENSA_12LoadWithCastILi2EEENSA_13StoreWithCastILi1EEELi32ELi1EEEEEvT0_T1_.uses_flat_scratch)
	.set _ZN2at6native39vectorized_templated_elementwise_kernelILi4ENS0_13BinaryFunctorIfffZNS0_12_GLOBAL__N_121threshold_kernel_implIfEEvRNS_18TensorIteratorBaseET_S7_EUlffE_EESt5arrayIPcLm3EE23TrivialOffsetCalculatorILi2EjESD_ILi1EjENS0_6memory12LoadWithCastILi2EEENSG_13StoreWithCastILi1EEEN3c104HalfEJSM_fEEEviT0_T1_T2_T3_T4_T5_.has_dyn_sized_stack, or(0, .L_ZN2at6native25elementwise_kernel_helperILb1ENS0_13BinaryFunctorIfffZNS0_12_GLOBAL__N_121threshold_kernel_implIfEEvRNS_18TensorIteratorBaseET_S7_EUlffE_EENS0_6memory8policies11unroll_baseILi512ESt5arrayIPcLm3EE23TrivialOffsetCalculatorILi2EjESG_ILi1EjENSA_12LoadWithCastILi2EEENSA_13StoreWithCastILi1EEELi32ELi1EEEEEvT0_T1_.has_dyn_sized_stack)
	.set _ZN2at6native39vectorized_templated_elementwise_kernelILi4ENS0_13BinaryFunctorIfffZNS0_12_GLOBAL__N_121threshold_kernel_implIfEEvRNS_18TensorIteratorBaseET_S7_EUlffE_EESt5arrayIPcLm3EE23TrivialOffsetCalculatorILi2EjESD_ILi1EjENS0_6memory12LoadWithCastILi2EEENSG_13StoreWithCastILi1EEEN3c104HalfEJSM_fEEEviT0_T1_T2_T3_T4_T5_.has_recursion, or(0, .L_ZN2at6native25elementwise_kernel_helperILb1ENS0_13BinaryFunctorIfffZNS0_12_GLOBAL__N_121threshold_kernel_implIfEEvRNS_18TensorIteratorBaseET_S7_EUlffE_EENS0_6memory8policies11unroll_baseILi512ESt5arrayIPcLm3EE23TrivialOffsetCalculatorILi2EjESG_ILi1EjENSA_12LoadWithCastILi2EEENSA_13StoreWithCastILi1EEELi32ELi1EEEEEvT0_T1_.has_recursion)
	.set _ZN2at6native39vectorized_templated_elementwise_kernelILi4ENS0_13BinaryFunctorIfffZNS0_12_GLOBAL__N_121threshold_kernel_implIfEEvRNS_18TensorIteratorBaseET_S7_EUlffE_EESt5arrayIPcLm3EE23TrivialOffsetCalculatorILi2EjESD_ILi1EjENS0_6memory12LoadWithCastILi2EEENSG_13StoreWithCastILi1EEEN3c104HalfEJSM_fEEEviT0_T1_T2_T3_T4_T5_.has_indirect_call, or(0, .L_ZN2at6native25elementwise_kernel_helperILb1ENS0_13BinaryFunctorIfffZNS0_12_GLOBAL__N_121threshold_kernel_implIfEEvRNS_18TensorIteratorBaseET_S7_EUlffE_EENS0_6memory8policies11unroll_baseILi512ESt5arrayIPcLm3EE23TrivialOffsetCalculatorILi2EjESG_ILi1EjENSA_12LoadWithCastILi2EEENSA_13StoreWithCastILi1EEELi32ELi1EEEEEvT0_T1_.has_indirect_call)
	.section	.AMDGPU.csdata,"",@progbits
; Kernel info:
; codeLenInByte = 1676
; TotalNumSgprs: 102
; NumVgprs: 119
; ScratchSize: 272
; MemoryBound: 0
; FloatMode: 240
; IeeeMode: 1
; LDSByteSize: 0 bytes/workgroup (compile time only)
; SGPRBlocks: 12
; VGPRBlocks: 29
; NumSGPRsForWavesPerEU: 102
; NumVGPRsForWavesPerEU: 119
; Occupancy: 2
; WaveLimiterHint : 0
; COMPUTE_PGM_RSRC2:SCRATCH_EN: 1
; COMPUTE_PGM_RSRC2:USER_SGPR: 6
; COMPUTE_PGM_RSRC2:TRAP_HANDLER: 0
; COMPUTE_PGM_RSRC2:TGID_X_EN: 1
; COMPUTE_PGM_RSRC2:TGID_Y_EN: 0
; COMPUTE_PGM_RSRC2:TGID_Z_EN: 0
; COMPUTE_PGM_RSRC2:TIDIG_COMP_CNT: 0
	.section	.text._ZN2at6native39vectorized_templated_elementwise_kernelILi2ENS0_13BinaryFunctorIfffZNS0_12_GLOBAL__N_121threshold_kernel_implIfEEvRNS_18TensorIteratorBaseET_S7_EUlffE_EESt5arrayIPcLm3EE23TrivialOffsetCalculatorILi2EjESD_ILi1EjENS0_6memory12LoadWithCastILi2EEENSG_13StoreWithCastILi1EEEN3c104HalfEJSM_fEEEviT0_T1_T2_T3_T4_T5_,"axG",@progbits,_ZN2at6native39vectorized_templated_elementwise_kernelILi2ENS0_13BinaryFunctorIfffZNS0_12_GLOBAL__N_121threshold_kernel_implIfEEvRNS_18TensorIteratorBaseET_S7_EUlffE_EESt5arrayIPcLm3EE23TrivialOffsetCalculatorILi2EjESD_ILi1EjENS0_6memory12LoadWithCastILi2EEENSG_13StoreWithCastILi1EEEN3c104HalfEJSM_fEEEviT0_T1_T2_T3_T4_T5_,comdat
	.globl	_ZN2at6native39vectorized_templated_elementwise_kernelILi2ENS0_13BinaryFunctorIfffZNS0_12_GLOBAL__N_121threshold_kernel_implIfEEvRNS_18TensorIteratorBaseET_S7_EUlffE_EESt5arrayIPcLm3EE23TrivialOffsetCalculatorILi2EjESD_ILi1EjENS0_6memory12LoadWithCastILi2EEENSG_13StoreWithCastILi1EEEN3c104HalfEJSM_fEEEviT0_T1_T2_T3_T4_T5_ ; -- Begin function _ZN2at6native39vectorized_templated_elementwise_kernelILi2ENS0_13BinaryFunctorIfffZNS0_12_GLOBAL__N_121threshold_kernel_implIfEEvRNS_18TensorIteratorBaseET_S7_EUlffE_EESt5arrayIPcLm3EE23TrivialOffsetCalculatorILi2EjESD_ILi1EjENS0_6memory12LoadWithCastILi2EEENSG_13StoreWithCastILi1EEEN3c104HalfEJSM_fEEEviT0_T1_T2_T3_T4_T5_
	.p2align	8
	.type	_ZN2at6native39vectorized_templated_elementwise_kernelILi2ENS0_13BinaryFunctorIfffZNS0_12_GLOBAL__N_121threshold_kernel_implIfEEvRNS_18TensorIteratorBaseET_S7_EUlffE_EESt5arrayIPcLm3EE23TrivialOffsetCalculatorILi2EjESD_ILi1EjENS0_6memory12LoadWithCastILi2EEENSG_13StoreWithCastILi1EEEN3c104HalfEJSM_fEEEviT0_T1_T2_T3_T4_T5_,@function
_ZN2at6native39vectorized_templated_elementwise_kernelILi2ENS0_13BinaryFunctorIfffZNS0_12_GLOBAL__N_121threshold_kernel_implIfEEvRNS_18TensorIteratorBaseET_S7_EUlffE_EESt5arrayIPcLm3EE23TrivialOffsetCalculatorILi2EjESD_ILi1EjENS0_6memory12LoadWithCastILi2EEENSG_13StoreWithCastILi1EEEN3c104HalfEJSM_fEEEviT0_T1_T2_T3_T4_T5_: ; @_ZN2at6native39vectorized_templated_elementwise_kernelILi2ENS0_13BinaryFunctorIfffZNS0_12_GLOBAL__N_121threshold_kernel_implIfEEvRNS_18TensorIteratorBaseET_S7_EUlffE_EESt5arrayIPcLm3EE23TrivialOffsetCalculatorILi2EjESD_ILi1EjENS0_6memory12LoadWithCastILi2EEENSG_13StoreWithCastILi1EEEN3c104HalfEJSM_fEEEviT0_T1_T2_T3_T4_T5_
; %bb.0:
	s_add_u32 s0, s0, s7
	s_load_dword s7, s[4:5], 0x40
	s_load_dwordx8 s[12:19], s[4:5], 0x0
	s_load_dwordx2 s[10:11], s[4:5], 0x20
	s_addc_u32 s1, s1, 0
	s_not_b32 s8, s6
	s_waitcnt lgkmcnt(0)
	s_add_i32 s7, s7, s8
	s_lshl_b32 s8, s7, 14
	s_sub_i32 s7, s12, s8
	s_cmpk_gt_i32 s7, 0x3fff
	s_mov_b64 s[20:21], -1
	s_mov_b32 s32, 0
	s_cbranch_scc1 .LBB184_3
; %bb.1:
	s_andn2_b64 vcc, exec, s[20:21]
	s_cbranch_vccz .LBB184_4
.LBB184_2:
	s_endpgm
.LBB184_3:
	s_ashr_i32 s9, s8, 31
	s_lshl_b64 s[20:21], s[8:9], 1
	s_add_u32 s22, s18, s20
	s_addc_u32 s23, s19, s21
	v_lshlrev_b32_e32 v14, 2, v0
	s_lshl_b64 s[8:9], s[8:9], 2
	v_mov_b32_e32 v1, s23
	v_add_co_u32_e32 v17, vcc, s22, v14
	s_add_u32 s8, s10, s8
	global_load_dword v19, v14, s[22:23]
	v_addc_co_u32_e32 v18, vcc, 0, v1, vcc
	s_addc_u32 s9, s11, s9
	v_lshlrev_b32_e32 v3, 3, v0
	v_mov_b32_e32 v1, s9
	v_add_co_u32_e32 v15, vcc, s8, v3
	v_addc_co_u32_e32 v16, vcc, 0, v1, vcc
	global_load_dwordx2 v[1:2], v3, s[8:9]
	global_load_dword v20, v14, s[22:23] offset:2048
	s_movk_i32 s23, 0x2000
	v_add_co_u32_e32 v11, vcc, s23, v17
	v_addc_co_u32_e32 v12, vcc, 0, v18, vcc
	global_load_dword v21, v[11:12], off offset:-4096
	v_add_co_u32_e32 v7, vcc, s23, v15
	v_addc_co_u32_e32 v8, vcc, 0, v16, vcc
	global_load_dwordx2 v[5:6], v[7:8], off offset:-4096
	global_load_dwordx2 v[3:4], v[7:8], off
	s_movk_i32 s24, 0x1000
	v_add_co_u32_e32 v7, vcc, s24, v17
	v_addc_co_u32_e32 v8, vcc, 0, v18, vcc
	global_load_dword v22, v[7:8], off offset:2048
	global_load_dword v23, v[11:12], off
	s_movk_i32 s12, 0x4000
	v_add_co_u32_e32 v24, vcc, s12, v15
	v_addc_co_u32_e32 v25, vcc, 0, v16, vcc
	global_load_dwordx2 v[9:10], v[24:25], off offset:-4096
	global_load_dwordx2 v[7:8], v[24:25], off
	s_movk_i32 s15, 0x3000
	v_add_co_u32_e32 v24, vcc, s15, v17
	s_mov_b32 s8, 0xf000
	v_addc_co_u32_e32 v25, vcc, 0, v18, vcc
	global_load_dword v26, v[11:12], off offset:2048
	v_add_co_u32_e32 v11, vcc, s8, v15
	v_addc_co_u32_e32 v12, vcc, 0, v16, vcc
	v_mov_b32_e32 v13, s14
	s_movk_i32 s22, 0x5000
	s_movk_i32 s25, 0x7000
	global_load_dwordx2 v[11:12], v[11:12], off
	s_add_u32 s20, s16, s20
	s_addc_u32 s21, s17, s21
	s_waitcnt vmcnt(11)
	v_cvt_f32_f16_e32 v27, v19
	v_cvt_f32_f16_sdwa v19, v19 dst_sel:DWORD dst_unused:UNUSED_PAD src0_sel:WORD_1
	v_cmp_nge_f32_e32 vcc, s13, v27
	v_cmp_nge_f32_e64 s[8:9], s13, v19
	s_waitcnt vmcnt(10)
	v_cndmask_b32_e32 v1, v13, v1, vcc
	s_waitcnt vmcnt(9)
	v_cvt_f32_f16_e32 v27, v20
	v_cvt_f32_f16_sdwa v20, v20 dst_sel:DWORD dst_unused:UNUSED_PAD src0_sel:WORD_1
	v_cndmask_b32_e64 v2, v13, v2, s[8:9]
	v_cvt_f16_f32_e32 v28, v1
	v_cmp_nge_f32_e32 vcc, s13, v27
	v_cvt_f16_f32_e32 v29, v2
	s_waitcnt vmcnt(8)
	v_cvt_f32_f16_sdwa v19, v21 dst_sel:DWORD dst_unused:UNUSED_PAD src0_sel:WORD_1
	v_cvt_f32_f16_e32 v21, v21
	v_pack_b32_f16 v27, v28, v29
	s_waitcnt vmcnt(7)
	v_cndmask_b32_e32 v1, v13, v5, vcc
	v_cmp_nge_f32_e32 vcc, s13, v20
	v_cndmask_b32_e32 v2, v13, v6, vcc
	v_cmp_nge_f32_e32 vcc, s13, v19
	v_cvt_f16_f32_e32 v6, v1
	s_waitcnt vmcnt(6)
	v_cndmask_b32_e32 v1, v13, v4, vcc
	v_cmp_nge_f32_e32 vcc, s13, v21
	v_cvt_f16_f32_e32 v5, v2
	v_cndmask_b32_e32 v2, v13, v3, vcc
	v_cvt_f16_f32_e32 v3, v2
	v_cvt_f16_f32_e32 v4, v1
	v_add_co_u32_e32 v1, vcc, s22, v17
	v_addc_co_u32_e32 v2, vcc, 0, v18, vcc
	v_pack_b32_f16 v29, v3, v4
	v_add_co_u32_e32 v3, vcc, s25, v17
	v_addc_co_u32_e32 v4, vcc, 0, v18, vcc
	s_movk_i32 s25, 0x6000
	global_load_dword v30, v[24:25], off offset:2048
	global_load_dword v31, v[1:2], off offset:2048
	global_load_dword v32, v[3:4], off
	global_load_dword v33, v[3:4], off offset:2048
	v_add_co_u32_e32 v1, vcc, s25, v15
	s_waitcnt vmcnt(9)
	v_cvt_f32_f16_e32 v20, v22
	v_addc_co_u32_e32 v2, vcc, 0, v16, vcc
	v_pack_b32_f16 v28, v6, v5
	global_load_dwordx2 v[3:4], v[1:2], off offset:-4096
	global_load_dwordx2 v[5:6], v[1:2], off
	s_waitcnt vmcnt(10)
	v_cvt_f32_f16_sdwa v1, v23 dst_sel:DWORD dst_unused:UNUSED_PAD src0_sel:WORD_1
	v_cvt_f32_f16_e32 v2, v23
	v_cmp_nge_f32_e32 vcc, s13, v20
	s_waitcnt vmcnt(9)
	v_cndmask_b32_e32 v9, v13, v9, vcc
	v_cmp_nge_f32_e32 vcc, s13, v1
	s_waitcnt vmcnt(8)
	v_cndmask_b32_e32 v8, v13, v8, vcc
	v_cmp_nge_f32_e32 vcc, s13, v2
	v_cndmask_b32_e32 v7, v13, v7, vcc
	v_add_co_u32_e32 v1, vcc, s12, v17
	v_addc_co_u32_e32 v2, vcc, 0, v18, vcc
	global_load_dword v20, v[1:2], off offset:-4096
	v_cvt_f32_f16_sdwa v19, v22 dst_sel:DWORD dst_unused:UNUSED_PAD src0_sel:WORD_1
	v_cvt_f16_f32_e32 v9, v9
	v_cvt_f16_f32_e32 v7, v7
	;; [unrolled: 1-line block ×3, first 2 shown]
	v_cmp_nge_f32_e64 s[8:9], s13, v19
	v_cndmask_b32_e64 v10, v13, v10, s[8:9]
	v_cvt_f16_f32_e32 v10, v10
	v_pack_b32_f16 v19, v7, v8
	s_waitcnt vmcnt(8)
	v_cvt_f32_f16_e32 v7, v26
	global_load_dword v23, v[1:2], off
	global_load_dword v24, v[1:2], off offset:2048
	v_pack_b32_f16 v25, v9, v10
	v_cvt_f32_f16_sdwa v9, v26 dst_sel:DWORD dst_unused:UNUSED_PAD src0_sel:WORD_1
	s_mov_b32 s8, 0x8000
	v_cmp_nge_f32_e32 vcc, s13, v9
	s_waitcnt vmcnt(4)
	v_cndmask_b32_e32 v8, v13, v4, vcc
	v_cmp_nge_f32_e32 vcc, s13, v7
	v_cndmask_b32_e32 v7, v13, v3, vcc
	s_waitcnt vmcnt(2)
	v_cvt_f32_f16_sdwa v1, v20 dst_sel:DWORD dst_unused:UNUSED_PAD src0_sel:WORD_1
	v_cvt_f32_f16_e32 v2, v20
	v_cmp_nge_f32_e32 vcc, s13, v1
	v_cndmask_b32_e32 v9, v13, v6, vcc
	v_cmp_nge_f32_e32 vcc, s13, v2
	v_cndmask_b32_e32 v10, v13, v5, vcc
	v_add_co_u32_e32 v1, vcc, s8, v15
	v_addc_co_u32_e32 v2, vcc, 0, v16, vcc
	global_load_dwordx2 v[3:4], v[1:2], off offset:-4096
	global_load_dwordx2 v[5:6], v[1:2], off
	v_cvt_f16_f32_e32 v1, v7
	v_cvt_f16_f32_e32 v2, v8
	;; [unrolled: 1-line block ×4, first 2 shown]
	s_mov_b32 s8, 0xa000
	v_pack_b32_f16 v20, v1, v2
	v_cvt_f32_f16_e32 v2, v30
	v_pack_b32_f16 v1, v7, v8
	v_add_co_u32_e32 v7, vcc, s8, v15
	v_addc_co_u32_e32 v8, vcc, 0, v16, vcc
	v_cmp_nge_f32_e32 vcc, s13, v2
	v_cvt_f32_f16_sdwa v2, v30 dst_sel:DWORD dst_unused:UNUSED_PAD src0_sel:WORD_1
	global_load_dwordx2 v[9:10], v[7:8], off offset:-4096
	global_load_dwordx2 v[21:22], v[7:8], off
	s_waitcnt vmcnt(4)
	v_cvt_f32_f16_sdwa v8, v24 dst_sel:DWORD dst_unused:UNUSED_PAD src0_sel:WORD_1
	v_cmp_nge_f32_e64 s[8:9], s13, v2
	s_waitcnt vmcnt(3)
	v_cndmask_b32_e64 v2, v13, v4, s[8:9]
	v_cndmask_b32_e32 v3, v13, v3, vcc
	v_cvt_f16_f32_e32 v3, v3
	v_cvt_f16_f32_e32 v2, v2
	v_pack_b32_f16 v2, v3, v2
	v_cvt_f32_f16_e32 v3, v23
	v_cmp_nge_f32_e32 vcc, s13, v3
	v_cvt_f32_f16_sdwa v3, v23 dst_sel:DWORD dst_unused:UNUSED_PAD src0_sel:WORD_1
	s_waitcnt vmcnt(2)
	v_cndmask_b32_e32 v5, v13, v5, vcc
	v_cvt_f16_f32_e32 v5, v5
	v_cmp_nge_f32_e64 s[8:9], s13, v3
	v_cvt_f32_f16_e32 v3, v24
	v_cndmask_b32_e64 v6, v13, v6, s[8:9]
	v_cvt_f16_f32_e32 v6, v6
	v_cmp_nge_f32_e32 vcc, s13, v3
	v_add_co_u32_e64 v3, s[8:9], s25, v17
	v_addc_co_u32_e64 v4, s[8:9], 0, v18, s[8:9]
	global_load_dword v7, v[3:4], off offset:-4096
	v_cmp_nge_f32_e64 s[8:9], s13, v8
	s_waitcnt vmcnt(2)
	v_cndmask_b32_e64 v8, v13, v10, s[8:9]
	global_load_dword v10, v[3:4], off
	global_load_dword v23, v[3:4], off offset:2048
	v_pack_b32_f16 v3, v5, v6
	v_cndmask_b32_e32 v9, v13, v9, vcc
	v_cvt_f16_f32_e32 v9, v9
	v_cvt_f16_f32_e32 v8, v8
	s_mov_b32 s8, 0xc000
	v_pack_b32_f16 v5, v9, v8
	s_waitcnt vmcnt(2)
	v_cvt_f32_f16_sdwa v4, v7 dst_sel:DWORD dst_unused:UNUSED_PAD src0_sel:WORD_1
	v_cvt_f32_f16_e32 v6, v7
	v_cmp_nge_f32_e32 vcc, s13, v4
	v_cndmask_b32_e32 v4, v13, v22, vcc
	v_cmp_nge_f32_e32 vcc, s13, v6
	v_cndmask_b32_e32 v17, v13, v21, vcc
	v_add_co_u32_e32 v6, vcc, s8, v15
	v_addc_co_u32_e32 v7, vcc, 0, v16, vcc
	global_load_dwordx2 v[8:9], v[6:7], off offset:-4096
	v_cvt_f16_f32_e32 v17, v17
	global_load_dwordx2 v[6:7], v[6:7], off
	v_cvt_f16_f32_e32 v4, v4
	s_mov_b32 s8, 0xe000
	v_add_co_u32_e32 v15, vcc, s8, v15
	v_addc_co_u32_e32 v16, vcc, 0, v16, vcc
	v_pack_b32_f16 v4, v17, v4
	global_load_dwordx2 v[17:18], v[15:16], off offset:-4096
	global_load_dwordx2 v[21:22], v[15:16], off
	v_cvt_f32_f16_e32 v15, v31
	global_store_dword v14, v27, s[20:21]
	global_store_dword v14, v28, s[20:21] offset:2048
	v_cmp_nge_f32_e32 vcc, s13, v15
	v_cvt_f32_f16_sdwa v15, v31 dst_sel:DWORD dst_unused:UNUSED_PAD src0_sel:WORD_1
	v_cmp_nge_f32_e64 s[8:9], s13, v15
	s_waitcnt vmcnt(5)
	v_cndmask_b32_e32 v15, v13, v8, vcc
	v_cvt_f32_f16_e32 v8, v10
	v_cndmask_b32_e64 v9, v13, v9, s[8:9]
	v_cvt_f16_f32_e32 v15, v15
	v_cvt_f16_f32_e32 v9, v9
	v_cmp_nge_f32_e32 vcc, s13, v8
	v_cvt_f32_f16_sdwa v8, v10 dst_sel:DWORD dst_unused:UNUSED_PAD src0_sel:WORD_1
	s_waitcnt vmcnt(4)
	v_cndmask_b32_e32 v10, v13, v6, vcc
	v_cvt_f32_f16_e32 v6, v23
	v_cmp_nge_f32_e64 s[8:9], s13, v8
	v_cvt_f32_f16_sdwa v8, v23 dst_sel:DWORD dst_unused:UNUSED_PAD src0_sel:WORD_1
	v_cmp_nge_f32_e32 vcc, s13, v6
	v_cvt_f32_f16_e32 v6, v32
	v_cndmask_b32_e64 v7, v13, v7, s[8:9]
	v_cmp_nge_f32_e64 s[8:9], s13, v8
	s_waitcnt vmcnt(3)
	v_cndmask_b32_e64 v16, v13, v18, s[8:9]
	v_mov_b32_e32 v18, s21
	v_add_co_u32_e64 v8, s[8:9], s20, v14
	v_cndmask_b32_e32 v17, v13, v17, vcc
	v_cmp_nge_f32_e32 vcc, s13, v6
	v_addc_co_u32_e64 v6, s[8:9], 0, v18, s[8:9]
	v_cvt_f16_f32_e32 v18, v10
	v_cvt_f32_f16_sdwa v10, v32 dst_sel:DWORD dst_unused:UNUSED_PAD src0_sel:WORD_1
	s_waitcnt vmcnt(2)
	v_cndmask_b32_e32 v21, v13, v21, vcc
	v_cvt_f16_f32_e32 v7, v7
	v_cvt_f16_f32_e32 v21, v21
	v_cmp_nge_f32_e64 s[8:9], s13, v10
	v_cndmask_b32_e64 v10, v13, v22, s[8:9]
	v_cvt_f16_f32_e32 v22, v10
	v_pack_b32_f16 v10, v15, v9
	v_pack_b32_f16 v15, v18, v7
	v_cvt_f16_f32_e32 v17, v17
	v_pack_b32_f16 v7, v21, v22
	v_add_co_u32_e32 v21, vcc, s24, v8
	v_addc_co_u32_e32 v22, vcc, 0, v6, vcc
	v_add_co_u32_e32 v23, vcc, s23, v8
	v_cvt_f16_f32_e32 v16, v16
	v_addc_co_u32_e32 v24, vcc, 0, v6, vcc
	v_add_co_u32_e32 v18, vcc, s15, v8
	global_store_dword v[23:24], v29, off offset:-4096
	global_store_dword v[21:22], v25, off offset:2048
	global_store_dword v[23:24], v19, off
	global_store_dword v[23:24], v20, off offset:2048
	v_addc_co_u32_e32 v19, vcc, 0, v6, vcc
	v_add_co_u32_e32 v20, vcc, s12, v8
	v_pack_b32_f16 v16, v17, v16
	v_cvt_f32_f16_sdwa v17, v33 dst_sel:DWORD dst_unused:UNUSED_PAD src0_sel:WORD_1
	v_addc_co_u32_e32 v21, vcc, 0, v6, vcc
	v_cvt_f32_f16_e32 v9, v33
	global_store_dword v[20:21], v1, off offset:-4096
	global_store_dword v[18:19], v2, off offset:2048
	global_store_dword v[20:21], v3, off
	global_store_dword v[20:21], v5, off offset:2048
	v_add_co_u32_e32 v1, vcc, s22, v8
	v_addc_co_u32_e32 v2, vcc, 0, v6, vcc
	v_add_co_u32_e32 v18, vcc, s25, v8
	v_addc_co_u32_e32 v19, vcc, 0, v6, vcc
	v_cmp_nge_f32_e64 s[8:9], s13, v17
	global_store_dword v[18:19], v4, off offset:-4096
	global_store_dword v[1:2], v10, off offset:2048
	global_store_dword v[18:19], v15, off
	global_store_dword v[18:19], v16, off offset:2048
	v_cndmask_b32_e64 v2, v13, v12, s[8:9]
	v_cmp_nge_f32_e64 s[8:9], s13, v9
	v_cndmask_b32_e64 v3, v13, v11, s[8:9]
	v_cvt_f16_f32_e32 v3, v3
	v_cvt_f16_f32_e32 v4, v2
	v_add_co_u32_e32 v1, vcc, 0x7000, v8
	v_addc_co_u32_e32 v2, vcc, 0, v6, vcc
	v_pack_b32_f16 v3, v3, v4
	global_store_dword v[1:2], v7, off
	global_store_dword v[1:2], v3, off offset:2048
	s_cbranch_execnz .LBB184_2
.LBB184_4:
	s_load_dword s15, s[4:5], 0x2c
	s_load_dwordx4 s[20:23], s[4:5], 0x30
	s_mov_b32 s12, s6
	v_mov_b32_e32 v31, v0
	v_mov_b32_e32 v0, s13
	s_waitcnt lgkmcnt(0)
	s_bfe_u32 s24, s15, 0x80008
	s_add_u32 s8, s4, 64
	s_addc_u32 s9, s5, 0
	s_getpc_b64 s[4:5]
	s_add_u32 s4, s4, _ZN2at6native25elementwise_kernel_helperILb1ENS0_13BinaryFunctorIfffZNS0_12_GLOBAL__N_121threshold_kernel_implIfEEvRNS_18TensorIteratorBaseET_S7_EUlffE_EENS0_6memory8policies11unroll_baseILi512ESt5arrayIPcLm3EE23TrivialOffsetCalculatorILi2EjESG_ILi1EjENSA_12LoadWithCastILi2EEENSA_13StoreWithCastILi1EEELi32ELi1EEEEEvT0_T1_@rel32@lo+4
	s_addc_u32 s5, s5, _ZN2at6native25elementwise_kernel_helperILb1ENS0_13BinaryFunctorIfffZNS0_12_GLOBAL__N_121threshold_kernel_implIfEEvRNS_18TensorIteratorBaseET_S7_EUlffE_EENS0_6memory8policies11unroll_baseILi512ESt5arrayIPcLm3EE23TrivialOffsetCalculatorILi2EjESG_ILi1EjENSA_12LoadWithCastILi2EEENSA_13StoreWithCastILi1EEELi32ELi1EEEEEvT0_T1_@rel32@hi+12
	v_mov_b32_e32 v1, s14
	v_mov_b32_e32 v2, s16
	;; [unrolled: 1-line block ×14, first 2 shown]
	s_swappc_b64 s[30:31], s[4:5]
	s_endpgm
	.section	.rodata,"a",@progbits
	.p2align	6, 0x0
	.amdhsa_kernel _ZN2at6native39vectorized_templated_elementwise_kernelILi2ENS0_13BinaryFunctorIfffZNS0_12_GLOBAL__N_121threshold_kernel_implIfEEvRNS_18TensorIteratorBaseET_S7_EUlffE_EESt5arrayIPcLm3EE23TrivialOffsetCalculatorILi2EjESD_ILi1EjENS0_6memory12LoadWithCastILi2EEENSG_13StoreWithCastILi1EEEN3c104HalfEJSM_fEEEviT0_T1_T2_T3_T4_T5_
		.amdhsa_group_segment_fixed_size 0
		.amdhsa_private_segment_fixed_size 272
		.amdhsa_kernarg_size 320
		.amdhsa_user_sgpr_count 6
		.amdhsa_user_sgpr_private_segment_buffer 1
		.amdhsa_user_sgpr_dispatch_ptr 0
		.amdhsa_user_sgpr_queue_ptr 0
		.amdhsa_user_sgpr_kernarg_segment_ptr 1
		.amdhsa_user_sgpr_dispatch_id 0
		.amdhsa_user_sgpr_flat_scratch_init 0
		.amdhsa_user_sgpr_private_segment_size 0
		.amdhsa_uses_dynamic_stack 0
		.amdhsa_system_sgpr_private_segment_wavefront_offset 1
		.amdhsa_system_sgpr_workgroup_id_x 1
		.amdhsa_system_sgpr_workgroup_id_y 0
		.amdhsa_system_sgpr_workgroup_id_z 0
		.amdhsa_system_sgpr_workgroup_info 0
		.amdhsa_system_vgpr_workitem_id 0
		.amdhsa_next_free_vgpr 119
		.amdhsa_next_free_sgpr 98
		.amdhsa_reserve_vcc 1
		.amdhsa_reserve_flat_scratch 0
		.amdhsa_float_round_mode_32 0
		.amdhsa_float_round_mode_16_64 0
		.amdhsa_float_denorm_mode_32 3
		.amdhsa_float_denorm_mode_16_64 3
		.amdhsa_dx10_clamp 1
		.amdhsa_ieee_mode 1
		.amdhsa_fp16_overflow 0
		.amdhsa_exception_fp_ieee_invalid_op 0
		.amdhsa_exception_fp_denorm_src 0
		.amdhsa_exception_fp_ieee_div_zero 0
		.amdhsa_exception_fp_ieee_overflow 0
		.amdhsa_exception_fp_ieee_underflow 0
		.amdhsa_exception_fp_ieee_inexact 0
		.amdhsa_exception_int_div_zero 0
	.end_amdhsa_kernel
	.section	.text._ZN2at6native39vectorized_templated_elementwise_kernelILi2ENS0_13BinaryFunctorIfffZNS0_12_GLOBAL__N_121threshold_kernel_implIfEEvRNS_18TensorIteratorBaseET_S7_EUlffE_EESt5arrayIPcLm3EE23TrivialOffsetCalculatorILi2EjESD_ILi1EjENS0_6memory12LoadWithCastILi2EEENSG_13StoreWithCastILi1EEEN3c104HalfEJSM_fEEEviT0_T1_T2_T3_T4_T5_,"axG",@progbits,_ZN2at6native39vectorized_templated_elementwise_kernelILi2ENS0_13BinaryFunctorIfffZNS0_12_GLOBAL__N_121threshold_kernel_implIfEEvRNS_18TensorIteratorBaseET_S7_EUlffE_EESt5arrayIPcLm3EE23TrivialOffsetCalculatorILi2EjESD_ILi1EjENS0_6memory12LoadWithCastILi2EEENSG_13StoreWithCastILi1EEEN3c104HalfEJSM_fEEEviT0_T1_T2_T3_T4_T5_,comdat
.Lfunc_end184:
	.size	_ZN2at6native39vectorized_templated_elementwise_kernelILi2ENS0_13BinaryFunctorIfffZNS0_12_GLOBAL__N_121threshold_kernel_implIfEEvRNS_18TensorIteratorBaseET_S7_EUlffE_EESt5arrayIPcLm3EE23TrivialOffsetCalculatorILi2EjESD_ILi1EjENS0_6memory12LoadWithCastILi2EEENSG_13StoreWithCastILi1EEEN3c104HalfEJSM_fEEEviT0_T1_T2_T3_T4_T5_, .Lfunc_end184-_ZN2at6native39vectorized_templated_elementwise_kernelILi2ENS0_13BinaryFunctorIfffZNS0_12_GLOBAL__N_121threshold_kernel_implIfEEvRNS_18TensorIteratorBaseET_S7_EUlffE_EESt5arrayIPcLm3EE23TrivialOffsetCalculatorILi2EjESD_ILi1EjENS0_6memory12LoadWithCastILi2EEENSG_13StoreWithCastILi1EEEN3c104HalfEJSM_fEEEviT0_T1_T2_T3_T4_T5_
                                        ; -- End function
	.set _ZN2at6native39vectorized_templated_elementwise_kernelILi2ENS0_13BinaryFunctorIfffZNS0_12_GLOBAL__N_121threshold_kernel_implIfEEvRNS_18TensorIteratorBaseET_S7_EUlffE_EESt5arrayIPcLm3EE23TrivialOffsetCalculatorILi2EjESD_ILi1EjENS0_6memory12LoadWithCastILi2EEENSG_13StoreWithCastILi1EEEN3c104HalfEJSM_fEEEviT0_T1_T2_T3_T4_T5_.num_vgpr, max(34, .L_ZN2at6native25elementwise_kernel_helperILb1ENS0_13BinaryFunctorIfffZNS0_12_GLOBAL__N_121threshold_kernel_implIfEEvRNS_18TensorIteratorBaseET_S7_EUlffE_EENS0_6memory8policies11unroll_baseILi512ESt5arrayIPcLm3EE23TrivialOffsetCalculatorILi2EjESG_ILi1EjENSA_12LoadWithCastILi2EEENSA_13StoreWithCastILi1EEELi32ELi1EEEEEvT0_T1_.num_vgpr)
	.set _ZN2at6native39vectorized_templated_elementwise_kernelILi2ENS0_13BinaryFunctorIfffZNS0_12_GLOBAL__N_121threshold_kernel_implIfEEvRNS_18TensorIteratorBaseET_S7_EUlffE_EESt5arrayIPcLm3EE23TrivialOffsetCalculatorILi2EjESD_ILi1EjENS0_6memory12LoadWithCastILi2EEENSG_13StoreWithCastILi1EEEN3c104HalfEJSM_fEEEviT0_T1_T2_T3_T4_T5_.num_agpr, max(0, .L_ZN2at6native25elementwise_kernel_helperILb1ENS0_13BinaryFunctorIfffZNS0_12_GLOBAL__N_121threshold_kernel_implIfEEvRNS_18TensorIteratorBaseET_S7_EUlffE_EENS0_6memory8policies11unroll_baseILi512ESt5arrayIPcLm3EE23TrivialOffsetCalculatorILi2EjESG_ILi1EjENSA_12LoadWithCastILi2EEENSA_13StoreWithCastILi1EEELi32ELi1EEEEEvT0_T1_.num_agpr)
	.set _ZN2at6native39vectorized_templated_elementwise_kernelILi2ENS0_13BinaryFunctorIfffZNS0_12_GLOBAL__N_121threshold_kernel_implIfEEvRNS_18TensorIteratorBaseET_S7_EUlffE_EESt5arrayIPcLm3EE23TrivialOffsetCalculatorILi2EjESD_ILi1EjENS0_6memory12LoadWithCastILi2EEENSG_13StoreWithCastILi1EEEN3c104HalfEJSM_fEEEviT0_T1_T2_T3_T4_T5_.numbered_sgpr, max(33, .L_ZN2at6native25elementwise_kernel_helperILb1ENS0_13BinaryFunctorIfffZNS0_12_GLOBAL__N_121threshold_kernel_implIfEEvRNS_18TensorIteratorBaseET_S7_EUlffE_EENS0_6memory8policies11unroll_baseILi512ESt5arrayIPcLm3EE23TrivialOffsetCalculatorILi2EjESG_ILi1EjENSA_12LoadWithCastILi2EEENSA_13StoreWithCastILi1EEELi32ELi1EEEEEvT0_T1_.numbered_sgpr)
	.set _ZN2at6native39vectorized_templated_elementwise_kernelILi2ENS0_13BinaryFunctorIfffZNS0_12_GLOBAL__N_121threshold_kernel_implIfEEvRNS_18TensorIteratorBaseET_S7_EUlffE_EESt5arrayIPcLm3EE23TrivialOffsetCalculatorILi2EjESD_ILi1EjENS0_6memory12LoadWithCastILi2EEENSG_13StoreWithCastILi1EEEN3c104HalfEJSM_fEEEviT0_T1_T2_T3_T4_T5_.num_named_barrier, max(0, .L_ZN2at6native25elementwise_kernel_helperILb1ENS0_13BinaryFunctorIfffZNS0_12_GLOBAL__N_121threshold_kernel_implIfEEvRNS_18TensorIteratorBaseET_S7_EUlffE_EENS0_6memory8policies11unroll_baseILi512ESt5arrayIPcLm3EE23TrivialOffsetCalculatorILi2EjESG_ILi1EjENSA_12LoadWithCastILi2EEENSA_13StoreWithCastILi1EEELi32ELi1EEEEEvT0_T1_.num_named_barrier)
	.set _ZN2at6native39vectorized_templated_elementwise_kernelILi2ENS0_13BinaryFunctorIfffZNS0_12_GLOBAL__N_121threshold_kernel_implIfEEvRNS_18TensorIteratorBaseET_S7_EUlffE_EESt5arrayIPcLm3EE23TrivialOffsetCalculatorILi2EjESD_ILi1EjENS0_6memory12LoadWithCastILi2EEENSG_13StoreWithCastILi1EEEN3c104HalfEJSM_fEEEviT0_T1_T2_T3_T4_T5_.private_seg_size, 0+max(.L_ZN2at6native25elementwise_kernel_helperILb1ENS0_13BinaryFunctorIfffZNS0_12_GLOBAL__N_121threshold_kernel_implIfEEvRNS_18TensorIteratorBaseET_S7_EUlffE_EENS0_6memory8policies11unroll_baseILi512ESt5arrayIPcLm3EE23TrivialOffsetCalculatorILi2EjESG_ILi1EjENSA_12LoadWithCastILi2EEENSA_13StoreWithCastILi1EEELi32ELi1EEEEEvT0_T1_.private_seg_size)
	.set _ZN2at6native39vectorized_templated_elementwise_kernelILi2ENS0_13BinaryFunctorIfffZNS0_12_GLOBAL__N_121threshold_kernel_implIfEEvRNS_18TensorIteratorBaseET_S7_EUlffE_EESt5arrayIPcLm3EE23TrivialOffsetCalculatorILi2EjESD_ILi1EjENS0_6memory12LoadWithCastILi2EEENSG_13StoreWithCastILi1EEEN3c104HalfEJSM_fEEEviT0_T1_T2_T3_T4_T5_.uses_vcc, or(1, .L_ZN2at6native25elementwise_kernel_helperILb1ENS0_13BinaryFunctorIfffZNS0_12_GLOBAL__N_121threshold_kernel_implIfEEvRNS_18TensorIteratorBaseET_S7_EUlffE_EENS0_6memory8policies11unroll_baseILi512ESt5arrayIPcLm3EE23TrivialOffsetCalculatorILi2EjESG_ILi1EjENSA_12LoadWithCastILi2EEENSA_13StoreWithCastILi1EEELi32ELi1EEEEEvT0_T1_.uses_vcc)
	.set _ZN2at6native39vectorized_templated_elementwise_kernelILi2ENS0_13BinaryFunctorIfffZNS0_12_GLOBAL__N_121threshold_kernel_implIfEEvRNS_18TensorIteratorBaseET_S7_EUlffE_EESt5arrayIPcLm3EE23TrivialOffsetCalculatorILi2EjESD_ILi1EjENS0_6memory12LoadWithCastILi2EEENSG_13StoreWithCastILi1EEEN3c104HalfEJSM_fEEEviT0_T1_T2_T3_T4_T5_.uses_flat_scratch, or(0, .L_ZN2at6native25elementwise_kernel_helperILb1ENS0_13BinaryFunctorIfffZNS0_12_GLOBAL__N_121threshold_kernel_implIfEEvRNS_18TensorIteratorBaseET_S7_EUlffE_EENS0_6memory8policies11unroll_baseILi512ESt5arrayIPcLm3EE23TrivialOffsetCalculatorILi2EjESG_ILi1EjENSA_12LoadWithCastILi2EEENSA_13StoreWithCastILi1EEELi32ELi1EEEEEvT0_T1_.uses_flat_scratch)
	.set _ZN2at6native39vectorized_templated_elementwise_kernelILi2ENS0_13BinaryFunctorIfffZNS0_12_GLOBAL__N_121threshold_kernel_implIfEEvRNS_18TensorIteratorBaseET_S7_EUlffE_EESt5arrayIPcLm3EE23TrivialOffsetCalculatorILi2EjESD_ILi1EjENS0_6memory12LoadWithCastILi2EEENSG_13StoreWithCastILi1EEEN3c104HalfEJSM_fEEEviT0_T1_T2_T3_T4_T5_.has_dyn_sized_stack, or(0, .L_ZN2at6native25elementwise_kernel_helperILb1ENS0_13BinaryFunctorIfffZNS0_12_GLOBAL__N_121threshold_kernel_implIfEEvRNS_18TensorIteratorBaseET_S7_EUlffE_EENS0_6memory8policies11unroll_baseILi512ESt5arrayIPcLm3EE23TrivialOffsetCalculatorILi2EjESG_ILi1EjENSA_12LoadWithCastILi2EEENSA_13StoreWithCastILi1EEELi32ELi1EEEEEvT0_T1_.has_dyn_sized_stack)
	.set _ZN2at6native39vectorized_templated_elementwise_kernelILi2ENS0_13BinaryFunctorIfffZNS0_12_GLOBAL__N_121threshold_kernel_implIfEEvRNS_18TensorIteratorBaseET_S7_EUlffE_EESt5arrayIPcLm3EE23TrivialOffsetCalculatorILi2EjESD_ILi1EjENS0_6memory12LoadWithCastILi2EEENSG_13StoreWithCastILi1EEEN3c104HalfEJSM_fEEEviT0_T1_T2_T3_T4_T5_.has_recursion, or(0, .L_ZN2at6native25elementwise_kernel_helperILb1ENS0_13BinaryFunctorIfffZNS0_12_GLOBAL__N_121threshold_kernel_implIfEEvRNS_18TensorIteratorBaseET_S7_EUlffE_EENS0_6memory8policies11unroll_baseILi512ESt5arrayIPcLm3EE23TrivialOffsetCalculatorILi2EjESG_ILi1EjENSA_12LoadWithCastILi2EEENSA_13StoreWithCastILi1EEELi32ELi1EEEEEvT0_T1_.has_recursion)
	.set _ZN2at6native39vectorized_templated_elementwise_kernelILi2ENS0_13BinaryFunctorIfffZNS0_12_GLOBAL__N_121threshold_kernel_implIfEEvRNS_18TensorIteratorBaseET_S7_EUlffE_EESt5arrayIPcLm3EE23TrivialOffsetCalculatorILi2EjESD_ILi1EjENS0_6memory12LoadWithCastILi2EEENSG_13StoreWithCastILi1EEEN3c104HalfEJSM_fEEEviT0_T1_T2_T3_T4_T5_.has_indirect_call, or(0, .L_ZN2at6native25elementwise_kernel_helperILb1ENS0_13BinaryFunctorIfffZNS0_12_GLOBAL__N_121threshold_kernel_implIfEEvRNS_18TensorIteratorBaseET_S7_EUlffE_EENS0_6memory8policies11unroll_baseILi512ESt5arrayIPcLm3EE23TrivialOffsetCalculatorILi2EjESG_ILi1EjENSA_12LoadWithCastILi2EEENSA_13StoreWithCastILi1EEELi32ELi1EEEEEvT0_T1_.has_indirect_call)
	.section	.AMDGPU.csdata,"",@progbits
; Kernel info:
; codeLenInByte = 1828
; TotalNumSgprs: 102
; NumVgprs: 119
; ScratchSize: 272
; MemoryBound: 0
; FloatMode: 240
; IeeeMode: 1
; LDSByteSize: 0 bytes/workgroup (compile time only)
; SGPRBlocks: 12
; VGPRBlocks: 29
; NumSGPRsForWavesPerEU: 102
; NumVGPRsForWavesPerEU: 119
; Occupancy: 2
; WaveLimiterHint : 0
; COMPUTE_PGM_RSRC2:SCRATCH_EN: 1
; COMPUTE_PGM_RSRC2:USER_SGPR: 6
; COMPUTE_PGM_RSRC2:TRAP_HANDLER: 0
; COMPUTE_PGM_RSRC2:TGID_X_EN: 1
; COMPUTE_PGM_RSRC2:TGID_Y_EN: 0
; COMPUTE_PGM_RSRC2:TGID_Z_EN: 0
; COMPUTE_PGM_RSRC2:TIDIG_COMP_CNT: 0
	.section	.text._ZN2at6native32elementwise_kernel_manual_unrollILi128ELi4EZNS0_15gpu_kernel_implINS0_13BinaryFunctorIfffZNS0_12_GLOBAL__N_121threshold_kernel_implIfEEvRNS_18TensorIteratorBaseET_S8_EUlffE_EEEEvS7_RKS8_EUlibE_EEviT1_,"axG",@progbits,_ZN2at6native32elementwise_kernel_manual_unrollILi128ELi4EZNS0_15gpu_kernel_implINS0_13BinaryFunctorIfffZNS0_12_GLOBAL__N_121threshold_kernel_implIfEEvRNS_18TensorIteratorBaseET_S8_EUlffE_EEEEvS7_RKS8_EUlibE_EEviT1_,comdat
	.globl	_ZN2at6native32elementwise_kernel_manual_unrollILi128ELi4EZNS0_15gpu_kernel_implINS0_13BinaryFunctorIfffZNS0_12_GLOBAL__N_121threshold_kernel_implIfEEvRNS_18TensorIteratorBaseET_S8_EUlffE_EEEEvS7_RKS8_EUlibE_EEviT1_ ; -- Begin function _ZN2at6native32elementwise_kernel_manual_unrollILi128ELi4EZNS0_15gpu_kernel_implINS0_13BinaryFunctorIfffZNS0_12_GLOBAL__N_121threshold_kernel_implIfEEvRNS_18TensorIteratorBaseET_S8_EUlffE_EEEEvS7_RKS8_EUlibE_EEviT1_
	.p2align	8
	.type	_ZN2at6native32elementwise_kernel_manual_unrollILi128ELi4EZNS0_15gpu_kernel_implINS0_13BinaryFunctorIfffZNS0_12_GLOBAL__N_121threshold_kernel_implIfEEvRNS_18TensorIteratorBaseET_S8_EUlffE_EEEEvS7_RKS8_EUlibE_EEviT1_,@function
_ZN2at6native32elementwise_kernel_manual_unrollILi128ELi4EZNS0_15gpu_kernel_implINS0_13BinaryFunctorIfffZNS0_12_GLOBAL__N_121threshold_kernel_implIfEEvRNS_18TensorIteratorBaseET_S8_EUlffE_EEEEvS7_RKS8_EUlibE_EEviT1_: ; @_ZN2at6native32elementwise_kernel_manual_unrollILi128ELi4EZNS0_15gpu_kernel_implINS0_13BinaryFunctorIfffZNS0_12_GLOBAL__N_121threshold_kernel_implIfEEvRNS_18TensorIteratorBaseET_S8_EUlffE_EEEEvS7_RKS8_EUlibE_EEviT1_
; %bb.0:
	s_load_dwordx2 s[2:3], s[4:5], 0x30
	s_load_dword s50, s[4:5], 0x0
	s_load_dwordx4 s[8:11], s[4:5], 0x8
	s_load_dwordx2 s[16:17], s[4:5], 0x18
	s_load_dwordx4 s[12:15], s[4:5], 0x20
	v_lshl_or_b32 v4, s6, 9, v0
	v_or_b32_e32 v0, 0x180, v4
	s_waitcnt lgkmcnt(0)
	s_lshr_b32 s56, s3, 8
	s_lshr_b32 s33, s3, 16
	v_cmp_le_i32_e32 vcc, s50, v0
	s_mov_b64 s[4:5], 0
	s_mov_b64 s[18:19], 0
	s_and_saveexec_b64 s[0:1], vcc
	s_xor_b64 s[6:7], exec, s[0:1]
	s_cbranch_execz .LBB185_1544
; %bb.1:
	v_cmp_gt_i32_e32 vcc, s50, v4
	s_mov_b64 s[0:1], -1
	s_mov_b64 s[28:29], 0
	s_mov_b64 s[22:23], 0
	;; [unrolled: 1-line block ×3, first 2 shown]
	s_and_saveexec_b64 s[24:25], vcc
	s_cbranch_execz .LBB185_383
; %bb.2:
	v_mul_lo_u32 v0, v4, s13
	v_mov_b32_e32 v1, s11
	s_and_b32 s26, s56, 0xff
	s_cmp_lt_i32 s26, 11
	v_ashrrev_i32_e32 v2, 31, v0
	v_add_co_u32_e32 v0, vcc, s10, v0
	v_addc_co_u32_e32 v1, vcc, v1, v2, vcc
	s_cbranch_scc1 .LBB185_9
; %bb.3:
	s_and_b32 s27, 0xffff, s26
	s_cmp_gt_i32 s27, 25
	s_cbranch_scc0 .LBB185_18
; %bb.4:
	s_cmp_gt_i32 s27, 28
	s_cbranch_scc0 .LBB185_28
; %bb.5:
	;; [unrolled: 3-line block ×4, first 2 shown]
	s_cmp_eq_u32 s27, 46
	s_cbranch_scc0 .LBB185_37
; %bb.8:
	global_load_dword v2, v[0:1], off
	s_waitcnt vmcnt(0)
	v_lshlrev_b32_e32 v2, 16, v2
	s_branch .LBB185_39
.LBB185_9:
                                        ; implicit-def: $vgpr2
	s_mov_b64 s[0:1], 0
	s_cbranch_execnz .LBB185_105
.LBB185_10:
	s_andn2_b64 vcc, exec, s[0:1]
	s_cbranch_vccnz .LBB185_152
.LBB185_11:
	v_mul_lo_u32 v0, v4, s14
	v_mov_b32_e32 v1, s17
	s_and_b32 s30, s33, 0xff
	s_cmp_lt_i32 s30, 11
	v_ashrrev_i32_e32 v3, 31, v0
	v_add_co_u32_e32 v0, vcc, s16, v0
	v_addc_co_u32_e32 v1, vcc, v1, v3, vcc
	s_cbranch_scc1 .LBB185_19
; %bb.12:
	s_and_b32 s31, 0xffff, s30
	s_cmp_gt_i32 s31, 25
	s_cbranch_scc0 .LBB185_29
; %bb.13:
	s_cmp_gt_i32 s31, 28
	s_cbranch_scc0 .LBB185_32
; %bb.14:
	;; [unrolled: 3-line block ×4, first 2 shown]
	s_cmp_eq_u32 s31, 46
	s_mov_b64 s[18:19], 0
	s_cbranch_scc0 .LBB185_153
; %bb.17:
	global_load_dword v3, v[0:1], off
	s_mov_b64 s[0:1], -1
	s_mov_b64 s[20:21], 0
	s_waitcnt vmcnt(0)
	v_lshlrev_b32_e32 v3, 16, v3
	s_branch .LBB185_155
.LBB185_18:
	s_mov_b64 s[0:1], 0
                                        ; implicit-def: $vgpr2
	s_cbranch_execnz .LBB185_70
	s_branch .LBB185_104
.LBB185_19:
	s_mov_b64 s[20:21], 0
                                        ; implicit-def: $vgpr3
	s_mov_b64 s[0:1], 0
	s_cbranch_execnz .LBB185_332
.LBB185_20:
	s_andn2_b64 vcc, exec, s[0:1]
	s_cbranch_vccnz .LBB185_380
.LBB185_21:
	v_mul_lo_u32 v0, v4, s12
	v_mov_b32_e32 v1, s2
	s_waitcnt vmcnt(0)
	v_cmp_nge_f32_e32 vcc, s15, v2
	v_cndmask_b32_e32 v2, v1, v3, vcc
	v_ashrrev_i32_e32 v1, 31, v0
	v_mov_b32_e32 v3, s9
	s_and_b32 s34, s3, 0xff
	v_add_co_u32_e32 v0, vcc, s8, v0
	s_cmp_lt_i32 s34, 11
	v_addc_co_u32_e32 v1, vcc, v3, v1, vcc
	s_cbranch_scc1 .LBB185_30
; %bb.22:
	s_and_b32 s35, 0xffff, s34
	s_cmp_gt_i32 s35, 25
	s_cbranch_scc0 .LBB185_33
; %bb.23:
	s_cmp_gt_i32 s35, 28
	s_cbranch_scc0 .LBB185_36
; %bb.24:
	;; [unrolled: 3-line block ×4, first 2 shown]
	s_mov_b64 s[26:27], 0
	s_mov_b64 s[0:1], -1
	s_cmp_eq_u32 s35, 46
	s_mov_b64 s[18:19], 0
	s_cbranch_scc0 .LBB185_159
; %bb.27:
	v_bfe_u32 v3, v2, 16, 1
	s_movk_i32 s0, 0x7fff
	v_add3_u32 v3, v2, v3, s0
	v_cmp_o_f32_e32 vcc, v2, v2
	v_mov_b32_e32 v5, 0x7fc0
	v_cndmask_b32_sdwa v3, v5, v3, vcc dst_sel:DWORD dst_unused:UNUSED_PAD src0_sel:DWORD src1_sel:WORD_1
	global_store_dword v[0:1], v3, off
	s_mov_b64 s[18:19], -1
	s_mov_b64 s[0:1], 0
	s_branch .LBB185_159
.LBB185_28:
	s_mov_b64 s[18:19], -1
	s_mov_b64 s[0:1], 0
                                        ; implicit-def: $vgpr2
	s_branch .LBB185_51
.LBB185_29:
	s_mov_b64 s[18:19], -1
	s_mov_b64 s[20:21], 0
	s_mov_b64 s[0:1], 0
                                        ; implicit-def: $vgpr3
	s_branch .LBB185_296
.LBB185_30:
	s_mov_b64 s[26:27], -1
	s_mov_b64 s[0:1], 0
	s_mov_b64 s[18:19], 0
	s_branch .LBB185_228
.LBB185_31:
	s_mov_b64 s[18:19], -1
	s_mov_b64 s[0:1], 0
                                        ; implicit-def: $vgpr2
	s_branch .LBB185_46
.LBB185_32:
	s_mov_b64 s[18:19], -1
	s_mov_b64 s[20:21], 0
	s_mov_b64 s[0:1], 0
                                        ; implicit-def: $vgpr3
	s_branch .LBB185_277
.LBB185_33:
	s_mov_b64 s[26:27], -1
	s_mov_b64 s[0:1], 0
	s_mov_b64 s[18:19], 0
	s_branch .LBB185_186
.LBB185_34:
	s_mov_b64 s[18:19], -1
	s_branch .LBB185_38
.LBB185_35:
	s_mov_b64 s[18:19], -1
	s_mov_b64 s[20:21], 0
	s_mov_b64 s[0:1], 0
                                        ; implicit-def: $vgpr3
	s_branch .LBB185_272
.LBB185_36:
	s_mov_b64 s[26:27], -1
	s_mov_b64 s[0:1], 0
	s_mov_b64 s[18:19], 0
	s_branch .LBB185_169
.LBB185_37:
	s_mov_b64 s[22:23], -1
.LBB185_38:
	s_mov_b64 s[0:1], 0
                                        ; implicit-def: $vgpr2
.LBB185_39:
	s_and_b64 vcc, exec, s[18:19]
	s_cbranch_vccz .LBB185_45
; %bb.40:
	s_cmp_eq_u32 s27, 44
	s_cbranch_scc0 .LBB185_44
; %bb.41:
	global_load_ubyte v2, v[0:1], off
	s_movk_i32 s18, 0xff
	v_mov_b32_e32 v3, 0x7f800001
	v_mov_b32_e32 v5, 0x400000
	s_mov_b64 s[0:1], -1
	s_mov_b64 s[22:23], 0
	s_waitcnt vmcnt(0)
	v_lshlrev_b32_e32 v6, 23, v2
	v_cmp_ne_u32_e32 vcc, s18, v2
	v_cndmask_b32_e32 v3, v3, v6, vcc
	v_cmp_ne_u32_e32 vcc, 0, v2
	v_cndmask_b32_e32 v2, v5, v3, vcc
	s_branch .LBB185_45
.LBB185_42:
	s_mov_b64 s[18:19], -1
	s_mov_b64 s[20:21], 0
	s_branch .LBB185_154
.LBB185_43:
	s_mov_b64 s[26:27], -1
	s_mov_b64 s[0:1], 0
	s_mov_b64 s[18:19], 0
	s_branch .LBB185_165
.LBB185_44:
	s_mov_b64 s[22:23], -1
                                        ; implicit-def: $vgpr2
.LBB185_45:
	s_mov_b64 s[18:19], 0
.LBB185_46:
	s_and_b64 vcc, exec, s[18:19]
	s_cbranch_vccz .LBB185_50
; %bb.47:
	s_cmp_eq_u32 s27, 29
	s_cbranch_scc0 .LBB185_49
; %bb.48:
	global_load_dwordx2 v[2:3], v[0:1], off
	s_mov_b64 s[0:1], -1
	s_mov_b64 s[22:23], 0
	s_mov_b64 s[18:19], 0
	s_waitcnt vmcnt(0)
	v_ffbh_u32_e32 v5, v3
	v_min_u32_e32 v5, 32, v5
	v_lshlrev_b64 v[2:3], v5, v[2:3]
	v_min_u32_e32 v2, 1, v2
	v_or_b32_e32 v2, v3, v2
	v_cvt_f32_u32_e32 v2, v2
	v_sub_u32_e32 v3, 32, v5
	v_ldexp_f32 v2, v2, v3
	s_branch .LBB185_51
.LBB185_49:
	s_mov_b64 s[22:23], -1
                                        ; implicit-def: $vgpr2
.LBB185_50:
	s_mov_b64 s[18:19], 0
.LBB185_51:
	s_and_b64 vcc, exec, s[18:19]
	s_cbranch_vccz .LBB185_69
; %bb.52:
	s_cmp_lt_i32 s27, 27
	s_cbranch_scc1 .LBB185_55
; %bb.53:
	s_cmp_gt_i32 s27, 27
	s_cbranch_scc0 .LBB185_56
; %bb.54:
	global_load_dword v2, v[0:1], off
	s_mov_b64 s[0:1], 0
	s_waitcnt vmcnt(0)
	v_cvt_f32_u32_e32 v2, v2
	s_branch .LBB185_57
.LBB185_55:
	s_mov_b64 s[0:1], -1
                                        ; implicit-def: $vgpr2
	s_branch .LBB185_60
.LBB185_56:
	s_mov_b64 s[0:1], -1
                                        ; implicit-def: $vgpr2
.LBB185_57:
	s_andn2_b64 vcc, exec, s[0:1]
	s_cbranch_vccnz .LBB185_59
; %bb.58:
	global_load_ushort v2, v[0:1], off
	s_waitcnt vmcnt(0)
	v_cvt_f32_u32_e32 v2, v2
.LBB185_59:
	s_mov_b64 s[0:1], 0
.LBB185_60:
	s_andn2_b64 vcc, exec, s[0:1]
	s_cbranch_vccnz .LBB185_68
; %bb.61:
	global_load_ubyte v3, v[0:1], off
	s_movk_i32 s0, 0x7f
	s_waitcnt vmcnt(0)
	v_cmp_lt_i16_e32 vcc, s0, v3
	s_mov_b64 s[0:1], 0
	s_and_saveexec_b64 s[18:19], vcc
	s_xor_b64 s[18:19], exec, s[18:19]
	s_cbranch_execz .LBB185_81
; %bb.62:
	s_movk_i32 s0, 0x80
	v_cmp_eq_u16_e32 vcc, s0, v3
	s_mov_b64 s[0:1], -1
	s_and_saveexec_b64 s[20:21], vcc
; %bb.63:
	s_xor_b64 s[0:1], exec, -1
; %bb.64:
	s_or_b64 exec, exec, s[20:21]
	s_and_b64 s[0:1], s[0:1], exec
	s_or_saveexec_b64 s[18:19], s[18:19]
	v_mov_b32_e32 v2, 0x7f800001
	s_xor_b64 exec, exec, s[18:19]
	s_cbranch_execnz .LBB185_82
.LBB185_65:
	s_or_b64 exec, exec, s[18:19]
	s_and_saveexec_b64 s[18:19], s[0:1]
	s_cbranch_execz .LBB185_67
.LBB185_66:
	v_lshlrev_b32_e32 v2, 24, v3
	v_and_b32_e32 v3, 0xffff, v3
	v_and_b32_e32 v5, 7, v3
	v_ffbh_u32_e32 v7, v5
	v_min_u32_e32 v7, 32, v7
	v_subrev_u32_e32 v8, 28, v7
	v_bfe_u32 v6, v3, 3, 4
	v_lshlrev_b32_e32 v3, v8, v3
	v_sub_u32_e32 v7, 29, v7
	v_and_b32_e32 v3, 7, v3
	v_cmp_eq_u32_e32 vcc, 0, v6
	v_cndmask_b32_e32 v6, v6, v7, vcc
	v_cndmask_b32_e32 v3, v5, v3, vcc
	v_mov_b32_e32 v5, 0x3b800000
	v_lshlrev_b32_e32 v3, 20, v3
	v_and_b32_e32 v2, 0x80000000, v2
	v_lshl_add_u32 v5, v6, 23, v5
	v_or3_b32 v2, v2, v5, v3
.LBB185_67:
	s_or_b64 exec, exec, s[18:19]
.LBB185_68:
	s_mov_b64 s[0:1], -1
.LBB185_69:
	s_branch .LBB185_104
.LBB185_70:
	s_cmp_gt_i32 s27, 22
	s_cbranch_scc0 .LBB185_80
; %bb.71:
	s_cmp_lt_i32 s27, 24
	s_cbranch_scc1 .LBB185_83
; %bb.72:
	s_cmp_gt_i32 s27, 24
	s_cbranch_scc0 .LBB185_84
; %bb.73:
	global_load_ubyte v3, v[0:1], off
	s_movk_i32 s0, 0x7f
	s_waitcnt vmcnt(0)
	v_cmp_lt_i16_e32 vcc, s0, v3
	s_mov_b64 s[0:1], 0
	s_and_saveexec_b64 s[18:19], vcc
	s_xor_b64 s[18:19], exec, s[18:19]
	s_cbranch_execz .LBB185_96
; %bb.74:
	s_movk_i32 s0, 0x80
	v_cmp_eq_u16_e32 vcc, s0, v3
	s_mov_b64 s[0:1], -1
	s_and_saveexec_b64 s[20:21], vcc
; %bb.75:
	s_xor_b64 s[0:1], exec, -1
; %bb.76:
	s_or_b64 exec, exec, s[20:21]
	s_and_b64 s[0:1], s[0:1], exec
	s_or_saveexec_b64 s[18:19], s[18:19]
	v_mov_b32_e32 v2, 0x7f800001
	s_xor_b64 exec, exec, s[18:19]
	s_cbranch_execnz .LBB185_97
.LBB185_77:
	s_or_b64 exec, exec, s[18:19]
	s_and_saveexec_b64 s[18:19], s[0:1]
	s_cbranch_execz .LBB185_79
.LBB185_78:
	v_lshlrev_b32_e32 v2, 24, v3
	v_and_b32_e32 v3, 0xffff, v3
	v_and_b32_e32 v5, 3, v3
	v_ffbh_u32_e32 v7, v5
	v_min_u32_e32 v7, 32, v7
	v_subrev_u32_e32 v8, 29, v7
	v_bfe_u32 v6, v3, 2, 5
	v_lshlrev_b32_e32 v3, v8, v3
	v_sub_u32_e32 v7, 30, v7
	v_and_b32_e32 v3, 3, v3
	v_cmp_eq_u32_e32 vcc, 0, v6
	v_cndmask_b32_e32 v6, v6, v7, vcc
	v_cndmask_b32_e32 v3, v5, v3, vcc
	v_mov_b32_e32 v5, 0x37800000
	v_lshlrev_b32_e32 v3, 21, v3
	v_and_b32_e32 v2, 0x80000000, v2
	v_lshl_add_u32 v5, v6, 23, v5
	v_or3_b32 v2, v2, v5, v3
.LBB185_79:
	s_or_b64 exec, exec, s[18:19]
	s_mov_b64 s[0:1], 0
	s_branch .LBB185_85
.LBB185_80:
	s_mov_b64 s[18:19], -1
                                        ; implicit-def: $vgpr2
	s_branch .LBB185_91
.LBB185_81:
	s_or_saveexec_b64 s[18:19], s[18:19]
	v_mov_b32_e32 v2, 0x7f800001
	s_xor_b64 exec, exec, s[18:19]
	s_cbranch_execz .LBB185_65
.LBB185_82:
	v_cmp_ne_u16_e32 vcc, 0, v3
	s_andn2_b64 s[0:1], s[0:1], exec
	s_and_b64 s[20:21], vcc, exec
	v_mov_b32_e32 v2, 0
	s_or_b64 s[0:1], s[0:1], s[20:21]
	s_or_b64 exec, exec, s[18:19]
	s_and_saveexec_b64 s[18:19], s[0:1]
	s_cbranch_execnz .LBB185_66
	s_branch .LBB185_67
.LBB185_83:
	s_mov_b64 s[0:1], -1
                                        ; implicit-def: $vgpr2
	s_branch .LBB185_88
.LBB185_84:
	s_mov_b64 s[0:1], -1
                                        ; implicit-def: $vgpr2
.LBB185_85:
	s_and_b64 vcc, exec, s[0:1]
	s_cbranch_vccz .LBB185_87
; %bb.86:
	global_load_ubyte v2, v[0:1], off
	s_mov_b32 s0, 0x7f800000
	s_waitcnt vmcnt(0)
	v_lshlrev_b32_e32 v2, 24, v2
	v_and_b32_e32 v3, 0x7f000000, v2
	v_ffbh_u32_e32 v5, v3
	v_min_u32_e32 v5, 32, v5
	v_sub_u32_e64 v5, v5, 4 clamp
	v_lshlrev_b32_e32 v7, v5, v3
	v_lshlrev_b32_e32 v5, 23, v5
	v_lshrrev_b32_e32 v7, 4, v7
	v_add_u32_e32 v6, 0x1000000, v3
	v_sub_u32_e32 v5, v7, v5
	v_ashrrev_i32_e32 v6, 8, v6
	v_add_u32_e32 v5, 0x3c000000, v5
	v_and_or_b32 v5, v6, s0, v5
	v_cmp_ne_u32_e32 vcc, 0, v3
	v_cndmask_b32_e32 v3, 0, v5, vcc
	s_brev_b32 s0, 1
	v_and_or_b32 v2, v2, s0, v3
.LBB185_87:
	s_mov_b64 s[0:1], 0
.LBB185_88:
	s_andn2_b64 vcc, exec, s[0:1]
	s_cbranch_vccnz .LBB185_90
; %bb.89:
	global_load_ubyte v2, v[0:1], off
	s_movk_i32 s0, 0x7f00
	s_brev_b32 s1, 16
	s_waitcnt vmcnt(0)
	v_lshlrev_b16_e32 v3, 8, v2
	v_lshlrev_b32_e32 v2, 25, v2
	v_lshrrev_b32_e32 v5, 4, v2
	v_and_or_b32 v6, v3, s0, 0.5
	v_or_b32_e32 v5, 0x70000000, v5
	v_add_f32_e32 v6, -0.5, v6
	v_mul_f32_e32 v5, 0x7800000, v5
	v_cmp_gt_u32_e32 vcc, s1, v2
	v_bfe_i32 v3, v3, 0, 16
	v_cndmask_b32_e32 v2, v5, v6, vcc
	s_brev_b32 s0, 1
	v_and_or_b32 v2, v3, s0, v2
.LBB185_90:
	s_mov_b64 s[18:19], 0
	s_mov_b64 s[0:1], -1
.LBB185_91:
	s_andn2_b64 vcc, exec, s[18:19]
	s_cbranch_vccnz .LBB185_104
; %bb.92:
	s_cmp_gt_i32 s27, 14
	s_cbranch_scc0 .LBB185_95
; %bb.93:
	s_cmp_eq_u32 s27, 15
	s_cbranch_scc0 .LBB185_98
; %bb.94:
	global_load_ushort v2, v[0:1], off
	s_mov_b64 s[0:1], -1
	s_mov_b64 s[22:23], 0
	s_waitcnt vmcnt(0)
	v_lshlrev_b32_e32 v2, 16, v2
	s_branch .LBB185_99
.LBB185_95:
	s_mov_b64 s[18:19], -1
                                        ; implicit-def: $vgpr2
	s_branch .LBB185_100
.LBB185_96:
	s_or_saveexec_b64 s[18:19], s[18:19]
	v_mov_b32_e32 v2, 0x7f800001
	s_xor_b64 exec, exec, s[18:19]
	s_cbranch_execz .LBB185_77
.LBB185_97:
	v_cmp_ne_u16_e32 vcc, 0, v3
	s_andn2_b64 s[0:1], s[0:1], exec
	s_and_b64 s[20:21], vcc, exec
	v_mov_b32_e32 v2, 0
	s_or_b64 s[0:1], s[0:1], s[20:21]
	s_or_b64 exec, exec, s[18:19]
	s_and_saveexec_b64 s[18:19], s[0:1]
	s_cbranch_execnz .LBB185_78
	s_branch .LBB185_79
.LBB185_98:
	s_mov_b64 s[22:23], -1
                                        ; implicit-def: $vgpr2
.LBB185_99:
	s_mov_b64 s[18:19], 0
.LBB185_100:
	s_and_b64 vcc, exec, s[18:19]
	s_cbranch_vccz .LBB185_104
; %bb.101:
	s_cmp_eq_u32 s27, 11
	s_cbranch_scc0 .LBB185_103
; %bb.102:
	global_load_ubyte v2, v[0:1], off
	s_mov_b64 s[0:1], -1
	s_mov_b64 s[22:23], 0
	s_waitcnt vmcnt(0)
	v_cmp_ne_u16_e32 vcc, 0, v2
	v_cndmask_b32_e64 v2, 0, 1.0, vcc
	s_branch .LBB185_104
.LBB185_103:
	s_mov_b64 s[22:23], -1
                                        ; implicit-def: $vgpr2
.LBB185_104:
	s_branch .LBB185_10
.LBB185_105:
	s_and_b32 s18, 0xffff, s26
	s_cmp_lt_i32 s18, 5
	s_cbranch_scc1 .LBB185_110
; %bb.106:
	s_cmp_lt_i32 s18, 8
	s_cbranch_scc1 .LBB185_111
; %bb.107:
	;; [unrolled: 3-line block ×3, first 2 shown]
	s_cmp_gt_i32 s18, 9
	s_cbranch_scc0 .LBB185_113
; %bb.109:
	global_load_dwordx2 v[2:3], v[0:1], off
	s_mov_b64 s[0:1], 0
	s_waitcnt vmcnt(0)
	v_cvt_f32_f64_e32 v2, v[2:3]
	s_branch .LBB185_114
.LBB185_110:
                                        ; implicit-def: $vgpr2
	s_branch .LBB185_132
.LBB185_111:
	s_mov_b64 s[0:1], -1
                                        ; implicit-def: $vgpr2
	s_branch .LBB185_120
.LBB185_112:
	s_mov_b64 s[0:1], -1
                                        ; implicit-def: $vgpr2
	s_branch .LBB185_117
.LBB185_113:
	s_mov_b64 s[0:1], -1
                                        ; implicit-def: $vgpr2
.LBB185_114:
	s_andn2_b64 vcc, exec, s[0:1]
	s_cbranch_vccnz .LBB185_116
; %bb.115:
	global_load_dword v2, v[0:1], off
.LBB185_116:
	s_mov_b64 s[0:1], 0
.LBB185_117:
	s_andn2_b64 vcc, exec, s[0:1]
	s_cbranch_vccnz .LBB185_119
; %bb.118:
	global_load_dword v2, v[0:1], off
	s_waitcnt vmcnt(0)
	v_cvt_f32_f16_e32 v2, v2
.LBB185_119:
	s_mov_b64 s[0:1], 0
.LBB185_120:
	s_andn2_b64 vcc, exec, s[0:1]
	s_cbranch_vccnz .LBB185_131
; %bb.121:
	s_cmp_lt_i32 s18, 6
	s_cbranch_scc1 .LBB185_124
; %bb.122:
	s_cmp_gt_i32 s18, 6
	s_cbranch_scc0 .LBB185_125
; %bb.123:
	global_load_dwordx2 v[2:3], v[0:1], off
	s_mov_b64 s[0:1], 0
	s_waitcnt vmcnt(0)
	v_cvt_f32_f64_e32 v2, v[2:3]
	s_branch .LBB185_126
.LBB185_124:
	s_mov_b64 s[0:1], -1
                                        ; implicit-def: $vgpr2
	s_branch .LBB185_129
.LBB185_125:
	s_mov_b64 s[0:1], -1
                                        ; implicit-def: $vgpr2
.LBB185_126:
	s_andn2_b64 vcc, exec, s[0:1]
	s_cbranch_vccnz .LBB185_128
; %bb.127:
	global_load_dword v2, v[0:1], off
.LBB185_128:
	s_mov_b64 s[0:1], 0
.LBB185_129:
	s_andn2_b64 vcc, exec, s[0:1]
	s_cbranch_vccnz .LBB185_131
; %bb.130:
	global_load_ushort v2, v[0:1], off
	s_waitcnt vmcnt(0)
	v_cvt_f32_f16_e32 v2, v2
.LBB185_131:
	s_cbranch_execnz .LBB185_151
.LBB185_132:
	s_cmp_lt_i32 s18, 2
	s_cbranch_scc1 .LBB185_136
; %bb.133:
	s_cmp_lt_i32 s18, 3
	s_cbranch_scc1 .LBB185_137
; %bb.134:
	s_cmp_gt_i32 s18, 3
	s_cbranch_scc0 .LBB185_138
; %bb.135:
	global_load_dwordx2 v[2:3], v[0:1], off
	s_mov_b64 s[0:1], 0
	s_waitcnt vmcnt(0)
	v_xor_b32_e32 v6, v2, v3
	v_ffbh_i32_e32 v5, v3
	v_ashrrev_i32_e32 v6, 31, v6
	v_add_u32_e32 v5, -1, v5
	v_add_u32_e32 v6, 32, v6
	v_min_u32_e32 v5, v5, v6
	v_lshlrev_b64 v[2:3], v5, v[2:3]
	v_min_u32_e32 v2, 1, v2
	v_or_b32_e32 v2, v3, v2
	v_cvt_f32_i32_e32 v2, v2
	v_sub_u32_e32 v3, 32, v5
	v_ldexp_f32 v2, v2, v3
	s_branch .LBB185_139
.LBB185_136:
	s_mov_b64 s[0:1], -1
                                        ; implicit-def: $vgpr2
	s_branch .LBB185_145
.LBB185_137:
	s_mov_b64 s[0:1], -1
                                        ; implicit-def: $vgpr2
	s_branch .LBB185_142
.LBB185_138:
	s_mov_b64 s[0:1], -1
                                        ; implicit-def: $vgpr2
.LBB185_139:
	s_andn2_b64 vcc, exec, s[0:1]
	s_cbranch_vccnz .LBB185_141
; %bb.140:
	global_load_dword v2, v[0:1], off
	s_waitcnt vmcnt(0)
	v_cvt_f32_i32_e32 v2, v2
.LBB185_141:
	s_mov_b64 s[0:1], 0
.LBB185_142:
	s_andn2_b64 vcc, exec, s[0:1]
	s_cbranch_vccnz .LBB185_144
; %bb.143:
	global_load_sshort v2, v[0:1], off
	s_waitcnt vmcnt(0)
	v_cvt_f32_i32_e32 v2, v2
.LBB185_144:
	s_mov_b64 s[0:1], 0
.LBB185_145:
	s_andn2_b64 vcc, exec, s[0:1]
	s_cbranch_vccnz .LBB185_151
; %bb.146:
	s_cmp_gt_i32 s18, 0
	s_cbranch_scc0 .LBB185_148
; %bb.147:
	global_load_sbyte v2, v[0:1], off
	s_mov_b64 s[0:1], 0
	s_waitcnt vmcnt(0)
	v_cvt_f32_i32_e32 v2, v2
	s_branch .LBB185_149
.LBB185_148:
	s_mov_b64 s[0:1], -1
                                        ; implicit-def: $vgpr2
.LBB185_149:
	s_andn2_b64 vcc, exec, s[0:1]
	s_cbranch_vccnz .LBB185_151
; %bb.150:
	global_load_ubyte v0, v[0:1], off
	s_waitcnt vmcnt(0)
	v_cvt_f32_ubyte0_e32 v2, v0
.LBB185_151:
	s_branch .LBB185_11
.LBB185_152:
	s_mov_b64 s[0:1], 0
	s_mov_b64 s[20:21], 0
	s_branch .LBB185_381
.LBB185_153:
	s_mov_b64 s[20:21], -1
.LBB185_154:
	s_mov_b64 s[0:1], 0
                                        ; implicit-def: $vgpr3
.LBB185_155:
	s_and_b64 vcc, exec, s[18:19]
	s_cbranch_vccz .LBB185_271
; %bb.156:
	s_cmp_eq_u32 s31, 44
	s_cbranch_scc0 .LBB185_270
; %bb.157:
	global_load_ubyte v3, v[0:1], off
	s_movk_i32 s18, 0xff
	v_mov_b32_e32 v5, 0x7f800001
	v_mov_b32_e32 v6, 0x400000
	s_mov_b64 s[0:1], -1
	s_mov_b64 s[20:21], 0
	s_waitcnt vmcnt(0)
	v_lshlrev_b32_e32 v7, 23, v3
	v_cmp_ne_u32_e32 vcc, s18, v3
	v_cndmask_b32_e32 v5, v5, v7, vcc
	v_cmp_ne_u32_e32 vcc, 0, v3
	v_cndmask_b32_e32 v3, v6, v5, vcc
	s_branch .LBB185_271
.LBB185_158:
	s_mov_b64 s[26:27], -1
	s_mov_b64 s[0:1], 0
	s_mov_b64 s[18:19], 0
.LBB185_159:
	s_and_b64 vcc, exec, s[26:27]
	s_cbranch_vccz .LBB185_164
; %bb.160:
	s_cmp_eq_u32 s35, 44
	s_mov_b64 s[0:1], -1
	s_cbranch_scc0 .LBB185_164
; %bb.161:
	v_bfe_u32 v3, v2, 23, 8
	s_movk_i32 s0, 0xff
	v_cmp_ne_u32_e32 vcc, s0, v3
	v_mov_b32_e32 v5, 0xff
	s_and_saveexec_b64 s[18:19], vcc
; %bb.162:
	s_mov_b32 s0, 0x3fffff
	v_and_b32_e32 v6, 0x400000, v2
	v_and_or_b32 v3, v2, s0, v3
	v_cmp_ne_u32_e32 vcc, 0, v6
	v_cmp_ne_u32_e64 s[0:1], 0, v3
	s_and_b64 s[0:1], vcc, s[0:1]
	v_lshrrev_b32_e32 v5, 23, v2
	v_cndmask_b32_e64 v3, 0, 1, s[0:1]
	v_add_u32_e32 v5, v5, v3
; %bb.163:
	s_or_b64 exec, exec, s[18:19]
	s_mov_b64 s[18:19], -1
	s_mov_b64 s[0:1], 0
	global_store_byte v[0:1], v5, off
.LBB185_164:
	s_mov_b64 s[26:27], 0
.LBB185_165:
	s_and_b64 vcc, exec, s[26:27]
	s_cbranch_vccz .LBB185_168
; %bb.166:
	s_cmp_eq_u32 s35, 29
	s_mov_b64 s[0:1], -1
	s_cbranch_scc0 .LBB185_168
; %bb.167:
	v_trunc_f32_e32 v3, v2
	v_mul_f32_e32 v5, 0x2f800000, v3
	v_floor_f32_e32 v5, v5
	v_fmac_f32_e32 v3, 0xcf800000, v5
	v_cvt_u32_f32_e32 v6, v5
	v_cvt_u32_f32_e32 v5, v3
	s_mov_b64 s[18:19], -1
	s_mov_b64 s[0:1], 0
	s_mov_b64 s[26:27], 0
	global_store_dwordx2 v[0:1], v[5:6], off
	s_branch .LBB185_169
.LBB185_168:
	s_mov_b64 s[26:27], 0
.LBB185_169:
	s_and_b64 vcc, exec, s[26:27]
	s_cbranch_vccz .LBB185_185
; %bb.170:
	s_cmp_lt_i32 s35, 27
	s_mov_b64 s[18:19], -1
	s_cbranch_scc1 .LBB185_176
; %bb.171:
	v_cvt_u32_f32_e32 v3, v2
	s_cmp_gt_i32 s35, 27
	s_cbranch_scc0 .LBB185_173
; %bb.172:
	s_mov_b64 s[18:19], 0
	global_store_dword v[0:1], v3, off
.LBB185_173:
	s_andn2_b64 vcc, exec, s[18:19]
	s_cbranch_vccnz .LBB185_175
; %bb.174:
	global_store_short v[0:1], v3, off
.LBB185_175:
	s_mov_b64 s[18:19], 0
.LBB185_176:
	s_andn2_b64 vcc, exec, s[18:19]
	s_cbranch_vccnz .LBB185_184
; %bb.177:
	v_and_b32_e32 v3, 0x7fffffff, v2
	s_mov_b32 s18, 0x43800000
	v_cmp_gt_u32_e32 vcc, s18, v3
	v_mov_b32_e32 v5, 0x80
	s_and_saveexec_b64 s[18:19], vcc
	s_cbranch_execz .LBB185_183
; %bb.178:
	s_mov_b32 s26, 0x3bffffff
	v_cmp_lt_u32_e32 vcc, s26, v3
	s_mov_b64 s[26:27], 0
                                        ; implicit-def: $vgpr3
	s_and_saveexec_b64 s[30:31], vcc
	s_xor_b64 s[30:31], exec, s[30:31]
	s_cbranch_execz .LBB185_412
; %bb.179:
	v_bfe_u32 v3, v2, 20, 1
	s_mov_b32 s36, 0x487ffff
	v_add3_u32 v3, v2, v3, s36
	s_mov_b64 s[26:27], exec
	v_lshrrev_b32_e32 v3, 20, v3
	s_andn2_saveexec_b64 s[30:31], s[30:31]
	s_cbranch_execnz .LBB185_413
.LBB185_180:
	s_or_b64 exec, exec, s[30:31]
	v_mov_b32_e32 v5, 0
	s_and_saveexec_b64 s[30:31], s[26:27]
.LBB185_181:
	v_lshrrev_b32_e32 v5, 24, v2
	s_movk_i32 s26, 0x80
	v_and_or_b32 v5, v5, s26, v3
.LBB185_182:
	s_or_b64 exec, exec, s[30:31]
.LBB185_183:
	s_or_b64 exec, exec, s[18:19]
	global_store_byte v[0:1], v5, off
.LBB185_184:
	s_mov_b64 s[18:19], -1
.LBB185_185:
	s_mov_b64 s[26:27], 0
.LBB185_186:
	s_and_b64 vcc, exec, s[26:27]
	s_cbranch_vccz .LBB185_227
; %bb.187:
	s_cmp_gt_i32 s35, 22
	s_mov_b64 s[26:27], -1
	s_cbranch_scc0 .LBB185_219
; %bb.188:
	s_cmp_lt_i32 s35, 24
	s_mov_b64 s[18:19], -1
	s_cbranch_scc1 .LBB185_208
; %bb.189:
	s_cmp_gt_i32 s35, 24
	s_cbranch_scc0 .LBB185_197
; %bb.190:
	v_and_b32_e32 v3, 0x7fffffff, v2
	s_mov_b32 s18, 0x47800000
	v_cmp_gt_u32_e32 vcc, s18, v3
	v_mov_b32_e32 v5, 0x80
	s_and_saveexec_b64 s[18:19], vcc
	s_cbranch_execz .LBB185_196
; %bb.191:
	s_mov_b32 s26, 0x37ffffff
	v_cmp_lt_u32_e32 vcc, s26, v3
	s_mov_b64 s[26:27], 0
                                        ; implicit-def: $vgpr3
	s_and_saveexec_b64 s[30:31], vcc
	s_xor_b64 s[30:31], exec, s[30:31]
	s_cbranch_execz .LBB185_531
; %bb.192:
	v_bfe_u32 v3, v2, 21, 1
	s_mov_b32 s36, 0x88fffff
	v_add3_u32 v3, v2, v3, s36
	s_mov_b64 s[26:27], exec
	v_lshrrev_b32_e32 v3, 21, v3
	s_andn2_saveexec_b64 s[30:31], s[30:31]
	s_cbranch_execnz .LBB185_532
.LBB185_193:
	s_or_b64 exec, exec, s[30:31]
	v_mov_b32_e32 v5, 0
	s_and_saveexec_b64 s[30:31], s[26:27]
.LBB185_194:
	v_lshrrev_b32_e32 v5, 24, v2
	s_movk_i32 s26, 0x80
	v_and_or_b32 v5, v5, s26, v3
.LBB185_195:
	s_or_b64 exec, exec, s[30:31]
.LBB185_196:
	s_or_b64 exec, exec, s[18:19]
	s_mov_b64 s[18:19], 0
	global_store_byte v[0:1], v5, off
.LBB185_197:
	s_and_b64 vcc, exec, s[18:19]
	s_cbranch_vccz .LBB185_207
; %bb.198:
	v_and_b32_e32 v5, 0x7fffffff, v2
	s_mov_b32 s18, 0x43f00000
	v_cmp_gt_u32_e32 vcc, s18, v5
                                        ; implicit-def: $vgpr3
	s_and_saveexec_b64 s[18:19], vcc
	s_xor_b64 s[18:19], exec, s[18:19]
	s_cbranch_execz .LBB185_204
; %bb.199:
	s_mov_b32 s26, 0x3c7fffff
	v_cmp_lt_u32_e32 vcc, s26, v5
                                        ; implicit-def: $vgpr3
	s_and_saveexec_b64 s[26:27], vcc
	s_xor_b64 s[26:27], exec, s[26:27]
; %bb.200:
	v_bfe_u32 v3, v2, 20, 1
	s_mov_b32 s30, 0x407ffff
	v_add3_u32 v3, v2, v3, s30
	v_lshrrev_b32_e32 v5, 20, v3
	v_and_b32_e32 v3, 0xff00000, v3
	s_mov_b32 s30, 0x7f00000
	v_mov_b32_e32 v6, 0x7e
	v_cmp_ne_u32_e32 vcc, s30, v3
	v_cndmask_b32_e32 v3, v6, v5, vcc
; %bb.201:
	s_andn2_saveexec_b64 s[26:27], s[26:27]
; %bb.202:
	s_mov_b32 s30, 0x46800000
	v_add_f32_e64 v3, |v2|, s30
; %bb.203:
	s_or_b64 exec, exec, s[26:27]
                                        ; implicit-def: $vgpr5
.LBB185_204:
	s_andn2_saveexec_b64 s[18:19], s[18:19]
; %bb.205:
	s_mov_b32 s26, 0x7f800000
	v_mov_b32_e32 v3, 0x7e
	v_mov_b32_e32 v6, 0x7f
	v_cmp_lt_u32_e32 vcc, s26, v5
	v_cndmask_b32_e32 v3, v3, v6, vcc
; %bb.206:
	s_or_b64 exec, exec, s[18:19]
	v_lshrrev_b32_e32 v5, 24, v2
	s_movk_i32 s18, 0x80
	v_and_or_b32 v3, v5, s18, v3
	global_store_byte v[0:1], v3, off
.LBB185_207:
	s_mov_b64 s[18:19], 0
.LBB185_208:
	s_andn2_b64 vcc, exec, s[18:19]
	s_cbranch_vccnz .LBB185_218
; %bb.209:
	v_and_b32_e32 v5, 0x7fffffff, v2
	s_mov_b32 s18, 0x47800000
	v_cmp_gt_u32_e32 vcc, s18, v5
                                        ; implicit-def: $vgpr3
	s_and_saveexec_b64 s[18:19], vcc
	s_xor_b64 s[18:19], exec, s[18:19]
	s_cbranch_execz .LBB185_215
; %bb.210:
	s_mov_b32 s26, 0x387fffff
	v_cmp_lt_u32_e32 vcc, s26, v5
                                        ; implicit-def: $vgpr3
	s_and_saveexec_b64 s[26:27], vcc
	s_xor_b64 s[26:27], exec, s[26:27]
; %bb.211:
	v_bfe_u32 v3, v2, 21, 1
	s_mov_b32 s30, 0x80fffff
	v_add3_u32 v3, v2, v3, s30
	v_lshrrev_b32_e32 v3, 21, v3
; %bb.212:
	s_andn2_saveexec_b64 s[26:27], s[26:27]
; %bb.213:
	s_mov_b32 s30, 0x43000000
	v_add_f32_e64 v3, |v2|, s30
; %bb.214:
	s_or_b64 exec, exec, s[26:27]
                                        ; implicit-def: $vgpr5
.LBB185_215:
	s_andn2_saveexec_b64 s[18:19], s[18:19]
; %bb.216:
	s_mov_b32 s26, 0x7f800000
	v_mov_b32_e32 v3, 0x7c
	v_mov_b32_e32 v6, 0x7f
	v_cmp_lt_u32_e32 vcc, s26, v5
	v_cndmask_b32_e32 v3, v3, v6, vcc
; %bb.217:
	s_or_b64 exec, exec, s[18:19]
	v_lshrrev_b32_e32 v5, 24, v2
	s_movk_i32 s18, 0x80
	v_and_or_b32 v3, v5, s18, v3
	global_store_byte v[0:1], v3, off
.LBB185_218:
	s_mov_b64 s[26:27], 0
	s_mov_b64 s[18:19], -1
.LBB185_219:
	s_andn2_b64 vcc, exec, s[26:27]
	s_cbranch_vccnz .LBB185_227
; %bb.220:
	s_cmp_gt_i32 s35, 14
	s_mov_b64 s[26:27], -1
	s_cbranch_scc0 .LBB185_224
; %bb.221:
	s_cmp_eq_u32 s35, 15
	s_mov_b64 s[0:1], -1
	s_cbranch_scc0 .LBB185_223
; %bb.222:
	v_bfe_u32 v3, v2, 16, 1
	s_movk_i32 s0, 0x7fff
	v_add3_u32 v3, v2, v3, s0
	v_cmp_o_f32_e32 vcc, v2, v2
	v_mov_b32_e32 v5, 0x7fc0
	v_cndmask_b32_sdwa v3, v5, v3, vcc dst_sel:DWORD dst_unused:UNUSED_PAD src0_sel:DWORD src1_sel:WORD_1
	global_store_short v[0:1], v3, off
	s_mov_b64 s[18:19], -1
	s_mov_b64 s[0:1], 0
.LBB185_223:
	s_mov_b64 s[26:27], 0
.LBB185_224:
	s_and_b64 vcc, exec, s[26:27]
	s_cbranch_vccz .LBB185_227
; %bb.225:
	s_cmp_eq_u32 s35, 11
	s_mov_b64 s[0:1], -1
	s_cbranch_scc0 .LBB185_227
; %bb.226:
	v_cmp_neq_f32_e32 vcc, 0, v2
	v_cndmask_b32_e64 v3, 0, 1, vcc
	s_mov_b64 s[18:19], -1
	s_mov_b64 s[0:1], 0
	global_store_byte v[0:1], v3, off
.LBB185_227:
	s_mov_b64 s[26:27], 0
.LBB185_228:
	s_and_b64 vcc, exec, s[26:27]
	s_cbranch_vccz .LBB185_267
; %bb.229:
	s_and_b32 s26, 0xffff, s34
	s_cmp_lt_i32 s26, 5
	s_mov_b64 s[18:19], -1
	s_cbranch_scc1 .LBB185_250
; %bb.230:
	s_cmp_lt_i32 s26, 8
	s_cbranch_scc1 .LBB185_240
; %bb.231:
	s_cmp_lt_i32 s26, 9
	s_cbranch_scc1 .LBB185_237
; %bb.232:
	s_cmp_gt_i32 s26, 9
	s_cbranch_scc0 .LBB185_234
; %bb.233:
	v_cvt_f64_f32_e32 v[5:6], v2
	v_mov_b32_e32 v7, 0
	v_mov_b32_e32 v8, v7
	s_mov_b64 s[18:19], 0
	global_store_dwordx4 v[0:1], v[5:8], off
.LBB185_234:
	s_andn2_b64 vcc, exec, s[18:19]
	s_cbranch_vccnz .LBB185_236
; %bb.235:
	v_mov_b32_e32 v3, 0
	global_store_dwordx2 v[0:1], v[2:3], off
.LBB185_236:
	s_mov_b64 s[18:19], 0
.LBB185_237:
	s_andn2_b64 vcc, exec, s[18:19]
	s_cbranch_vccnz .LBB185_239
; %bb.238:
	v_cvt_f16_f32_e32 v3, v2
	global_store_dword v[0:1], v3, off
.LBB185_239:
	s_mov_b64 s[18:19], 0
.LBB185_240:
	s_andn2_b64 vcc, exec, s[18:19]
	s_cbranch_vccnz .LBB185_249
; %bb.241:
	s_cmp_lt_i32 s26, 6
	s_mov_b64 s[18:19], -1
	s_cbranch_scc1 .LBB185_247
; %bb.242:
	s_cmp_gt_i32 s26, 6
	s_cbranch_scc0 .LBB185_244
; %bb.243:
	v_cvt_f64_f32_e32 v[5:6], v2
	s_mov_b64 s[18:19], 0
	global_store_dwordx2 v[0:1], v[5:6], off
.LBB185_244:
	s_andn2_b64 vcc, exec, s[18:19]
	s_cbranch_vccnz .LBB185_246
; %bb.245:
	global_store_dword v[0:1], v2, off
.LBB185_246:
	s_mov_b64 s[18:19], 0
.LBB185_247:
	s_andn2_b64 vcc, exec, s[18:19]
	s_cbranch_vccnz .LBB185_249
; %bb.248:
	v_cvt_f16_f32_e32 v3, v2
	global_store_short v[0:1], v3, off
.LBB185_249:
	s_mov_b64 s[18:19], 0
.LBB185_250:
	s_andn2_b64 vcc, exec, s[18:19]
	s_cbranch_vccnz .LBB185_266
; %bb.251:
	s_cmp_lt_i32 s26, 2
	s_mov_b64 s[18:19], -1
	s_cbranch_scc1 .LBB185_261
; %bb.252:
	s_cmp_lt_i32 s26, 3
	s_cbranch_scc1 .LBB185_258
; %bb.253:
	s_cmp_gt_i32 s26, 3
	s_cbranch_scc0 .LBB185_255
; %bb.254:
	v_trunc_f32_e32 v3, v2
	s_mov_b32 s18, 0x2f800000
	v_mul_f32_e64 v5, |v3|, s18
	v_floor_f32_e32 v5, v5
	s_mov_b32 s18, 0xcf800000
	v_cvt_u32_f32_e32 v6, v5
	v_fma_f32 v5, v5, s18, |v3|
	v_cvt_u32_f32_e32 v5, v5
	v_ashrrev_i32_e32 v3, 31, v3
	v_xor_b32_e32 v6, v6, v3
	s_mov_b64 s[18:19], 0
	v_xor_b32_e32 v5, v5, v3
	v_sub_co_u32_e32 v5, vcc, v5, v3
	v_subb_co_u32_e32 v6, vcc, v6, v3, vcc
	global_store_dwordx2 v[0:1], v[5:6], off
.LBB185_255:
	s_andn2_b64 vcc, exec, s[18:19]
	s_cbranch_vccnz .LBB185_257
; %bb.256:
	v_cvt_i32_f32_e32 v3, v2
	global_store_dword v[0:1], v3, off
.LBB185_257:
	s_mov_b64 s[18:19], 0
.LBB185_258:
	s_andn2_b64 vcc, exec, s[18:19]
	s_cbranch_vccnz .LBB185_260
; %bb.259:
	v_cvt_i32_f32_e32 v3, v2
	global_store_short v[0:1], v3, off
.LBB185_260:
	s_mov_b64 s[18:19], 0
.LBB185_261:
	s_andn2_b64 vcc, exec, s[18:19]
	s_cbranch_vccnz .LBB185_266
; %bb.262:
	s_cmp_gt_i32 s26, 0
	s_mov_b64 s[18:19], -1
	s_cbranch_scc0 .LBB185_264
; %bb.263:
	v_cvt_i32_f32_e32 v3, v2
	s_mov_b64 s[18:19], 0
	global_store_byte v[0:1], v3, off
.LBB185_264:
	s_andn2_b64 vcc, exec, s[18:19]
	s_cbranch_vccnz .LBB185_266
; %bb.265:
	v_trunc_f32_e32 v2, v2
	s_mov_b32 s18, 0x2f800000
	v_mul_f32_e64 v3, |v2|, s18
	v_floor_f32_e32 v3, v3
	s_mov_b32 s18, 0xcf800000
	v_fma_f32 v3, v3, s18, |v2|
	v_cvt_u32_f32_e32 v3, v3
	v_ashrrev_i32_e32 v2, 31, v2
	v_xor_b32_e32 v3, v3, v2
	v_sub_u32_e32 v2, v3, v2
	global_store_byte v[0:1], v2, off
.LBB185_266:
	s_mov_b64 s[18:19], -1
.LBB185_267:
	s_andn2_b64 vcc, exec, s[18:19]
	s_cbranch_vccnz .LBB185_269
; %bb.268:
	v_add_u32_e32 v4, 0x80, v4
	s_mov_b64 s[26:27], -1
	s_branch .LBB185_382
.LBB185_269:
	s_mov_b64 s[26:27], 0
                                        ; implicit-def: $vgpr4
	s_branch .LBB185_382
.LBB185_270:
	s_mov_b64 s[20:21], -1
                                        ; implicit-def: $vgpr3
.LBB185_271:
	s_mov_b64 s[18:19], 0
.LBB185_272:
	s_and_b64 vcc, exec, s[18:19]
	s_cbranch_vccz .LBB185_276
; %bb.273:
	s_cmp_eq_u32 s31, 29
	s_cbranch_scc0 .LBB185_275
; %bb.274:
	global_load_dwordx2 v[5:6], v[0:1], off
	s_mov_b64 s[0:1], -1
	s_mov_b64 s[20:21], 0
	s_mov_b64 s[18:19], 0
	s_waitcnt vmcnt(0)
	v_ffbh_u32_e32 v3, v6
	v_min_u32_e32 v3, 32, v3
	v_lshlrev_b64 v[5:6], v3, v[5:6]
	v_sub_u32_e32 v3, 32, v3
	v_min_u32_e32 v5, 1, v5
	v_or_b32_e32 v5, v6, v5
	v_cvt_f32_u32_e32 v5, v5
	v_ldexp_f32 v3, v5, v3
	s_branch .LBB185_277
.LBB185_275:
	s_mov_b64 s[20:21], -1
                                        ; implicit-def: $vgpr3
.LBB185_276:
	s_mov_b64 s[18:19], 0
.LBB185_277:
	s_and_b64 vcc, exec, s[18:19]
	s_cbranch_vccz .LBB185_295
; %bb.278:
	s_cmp_lt_i32 s31, 27
	s_cbranch_scc1 .LBB185_281
; %bb.279:
	s_cmp_gt_i32 s31, 27
	s_cbranch_scc0 .LBB185_282
; %bb.280:
	global_load_dword v3, v[0:1], off
	s_mov_b64 s[0:1], 0
	s_waitcnt vmcnt(0)
	v_cvt_f32_u32_e32 v3, v3
	s_branch .LBB185_283
.LBB185_281:
	s_mov_b64 s[0:1], -1
                                        ; implicit-def: $vgpr3
	s_branch .LBB185_286
.LBB185_282:
	s_mov_b64 s[0:1], -1
                                        ; implicit-def: $vgpr3
.LBB185_283:
	s_andn2_b64 vcc, exec, s[0:1]
	s_cbranch_vccnz .LBB185_285
; %bb.284:
	global_load_ushort v3, v[0:1], off
	s_waitcnt vmcnt(0)
	v_cvt_f32_u32_e32 v3, v3
.LBB185_285:
	s_mov_b64 s[0:1], 0
.LBB185_286:
	s_andn2_b64 vcc, exec, s[0:1]
	s_cbranch_vccnz .LBB185_294
; %bb.287:
	global_load_ubyte v5, v[0:1], off
	s_movk_i32 s0, 0x7f
	s_waitcnt vmcnt(0)
	v_cmp_lt_i16_e32 vcc, s0, v5
	s_mov_b64 s[0:1], 0
	s_and_saveexec_b64 s[18:19], vcc
	s_xor_b64 s[18:19], exec, s[18:19]
	s_cbranch_execz .LBB185_308
; %bb.288:
	s_movk_i32 s0, 0x80
	v_cmp_eq_u16_e32 vcc, s0, v5
	s_mov_b64 s[0:1], -1
	s_and_saveexec_b64 s[26:27], vcc
; %bb.289:
	s_xor_b64 s[0:1], exec, -1
; %bb.290:
	s_or_b64 exec, exec, s[26:27]
	s_and_b64 s[0:1], s[0:1], exec
	s_or_saveexec_b64 s[18:19], s[18:19]
	v_mov_b32_e32 v3, 0x7f800001
	s_xor_b64 exec, exec, s[18:19]
	s_cbranch_execnz .LBB185_309
.LBB185_291:
	s_or_b64 exec, exec, s[18:19]
	s_and_saveexec_b64 s[18:19], s[0:1]
	s_cbranch_execz .LBB185_293
.LBB185_292:
	v_lshlrev_b32_e32 v3, 24, v5
	v_and_b32_e32 v5, 0xffff, v5
	v_and_b32_e32 v6, 7, v5
	v_ffbh_u32_e32 v8, v6
	v_min_u32_e32 v8, 32, v8
	v_subrev_u32_e32 v9, 28, v8
	v_bfe_u32 v7, v5, 3, 4
	v_lshlrev_b32_e32 v5, v9, v5
	v_sub_u32_e32 v8, 29, v8
	v_and_b32_e32 v5, 7, v5
	v_cmp_eq_u32_e32 vcc, 0, v7
	v_cndmask_b32_e32 v7, v7, v8, vcc
	v_cndmask_b32_e32 v5, v6, v5, vcc
	v_mov_b32_e32 v6, 0x3b800000
	v_lshlrev_b32_e32 v5, 20, v5
	v_and_b32_e32 v3, 0x80000000, v3
	v_lshl_add_u32 v6, v7, 23, v6
	v_or3_b32 v3, v3, v6, v5
.LBB185_293:
	s_or_b64 exec, exec, s[18:19]
.LBB185_294:
	s_mov_b64 s[0:1], -1
.LBB185_295:
	s_mov_b64 s[18:19], 0
.LBB185_296:
	s_and_b64 vcc, exec, s[18:19]
	s_cbranch_vccz .LBB185_331
; %bb.297:
	s_cmp_gt_i32 s31, 22
	s_cbranch_scc0 .LBB185_307
; %bb.298:
	s_cmp_lt_i32 s31, 24
	s_cbranch_scc1 .LBB185_310
; %bb.299:
	s_cmp_gt_i32 s31, 24
	s_cbranch_scc0 .LBB185_311
; %bb.300:
	global_load_ubyte v5, v[0:1], off
	s_movk_i32 s0, 0x7f
	s_waitcnt vmcnt(0)
	v_cmp_lt_i16_e32 vcc, s0, v5
	s_mov_b64 s[0:1], 0
	s_and_saveexec_b64 s[18:19], vcc
	s_xor_b64 s[18:19], exec, s[18:19]
	s_cbranch_execz .LBB185_323
; %bb.301:
	s_movk_i32 s0, 0x80
	v_cmp_eq_u16_e32 vcc, s0, v5
	s_mov_b64 s[0:1], -1
	s_and_saveexec_b64 s[26:27], vcc
; %bb.302:
	s_xor_b64 s[0:1], exec, -1
; %bb.303:
	s_or_b64 exec, exec, s[26:27]
	s_and_b64 s[0:1], s[0:1], exec
	s_or_saveexec_b64 s[18:19], s[18:19]
	v_mov_b32_e32 v3, 0x7f800001
	s_xor_b64 exec, exec, s[18:19]
	s_cbranch_execnz .LBB185_324
.LBB185_304:
	s_or_b64 exec, exec, s[18:19]
	s_and_saveexec_b64 s[18:19], s[0:1]
	s_cbranch_execz .LBB185_306
.LBB185_305:
	v_lshlrev_b32_e32 v3, 24, v5
	v_and_b32_e32 v5, 0xffff, v5
	v_and_b32_e32 v6, 3, v5
	v_ffbh_u32_e32 v8, v6
	v_min_u32_e32 v8, 32, v8
	v_subrev_u32_e32 v9, 29, v8
	v_bfe_u32 v7, v5, 2, 5
	v_lshlrev_b32_e32 v5, v9, v5
	v_sub_u32_e32 v8, 30, v8
	v_and_b32_e32 v5, 3, v5
	v_cmp_eq_u32_e32 vcc, 0, v7
	v_cndmask_b32_e32 v7, v7, v8, vcc
	v_cndmask_b32_e32 v5, v6, v5, vcc
	v_mov_b32_e32 v6, 0x37800000
	v_lshlrev_b32_e32 v5, 21, v5
	v_and_b32_e32 v3, 0x80000000, v3
	v_lshl_add_u32 v6, v7, 23, v6
	v_or3_b32 v3, v3, v6, v5
.LBB185_306:
	s_or_b64 exec, exec, s[18:19]
	s_mov_b64 s[0:1], 0
	s_branch .LBB185_312
.LBB185_307:
	s_mov_b64 s[18:19], -1
                                        ; implicit-def: $vgpr3
	s_branch .LBB185_318
.LBB185_308:
	s_or_saveexec_b64 s[18:19], s[18:19]
	v_mov_b32_e32 v3, 0x7f800001
	s_xor_b64 exec, exec, s[18:19]
	s_cbranch_execz .LBB185_291
.LBB185_309:
	v_cmp_ne_u16_e32 vcc, 0, v5
	s_andn2_b64 s[0:1], s[0:1], exec
	s_and_b64 s[26:27], vcc, exec
	v_mov_b32_e32 v3, 0
	s_or_b64 s[0:1], s[0:1], s[26:27]
	s_or_b64 exec, exec, s[18:19]
	s_and_saveexec_b64 s[18:19], s[0:1]
	s_cbranch_execnz .LBB185_292
	s_branch .LBB185_293
.LBB185_310:
	s_mov_b64 s[0:1], -1
                                        ; implicit-def: $vgpr3
	s_branch .LBB185_315
.LBB185_311:
	s_mov_b64 s[0:1], -1
                                        ; implicit-def: $vgpr3
.LBB185_312:
	s_and_b64 vcc, exec, s[0:1]
	s_cbranch_vccz .LBB185_314
; %bb.313:
	global_load_ubyte v3, v[0:1], off
	s_mov_b32 s0, 0x7f800000
	s_waitcnt vmcnt(0)
	v_lshlrev_b32_e32 v3, 24, v3
	v_and_b32_e32 v5, 0x7f000000, v3
	v_ffbh_u32_e32 v6, v5
	v_min_u32_e32 v6, 32, v6
	v_sub_u32_e64 v6, v6, 4 clamp
	v_lshlrev_b32_e32 v8, v6, v5
	v_lshlrev_b32_e32 v6, 23, v6
	v_lshrrev_b32_e32 v8, 4, v8
	v_add_u32_e32 v7, 0x1000000, v5
	v_sub_u32_e32 v6, v8, v6
	v_ashrrev_i32_e32 v7, 8, v7
	v_add_u32_e32 v6, 0x3c000000, v6
	v_and_or_b32 v6, v7, s0, v6
	v_cmp_ne_u32_e32 vcc, 0, v5
	v_cndmask_b32_e32 v5, 0, v6, vcc
	s_brev_b32 s0, 1
	v_and_or_b32 v3, v3, s0, v5
.LBB185_314:
	s_mov_b64 s[0:1], 0
.LBB185_315:
	s_andn2_b64 vcc, exec, s[0:1]
	s_cbranch_vccnz .LBB185_317
; %bb.316:
	global_load_ubyte v3, v[0:1], off
	s_movk_i32 s0, 0x7f00
	s_brev_b32 s1, 16
	s_waitcnt vmcnt(0)
	v_lshlrev_b16_e32 v5, 8, v3
	v_lshlrev_b32_e32 v3, 25, v3
	v_lshrrev_b32_e32 v6, 4, v3
	v_and_or_b32 v7, v5, s0, 0.5
	v_or_b32_e32 v6, 0x70000000, v6
	v_add_f32_e32 v7, -0.5, v7
	v_mul_f32_e32 v6, 0x7800000, v6
	v_cmp_gt_u32_e32 vcc, s1, v3
	v_bfe_i32 v5, v5, 0, 16
	v_cndmask_b32_e32 v3, v6, v7, vcc
	s_brev_b32 s0, 1
	v_and_or_b32 v3, v5, s0, v3
.LBB185_317:
	s_mov_b64 s[18:19], 0
	s_mov_b64 s[0:1], -1
.LBB185_318:
	s_andn2_b64 vcc, exec, s[18:19]
	s_cbranch_vccnz .LBB185_331
; %bb.319:
	s_cmp_gt_i32 s31, 14
	s_cbranch_scc0 .LBB185_322
; %bb.320:
	s_cmp_eq_u32 s31, 15
	s_cbranch_scc0 .LBB185_325
; %bb.321:
	global_load_ushort v3, v[0:1], off
	s_mov_b64 s[0:1], -1
	s_mov_b64 s[20:21], 0
	s_waitcnt vmcnt(0)
	v_lshlrev_b32_e32 v3, 16, v3
	s_branch .LBB185_326
.LBB185_322:
	s_mov_b64 s[18:19], -1
                                        ; implicit-def: $vgpr3
	s_branch .LBB185_327
.LBB185_323:
	s_or_saveexec_b64 s[18:19], s[18:19]
	v_mov_b32_e32 v3, 0x7f800001
	s_xor_b64 exec, exec, s[18:19]
	s_cbranch_execz .LBB185_304
.LBB185_324:
	v_cmp_ne_u16_e32 vcc, 0, v5
	s_andn2_b64 s[0:1], s[0:1], exec
	s_and_b64 s[26:27], vcc, exec
	v_mov_b32_e32 v3, 0
	s_or_b64 s[0:1], s[0:1], s[26:27]
	s_or_b64 exec, exec, s[18:19]
	s_and_saveexec_b64 s[18:19], s[0:1]
	s_cbranch_execnz .LBB185_305
	s_branch .LBB185_306
.LBB185_325:
	s_mov_b64 s[20:21], -1
                                        ; implicit-def: $vgpr3
.LBB185_326:
	s_mov_b64 s[18:19], 0
.LBB185_327:
	s_and_b64 vcc, exec, s[18:19]
	s_cbranch_vccz .LBB185_331
; %bb.328:
	s_cmp_eq_u32 s31, 11
	s_cbranch_scc0 .LBB185_330
; %bb.329:
	global_load_ubyte v3, v[0:1], off
	s_mov_b64 s[0:1], -1
	s_mov_b64 s[20:21], 0
	s_waitcnt vmcnt(0)
	v_cmp_ne_u16_e32 vcc, 0, v3
	v_cndmask_b32_e64 v3, 0, 1.0, vcc
	s_branch .LBB185_331
.LBB185_330:
	s_mov_b64 s[20:21], -1
                                        ; implicit-def: $vgpr3
.LBB185_331:
	s_branch .LBB185_20
.LBB185_332:
	s_and_b32 s18, 0xffff, s30
	s_cmp_lt_i32 s18, 5
	s_cbranch_scc1 .LBB185_337
; %bb.333:
	s_cmp_lt_i32 s18, 8
	s_cbranch_scc1 .LBB185_338
; %bb.334:
	;; [unrolled: 3-line block ×3, first 2 shown]
	s_cmp_gt_i32 s18, 9
	s_cbranch_scc0 .LBB185_340
; %bb.336:
	global_load_dwordx2 v[5:6], v[0:1], off
	s_mov_b64 s[0:1], 0
	s_waitcnt vmcnt(0)
	v_cvt_f32_f64_e32 v3, v[5:6]
	s_branch .LBB185_341
.LBB185_337:
	s_mov_b64 s[0:1], -1
                                        ; implicit-def: $vgpr3
	s_branch .LBB185_359
.LBB185_338:
	s_mov_b64 s[0:1], -1
                                        ; implicit-def: $vgpr3
	s_branch .LBB185_347
.LBB185_339:
	s_mov_b64 s[0:1], -1
                                        ; implicit-def: $vgpr3
	s_branch .LBB185_344
.LBB185_340:
	s_mov_b64 s[0:1], -1
                                        ; implicit-def: $vgpr3
.LBB185_341:
	s_andn2_b64 vcc, exec, s[0:1]
	s_cbranch_vccnz .LBB185_343
; %bb.342:
	global_load_dword v3, v[0:1], off
.LBB185_343:
	s_mov_b64 s[0:1], 0
.LBB185_344:
	s_andn2_b64 vcc, exec, s[0:1]
	s_cbranch_vccnz .LBB185_346
; %bb.345:
	global_load_dword v3, v[0:1], off
	s_waitcnt vmcnt(0)
	v_cvt_f32_f16_e32 v3, v3
.LBB185_346:
	s_mov_b64 s[0:1], 0
.LBB185_347:
	s_andn2_b64 vcc, exec, s[0:1]
	s_cbranch_vccnz .LBB185_358
; %bb.348:
	s_cmp_lt_i32 s18, 6
	s_cbranch_scc1 .LBB185_351
; %bb.349:
	s_cmp_gt_i32 s18, 6
	s_cbranch_scc0 .LBB185_352
; %bb.350:
	global_load_dwordx2 v[5:6], v[0:1], off
	s_mov_b64 s[0:1], 0
	s_waitcnt vmcnt(0)
	v_cvt_f32_f64_e32 v3, v[5:6]
	s_branch .LBB185_353
.LBB185_351:
	s_mov_b64 s[0:1], -1
                                        ; implicit-def: $vgpr3
	s_branch .LBB185_356
.LBB185_352:
	s_mov_b64 s[0:1], -1
                                        ; implicit-def: $vgpr3
.LBB185_353:
	s_andn2_b64 vcc, exec, s[0:1]
	s_cbranch_vccnz .LBB185_355
; %bb.354:
	global_load_dword v3, v[0:1], off
.LBB185_355:
	s_mov_b64 s[0:1], 0
.LBB185_356:
	s_andn2_b64 vcc, exec, s[0:1]
	s_cbranch_vccnz .LBB185_358
; %bb.357:
	global_load_ushort v3, v[0:1], off
	s_waitcnt vmcnt(0)
	v_cvt_f32_f16_e32 v3, v3
.LBB185_358:
	s_mov_b64 s[0:1], 0
.LBB185_359:
	s_andn2_b64 vcc, exec, s[0:1]
	s_cbranch_vccnz .LBB185_379
; %bb.360:
	s_cmp_lt_i32 s18, 2
	s_cbranch_scc1 .LBB185_364
; %bb.361:
	s_cmp_lt_i32 s18, 3
	s_cbranch_scc1 .LBB185_365
; %bb.362:
	s_cmp_gt_i32 s18, 3
	s_cbranch_scc0 .LBB185_366
; %bb.363:
	global_load_dwordx2 v[5:6], v[0:1], off
	s_mov_b64 s[0:1], 0
	s_waitcnt vmcnt(0)
	v_xor_b32_e32 v7, v5, v6
	v_ffbh_i32_e32 v3, v6
	v_ashrrev_i32_e32 v7, 31, v7
	v_add_u32_e32 v3, -1, v3
	v_add_u32_e32 v7, 32, v7
	v_min_u32_e32 v3, v3, v7
	v_lshlrev_b64 v[5:6], v3, v[5:6]
	v_sub_u32_e32 v3, 32, v3
	v_min_u32_e32 v5, 1, v5
	v_or_b32_e32 v5, v6, v5
	v_cvt_f32_i32_e32 v5, v5
	v_ldexp_f32 v3, v5, v3
	s_branch .LBB185_367
.LBB185_364:
	s_mov_b64 s[0:1], -1
                                        ; implicit-def: $vgpr3
	s_branch .LBB185_373
.LBB185_365:
	s_mov_b64 s[0:1], -1
                                        ; implicit-def: $vgpr3
	s_branch .LBB185_370
.LBB185_366:
	s_mov_b64 s[0:1], -1
                                        ; implicit-def: $vgpr3
.LBB185_367:
	s_andn2_b64 vcc, exec, s[0:1]
	s_cbranch_vccnz .LBB185_369
; %bb.368:
	global_load_dword v3, v[0:1], off
	s_waitcnt vmcnt(0)
	v_cvt_f32_i32_e32 v3, v3
.LBB185_369:
	s_mov_b64 s[0:1], 0
.LBB185_370:
	s_andn2_b64 vcc, exec, s[0:1]
	s_cbranch_vccnz .LBB185_372
; %bb.371:
	global_load_sshort v3, v[0:1], off
	s_waitcnt vmcnt(0)
	v_cvt_f32_i32_e32 v3, v3
.LBB185_372:
	s_mov_b64 s[0:1], 0
.LBB185_373:
	s_andn2_b64 vcc, exec, s[0:1]
	s_cbranch_vccnz .LBB185_379
; %bb.374:
	s_cmp_gt_i32 s18, 0
	s_cbranch_scc0 .LBB185_376
; %bb.375:
	global_load_sbyte v3, v[0:1], off
	s_mov_b64 s[0:1], 0
	s_waitcnt vmcnt(0)
	v_cvt_f32_i32_e32 v3, v3
	s_branch .LBB185_377
.LBB185_376:
	s_mov_b64 s[0:1], -1
                                        ; implicit-def: $vgpr3
.LBB185_377:
	s_andn2_b64 vcc, exec, s[0:1]
	s_cbranch_vccnz .LBB185_379
; %bb.378:
	global_load_ubyte v0, v[0:1], off
	s_waitcnt vmcnt(0)
	v_cvt_f32_ubyte0_e32 v3, v0
.LBB185_379:
	s_branch .LBB185_21
.LBB185_380:
	s_mov_b64 s[0:1], 0
.LBB185_381:
                                        ; implicit-def: $vgpr4
	s_mov_b64 s[26:27], 0
.LBB185_382:
	s_and_b64 s[18:19], s[0:1], exec
	s_and_b64 s[20:21], s[20:21], exec
	;; [unrolled: 1-line block ×3, first 2 shown]
	s_orn2_b64 s[0:1], s[26:27], exec
.LBB185_383:
	s_or_b64 exec, exec, s[24:25]
	s_mov_b64 s[34:35], 0
	s_mov_b64 s[30:31], 0
                                        ; implicit-def: $sgpr57
                                        ; implicit-def: $vgpr0_vgpr1
                                        ; implicit-def: $vgpr3
	s_and_saveexec_b64 s[24:25], s[0:1]
	s_cbranch_execz .LBB185_392
; %bb.384:
	v_cmp_gt_i32_e32 vcc, s50, v4
	s_mov_b64 s[0:1], -1
	s_mov_b64 s[26:27], s[22:23]
	s_mov_b64 s[28:29], s[20:21]
	;; [unrolled: 1-line block ×3, first 2 shown]
	s_and_saveexec_b64 s[34:35], vcc
	s_cbranch_execz .LBB185_773
; %bb.385:
	v_mul_lo_u32 v0, v4, s13
	v_mov_b32_e32 v1, s11
	s_and_b32 s36, s56, 0xff
	s_cmp_lt_i32 s36, 11
	s_waitcnt vmcnt(0)
	v_ashrrev_i32_e32 v2, 31, v0
	v_add_co_u32_e32 v0, vcc, s10, v0
	v_addc_co_u32_e32 v1, vcc, v1, v2, vcc
	s_cbranch_scc1 .LBB185_395
; %bb.386:
	s_and_b32 s37, 0xffff, s36
	s_cmp_gt_i32 s37, 25
	s_cbranch_scc0 .LBB185_404
; %bb.387:
	s_cmp_gt_i32 s37, 28
	s_cbranch_scc0 .LBB185_406
; %bb.388:
	;; [unrolled: 3-line block ×4, first 2 shown]
	s_cmp_eq_u32 s37, 46
	s_mov_b64 s[28:29], 0
	s_cbranch_scc0 .LBB185_414
; %bb.391:
	global_load_dword v2, v[0:1], off
	s_mov_b64 s[26:27], 0
	s_waitcnt vmcnt(0)
	v_lshlrev_b32_e32 v2, 16, v2
	s_branch .LBB185_415
.LBB185_392:
	s_or_b64 exec, exec, s[24:25]
	s_mov_b64 s[24:25], 0
	s_and_saveexec_b64 s[0:1], s[22:23]
	s_cbranch_execnz .LBB185_1248
.LBB185_393:
	s_or_b64 exec, exec, s[0:1]
	s_and_saveexec_b64 s[0:1], s[28:29]
	s_xor_b64 s[0:1], exec, s[0:1]
	s_cbranch_execz .LBB185_1249
.LBB185_394:
	global_load_ubyte v2, v[0:1], off
	s_or_b64 s[30:31], s[30:31], exec
	s_waitcnt vmcnt(0)
	v_cmp_ne_u16_e32 vcc, 0, v2
	v_cndmask_b32_e64 v3, 0, 1.0, vcc
	s_or_b64 exec, exec, s[0:1]
	s_and_saveexec_b64 s[0:1], s[34:35]
	s_cbranch_execz .LBB185_1295
	s_branch .LBB185_1250
.LBB185_395:
	s_mov_b64 s[0:1], 0
                                        ; implicit-def: $vgpr2
	s_mov_b64 s[26:27], s[22:23]
	s_cbranch_execnz .LBB185_481
.LBB185_396:
	s_andn2_b64 vcc, exec, s[0:1]
	s_cbranch_vccnz .LBB185_529
.LBB185_397:
	v_mul_lo_u32 v0, v4, s14
	v_mov_b32_e32 v1, s17
	s_and_b32 s38, s33, 0xff
	s_cmp_lt_i32 s38, 11
	v_ashrrev_i32_e32 v3, 31, v0
	v_add_co_u32_e32 v0, vcc, s16, v0
	v_addc_co_u32_e32 v1, vcc, v1, v3, vcc
	s_cbranch_scc1 .LBB185_405
; %bb.398:
	s_and_b32 s39, 0xffff, s38
	s_cmp_gt_i32 s39, 25
	s_cbranch_scc0 .LBB185_407
; %bb.399:
	s_cmp_gt_i32 s39, 28
	s_cbranch_scc0 .LBB185_409
; %bb.400:
	;; [unrolled: 3-line block ×4, first 2 shown]
	s_cmp_eq_u32 s39, 46
	s_mov_b64 s[30:31], 0
	s_cbranch_scc0 .LBB185_533
; %bb.403:
	global_load_dword v3, v[0:1], off
	s_mov_b64 s[0:1], -1
	s_mov_b64 s[28:29], 0
	s_waitcnt vmcnt(0)
	v_lshlrev_b32_e32 v3, 16, v3
	s_branch .LBB185_534
.LBB185_404:
	s_mov_b64 s[28:29], -1
	s_mov_b64 s[0:1], 0
	s_mov_b64 s[26:27], s[22:23]
                                        ; implicit-def: $vgpr2
	s_branch .LBB185_445
.LBB185_405:
	s_mov_b64 s[30:31], -1
	s_mov_b64 s[0:1], 0
                                        ; implicit-def: $vgpr3
	s_mov_b64 s[28:29], s[20:21]
	s_branch .LBB185_599
.LBB185_406:
	s_mov_b64 s[28:29], -1
	s_mov_b64 s[0:1], 0
	s_mov_b64 s[26:27], s[22:23]
                                        ; implicit-def: $vgpr2
	s_branch .LBB185_426
.LBB185_407:
	s_mov_b64 s[30:31], -1
	s_mov_b64 s[0:1], 0
	s_mov_b64 s[28:29], s[20:21]
                                        ; implicit-def: $vgpr3
	s_branch .LBB185_563
.LBB185_408:
	s_mov_b64 s[28:29], -1
	s_mov_b64 s[0:1], 0
	s_mov_b64 s[26:27], s[22:23]
                                        ; implicit-def: $vgpr2
	s_branch .LBB185_421
.LBB185_409:
	s_mov_b64 s[30:31], -1
	s_mov_b64 s[0:1], 0
	s_mov_b64 s[28:29], s[20:21]
                                        ; implicit-def: $vgpr3
	s_branch .LBB185_544
.LBB185_410:
	s_mov_b64 s[28:29], -1
	s_mov_b64 s[0:1], 0
	s_mov_b64 s[26:27], s[22:23]
                                        ; implicit-def: $vgpr2
	s_branch .LBB185_415
.LBB185_411:
	s_mov_b64 s[30:31], -1
	s_mov_b64 s[0:1], 0
	s_mov_b64 s[28:29], s[20:21]
                                        ; implicit-def: $vgpr3
	s_branch .LBB185_539
.LBB185_412:
	s_andn2_saveexec_b64 s[30:31], s[30:31]
	s_cbranch_execz .LBB185_180
.LBB185_413:
	s_mov_b32 s36, 0x46000000
	v_add_f32_e64 v3, |v2|, s36
	v_and_b32_e32 v3, 0xff, v3
	v_cmp_ne_u32_e32 vcc, 0, v3
	s_andn2_b64 s[26:27], s[26:27], exec
	s_and_b64 s[36:37], vcc, exec
	s_or_b64 s[26:27], s[26:27], s[36:37]
	s_or_b64 exec, exec, s[30:31]
	v_mov_b32_e32 v5, 0
	s_and_saveexec_b64 s[30:31], s[26:27]
	s_cbranch_execnz .LBB185_181
	s_branch .LBB185_182
.LBB185_414:
	s_mov_b64 s[26:27], -1
                                        ; implicit-def: $vgpr2
	s_mov_b64 s[0:1], 0
.LBB185_415:
	s_and_b64 vcc, exec, s[28:29]
	s_cbranch_vccz .LBB185_420
; %bb.416:
	s_cmp_eq_u32 s37, 44
	s_cbranch_scc0 .LBB185_419
; %bb.417:
	global_load_ubyte v2, v[0:1], off
	s_movk_i32 s26, 0xff
	v_mov_b32_e32 v3, 0x7f800001
	v_mov_b32_e32 v5, 0x400000
	s_mov_b64 s[0:1], -1
	s_waitcnt vmcnt(0)
	v_lshlrev_b32_e32 v6, 23, v2
	v_cmp_ne_u32_e32 vcc, s26, v2
	v_cndmask_b32_e32 v3, v3, v6, vcc
	v_cmp_ne_u32_e32 vcc, 0, v2
	v_cndmask_b32_e32 v2, v5, v3, vcc
	s_mov_b64 s[26:27], 0
	s_branch .LBB185_420
.LBB185_418:
	s_mov_b64 s[30:31], -1
	s_mov_b64 s[0:1], 0
	s_mov_b64 s[28:29], s[20:21]
                                        ; implicit-def: $vgpr3
	s_branch .LBB185_534
.LBB185_419:
	s_mov_b64 s[26:27], -1
                                        ; implicit-def: $vgpr2
.LBB185_420:
	s_mov_b64 s[28:29], 0
.LBB185_421:
	s_and_b64 vcc, exec, s[28:29]
	s_cbranch_vccz .LBB185_425
; %bb.422:
	s_cmp_eq_u32 s37, 29
	s_cbranch_scc0 .LBB185_424
; %bb.423:
	global_load_dwordx2 v[2:3], v[0:1], off
	s_mov_b64 s[0:1], -1
	s_mov_b64 s[26:27], 0
	s_mov_b64 s[28:29], 0
	s_waitcnt vmcnt(0)
	v_ffbh_u32_e32 v5, v3
	v_min_u32_e32 v5, 32, v5
	v_lshlrev_b64 v[2:3], v5, v[2:3]
	v_min_u32_e32 v2, 1, v2
	v_or_b32_e32 v2, v3, v2
	v_cvt_f32_u32_e32 v2, v2
	v_sub_u32_e32 v3, 32, v5
	v_ldexp_f32 v2, v2, v3
	s_branch .LBB185_426
.LBB185_424:
	s_mov_b64 s[26:27], -1
                                        ; implicit-def: $vgpr2
.LBB185_425:
	s_mov_b64 s[28:29], 0
.LBB185_426:
	s_and_b64 vcc, exec, s[28:29]
	s_cbranch_vccz .LBB185_444
; %bb.427:
	s_cmp_lt_i32 s37, 27
	s_cbranch_scc1 .LBB185_430
; %bb.428:
	s_cmp_gt_i32 s37, 27
	s_cbranch_scc0 .LBB185_431
; %bb.429:
	global_load_dword v2, v[0:1], off
	s_mov_b64 s[0:1], 0
	s_waitcnt vmcnt(0)
	v_cvt_f32_u32_e32 v2, v2
	s_branch .LBB185_432
.LBB185_430:
	s_mov_b64 s[0:1], -1
                                        ; implicit-def: $vgpr2
	s_branch .LBB185_435
.LBB185_431:
	s_mov_b64 s[0:1], -1
                                        ; implicit-def: $vgpr2
.LBB185_432:
	s_andn2_b64 vcc, exec, s[0:1]
	s_cbranch_vccnz .LBB185_434
; %bb.433:
	global_load_ushort v2, v[0:1], off
	s_waitcnt vmcnt(0)
	v_cvt_f32_u32_e32 v2, v2
.LBB185_434:
	s_mov_b64 s[0:1], 0
.LBB185_435:
	s_andn2_b64 vcc, exec, s[0:1]
	s_cbranch_vccnz .LBB185_443
; %bb.436:
	global_load_ubyte v3, v[0:1], off
	s_movk_i32 s0, 0x7f
	s_waitcnt vmcnt(0)
	v_cmp_lt_i16_e32 vcc, s0, v3
	s_mov_b64 s[0:1], 0
	s_and_saveexec_b64 s[28:29], vcc
	s_xor_b64 s[28:29], exec, s[28:29]
	s_cbranch_execz .LBB185_457
; %bb.437:
	s_movk_i32 s0, 0x80
	v_cmp_eq_u16_e32 vcc, s0, v3
	s_mov_b64 s[0:1], -1
	s_and_saveexec_b64 s[30:31], vcc
; %bb.438:
	s_xor_b64 s[0:1], exec, -1
; %bb.439:
	s_or_b64 exec, exec, s[30:31]
	s_and_b64 s[0:1], s[0:1], exec
	s_or_saveexec_b64 s[28:29], s[28:29]
	v_mov_b32_e32 v2, 0x7f800001
	s_xor_b64 exec, exec, s[28:29]
	s_cbranch_execnz .LBB185_458
.LBB185_440:
	s_or_b64 exec, exec, s[28:29]
	s_and_saveexec_b64 s[28:29], s[0:1]
	s_cbranch_execz .LBB185_442
.LBB185_441:
	v_lshlrev_b32_e32 v2, 24, v3
	v_and_b32_e32 v3, 0xffff, v3
	v_and_b32_e32 v5, 7, v3
	v_ffbh_u32_e32 v7, v5
	v_min_u32_e32 v7, 32, v7
	v_subrev_u32_e32 v8, 28, v7
	v_bfe_u32 v6, v3, 3, 4
	v_lshlrev_b32_e32 v3, v8, v3
	v_sub_u32_e32 v7, 29, v7
	v_and_b32_e32 v3, 7, v3
	v_cmp_eq_u32_e32 vcc, 0, v6
	v_cndmask_b32_e32 v6, v6, v7, vcc
	v_cndmask_b32_e32 v3, v5, v3, vcc
	v_mov_b32_e32 v5, 0x3b800000
	v_lshlrev_b32_e32 v3, 20, v3
	v_and_b32_e32 v2, 0x80000000, v2
	v_lshl_add_u32 v5, v6, 23, v5
	v_or3_b32 v2, v2, v5, v3
.LBB185_442:
	s_or_b64 exec, exec, s[28:29]
.LBB185_443:
	s_mov_b64 s[0:1], -1
.LBB185_444:
	s_mov_b64 s[28:29], 0
.LBB185_445:
	s_and_b64 vcc, exec, s[28:29]
	s_cbranch_vccz .LBB185_480
; %bb.446:
	s_cmp_gt_i32 s37, 22
	s_cbranch_scc0 .LBB185_456
; %bb.447:
	s_cmp_lt_i32 s37, 24
	s_cbranch_scc1 .LBB185_459
; %bb.448:
	s_cmp_gt_i32 s37, 24
	s_cbranch_scc0 .LBB185_460
; %bb.449:
	global_load_ubyte v3, v[0:1], off
	s_movk_i32 s0, 0x7f
	s_waitcnt vmcnt(0)
	v_cmp_lt_i16_e32 vcc, s0, v3
	s_mov_b64 s[0:1], 0
	s_and_saveexec_b64 s[28:29], vcc
	s_xor_b64 s[28:29], exec, s[28:29]
	s_cbranch_execz .LBB185_472
; %bb.450:
	s_movk_i32 s0, 0x80
	v_cmp_eq_u16_e32 vcc, s0, v3
	s_mov_b64 s[0:1], -1
	s_and_saveexec_b64 s[30:31], vcc
; %bb.451:
	s_xor_b64 s[0:1], exec, -1
; %bb.452:
	s_or_b64 exec, exec, s[30:31]
	s_and_b64 s[0:1], s[0:1], exec
	s_or_saveexec_b64 s[28:29], s[28:29]
	v_mov_b32_e32 v2, 0x7f800001
	s_xor_b64 exec, exec, s[28:29]
	s_cbranch_execnz .LBB185_473
.LBB185_453:
	s_or_b64 exec, exec, s[28:29]
	s_and_saveexec_b64 s[28:29], s[0:1]
	s_cbranch_execz .LBB185_455
.LBB185_454:
	v_lshlrev_b32_e32 v2, 24, v3
	v_and_b32_e32 v3, 0xffff, v3
	v_and_b32_e32 v5, 3, v3
	v_ffbh_u32_e32 v7, v5
	v_min_u32_e32 v7, 32, v7
	v_subrev_u32_e32 v8, 29, v7
	v_bfe_u32 v6, v3, 2, 5
	v_lshlrev_b32_e32 v3, v8, v3
	v_sub_u32_e32 v7, 30, v7
	v_and_b32_e32 v3, 3, v3
	v_cmp_eq_u32_e32 vcc, 0, v6
	v_cndmask_b32_e32 v6, v6, v7, vcc
	v_cndmask_b32_e32 v3, v5, v3, vcc
	v_mov_b32_e32 v5, 0x37800000
	v_lshlrev_b32_e32 v3, 21, v3
	v_and_b32_e32 v2, 0x80000000, v2
	v_lshl_add_u32 v5, v6, 23, v5
	v_or3_b32 v2, v2, v5, v3
.LBB185_455:
	s_or_b64 exec, exec, s[28:29]
	s_mov_b64 s[0:1], 0
	s_branch .LBB185_461
.LBB185_456:
	s_mov_b64 s[28:29], -1
                                        ; implicit-def: $vgpr2
	s_branch .LBB185_467
.LBB185_457:
	s_or_saveexec_b64 s[28:29], s[28:29]
	v_mov_b32_e32 v2, 0x7f800001
	s_xor_b64 exec, exec, s[28:29]
	s_cbranch_execz .LBB185_440
.LBB185_458:
	v_cmp_ne_u16_e32 vcc, 0, v3
	s_andn2_b64 s[0:1], s[0:1], exec
	s_and_b64 s[30:31], vcc, exec
	v_mov_b32_e32 v2, 0
	s_or_b64 s[0:1], s[0:1], s[30:31]
	s_or_b64 exec, exec, s[28:29]
	s_and_saveexec_b64 s[28:29], s[0:1]
	s_cbranch_execnz .LBB185_441
	s_branch .LBB185_442
.LBB185_459:
	s_mov_b64 s[0:1], -1
                                        ; implicit-def: $vgpr2
	s_branch .LBB185_464
.LBB185_460:
	s_mov_b64 s[0:1], -1
                                        ; implicit-def: $vgpr2
.LBB185_461:
	s_and_b64 vcc, exec, s[0:1]
	s_cbranch_vccz .LBB185_463
; %bb.462:
	global_load_ubyte v2, v[0:1], off
	s_mov_b32 s0, 0x7f800000
	s_waitcnt vmcnt(0)
	v_lshlrev_b32_e32 v2, 24, v2
	v_and_b32_e32 v3, 0x7f000000, v2
	v_ffbh_u32_e32 v5, v3
	v_min_u32_e32 v5, 32, v5
	v_sub_u32_e64 v5, v5, 4 clamp
	v_lshlrev_b32_e32 v7, v5, v3
	v_lshlrev_b32_e32 v5, 23, v5
	v_lshrrev_b32_e32 v7, 4, v7
	v_add_u32_e32 v6, 0x1000000, v3
	v_sub_u32_e32 v5, v7, v5
	v_ashrrev_i32_e32 v6, 8, v6
	v_add_u32_e32 v5, 0x3c000000, v5
	v_and_or_b32 v5, v6, s0, v5
	v_cmp_ne_u32_e32 vcc, 0, v3
	v_cndmask_b32_e32 v3, 0, v5, vcc
	s_brev_b32 s0, 1
	v_and_or_b32 v2, v2, s0, v3
.LBB185_463:
	s_mov_b64 s[0:1], 0
.LBB185_464:
	s_andn2_b64 vcc, exec, s[0:1]
	s_cbranch_vccnz .LBB185_466
; %bb.465:
	global_load_ubyte v2, v[0:1], off
	s_movk_i32 s0, 0x7f00
	s_brev_b32 s1, 16
	s_waitcnt vmcnt(0)
	v_lshlrev_b16_e32 v3, 8, v2
	v_lshlrev_b32_e32 v2, 25, v2
	v_lshrrev_b32_e32 v5, 4, v2
	v_and_or_b32 v6, v3, s0, 0.5
	v_or_b32_e32 v5, 0x70000000, v5
	v_add_f32_e32 v6, -0.5, v6
	v_mul_f32_e32 v5, 0x7800000, v5
	v_cmp_gt_u32_e32 vcc, s1, v2
	v_bfe_i32 v3, v3, 0, 16
	v_cndmask_b32_e32 v2, v5, v6, vcc
	s_brev_b32 s0, 1
	v_and_or_b32 v2, v3, s0, v2
.LBB185_466:
	s_mov_b64 s[28:29], 0
	s_mov_b64 s[0:1], -1
.LBB185_467:
	s_andn2_b64 vcc, exec, s[28:29]
	s_cbranch_vccnz .LBB185_480
; %bb.468:
	s_cmp_gt_i32 s37, 14
	s_cbranch_scc0 .LBB185_471
; %bb.469:
	s_cmp_eq_u32 s37, 15
	s_cbranch_scc0 .LBB185_474
; %bb.470:
	global_load_ushort v2, v[0:1], off
	s_mov_b64 s[0:1], -1
	s_mov_b64 s[26:27], 0
	s_waitcnt vmcnt(0)
	v_lshlrev_b32_e32 v2, 16, v2
	s_branch .LBB185_475
.LBB185_471:
	s_mov_b64 s[28:29], -1
                                        ; implicit-def: $vgpr2
	s_branch .LBB185_476
.LBB185_472:
	s_or_saveexec_b64 s[28:29], s[28:29]
	v_mov_b32_e32 v2, 0x7f800001
	s_xor_b64 exec, exec, s[28:29]
	s_cbranch_execz .LBB185_453
.LBB185_473:
	v_cmp_ne_u16_e32 vcc, 0, v3
	s_andn2_b64 s[0:1], s[0:1], exec
	s_and_b64 s[30:31], vcc, exec
	v_mov_b32_e32 v2, 0
	s_or_b64 s[0:1], s[0:1], s[30:31]
	s_or_b64 exec, exec, s[28:29]
	s_and_saveexec_b64 s[28:29], s[0:1]
	s_cbranch_execnz .LBB185_454
	s_branch .LBB185_455
.LBB185_474:
	s_mov_b64 s[26:27], -1
                                        ; implicit-def: $vgpr2
.LBB185_475:
	s_mov_b64 s[28:29], 0
.LBB185_476:
	s_and_b64 vcc, exec, s[28:29]
	s_cbranch_vccz .LBB185_480
; %bb.477:
	s_cmp_eq_u32 s37, 11
	s_cbranch_scc0 .LBB185_479
; %bb.478:
	global_load_ubyte v2, v[0:1], off
	s_mov_b64 s[0:1], -1
	s_mov_b64 s[26:27], 0
	s_waitcnt vmcnt(0)
	v_cmp_ne_u16_e32 vcc, 0, v2
	v_cndmask_b32_e64 v2, 0, 1.0, vcc
	s_branch .LBB185_480
.LBB185_479:
	s_mov_b64 s[26:27], -1
                                        ; implicit-def: $vgpr2
.LBB185_480:
	s_branch .LBB185_396
.LBB185_481:
	s_and_b32 s28, 0xffff, s36
	s_cmp_lt_i32 s28, 5
	s_cbranch_scc1 .LBB185_486
; %bb.482:
	s_cmp_lt_i32 s28, 8
	s_cbranch_scc1 .LBB185_487
; %bb.483:
	;; [unrolled: 3-line block ×3, first 2 shown]
	s_cmp_gt_i32 s28, 9
	s_cbranch_scc0 .LBB185_489
; %bb.485:
	global_load_dwordx2 v[2:3], v[0:1], off
	s_mov_b64 s[0:1], 0
	s_waitcnt vmcnt(0)
	v_cvt_f32_f64_e32 v2, v[2:3]
	s_branch .LBB185_490
.LBB185_486:
	s_mov_b64 s[0:1], -1
                                        ; implicit-def: $vgpr2
	s_branch .LBB185_508
.LBB185_487:
	s_mov_b64 s[0:1], -1
                                        ; implicit-def: $vgpr2
	s_branch .LBB185_496
.LBB185_488:
	s_mov_b64 s[0:1], -1
                                        ; implicit-def: $vgpr2
	s_branch .LBB185_493
.LBB185_489:
	s_mov_b64 s[0:1], -1
                                        ; implicit-def: $vgpr2
.LBB185_490:
	s_andn2_b64 vcc, exec, s[0:1]
	s_cbranch_vccnz .LBB185_492
; %bb.491:
	global_load_dword v2, v[0:1], off
.LBB185_492:
	s_mov_b64 s[0:1], 0
.LBB185_493:
	s_andn2_b64 vcc, exec, s[0:1]
	s_cbranch_vccnz .LBB185_495
; %bb.494:
	global_load_dword v2, v[0:1], off
	s_waitcnt vmcnt(0)
	v_cvt_f32_f16_e32 v2, v2
.LBB185_495:
	s_mov_b64 s[0:1], 0
.LBB185_496:
	s_andn2_b64 vcc, exec, s[0:1]
	s_cbranch_vccnz .LBB185_507
; %bb.497:
	s_cmp_lt_i32 s28, 6
	s_cbranch_scc1 .LBB185_500
; %bb.498:
	s_cmp_gt_i32 s28, 6
	s_cbranch_scc0 .LBB185_501
; %bb.499:
	global_load_dwordx2 v[2:3], v[0:1], off
	s_mov_b64 s[0:1], 0
	s_waitcnt vmcnt(0)
	v_cvt_f32_f64_e32 v2, v[2:3]
	s_branch .LBB185_502
.LBB185_500:
	s_mov_b64 s[0:1], -1
                                        ; implicit-def: $vgpr2
	s_branch .LBB185_505
.LBB185_501:
	s_mov_b64 s[0:1], -1
                                        ; implicit-def: $vgpr2
.LBB185_502:
	s_andn2_b64 vcc, exec, s[0:1]
	s_cbranch_vccnz .LBB185_504
; %bb.503:
	global_load_dword v2, v[0:1], off
.LBB185_504:
	s_mov_b64 s[0:1], 0
.LBB185_505:
	s_andn2_b64 vcc, exec, s[0:1]
	s_cbranch_vccnz .LBB185_507
; %bb.506:
	global_load_ushort v2, v[0:1], off
	s_waitcnt vmcnt(0)
	v_cvt_f32_f16_e32 v2, v2
.LBB185_507:
	s_mov_b64 s[0:1], 0
.LBB185_508:
	s_andn2_b64 vcc, exec, s[0:1]
	s_cbranch_vccnz .LBB185_528
; %bb.509:
	s_cmp_lt_i32 s28, 2
	s_cbranch_scc1 .LBB185_513
; %bb.510:
	s_cmp_lt_i32 s28, 3
	s_cbranch_scc1 .LBB185_514
; %bb.511:
	s_cmp_gt_i32 s28, 3
	s_cbranch_scc0 .LBB185_515
; %bb.512:
	global_load_dwordx2 v[2:3], v[0:1], off
	s_mov_b64 s[0:1], 0
	s_waitcnt vmcnt(0)
	v_xor_b32_e32 v6, v2, v3
	v_ffbh_i32_e32 v5, v3
	v_ashrrev_i32_e32 v6, 31, v6
	v_add_u32_e32 v5, -1, v5
	v_add_u32_e32 v6, 32, v6
	v_min_u32_e32 v5, v5, v6
	v_lshlrev_b64 v[2:3], v5, v[2:3]
	v_min_u32_e32 v2, 1, v2
	v_or_b32_e32 v2, v3, v2
	v_cvt_f32_i32_e32 v2, v2
	v_sub_u32_e32 v3, 32, v5
	v_ldexp_f32 v2, v2, v3
	s_branch .LBB185_516
.LBB185_513:
	s_mov_b64 s[0:1], -1
                                        ; implicit-def: $vgpr2
	s_branch .LBB185_522
.LBB185_514:
	s_mov_b64 s[0:1], -1
                                        ; implicit-def: $vgpr2
	s_branch .LBB185_519
.LBB185_515:
	s_mov_b64 s[0:1], -1
                                        ; implicit-def: $vgpr2
.LBB185_516:
	s_andn2_b64 vcc, exec, s[0:1]
	s_cbranch_vccnz .LBB185_518
; %bb.517:
	global_load_dword v2, v[0:1], off
	s_waitcnt vmcnt(0)
	v_cvt_f32_i32_e32 v2, v2
.LBB185_518:
	s_mov_b64 s[0:1], 0
.LBB185_519:
	s_andn2_b64 vcc, exec, s[0:1]
	s_cbranch_vccnz .LBB185_521
; %bb.520:
	global_load_sshort v2, v[0:1], off
	s_waitcnt vmcnt(0)
	v_cvt_f32_i32_e32 v2, v2
.LBB185_521:
	s_mov_b64 s[0:1], 0
.LBB185_522:
	s_andn2_b64 vcc, exec, s[0:1]
	s_cbranch_vccnz .LBB185_528
; %bb.523:
	s_cmp_gt_i32 s28, 0
	s_cbranch_scc0 .LBB185_525
; %bb.524:
	global_load_sbyte v2, v[0:1], off
	s_mov_b64 s[0:1], 0
	s_waitcnt vmcnt(0)
	v_cvt_f32_i32_e32 v2, v2
	s_branch .LBB185_526
.LBB185_525:
	s_mov_b64 s[0:1], -1
                                        ; implicit-def: $vgpr2
.LBB185_526:
	s_andn2_b64 vcc, exec, s[0:1]
	s_cbranch_vccnz .LBB185_528
; %bb.527:
	global_load_ubyte v0, v[0:1], off
	s_waitcnt vmcnt(0)
	v_cvt_f32_ubyte0_e32 v2, v0
.LBB185_528:
	s_branch .LBB185_397
.LBB185_529:
	s_mov_b64 s[36:37], 0
	s_mov_b64 s[0:1], s[18:19]
	;; [unrolled: 1-line block ×3, first 2 shown]
.LBB185_530:
                                        ; implicit-def: $vgpr4
	s_branch .LBB185_772
.LBB185_531:
	s_andn2_saveexec_b64 s[30:31], s[30:31]
	s_cbranch_execz .LBB185_193
.LBB185_532:
	s_mov_b32 s36, 0x42800000
	v_add_f32_e64 v3, |v2|, s36
	v_and_b32_e32 v3, 0xff, v3
	v_cmp_ne_u32_e32 vcc, 0, v3
	s_andn2_b64 s[26:27], s[26:27], exec
	s_and_b64 s[36:37], vcc, exec
	s_or_b64 s[26:27], s[26:27], s[36:37]
	s_or_b64 exec, exec, s[30:31]
	v_mov_b32_e32 v5, 0
	s_and_saveexec_b64 s[30:31], s[26:27]
	s_cbranch_execnz .LBB185_194
	s_branch .LBB185_195
.LBB185_533:
	s_mov_b64 s[28:29], -1
                                        ; implicit-def: $vgpr3
	s_mov_b64 s[0:1], 0
.LBB185_534:
	s_and_b64 vcc, exec, s[30:31]
	s_cbranch_vccz .LBB185_538
; %bb.535:
	s_cmp_eq_u32 s39, 44
	s_cbranch_scc0 .LBB185_537
; %bb.536:
	global_load_ubyte v3, v[0:1], off
	s_movk_i32 s28, 0xff
	v_mov_b32_e32 v5, 0x7f800001
	v_mov_b32_e32 v6, 0x400000
	s_mov_b64 s[0:1], -1
	s_waitcnt vmcnt(0)
	v_lshlrev_b32_e32 v7, 23, v3
	v_cmp_ne_u32_e32 vcc, s28, v3
	v_cndmask_b32_e32 v5, v5, v7, vcc
	v_cmp_ne_u32_e32 vcc, 0, v3
	v_cndmask_b32_e32 v3, v6, v5, vcc
	s_mov_b64 s[28:29], 0
	s_branch .LBB185_538
.LBB185_537:
	s_mov_b64 s[28:29], -1
                                        ; implicit-def: $vgpr3
.LBB185_538:
	s_mov_b64 s[30:31], 0
.LBB185_539:
	s_and_b64 vcc, exec, s[30:31]
	s_cbranch_vccz .LBB185_543
; %bb.540:
	s_cmp_eq_u32 s39, 29
	s_cbranch_scc0 .LBB185_542
; %bb.541:
	global_load_dwordx2 v[5:6], v[0:1], off
	s_mov_b64 s[0:1], -1
	s_mov_b64 s[28:29], 0
	s_mov_b64 s[30:31], 0
	s_waitcnt vmcnt(0)
	v_ffbh_u32_e32 v3, v6
	v_min_u32_e32 v3, 32, v3
	v_lshlrev_b64 v[5:6], v3, v[5:6]
	v_sub_u32_e32 v3, 32, v3
	v_min_u32_e32 v5, 1, v5
	v_or_b32_e32 v5, v6, v5
	v_cvt_f32_u32_e32 v5, v5
	v_ldexp_f32 v3, v5, v3
	s_branch .LBB185_544
.LBB185_542:
	s_mov_b64 s[28:29], -1
                                        ; implicit-def: $vgpr3
.LBB185_543:
	s_mov_b64 s[30:31], 0
.LBB185_544:
	s_and_b64 vcc, exec, s[30:31]
	s_cbranch_vccz .LBB185_562
; %bb.545:
	s_cmp_lt_i32 s39, 27
	s_cbranch_scc1 .LBB185_548
; %bb.546:
	s_cmp_gt_i32 s39, 27
	s_cbranch_scc0 .LBB185_549
; %bb.547:
	global_load_dword v3, v[0:1], off
	s_mov_b64 s[0:1], 0
	s_waitcnt vmcnt(0)
	v_cvt_f32_u32_e32 v3, v3
	s_branch .LBB185_550
.LBB185_548:
	s_mov_b64 s[0:1], -1
                                        ; implicit-def: $vgpr3
	s_branch .LBB185_553
.LBB185_549:
	s_mov_b64 s[0:1], -1
                                        ; implicit-def: $vgpr3
.LBB185_550:
	s_andn2_b64 vcc, exec, s[0:1]
	s_cbranch_vccnz .LBB185_552
; %bb.551:
	global_load_ushort v3, v[0:1], off
	s_waitcnt vmcnt(0)
	v_cvt_f32_u32_e32 v3, v3
.LBB185_552:
	s_mov_b64 s[0:1], 0
.LBB185_553:
	s_andn2_b64 vcc, exec, s[0:1]
	s_cbranch_vccnz .LBB185_561
; %bb.554:
	global_load_ubyte v5, v[0:1], off
	s_movk_i32 s0, 0x7f
	s_waitcnt vmcnt(0)
	v_cmp_lt_i16_e32 vcc, s0, v5
	s_mov_b64 s[0:1], 0
	s_and_saveexec_b64 s[30:31], vcc
	s_xor_b64 s[30:31], exec, s[30:31]
	s_cbranch_execz .LBB185_575
; %bb.555:
	s_movk_i32 s0, 0x80
	v_cmp_eq_u16_e32 vcc, s0, v5
	s_mov_b64 s[0:1], -1
	s_and_saveexec_b64 s[36:37], vcc
; %bb.556:
	s_xor_b64 s[0:1], exec, -1
; %bb.557:
	s_or_b64 exec, exec, s[36:37]
	s_and_b64 s[0:1], s[0:1], exec
	s_or_saveexec_b64 s[30:31], s[30:31]
	v_mov_b32_e32 v3, 0x7f800001
	s_xor_b64 exec, exec, s[30:31]
	s_cbranch_execnz .LBB185_576
.LBB185_558:
	s_or_b64 exec, exec, s[30:31]
	s_and_saveexec_b64 s[30:31], s[0:1]
	s_cbranch_execz .LBB185_560
.LBB185_559:
	v_lshlrev_b32_e32 v3, 24, v5
	v_and_b32_e32 v5, 0xffff, v5
	v_and_b32_e32 v6, 7, v5
	v_ffbh_u32_e32 v8, v6
	v_min_u32_e32 v8, 32, v8
	v_subrev_u32_e32 v9, 28, v8
	v_bfe_u32 v7, v5, 3, 4
	v_lshlrev_b32_e32 v5, v9, v5
	v_sub_u32_e32 v8, 29, v8
	v_and_b32_e32 v5, 7, v5
	v_cmp_eq_u32_e32 vcc, 0, v7
	v_cndmask_b32_e32 v7, v7, v8, vcc
	v_cndmask_b32_e32 v5, v6, v5, vcc
	v_mov_b32_e32 v6, 0x3b800000
	v_lshlrev_b32_e32 v5, 20, v5
	v_and_b32_e32 v3, 0x80000000, v3
	v_lshl_add_u32 v6, v7, 23, v6
	v_or3_b32 v3, v3, v6, v5
.LBB185_560:
	s_or_b64 exec, exec, s[30:31]
.LBB185_561:
	s_mov_b64 s[0:1], -1
.LBB185_562:
	s_mov_b64 s[30:31], 0
.LBB185_563:
	s_and_b64 vcc, exec, s[30:31]
	s_cbranch_vccz .LBB185_598
; %bb.564:
	s_cmp_gt_i32 s39, 22
	s_cbranch_scc0 .LBB185_574
; %bb.565:
	s_cmp_lt_i32 s39, 24
	s_cbranch_scc1 .LBB185_577
; %bb.566:
	s_cmp_gt_i32 s39, 24
	s_cbranch_scc0 .LBB185_578
; %bb.567:
	global_load_ubyte v5, v[0:1], off
	s_movk_i32 s0, 0x7f
	s_waitcnt vmcnt(0)
	v_cmp_lt_i16_e32 vcc, s0, v5
	s_mov_b64 s[0:1], 0
	s_and_saveexec_b64 s[30:31], vcc
	s_xor_b64 s[30:31], exec, s[30:31]
	s_cbranch_execz .LBB185_590
; %bb.568:
	s_movk_i32 s0, 0x80
	v_cmp_eq_u16_e32 vcc, s0, v5
	s_mov_b64 s[0:1], -1
	s_and_saveexec_b64 s[36:37], vcc
; %bb.569:
	s_xor_b64 s[0:1], exec, -1
; %bb.570:
	s_or_b64 exec, exec, s[36:37]
	s_and_b64 s[0:1], s[0:1], exec
	s_or_saveexec_b64 s[30:31], s[30:31]
	v_mov_b32_e32 v3, 0x7f800001
	s_xor_b64 exec, exec, s[30:31]
	s_cbranch_execnz .LBB185_591
.LBB185_571:
	s_or_b64 exec, exec, s[30:31]
	s_and_saveexec_b64 s[30:31], s[0:1]
	s_cbranch_execz .LBB185_573
.LBB185_572:
	v_lshlrev_b32_e32 v3, 24, v5
	v_and_b32_e32 v5, 0xffff, v5
	v_and_b32_e32 v6, 3, v5
	v_ffbh_u32_e32 v8, v6
	v_min_u32_e32 v8, 32, v8
	v_subrev_u32_e32 v9, 29, v8
	v_bfe_u32 v7, v5, 2, 5
	v_lshlrev_b32_e32 v5, v9, v5
	v_sub_u32_e32 v8, 30, v8
	v_and_b32_e32 v5, 3, v5
	v_cmp_eq_u32_e32 vcc, 0, v7
	v_cndmask_b32_e32 v7, v7, v8, vcc
	v_cndmask_b32_e32 v5, v6, v5, vcc
	v_mov_b32_e32 v6, 0x37800000
	v_lshlrev_b32_e32 v5, 21, v5
	v_and_b32_e32 v3, 0x80000000, v3
	v_lshl_add_u32 v6, v7, 23, v6
	v_or3_b32 v3, v3, v6, v5
.LBB185_573:
	s_or_b64 exec, exec, s[30:31]
	s_mov_b64 s[0:1], 0
	s_branch .LBB185_579
.LBB185_574:
	s_mov_b64 s[30:31], -1
                                        ; implicit-def: $vgpr3
	s_branch .LBB185_585
.LBB185_575:
	s_or_saveexec_b64 s[30:31], s[30:31]
	v_mov_b32_e32 v3, 0x7f800001
	s_xor_b64 exec, exec, s[30:31]
	s_cbranch_execz .LBB185_558
.LBB185_576:
	v_cmp_ne_u16_e32 vcc, 0, v5
	s_andn2_b64 s[0:1], s[0:1], exec
	s_and_b64 s[36:37], vcc, exec
	v_mov_b32_e32 v3, 0
	s_or_b64 s[0:1], s[0:1], s[36:37]
	s_or_b64 exec, exec, s[30:31]
	s_and_saveexec_b64 s[30:31], s[0:1]
	s_cbranch_execnz .LBB185_559
	s_branch .LBB185_560
.LBB185_577:
	s_mov_b64 s[0:1], -1
                                        ; implicit-def: $vgpr3
	s_branch .LBB185_582
.LBB185_578:
	s_mov_b64 s[0:1], -1
                                        ; implicit-def: $vgpr3
.LBB185_579:
	s_and_b64 vcc, exec, s[0:1]
	s_cbranch_vccz .LBB185_581
; %bb.580:
	global_load_ubyte v3, v[0:1], off
	s_mov_b32 s0, 0x7f800000
	s_waitcnt vmcnt(0)
	v_lshlrev_b32_e32 v3, 24, v3
	v_and_b32_e32 v5, 0x7f000000, v3
	v_ffbh_u32_e32 v6, v5
	v_min_u32_e32 v6, 32, v6
	v_sub_u32_e64 v6, v6, 4 clamp
	v_lshlrev_b32_e32 v8, v6, v5
	v_lshlrev_b32_e32 v6, 23, v6
	v_lshrrev_b32_e32 v8, 4, v8
	v_add_u32_e32 v7, 0x1000000, v5
	v_sub_u32_e32 v6, v8, v6
	v_ashrrev_i32_e32 v7, 8, v7
	v_add_u32_e32 v6, 0x3c000000, v6
	v_and_or_b32 v6, v7, s0, v6
	v_cmp_ne_u32_e32 vcc, 0, v5
	v_cndmask_b32_e32 v5, 0, v6, vcc
	s_brev_b32 s0, 1
	v_and_or_b32 v3, v3, s0, v5
.LBB185_581:
	s_mov_b64 s[0:1], 0
.LBB185_582:
	s_andn2_b64 vcc, exec, s[0:1]
	s_cbranch_vccnz .LBB185_584
; %bb.583:
	global_load_ubyte v3, v[0:1], off
	s_movk_i32 s0, 0x7f00
	s_brev_b32 s1, 16
	s_waitcnt vmcnt(0)
	v_lshlrev_b16_e32 v5, 8, v3
	v_lshlrev_b32_e32 v3, 25, v3
	v_lshrrev_b32_e32 v6, 4, v3
	v_and_or_b32 v7, v5, s0, 0.5
	v_or_b32_e32 v6, 0x70000000, v6
	v_add_f32_e32 v7, -0.5, v7
	v_mul_f32_e32 v6, 0x7800000, v6
	v_cmp_gt_u32_e32 vcc, s1, v3
	v_bfe_i32 v5, v5, 0, 16
	v_cndmask_b32_e32 v3, v6, v7, vcc
	s_brev_b32 s0, 1
	v_and_or_b32 v3, v5, s0, v3
.LBB185_584:
	s_mov_b64 s[30:31], 0
	s_mov_b64 s[0:1], -1
.LBB185_585:
	s_andn2_b64 vcc, exec, s[30:31]
	s_cbranch_vccnz .LBB185_598
; %bb.586:
	s_cmp_gt_i32 s39, 14
	s_cbranch_scc0 .LBB185_589
; %bb.587:
	s_cmp_eq_u32 s39, 15
	s_cbranch_scc0 .LBB185_592
; %bb.588:
	global_load_ushort v3, v[0:1], off
	s_mov_b64 s[0:1], -1
	s_mov_b64 s[28:29], 0
	s_waitcnt vmcnt(0)
	v_lshlrev_b32_e32 v3, 16, v3
	s_branch .LBB185_593
.LBB185_589:
	s_mov_b64 s[30:31], -1
                                        ; implicit-def: $vgpr3
	s_branch .LBB185_594
.LBB185_590:
	s_or_saveexec_b64 s[30:31], s[30:31]
	v_mov_b32_e32 v3, 0x7f800001
	s_xor_b64 exec, exec, s[30:31]
	s_cbranch_execz .LBB185_571
.LBB185_591:
	v_cmp_ne_u16_e32 vcc, 0, v5
	s_andn2_b64 s[0:1], s[0:1], exec
	s_and_b64 s[36:37], vcc, exec
	v_mov_b32_e32 v3, 0
	s_or_b64 s[0:1], s[0:1], s[36:37]
	s_or_b64 exec, exec, s[30:31]
	s_and_saveexec_b64 s[30:31], s[0:1]
	s_cbranch_execnz .LBB185_572
	s_branch .LBB185_573
.LBB185_592:
	s_mov_b64 s[28:29], -1
                                        ; implicit-def: $vgpr3
.LBB185_593:
	s_mov_b64 s[30:31], 0
.LBB185_594:
	s_and_b64 vcc, exec, s[30:31]
	s_cbranch_vccz .LBB185_598
; %bb.595:
	s_cmp_eq_u32 s39, 11
	s_cbranch_scc0 .LBB185_597
; %bb.596:
	global_load_ubyte v3, v[0:1], off
	s_mov_b64 s[0:1], -1
	s_mov_b64 s[28:29], 0
	s_waitcnt vmcnt(0)
	v_cmp_ne_u16_e32 vcc, 0, v3
	v_cndmask_b32_e64 v3, 0, 1.0, vcc
	s_branch .LBB185_598
.LBB185_597:
	s_mov_b64 s[28:29], -1
                                        ; implicit-def: $vgpr3
.LBB185_598:
	s_mov_b64 s[30:31], 0
.LBB185_599:
	s_and_b64 vcc, exec, s[30:31]
	s_cbranch_vccz .LBB185_648
; %bb.600:
	s_and_b32 s30, 0xffff, s38
	s_cmp_lt_i32 s30, 5
	s_cbranch_scc1 .LBB185_605
; %bb.601:
	s_cmp_lt_i32 s30, 8
	s_cbranch_scc1 .LBB185_606
; %bb.602:
	;; [unrolled: 3-line block ×3, first 2 shown]
	s_cmp_gt_i32 s30, 9
	s_cbranch_scc0 .LBB185_608
; %bb.604:
	global_load_dwordx2 v[5:6], v[0:1], off
	s_mov_b64 s[0:1], 0
	s_waitcnt vmcnt(0)
	v_cvt_f32_f64_e32 v3, v[5:6]
	s_branch .LBB185_609
.LBB185_605:
	s_mov_b64 s[0:1], -1
                                        ; implicit-def: $vgpr3
	s_branch .LBB185_627
.LBB185_606:
	s_mov_b64 s[0:1], -1
                                        ; implicit-def: $vgpr3
	s_branch .LBB185_615
.LBB185_607:
	s_mov_b64 s[0:1], -1
                                        ; implicit-def: $vgpr3
	s_branch .LBB185_612
.LBB185_608:
	s_mov_b64 s[0:1], -1
                                        ; implicit-def: $vgpr3
.LBB185_609:
	s_andn2_b64 vcc, exec, s[0:1]
	s_cbranch_vccnz .LBB185_611
; %bb.610:
	global_load_dword v3, v[0:1], off
.LBB185_611:
	s_mov_b64 s[0:1], 0
.LBB185_612:
	s_andn2_b64 vcc, exec, s[0:1]
	s_cbranch_vccnz .LBB185_614
; %bb.613:
	global_load_dword v3, v[0:1], off
	s_waitcnt vmcnt(0)
	v_cvt_f32_f16_e32 v3, v3
.LBB185_614:
	s_mov_b64 s[0:1], 0
.LBB185_615:
	s_andn2_b64 vcc, exec, s[0:1]
	s_cbranch_vccnz .LBB185_626
; %bb.616:
	s_cmp_lt_i32 s30, 6
	s_cbranch_scc1 .LBB185_619
; %bb.617:
	s_cmp_gt_i32 s30, 6
	s_cbranch_scc0 .LBB185_620
; %bb.618:
	global_load_dwordx2 v[5:6], v[0:1], off
	s_mov_b64 s[0:1], 0
	s_waitcnt vmcnt(0)
	v_cvt_f32_f64_e32 v3, v[5:6]
	s_branch .LBB185_621
.LBB185_619:
	s_mov_b64 s[0:1], -1
                                        ; implicit-def: $vgpr3
	s_branch .LBB185_624
.LBB185_620:
	s_mov_b64 s[0:1], -1
                                        ; implicit-def: $vgpr3
.LBB185_621:
	s_andn2_b64 vcc, exec, s[0:1]
	s_cbranch_vccnz .LBB185_623
; %bb.622:
	global_load_dword v3, v[0:1], off
.LBB185_623:
	s_mov_b64 s[0:1], 0
.LBB185_624:
	s_andn2_b64 vcc, exec, s[0:1]
	s_cbranch_vccnz .LBB185_626
; %bb.625:
	global_load_ushort v3, v[0:1], off
	s_waitcnt vmcnt(0)
	v_cvt_f32_f16_e32 v3, v3
.LBB185_626:
	s_mov_b64 s[0:1], 0
.LBB185_627:
	s_andn2_b64 vcc, exec, s[0:1]
	s_cbranch_vccnz .LBB185_647
; %bb.628:
	s_cmp_lt_i32 s30, 2
	s_cbranch_scc1 .LBB185_632
; %bb.629:
	s_cmp_lt_i32 s30, 3
	s_cbranch_scc1 .LBB185_633
; %bb.630:
	s_cmp_gt_i32 s30, 3
	s_cbranch_scc0 .LBB185_634
; %bb.631:
	global_load_dwordx2 v[5:6], v[0:1], off
	s_mov_b64 s[0:1], 0
	s_waitcnt vmcnt(0)
	v_xor_b32_e32 v7, v5, v6
	v_ffbh_i32_e32 v3, v6
	v_ashrrev_i32_e32 v7, 31, v7
	v_add_u32_e32 v3, -1, v3
	v_add_u32_e32 v7, 32, v7
	v_min_u32_e32 v3, v3, v7
	v_lshlrev_b64 v[5:6], v3, v[5:6]
	v_sub_u32_e32 v3, 32, v3
	v_min_u32_e32 v5, 1, v5
	v_or_b32_e32 v5, v6, v5
	v_cvt_f32_i32_e32 v5, v5
	v_ldexp_f32 v3, v5, v3
	s_branch .LBB185_635
.LBB185_632:
	s_mov_b64 s[0:1], -1
                                        ; implicit-def: $vgpr3
	s_branch .LBB185_641
.LBB185_633:
	s_mov_b64 s[0:1], -1
                                        ; implicit-def: $vgpr3
	s_branch .LBB185_638
.LBB185_634:
	s_mov_b64 s[0:1], -1
                                        ; implicit-def: $vgpr3
.LBB185_635:
	s_andn2_b64 vcc, exec, s[0:1]
	s_cbranch_vccnz .LBB185_637
; %bb.636:
	global_load_dword v3, v[0:1], off
	s_waitcnt vmcnt(0)
	v_cvt_f32_i32_e32 v3, v3
.LBB185_637:
	s_mov_b64 s[0:1], 0
.LBB185_638:
	s_andn2_b64 vcc, exec, s[0:1]
	s_cbranch_vccnz .LBB185_640
; %bb.639:
	global_load_sshort v3, v[0:1], off
	s_waitcnt vmcnt(0)
	v_cvt_f32_i32_e32 v3, v3
.LBB185_640:
	s_mov_b64 s[0:1], 0
.LBB185_641:
	s_andn2_b64 vcc, exec, s[0:1]
	s_cbranch_vccnz .LBB185_647
; %bb.642:
	s_cmp_gt_i32 s30, 0
	s_cbranch_scc0 .LBB185_644
; %bb.643:
	global_load_sbyte v3, v[0:1], off
	s_mov_b64 s[0:1], 0
	s_waitcnt vmcnt(0)
	v_cvt_f32_i32_e32 v3, v3
	s_branch .LBB185_645
.LBB185_644:
	s_mov_b64 s[0:1], -1
                                        ; implicit-def: $vgpr3
.LBB185_645:
	s_andn2_b64 vcc, exec, s[0:1]
	s_cbranch_vccnz .LBB185_647
; %bb.646:
	global_load_ubyte v0, v[0:1], off
	s_waitcnt vmcnt(0)
	v_cvt_f32_ubyte0_e32 v3, v0
.LBB185_647:
	s_mov_b64 s[0:1], -1
.LBB185_648:
	s_andn2_b64 vcc, exec, s[0:1]
	s_cbranch_vccnz .LBB185_656
; %bb.649:
	v_mul_lo_u32 v0, v4, s12
	v_mov_b32_e32 v1, s2
	s_waitcnt vmcnt(0)
	v_cmp_nge_f32_e32 vcc, s15, v2
	v_cndmask_b32_e32 v2, v1, v3, vcc
	v_ashrrev_i32_e32 v1, 31, v0
	v_mov_b32_e32 v3, s9
	s_and_b32 s40, s3, 0xff
	v_add_co_u32_e32 v0, vcc, s8, v0
	s_cmp_lt_i32 s40, 11
	v_addc_co_u32_e32 v1, vcc, v3, v1, vcc
	s_cbranch_scc1 .LBB185_657
; %bb.650:
	s_and_b32 s41, 0xffff, s40
	s_cmp_gt_i32 s41, 25
	s_cbranch_scc0 .LBB185_658
; %bb.651:
	s_cmp_gt_i32 s41, 28
	s_cbranch_scc0 .LBB185_659
; %bb.652:
	s_cmp_gt_i32 s41, 43
	s_cbranch_scc0 .LBB185_660
; %bb.653:
	s_cmp_gt_i32 s41, 45
	s_cbranch_scc0 .LBB185_661
; %bb.654:
	s_mov_b64 s[36:37], 0
	s_mov_b64 s[0:1], -1
	s_cmp_eq_u32 s41, 46
	s_mov_b64 s[30:31], 0
	s_cbranch_scc0 .LBB185_662
; %bb.655:
	v_bfe_u32 v3, v2, 16, 1
	s_movk_i32 s0, 0x7fff
	v_add3_u32 v3, v2, v3, s0
	v_cmp_o_f32_e32 vcc, v2, v2
	v_mov_b32_e32 v5, 0x7fc0
	v_cndmask_b32_sdwa v3, v5, v3, vcc dst_sel:DWORD dst_unused:UNUSED_PAD src0_sel:DWORD src1_sel:WORD_1
	global_store_dword v[0:1], v3, off
	s_mov_b64 s[30:31], -1
	s_mov_b64 s[0:1], 0
	s_branch .LBB185_662
.LBB185_656:
	s_mov_b64 s[36:37], 0
                                        ; implicit-def: $vgpr4
	s_mov_b64 s[0:1], s[18:19]
	s_branch .LBB185_772
.LBB185_657:
	s_mov_b64 s[36:37], -1
	s_mov_b64 s[30:31], 0
	s_mov_b64 s[0:1], s[18:19]
	s_branch .LBB185_731
.LBB185_658:
	s_mov_b64 s[36:37], -1
	s_mov_b64 s[30:31], 0
	s_mov_b64 s[0:1], s[18:19]
	s_branch .LBB185_689
.LBB185_659:
	s_mov_b64 s[36:37], -1
	s_mov_b64 s[30:31], 0
	s_mov_b64 s[0:1], s[18:19]
	s_branch .LBB185_672
.LBB185_660:
	s_mov_b64 s[36:37], -1
	s_mov_b64 s[30:31], 0
	s_mov_b64 s[0:1], s[18:19]
	s_branch .LBB185_668
.LBB185_661:
	s_mov_b64 s[36:37], -1
	s_mov_b64 s[30:31], 0
	s_mov_b64 s[0:1], s[18:19]
.LBB185_662:
	s_and_b64 vcc, exec, s[36:37]
	s_cbranch_vccz .LBB185_667
; %bb.663:
	s_cmp_eq_u32 s41, 44
	s_mov_b64 s[0:1], -1
	s_cbranch_scc0 .LBB185_667
; %bb.664:
	v_bfe_u32 v3, v2, 23, 8
	s_movk_i32 s0, 0xff
	v_cmp_ne_u32_e32 vcc, s0, v3
	v_mov_b32_e32 v5, 0xff
	s_and_saveexec_b64 s[30:31], vcc
; %bb.665:
	s_mov_b32 s0, 0x3fffff
	v_and_b32_e32 v6, 0x400000, v2
	v_and_or_b32 v3, v2, s0, v3
	v_cmp_ne_u32_e32 vcc, 0, v6
	v_cmp_ne_u32_e64 s[0:1], 0, v3
	s_and_b64 s[0:1], vcc, s[0:1]
	v_lshrrev_b32_e32 v5, 23, v2
	v_cndmask_b32_e64 v3, 0, 1, s[0:1]
	v_add_u32_e32 v5, v5, v3
; %bb.666:
	s_or_b64 exec, exec, s[30:31]
	s_mov_b64 s[30:31], -1
	s_mov_b64 s[0:1], 0
	global_store_byte v[0:1], v5, off
.LBB185_667:
	s_mov_b64 s[36:37], 0
.LBB185_668:
	s_and_b64 vcc, exec, s[36:37]
	s_cbranch_vccz .LBB185_671
; %bb.669:
	s_cmp_eq_u32 s41, 29
	s_mov_b64 s[0:1], -1
	s_cbranch_scc0 .LBB185_671
; %bb.670:
	v_trunc_f32_e32 v3, v2
	v_mul_f32_e32 v5, 0x2f800000, v3
	v_floor_f32_e32 v5, v5
	v_fmac_f32_e32 v3, 0xcf800000, v5
	v_cvt_u32_f32_e32 v6, v5
	v_cvt_u32_f32_e32 v5, v3
	s_mov_b64 s[30:31], -1
	s_mov_b64 s[0:1], 0
	s_mov_b64 s[36:37], 0
	global_store_dwordx2 v[0:1], v[5:6], off
	s_branch .LBB185_672
.LBB185_671:
	s_mov_b64 s[36:37], 0
.LBB185_672:
	s_and_b64 vcc, exec, s[36:37]
	s_cbranch_vccz .LBB185_688
; %bb.673:
	s_cmp_lt_i32 s41, 27
	s_mov_b64 s[30:31], -1
	s_cbranch_scc1 .LBB185_679
; %bb.674:
	v_cvt_u32_f32_e32 v3, v2
	s_cmp_gt_i32 s41, 27
	s_cbranch_scc0 .LBB185_676
; %bb.675:
	s_mov_b64 s[30:31], 0
	global_store_dword v[0:1], v3, off
.LBB185_676:
	s_andn2_b64 vcc, exec, s[30:31]
	s_cbranch_vccnz .LBB185_678
; %bb.677:
	global_store_short v[0:1], v3, off
.LBB185_678:
	s_mov_b64 s[30:31], 0
.LBB185_679:
	s_andn2_b64 vcc, exec, s[30:31]
	s_cbranch_vccnz .LBB185_687
; %bb.680:
	v_and_b32_e32 v3, 0x7fffffff, v2
	s_mov_b32 s30, 0x43800000
	v_cmp_gt_u32_e32 vcc, s30, v3
	v_mov_b32_e32 v5, 0x80
	s_and_saveexec_b64 s[30:31], vcc
	s_cbranch_execz .LBB185_686
; %bb.681:
	s_mov_b32 s36, 0x3bffffff
	v_cmp_lt_u32_e32 vcc, s36, v3
	s_mov_b64 s[36:37], 0
                                        ; implicit-def: $vgpr3
	s_and_saveexec_b64 s[38:39], vcc
	s_xor_b64 s[38:39], exec, s[38:39]
	s_cbranch_execz .LBB185_788
; %bb.682:
	v_bfe_u32 v3, v2, 20, 1
	s_mov_b32 s42, 0x487ffff
	v_add3_u32 v3, v2, v3, s42
	s_mov_b64 s[36:37], exec
	v_lshrrev_b32_e32 v3, 20, v3
	s_andn2_saveexec_b64 s[38:39], s[38:39]
	s_cbranch_execnz .LBB185_789
.LBB185_683:
	s_or_b64 exec, exec, s[38:39]
	v_mov_b32_e32 v5, 0
	s_and_saveexec_b64 s[38:39], s[36:37]
.LBB185_684:
	v_lshrrev_b32_e32 v5, 24, v2
	s_movk_i32 s36, 0x80
	v_and_or_b32 v5, v5, s36, v3
.LBB185_685:
	s_or_b64 exec, exec, s[38:39]
.LBB185_686:
	s_or_b64 exec, exec, s[30:31]
	global_store_byte v[0:1], v5, off
.LBB185_687:
	s_mov_b64 s[30:31], -1
.LBB185_688:
	s_mov_b64 s[36:37], 0
.LBB185_689:
	s_and_b64 vcc, exec, s[36:37]
	s_cbranch_vccz .LBB185_730
; %bb.690:
	s_cmp_gt_i32 s41, 22
	s_mov_b64 s[36:37], -1
	s_cbranch_scc0 .LBB185_722
; %bb.691:
	s_cmp_lt_i32 s41, 24
	s_mov_b64 s[30:31], -1
	s_cbranch_scc1 .LBB185_711
; %bb.692:
	s_cmp_gt_i32 s41, 24
	s_cbranch_scc0 .LBB185_700
; %bb.693:
	v_and_b32_e32 v3, 0x7fffffff, v2
	s_mov_b32 s30, 0x47800000
	v_cmp_gt_u32_e32 vcc, s30, v3
	v_mov_b32_e32 v5, 0x80
	s_and_saveexec_b64 s[30:31], vcc
	s_cbranch_execz .LBB185_699
; %bb.694:
	s_mov_b32 s36, 0x37ffffff
	v_cmp_lt_u32_e32 vcc, s36, v3
	s_mov_b64 s[36:37], 0
                                        ; implicit-def: $vgpr3
	s_and_saveexec_b64 s[38:39], vcc
	s_xor_b64 s[38:39], exec, s[38:39]
	s_cbranch_execz .LBB185_920
; %bb.695:
	v_bfe_u32 v3, v2, 21, 1
	s_mov_b32 s42, 0x88fffff
	v_add3_u32 v3, v2, v3, s42
	s_mov_b64 s[36:37], exec
	v_lshrrev_b32_e32 v3, 21, v3
	s_andn2_saveexec_b64 s[38:39], s[38:39]
	s_cbranch_execnz .LBB185_921
.LBB185_696:
	s_or_b64 exec, exec, s[38:39]
	v_mov_b32_e32 v5, 0
	s_and_saveexec_b64 s[38:39], s[36:37]
.LBB185_697:
	v_lshrrev_b32_e32 v5, 24, v2
	s_movk_i32 s36, 0x80
	v_and_or_b32 v5, v5, s36, v3
.LBB185_698:
	s_or_b64 exec, exec, s[38:39]
.LBB185_699:
	s_or_b64 exec, exec, s[30:31]
	s_mov_b64 s[30:31], 0
	global_store_byte v[0:1], v5, off
.LBB185_700:
	s_and_b64 vcc, exec, s[30:31]
	s_cbranch_vccz .LBB185_710
; %bb.701:
	v_and_b32_e32 v5, 0x7fffffff, v2
	s_mov_b32 s30, 0x43f00000
	v_cmp_gt_u32_e32 vcc, s30, v5
                                        ; implicit-def: $vgpr3
	s_and_saveexec_b64 s[30:31], vcc
	s_xor_b64 s[30:31], exec, s[30:31]
	s_cbranch_execz .LBB185_707
; %bb.702:
	s_mov_b32 s36, 0x3c7fffff
	v_cmp_lt_u32_e32 vcc, s36, v5
                                        ; implicit-def: $vgpr3
	s_and_saveexec_b64 s[36:37], vcc
	s_xor_b64 s[36:37], exec, s[36:37]
; %bb.703:
	v_bfe_u32 v3, v2, 20, 1
	s_mov_b32 s38, 0x407ffff
	v_add3_u32 v3, v2, v3, s38
	v_lshrrev_b32_e32 v5, 20, v3
	v_and_b32_e32 v3, 0xff00000, v3
	s_mov_b32 s38, 0x7f00000
	v_mov_b32_e32 v6, 0x7e
	v_cmp_ne_u32_e32 vcc, s38, v3
	v_cndmask_b32_e32 v3, v6, v5, vcc
; %bb.704:
	s_andn2_saveexec_b64 s[36:37], s[36:37]
; %bb.705:
	s_mov_b32 s38, 0x46800000
	v_add_f32_e64 v3, |v2|, s38
; %bb.706:
	s_or_b64 exec, exec, s[36:37]
                                        ; implicit-def: $vgpr5
.LBB185_707:
	s_andn2_saveexec_b64 s[30:31], s[30:31]
; %bb.708:
	s_mov_b32 s36, 0x7f800000
	v_mov_b32_e32 v3, 0x7e
	v_mov_b32_e32 v6, 0x7f
	v_cmp_lt_u32_e32 vcc, s36, v5
	v_cndmask_b32_e32 v3, v3, v6, vcc
; %bb.709:
	s_or_b64 exec, exec, s[30:31]
	v_lshrrev_b32_e32 v5, 24, v2
	s_movk_i32 s30, 0x80
	v_and_or_b32 v3, v5, s30, v3
	global_store_byte v[0:1], v3, off
.LBB185_710:
	s_mov_b64 s[30:31], 0
.LBB185_711:
	s_andn2_b64 vcc, exec, s[30:31]
	s_cbranch_vccnz .LBB185_721
; %bb.712:
	v_and_b32_e32 v5, 0x7fffffff, v2
	s_mov_b32 s30, 0x47800000
	v_cmp_gt_u32_e32 vcc, s30, v5
                                        ; implicit-def: $vgpr3
	s_and_saveexec_b64 s[30:31], vcc
	s_xor_b64 s[30:31], exec, s[30:31]
	s_cbranch_execz .LBB185_718
; %bb.713:
	s_mov_b32 s36, 0x387fffff
	v_cmp_lt_u32_e32 vcc, s36, v5
                                        ; implicit-def: $vgpr3
	s_and_saveexec_b64 s[36:37], vcc
	s_xor_b64 s[36:37], exec, s[36:37]
; %bb.714:
	v_bfe_u32 v3, v2, 21, 1
	s_mov_b32 s38, 0x80fffff
	v_add3_u32 v3, v2, v3, s38
	v_lshrrev_b32_e32 v3, 21, v3
; %bb.715:
	s_andn2_saveexec_b64 s[36:37], s[36:37]
; %bb.716:
	s_mov_b32 s38, 0x43000000
	v_add_f32_e64 v3, |v2|, s38
; %bb.717:
	s_or_b64 exec, exec, s[36:37]
                                        ; implicit-def: $vgpr5
.LBB185_718:
	s_andn2_saveexec_b64 s[30:31], s[30:31]
; %bb.719:
	s_mov_b32 s36, 0x7f800000
	v_mov_b32_e32 v3, 0x7c
	v_mov_b32_e32 v6, 0x7f
	v_cmp_lt_u32_e32 vcc, s36, v5
	v_cndmask_b32_e32 v3, v3, v6, vcc
; %bb.720:
	s_or_b64 exec, exec, s[30:31]
	v_lshrrev_b32_e32 v5, 24, v2
	s_movk_i32 s30, 0x80
	v_and_or_b32 v3, v5, s30, v3
	global_store_byte v[0:1], v3, off
.LBB185_721:
	s_mov_b64 s[36:37], 0
	s_mov_b64 s[30:31], -1
.LBB185_722:
	s_andn2_b64 vcc, exec, s[36:37]
	s_cbranch_vccnz .LBB185_730
; %bb.723:
	s_cmp_gt_i32 s41, 14
	s_mov_b64 s[36:37], -1
	s_cbranch_scc0 .LBB185_727
; %bb.724:
	s_cmp_eq_u32 s41, 15
	s_mov_b64 s[0:1], -1
	s_cbranch_scc0 .LBB185_726
; %bb.725:
	v_bfe_u32 v3, v2, 16, 1
	s_movk_i32 s0, 0x7fff
	v_add3_u32 v3, v2, v3, s0
	v_cmp_o_f32_e32 vcc, v2, v2
	v_mov_b32_e32 v5, 0x7fc0
	v_cndmask_b32_sdwa v3, v5, v3, vcc dst_sel:DWORD dst_unused:UNUSED_PAD src0_sel:DWORD src1_sel:WORD_1
	global_store_short v[0:1], v3, off
	s_mov_b64 s[30:31], -1
	s_mov_b64 s[0:1], 0
.LBB185_726:
	s_mov_b64 s[36:37], 0
.LBB185_727:
	s_and_b64 vcc, exec, s[36:37]
	s_cbranch_vccz .LBB185_730
; %bb.728:
	s_cmp_eq_u32 s41, 11
	s_mov_b64 s[0:1], -1
	s_cbranch_scc0 .LBB185_730
; %bb.729:
	v_cmp_neq_f32_e32 vcc, 0, v2
	v_cndmask_b32_e64 v3, 0, 1, vcc
	s_mov_b64 s[30:31], -1
	s_mov_b64 s[0:1], 0
	global_store_byte v[0:1], v3, off
.LBB185_730:
	s_mov_b64 s[36:37], 0
.LBB185_731:
	s_and_b64 vcc, exec, s[36:37]
	s_cbranch_vccz .LBB185_770
; %bb.732:
	s_and_b32 s36, 0xffff, s40
	s_cmp_lt_i32 s36, 5
	s_mov_b64 s[30:31], -1
	s_cbranch_scc1 .LBB185_753
; %bb.733:
	s_cmp_lt_i32 s36, 8
	s_cbranch_scc1 .LBB185_743
; %bb.734:
	s_cmp_lt_i32 s36, 9
	s_cbranch_scc1 .LBB185_740
; %bb.735:
	s_cmp_gt_i32 s36, 9
	s_cbranch_scc0 .LBB185_737
; %bb.736:
	v_cvt_f64_f32_e32 v[5:6], v2
	v_mov_b32_e32 v7, 0
	v_mov_b32_e32 v8, v7
	s_mov_b64 s[30:31], 0
	global_store_dwordx4 v[0:1], v[5:8], off
.LBB185_737:
	s_andn2_b64 vcc, exec, s[30:31]
	s_cbranch_vccnz .LBB185_739
; %bb.738:
	v_mov_b32_e32 v3, 0
	global_store_dwordx2 v[0:1], v[2:3], off
.LBB185_739:
	s_mov_b64 s[30:31], 0
.LBB185_740:
	s_andn2_b64 vcc, exec, s[30:31]
	s_cbranch_vccnz .LBB185_742
; %bb.741:
	v_cvt_f16_f32_e32 v3, v2
	global_store_dword v[0:1], v3, off
.LBB185_742:
	s_mov_b64 s[30:31], 0
.LBB185_743:
	s_andn2_b64 vcc, exec, s[30:31]
	s_cbranch_vccnz .LBB185_752
; %bb.744:
	s_cmp_lt_i32 s36, 6
	s_mov_b64 s[30:31], -1
	s_cbranch_scc1 .LBB185_750
; %bb.745:
	s_cmp_gt_i32 s36, 6
	s_cbranch_scc0 .LBB185_747
; %bb.746:
	v_cvt_f64_f32_e32 v[5:6], v2
	s_mov_b64 s[30:31], 0
	global_store_dwordx2 v[0:1], v[5:6], off
.LBB185_747:
	s_andn2_b64 vcc, exec, s[30:31]
	s_cbranch_vccnz .LBB185_749
; %bb.748:
	global_store_dword v[0:1], v2, off
.LBB185_749:
	s_mov_b64 s[30:31], 0
.LBB185_750:
	s_andn2_b64 vcc, exec, s[30:31]
	s_cbranch_vccnz .LBB185_752
; %bb.751:
	v_cvt_f16_f32_e32 v3, v2
	global_store_short v[0:1], v3, off
.LBB185_752:
	s_mov_b64 s[30:31], 0
.LBB185_753:
	s_andn2_b64 vcc, exec, s[30:31]
	s_cbranch_vccnz .LBB185_769
; %bb.754:
	s_cmp_lt_i32 s36, 2
	s_mov_b64 s[30:31], -1
	s_cbranch_scc1 .LBB185_764
; %bb.755:
	s_cmp_lt_i32 s36, 3
	s_cbranch_scc1 .LBB185_761
; %bb.756:
	s_cmp_gt_i32 s36, 3
	s_cbranch_scc0 .LBB185_758
; %bb.757:
	v_trunc_f32_e32 v3, v2
	s_mov_b32 s30, 0x2f800000
	v_mul_f32_e64 v5, |v3|, s30
	v_floor_f32_e32 v5, v5
	s_mov_b32 s30, 0xcf800000
	v_cvt_u32_f32_e32 v6, v5
	v_fma_f32 v5, v5, s30, |v3|
	v_cvt_u32_f32_e32 v5, v5
	v_ashrrev_i32_e32 v3, 31, v3
	v_xor_b32_e32 v6, v6, v3
	s_mov_b64 s[30:31], 0
	v_xor_b32_e32 v5, v5, v3
	v_sub_co_u32_e32 v5, vcc, v5, v3
	v_subb_co_u32_e32 v6, vcc, v6, v3, vcc
	global_store_dwordx2 v[0:1], v[5:6], off
.LBB185_758:
	s_andn2_b64 vcc, exec, s[30:31]
	s_cbranch_vccnz .LBB185_760
; %bb.759:
	v_cvt_i32_f32_e32 v3, v2
	global_store_dword v[0:1], v3, off
.LBB185_760:
	s_mov_b64 s[30:31], 0
.LBB185_761:
	s_andn2_b64 vcc, exec, s[30:31]
	s_cbranch_vccnz .LBB185_763
; %bb.762:
	v_cvt_i32_f32_e32 v3, v2
	global_store_short v[0:1], v3, off
.LBB185_763:
	s_mov_b64 s[30:31], 0
.LBB185_764:
	s_andn2_b64 vcc, exec, s[30:31]
	s_cbranch_vccnz .LBB185_769
; %bb.765:
	s_cmp_gt_i32 s36, 0
	s_mov_b64 s[30:31], -1
	s_cbranch_scc0 .LBB185_767
; %bb.766:
	v_cvt_i32_f32_e32 v3, v2
	s_mov_b64 s[30:31], 0
	global_store_byte v[0:1], v3, off
.LBB185_767:
	s_andn2_b64 vcc, exec, s[30:31]
	s_cbranch_vccnz .LBB185_769
; %bb.768:
	v_trunc_f32_e32 v2, v2
	s_mov_b32 s30, 0x2f800000
	v_mul_f32_e64 v3, |v2|, s30
	v_floor_f32_e32 v3, v3
	s_mov_b32 s30, 0xcf800000
	v_fma_f32 v3, v3, s30, |v2|
	v_cvt_u32_f32_e32 v3, v3
	v_ashrrev_i32_e32 v2, 31, v2
	v_xor_b32_e32 v3, v3, v2
	v_sub_u32_e32 v2, v3, v2
	global_store_byte v[0:1], v2, off
.LBB185_769:
	s_mov_b64 s[30:31], -1
.LBB185_770:
	s_andn2_b64 vcc, exec, s[30:31]
	s_cbranch_vccnz .LBB185_783
; %bb.771:
	v_add_u32_e32 v4, 0x80, v4
	s_mov_b64 s[36:37], -1
.LBB185_772:
	s_andn2_b64 s[30:31], s[18:19], exec
	s_and_b64 s[0:1], s[0:1], exec
	s_or_b64 s[30:31], s[30:31], s[0:1]
	s_andn2_b64 s[0:1], s[20:21], exec
	s_and_b64 s[28:29], s[28:29], exec
	s_or_b64 s[28:29], s[0:1], s[28:29]
	;; [unrolled: 3-line block ×3, first 2 shown]
	s_orn2_b64 s[0:1], s[36:37], exec
.LBB185_773:
	s_or_b64 exec, exec, s[34:35]
	s_mov_b64 s[36:37], 0
	s_mov_b64 s[38:39], 0
	;; [unrolled: 1-line block ×3, first 2 shown]
                                        ; implicit-def: $sgpr57
                                        ; implicit-def: $vgpr0_vgpr1
                                        ; implicit-def: $vgpr3
	s_and_saveexec_b64 s[34:35], s[0:1]
	s_cbranch_execz .LBB185_1247
; %bb.774:
	v_cmp_gt_i32_e32 vcc, s50, v4
	s_mov_b64 s[48:49], -1
	s_mov_b64 s[0:1], s[26:27]
	s_mov_b64 s[40:41], s[28:29]
	;; [unrolled: 1-line block ×3, first 2 shown]
	s_and_saveexec_b64 s[36:37], vcc
	s_cbranch_execz .LBB185_1162
; %bb.775:
	v_mul_lo_u32 v0, v4, s13
	v_mov_b32_e32 v1, s11
	s_and_b32 s44, s56, 0xff
	s_cmp_lt_i32 s44, 11
	s_waitcnt vmcnt(0)
	v_ashrrev_i32_e32 v2, 31, v0
	v_add_co_u32_e32 v0, vcc, s10, v0
	v_addc_co_u32_e32 v1, vcc, v1, v2, vcc
	s_cbranch_scc1 .LBB185_782
; %bb.776:
	s_and_b32 s45, 0xffff, s44
	s_cmp_gt_i32 s45, 25
	s_cbranch_scc0 .LBB185_784
; %bb.777:
	s_cmp_gt_i32 s45, 28
	s_cbranch_scc0 .LBB185_785
; %bb.778:
	;; [unrolled: 3-line block ×4, first 2 shown]
	s_cmp_eq_u32 s45, 46
	s_mov_b64 s[40:41], 0
	s_cbranch_scc0 .LBB185_790
; %bb.781:
	global_load_dword v2, v[0:1], off
	s_mov_b64 s[0:1], -1
	s_waitcnt vmcnt(0)
	v_lshlrev_b32_e32 v2, 16, v2
	s_branch .LBB185_791
.LBB185_782:
	s_mov_b64 s[40:41], -1
	s_mov_b64 s[0:1], 0
                                        ; implicit-def: $vgpr2
	s_mov_b64 s[38:39], s[26:27]
	s_branch .LBB185_856
.LBB185_783:
	s_mov_b64 s[36:37], 0
	s_branch .LBB185_530
.LBB185_784:
	s_mov_b64 s[40:41], -1
	s_mov_b64 s[0:1], 0
	s_mov_b64 s[38:39], s[26:27]
                                        ; implicit-def: $vgpr2
	s_branch .LBB185_820
.LBB185_785:
	s_mov_b64 s[40:41], -1
	s_mov_b64 s[0:1], 0
	s_mov_b64 s[38:39], s[26:27]
                                        ; implicit-def: $vgpr2
	s_branch .LBB185_801
.LBB185_786:
	s_mov_b64 s[40:41], -1
	s_mov_b64 s[0:1], 0
	s_mov_b64 s[38:39], s[26:27]
                                        ; implicit-def: $vgpr2
	s_branch .LBB185_796
.LBB185_787:
	s_mov_b64 s[40:41], -1
	s_mov_b64 s[0:1], 0
	s_mov_b64 s[38:39], s[26:27]
                                        ; implicit-def: $vgpr2
	s_branch .LBB185_791
.LBB185_788:
	s_andn2_saveexec_b64 s[38:39], s[38:39]
	s_cbranch_execz .LBB185_683
.LBB185_789:
	s_mov_b32 s42, 0x46000000
	v_add_f32_e64 v3, |v2|, s42
	v_and_b32_e32 v3, 0xff, v3
	v_cmp_ne_u32_e32 vcc, 0, v3
	s_andn2_b64 s[36:37], s[36:37], exec
	s_and_b64 s[42:43], vcc, exec
	s_or_b64 s[36:37], s[36:37], s[42:43]
	s_or_b64 exec, exec, s[38:39]
	v_mov_b32_e32 v5, 0
	s_and_saveexec_b64 s[38:39], s[36:37]
	s_cbranch_execnz .LBB185_684
	s_branch .LBB185_685
.LBB185_790:
	s_mov_b64 s[38:39], -1
                                        ; implicit-def: $vgpr2
	s_mov_b64 s[0:1], 0
.LBB185_791:
	s_and_b64 vcc, exec, s[40:41]
	s_cbranch_vccz .LBB185_795
; %bb.792:
	s_cmp_eq_u32 s45, 44
	s_cbranch_scc0 .LBB185_794
; %bb.793:
	global_load_ubyte v2, v[0:1], off
	s_movk_i32 s38, 0xff
	v_mov_b32_e32 v3, 0x7f800001
	v_mov_b32_e32 v5, 0x400000
	s_mov_b64 s[0:1], -1
	s_waitcnt vmcnt(0)
	v_lshlrev_b32_e32 v6, 23, v2
	v_cmp_ne_u32_e32 vcc, s38, v2
	v_cndmask_b32_e32 v3, v3, v6, vcc
	v_cmp_ne_u32_e32 vcc, 0, v2
	v_cndmask_b32_e32 v2, v5, v3, vcc
	s_mov_b64 s[38:39], 0
	s_branch .LBB185_795
.LBB185_794:
	s_mov_b64 s[38:39], -1
                                        ; implicit-def: $vgpr2
.LBB185_795:
	s_mov_b64 s[40:41], 0
.LBB185_796:
	s_and_b64 vcc, exec, s[40:41]
	s_cbranch_vccz .LBB185_800
; %bb.797:
	s_cmp_eq_u32 s45, 29
	s_cbranch_scc0 .LBB185_799
; %bb.798:
	global_load_dwordx2 v[2:3], v[0:1], off
	s_mov_b64 s[0:1], -1
	s_mov_b64 s[38:39], 0
	s_mov_b64 s[40:41], 0
	s_waitcnt vmcnt(0)
	v_ffbh_u32_e32 v5, v3
	v_min_u32_e32 v5, 32, v5
	v_lshlrev_b64 v[2:3], v5, v[2:3]
	v_min_u32_e32 v2, 1, v2
	v_or_b32_e32 v2, v3, v2
	v_cvt_f32_u32_e32 v2, v2
	v_sub_u32_e32 v3, 32, v5
	v_ldexp_f32 v2, v2, v3
	s_branch .LBB185_801
.LBB185_799:
	s_mov_b64 s[38:39], -1
                                        ; implicit-def: $vgpr2
.LBB185_800:
	s_mov_b64 s[40:41], 0
.LBB185_801:
	s_and_b64 vcc, exec, s[40:41]
	s_cbranch_vccz .LBB185_819
; %bb.802:
	s_cmp_lt_i32 s45, 27
	s_cbranch_scc1 .LBB185_805
; %bb.803:
	s_cmp_gt_i32 s45, 27
	s_cbranch_scc0 .LBB185_806
; %bb.804:
	global_load_dword v2, v[0:1], off
	s_mov_b64 s[0:1], 0
	s_waitcnt vmcnt(0)
	v_cvt_f32_u32_e32 v2, v2
	s_branch .LBB185_807
.LBB185_805:
	s_mov_b64 s[0:1], -1
                                        ; implicit-def: $vgpr2
	s_branch .LBB185_810
.LBB185_806:
	s_mov_b64 s[0:1], -1
                                        ; implicit-def: $vgpr2
.LBB185_807:
	s_andn2_b64 vcc, exec, s[0:1]
	s_cbranch_vccnz .LBB185_809
; %bb.808:
	global_load_ushort v2, v[0:1], off
	s_waitcnt vmcnt(0)
	v_cvt_f32_u32_e32 v2, v2
.LBB185_809:
	s_mov_b64 s[0:1], 0
.LBB185_810:
	s_andn2_b64 vcc, exec, s[0:1]
	s_cbranch_vccnz .LBB185_818
; %bb.811:
	global_load_ubyte v3, v[0:1], off
	s_movk_i32 s0, 0x7f
	s_waitcnt vmcnt(0)
	v_cmp_lt_i16_e32 vcc, s0, v3
	s_mov_b64 s[0:1], 0
	s_and_saveexec_b64 s[40:41], vcc
	s_xor_b64 s[40:41], exec, s[40:41]
	s_cbranch_execz .LBB185_832
; %bb.812:
	s_movk_i32 s0, 0x80
	v_cmp_eq_u16_e32 vcc, s0, v3
	s_mov_b64 s[0:1], -1
	s_and_saveexec_b64 s[42:43], vcc
; %bb.813:
	s_xor_b64 s[0:1], exec, -1
; %bb.814:
	s_or_b64 exec, exec, s[42:43]
	s_and_b64 s[0:1], s[0:1], exec
	s_or_saveexec_b64 s[40:41], s[40:41]
	v_mov_b32_e32 v2, 0x7f800001
	s_xor_b64 exec, exec, s[40:41]
	s_cbranch_execnz .LBB185_833
.LBB185_815:
	s_or_b64 exec, exec, s[40:41]
	s_and_saveexec_b64 s[40:41], s[0:1]
	s_cbranch_execz .LBB185_817
.LBB185_816:
	v_lshlrev_b32_e32 v2, 24, v3
	v_and_b32_e32 v3, 0xffff, v3
	v_and_b32_e32 v5, 7, v3
	v_ffbh_u32_e32 v7, v5
	v_min_u32_e32 v7, 32, v7
	v_subrev_u32_e32 v8, 28, v7
	v_bfe_u32 v6, v3, 3, 4
	v_lshlrev_b32_e32 v3, v8, v3
	v_sub_u32_e32 v7, 29, v7
	v_and_b32_e32 v3, 7, v3
	v_cmp_eq_u32_e32 vcc, 0, v6
	v_cndmask_b32_e32 v6, v6, v7, vcc
	v_cndmask_b32_e32 v3, v5, v3, vcc
	v_mov_b32_e32 v5, 0x3b800000
	v_lshlrev_b32_e32 v3, 20, v3
	v_and_b32_e32 v2, 0x80000000, v2
	v_lshl_add_u32 v5, v6, 23, v5
	v_or3_b32 v2, v2, v5, v3
.LBB185_817:
	s_or_b64 exec, exec, s[40:41]
.LBB185_818:
	s_mov_b64 s[0:1], -1
.LBB185_819:
	s_mov_b64 s[40:41], 0
.LBB185_820:
	s_and_b64 vcc, exec, s[40:41]
	s_cbranch_vccz .LBB185_855
; %bb.821:
	s_cmp_gt_i32 s45, 22
	s_cbranch_scc0 .LBB185_831
; %bb.822:
	s_cmp_lt_i32 s45, 24
	s_cbranch_scc1 .LBB185_834
; %bb.823:
	s_cmp_gt_i32 s45, 24
	s_cbranch_scc0 .LBB185_835
; %bb.824:
	global_load_ubyte v3, v[0:1], off
	s_movk_i32 s0, 0x7f
	s_waitcnt vmcnt(0)
	v_cmp_lt_i16_e32 vcc, s0, v3
	s_mov_b64 s[0:1], 0
	s_and_saveexec_b64 s[40:41], vcc
	s_xor_b64 s[40:41], exec, s[40:41]
	s_cbranch_execz .LBB185_847
; %bb.825:
	s_movk_i32 s0, 0x80
	v_cmp_eq_u16_e32 vcc, s0, v3
	s_mov_b64 s[0:1], -1
	s_and_saveexec_b64 s[42:43], vcc
; %bb.826:
	s_xor_b64 s[0:1], exec, -1
; %bb.827:
	s_or_b64 exec, exec, s[42:43]
	s_and_b64 s[0:1], s[0:1], exec
	s_or_saveexec_b64 s[40:41], s[40:41]
	v_mov_b32_e32 v2, 0x7f800001
	s_xor_b64 exec, exec, s[40:41]
	s_cbranch_execnz .LBB185_848
.LBB185_828:
	s_or_b64 exec, exec, s[40:41]
	s_and_saveexec_b64 s[40:41], s[0:1]
	s_cbranch_execz .LBB185_830
.LBB185_829:
	v_lshlrev_b32_e32 v2, 24, v3
	v_and_b32_e32 v3, 0xffff, v3
	v_and_b32_e32 v5, 3, v3
	v_ffbh_u32_e32 v7, v5
	v_min_u32_e32 v7, 32, v7
	v_subrev_u32_e32 v8, 29, v7
	v_bfe_u32 v6, v3, 2, 5
	v_lshlrev_b32_e32 v3, v8, v3
	v_sub_u32_e32 v7, 30, v7
	v_and_b32_e32 v3, 3, v3
	v_cmp_eq_u32_e32 vcc, 0, v6
	v_cndmask_b32_e32 v6, v6, v7, vcc
	v_cndmask_b32_e32 v3, v5, v3, vcc
	v_mov_b32_e32 v5, 0x37800000
	v_lshlrev_b32_e32 v3, 21, v3
	v_and_b32_e32 v2, 0x80000000, v2
	v_lshl_add_u32 v5, v6, 23, v5
	v_or3_b32 v2, v2, v5, v3
.LBB185_830:
	s_or_b64 exec, exec, s[40:41]
	s_mov_b64 s[0:1], 0
	s_branch .LBB185_836
.LBB185_831:
	s_mov_b64 s[40:41], -1
                                        ; implicit-def: $vgpr2
	s_branch .LBB185_842
.LBB185_832:
	s_or_saveexec_b64 s[40:41], s[40:41]
	v_mov_b32_e32 v2, 0x7f800001
	s_xor_b64 exec, exec, s[40:41]
	s_cbranch_execz .LBB185_815
.LBB185_833:
	v_cmp_ne_u16_e32 vcc, 0, v3
	s_andn2_b64 s[0:1], s[0:1], exec
	s_and_b64 s[42:43], vcc, exec
	v_mov_b32_e32 v2, 0
	s_or_b64 s[0:1], s[0:1], s[42:43]
	s_or_b64 exec, exec, s[40:41]
	s_and_saveexec_b64 s[40:41], s[0:1]
	s_cbranch_execnz .LBB185_816
	s_branch .LBB185_817
.LBB185_834:
	s_mov_b64 s[0:1], -1
                                        ; implicit-def: $vgpr2
	s_branch .LBB185_839
.LBB185_835:
	s_mov_b64 s[0:1], -1
                                        ; implicit-def: $vgpr2
.LBB185_836:
	s_and_b64 vcc, exec, s[0:1]
	s_cbranch_vccz .LBB185_838
; %bb.837:
	global_load_ubyte v2, v[0:1], off
	s_mov_b32 s0, 0x7f800000
	s_waitcnt vmcnt(0)
	v_lshlrev_b32_e32 v2, 24, v2
	v_and_b32_e32 v3, 0x7f000000, v2
	v_ffbh_u32_e32 v5, v3
	v_min_u32_e32 v5, 32, v5
	v_sub_u32_e64 v5, v5, 4 clamp
	v_lshlrev_b32_e32 v7, v5, v3
	v_lshlrev_b32_e32 v5, 23, v5
	v_lshrrev_b32_e32 v7, 4, v7
	v_add_u32_e32 v6, 0x1000000, v3
	v_sub_u32_e32 v5, v7, v5
	v_ashrrev_i32_e32 v6, 8, v6
	v_add_u32_e32 v5, 0x3c000000, v5
	v_and_or_b32 v5, v6, s0, v5
	v_cmp_ne_u32_e32 vcc, 0, v3
	v_cndmask_b32_e32 v3, 0, v5, vcc
	s_brev_b32 s0, 1
	v_and_or_b32 v2, v2, s0, v3
.LBB185_838:
	s_mov_b64 s[0:1], 0
.LBB185_839:
	s_andn2_b64 vcc, exec, s[0:1]
	s_cbranch_vccnz .LBB185_841
; %bb.840:
	global_load_ubyte v2, v[0:1], off
	s_movk_i32 s0, 0x7f00
	s_brev_b32 s1, 16
	s_waitcnt vmcnt(0)
	v_lshlrev_b16_e32 v3, 8, v2
	v_lshlrev_b32_e32 v2, 25, v2
	v_lshrrev_b32_e32 v5, 4, v2
	v_and_or_b32 v6, v3, s0, 0.5
	v_or_b32_e32 v5, 0x70000000, v5
	v_add_f32_e32 v6, -0.5, v6
	v_mul_f32_e32 v5, 0x7800000, v5
	v_cmp_gt_u32_e32 vcc, s1, v2
	v_bfe_i32 v3, v3, 0, 16
	v_cndmask_b32_e32 v2, v5, v6, vcc
	s_brev_b32 s0, 1
	v_and_or_b32 v2, v3, s0, v2
.LBB185_841:
	s_mov_b64 s[40:41], 0
	s_mov_b64 s[0:1], -1
.LBB185_842:
	s_andn2_b64 vcc, exec, s[40:41]
	s_cbranch_vccnz .LBB185_855
; %bb.843:
	s_cmp_gt_i32 s45, 14
	s_cbranch_scc0 .LBB185_846
; %bb.844:
	s_cmp_eq_u32 s45, 15
	s_cbranch_scc0 .LBB185_849
; %bb.845:
	global_load_ushort v2, v[0:1], off
	s_mov_b64 s[0:1], -1
	s_mov_b64 s[38:39], 0
	s_waitcnt vmcnt(0)
	v_lshlrev_b32_e32 v2, 16, v2
	s_branch .LBB185_850
.LBB185_846:
	s_mov_b64 s[40:41], -1
                                        ; implicit-def: $vgpr2
	s_branch .LBB185_851
.LBB185_847:
	s_or_saveexec_b64 s[40:41], s[40:41]
	v_mov_b32_e32 v2, 0x7f800001
	s_xor_b64 exec, exec, s[40:41]
	s_cbranch_execz .LBB185_828
.LBB185_848:
	v_cmp_ne_u16_e32 vcc, 0, v3
	s_andn2_b64 s[0:1], s[0:1], exec
	s_and_b64 s[42:43], vcc, exec
	v_mov_b32_e32 v2, 0
	s_or_b64 s[0:1], s[0:1], s[42:43]
	s_or_b64 exec, exec, s[40:41]
	s_and_saveexec_b64 s[40:41], s[0:1]
	s_cbranch_execnz .LBB185_829
	s_branch .LBB185_830
.LBB185_849:
	s_mov_b64 s[38:39], -1
                                        ; implicit-def: $vgpr2
.LBB185_850:
	s_mov_b64 s[40:41], 0
.LBB185_851:
	s_and_b64 vcc, exec, s[40:41]
	s_cbranch_vccz .LBB185_855
; %bb.852:
	s_cmp_eq_u32 s45, 11
	s_cbranch_scc0 .LBB185_854
; %bb.853:
	global_load_ubyte v2, v[0:1], off
	s_mov_b64 s[0:1], -1
	s_mov_b64 s[38:39], 0
	s_waitcnt vmcnt(0)
	v_cmp_ne_u16_e32 vcc, 0, v2
	v_cndmask_b32_e64 v2, 0, 1.0, vcc
	s_branch .LBB185_855
.LBB185_854:
	s_mov_b64 s[38:39], -1
                                        ; implicit-def: $vgpr2
.LBB185_855:
	s_mov_b64 s[40:41], 0
.LBB185_856:
	s_and_b64 vcc, exec, s[40:41]
	s_cbranch_vccz .LBB185_905
; %bb.857:
	s_and_b32 s40, 0xffff, s44
	s_cmp_lt_i32 s40, 5
	s_cbranch_scc1 .LBB185_862
; %bb.858:
	s_cmp_lt_i32 s40, 8
	s_cbranch_scc1 .LBB185_863
; %bb.859:
	;; [unrolled: 3-line block ×3, first 2 shown]
	s_cmp_gt_i32 s40, 9
	s_cbranch_scc0 .LBB185_865
; %bb.861:
	global_load_dwordx2 v[2:3], v[0:1], off
	s_mov_b64 s[0:1], 0
	s_waitcnt vmcnt(0)
	v_cvt_f32_f64_e32 v2, v[2:3]
	s_branch .LBB185_866
.LBB185_862:
	s_mov_b64 s[0:1], -1
                                        ; implicit-def: $vgpr2
	s_branch .LBB185_884
.LBB185_863:
	s_mov_b64 s[0:1], -1
                                        ; implicit-def: $vgpr2
	s_branch .LBB185_872
.LBB185_864:
	s_mov_b64 s[0:1], -1
                                        ; implicit-def: $vgpr2
	s_branch .LBB185_869
.LBB185_865:
	s_mov_b64 s[0:1], -1
                                        ; implicit-def: $vgpr2
.LBB185_866:
	s_andn2_b64 vcc, exec, s[0:1]
	s_cbranch_vccnz .LBB185_868
; %bb.867:
	global_load_dword v2, v[0:1], off
.LBB185_868:
	s_mov_b64 s[0:1], 0
.LBB185_869:
	s_andn2_b64 vcc, exec, s[0:1]
	s_cbranch_vccnz .LBB185_871
; %bb.870:
	global_load_dword v2, v[0:1], off
	s_waitcnt vmcnt(0)
	v_cvt_f32_f16_e32 v2, v2
.LBB185_871:
	s_mov_b64 s[0:1], 0
.LBB185_872:
	s_andn2_b64 vcc, exec, s[0:1]
	s_cbranch_vccnz .LBB185_883
; %bb.873:
	s_cmp_lt_i32 s40, 6
	s_cbranch_scc1 .LBB185_876
; %bb.874:
	s_cmp_gt_i32 s40, 6
	s_cbranch_scc0 .LBB185_877
; %bb.875:
	global_load_dwordx2 v[2:3], v[0:1], off
	s_mov_b64 s[0:1], 0
	s_waitcnt vmcnt(0)
	v_cvt_f32_f64_e32 v2, v[2:3]
	s_branch .LBB185_878
.LBB185_876:
	s_mov_b64 s[0:1], -1
                                        ; implicit-def: $vgpr2
	s_branch .LBB185_881
.LBB185_877:
	s_mov_b64 s[0:1], -1
                                        ; implicit-def: $vgpr2
.LBB185_878:
	s_andn2_b64 vcc, exec, s[0:1]
	s_cbranch_vccnz .LBB185_880
; %bb.879:
	global_load_dword v2, v[0:1], off
.LBB185_880:
	s_mov_b64 s[0:1], 0
.LBB185_881:
	s_andn2_b64 vcc, exec, s[0:1]
	s_cbranch_vccnz .LBB185_883
; %bb.882:
	global_load_ushort v2, v[0:1], off
	s_waitcnt vmcnt(0)
	v_cvt_f32_f16_e32 v2, v2
.LBB185_883:
	s_mov_b64 s[0:1], 0
.LBB185_884:
	s_andn2_b64 vcc, exec, s[0:1]
	s_cbranch_vccnz .LBB185_904
; %bb.885:
	s_cmp_lt_i32 s40, 2
	s_cbranch_scc1 .LBB185_889
; %bb.886:
	s_cmp_lt_i32 s40, 3
	s_cbranch_scc1 .LBB185_890
; %bb.887:
	s_cmp_gt_i32 s40, 3
	s_cbranch_scc0 .LBB185_891
; %bb.888:
	global_load_dwordx2 v[2:3], v[0:1], off
	s_mov_b64 s[0:1], 0
	s_waitcnt vmcnt(0)
	v_xor_b32_e32 v6, v2, v3
	v_ffbh_i32_e32 v5, v3
	v_ashrrev_i32_e32 v6, 31, v6
	v_add_u32_e32 v5, -1, v5
	v_add_u32_e32 v6, 32, v6
	v_min_u32_e32 v5, v5, v6
	v_lshlrev_b64 v[2:3], v5, v[2:3]
	v_min_u32_e32 v2, 1, v2
	v_or_b32_e32 v2, v3, v2
	v_cvt_f32_i32_e32 v2, v2
	v_sub_u32_e32 v3, 32, v5
	v_ldexp_f32 v2, v2, v3
	s_branch .LBB185_892
.LBB185_889:
	s_mov_b64 s[0:1], -1
                                        ; implicit-def: $vgpr2
	s_branch .LBB185_898
.LBB185_890:
	s_mov_b64 s[0:1], -1
                                        ; implicit-def: $vgpr2
	s_branch .LBB185_895
.LBB185_891:
	s_mov_b64 s[0:1], -1
                                        ; implicit-def: $vgpr2
.LBB185_892:
	s_andn2_b64 vcc, exec, s[0:1]
	s_cbranch_vccnz .LBB185_894
; %bb.893:
	global_load_dword v2, v[0:1], off
	s_waitcnt vmcnt(0)
	v_cvt_f32_i32_e32 v2, v2
.LBB185_894:
	s_mov_b64 s[0:1], 0
.LBB185_895:
	s_andn2_b64 vcc, exec, s[0:1]
	s_cbranch_vccnz .LBB185_897
; %bb.896:
	global_load_sshort v2, v[0:1], off
	s_waitcnt vmcnt(0)
	v_cvt_f32_i32_e32 v2, v2
.LBB185_897:
	s_mov_b64 s[0:1], 0
.LBB185_898:
	s_andn2_b64 vcc, exec, s[0:1]
	s_cbranch_vccnz .LBB185_904
; %bb.899:
	s_cmp_gt_i32 s40, 0
	s_cbranch_scc0 .LBB185_901
; %bb.900:
	global_load_sbyte v2, v[0:1], off
	s_mov_b64 s[0:1], 0
	s_waitcnt vmcnt(0)
	v_cvt_f32_i32_e32 v2, v2
	s_branch .LBB185_902
.LBB185_901:
	s_mov_b64 s[0:1], -1
                                        ; implicit-def: $vgpr2
.LBB185_902:
	s_andn2_b64 vcc, exec, s[0:1]
	s_cbranch_vccnz .LBB185_904
; %bb.903:
	global_load_ubyte v0, v[0:1], off
	s_waitcnt vmcnt(0)
	v_cvt_f32_ubyte0_e32 v2, v0
.LBB185_904:
	s_mov_b64 s[0:1], -1
.LBB185_905:
	s_andn2_b64 vcc, exec, s[0:1]
	s_cbranch_vccnz .LBB185_913
; %bb.906:
	v_mul_lo_u32 v0, v4, s14
	v_mov_b32_e32 v1, s17
	s_and_b32 s46, s33, 0xff
	s_cmp_lt_i32 s46, 11
	v_ashrrev_i32_e32 v3, 31, v0
	v_add_co_u32_e32 v0, vcc, s16, v0
	v_addc_co_u32_e32 v1, vcc, v1, v3, vcc
	s_cbranch_scc1 .LBB185_915
; %bb.907:
	s_and_b32 s47, 0xffff, s46
	s_cmp_gt_i32 s47, 25
	s_cbranch_scc0 .LBB185_916
; %bb.908:
	s_cmp_gt_i32 s47, 28
	s_cbranch_scc0 .LBB185_917
; %bb.909:
	;; [unrolled: 3-line block ×4, first 2 shown]
	s_cmp_eq_u32 s47, 46
	s_mov_b64 s[42:43], 0
	s_cbranch_scc0 .LBB185_922
; %bb.912:
	global_load_dword v3, v[0:1], off
	s_mov_b64 s[0:1], -1
	s_mov_b64 s[40:41], 0
	s_waitcnt vmcnt(0)
	v_lshlrev_b32_e32 v3, 16, v3
	s_branch .LBB185_923
.LBB185_913:
	s_mov_b64 s[44:45], 0
	s_mov_b64 s[0:1], s[30:31]
	;; [unrolled: 1-line block ×3, first 2 shown]
.LBB185_914:
                                        ; implicit-def: $vgpr4
	s_branch .LBB185_1161
.LBB185_915:
	s_mov_b64 s[42:43], -1
	s_mov_b64 s[0:1], 0
                                        ; implicit-def: $vgpr3
	s_mov_b64 s[40:41], s[28:29]
	s_branch .LBB185_988
.LBB185_916:
	s_mov_b64 s[42:43], -1
	s_mov_b64 s[0:1], 0
	s_mov_b64 s[40:41], s[28:29]
                                        ; implicit-def: $vgpr3
	s_branch .LBB185_952
.LBB185_917:
	s_mov_b64 s[42:43], -1
	s_mov_b64 s[0:1], 0
	s_mov_b64 s[40:41], s[28:29]
                                        ; implicit-def: $vgpr3
	s_branch .LBB185_933
.LBB185_918:
	s_mov_b64 s[42:43], -1
	s_mov_b64 s[0:1], 0
	s_mov_b64 s[40:41], s[28:29]
                                        ; implicit-def: $vgpr3
	s_branch .LBB185_928
.LBB185_919:
	s_mov_b64 s[42:43], -1
	s_mov_b64 s[0:1], 0
	s_mov_b64 s[40:41], s[28:29]
                                        ; implicit-def: $vgpr3
	s_branch .LBB185_923
.LBB185_920:
	s_andn2_saveexec_b64 s[38:39], s[38:39]
	s_cbranch_execz .LBB185_696
.LBB185_921:
	s_mov_b32 s42, 0x42800000
	v_add_f32_e64 v3, |v2|, s42
	v_and_b32_e32 v3, 0xff, v3
	v_cmp_ne_u32_e32 vcc, 0, v3
	s_andn2_b64 s[36:37], s[36:37], exec
	s_and_b64 s[42:43], vcc, exec
	s_or_b64 s[36:37], s[36:37], s[42:43]
	s_or_b64 exec, exec, s[38:39]
	v_mov_b32_e32 v5, 0
	s_and_saveexec_b64 s[38:39], s[36:37]
	s_cbranch_execnz .LBB185_697
	s_branch .LBB185_698
.LBB185_922:
	s_mov_b64 s[40:41], -1
                                        ; implicit-def: $vgpr3
	s_mov_b64 s[0:1], 0
.LBB185_923:
	s_and_b64 vcc, exec, s[42:43]
	s_cbranch_vccz .LBB185_927
; %bb.924:
	s_cmp_eq_u32 s47, 44
	s_cbranch_scc0 .LBB185_926
; %bb.925:
	global_load_ubyte v3, v[0:1], off
	s_movk_i32 s40, 0xff
	v_mov_b32_e32 v5, 0x7f800001
	v_mov_b32_e32 v6, 0x400000
	s_mov_b64 s[0:1], -1
	s_waitcnt vmcnt(0)
	v_lshlrev_b32_e32 v7, 23, v3
	v_cmp_ne_u32_e32 vcc, s40, v3
	v_cndmask_b32_e32 v5, v5, v7, vcc
	v_cmp_ne_u32_e32 vcc, 0, v3
	v_cndmask_b32_e32 v3, v6, v5, vcc
	s_mov_b64 s[40:41], 0
	s_branch .LBB185_927
.LBB185_926:
	s_mov_b64 s[40:41], -1
                                        ; implicit-def: $vgpr3
.LBB185_927:
	s_mov_b64 s[42:43], 0
.LBB185_928:
	s_and_b64 vcc, exec, s[42:43]
	s_cbranch_vccz .LBB185_932
; %bb.929:
	s_cmp_eq_u32 s47, 29
	s_cbranch_scc0 .LBB185_931
; %bb.930:
	global_load_dwordx2 v[5:6], v[0:1], off
	s_mov_b64 s[0:1], -1
	s_mov_b64 s[40:41], 0
	s_mov_b64 s[42:43], 0
	s_waitcnt vmcnt(0)
	v_ffbh_u32_e32 v3, v6
	v_min_u32_e32 v3, 32, v3
	v_lshlrev_b64 v[5:6], v3, v[5:6]
	v_sub_u32_e32 v3, 32, v3
	v_min_u32_e32 v5, 1, v5
	v_or_b32_e32 v5, v6, v5
	v_cvt_f32_u32_e32 v5, v5
	v_ldexp_f32 v3, v5, v3
	s_branch .LBB185_933
.LBB185_931:
	s_mov_b64 s[40:41], -1
                                        ; implicit-def: $vgpr3
.LBB185_932:
	s_mov_b64 s[42:43], 0
.LBB185_933:
	s_and_b64 vcc, exec, s[42:43]
	s_cbranch_vccz .LBB185_951
; %bb.934:
	s_cmp_lt_i32 s47, 27
	s_cbranch_scc1 .LBB185_937
; %bb.935:
	s_cmp_gt_i32 s47, 27
	s_cbranch_scc0 .LBB185_938
; %bb.936:
	global_load_dword v3, v[0:1], off
	s_mov_b64 s[0:1], 0
	s_waitcnt vmcnt(0)
	v_cvt_f32_u32_e32 v3, v3
	s_branch .LBB185_939
.LBB185_937:
	s_mov_b64 s[0:1], -1
                                        ; implicit-def: $vgpr3
	s_branch .LBB185_942
.LBB185_938:
	s_mov_b64 s[0:1], -1
                                        ; implicit-def: $vgpr3
.LBB185_939:
	s_andn2_b64 vcc, exec, s[0:1]
	s_cbranch_vccnz .LBB185_941
; %bb.940:
	global_load_ushort v3, v[0:1], off
	s_waitcnt vmcnt(0)
	v_cvt_f32_u32_e32 v3, v3
.LBB185_941:
	s_mov_b64 s[0:1], 0
.LBB185_942:
	s_andn2_b64 vcc, exec, s[0:1]
	s_cbranch_vccnz .LBB185_950
; %bb.943:
	global_load_ubyte v5, v[0:1], off
	s_movk_i32 s0, 0x7f
	s_waitcnt vmcnt(0)
	v_cmp_lt_i16_e32 vcc, s0, v5
	s_mov_b64 s[0:1], 0
	s_and_saveexec_b64 s[42:43], vcc
	s_xor_b64 s[42:43], exec, s[42:43]
	s_cbranch_execz .LBB185_964
; %bb.944:
	s_movk_i32 s0, 0x80
	v_cmp_eq_u16_e32 vcc, s0, v5
	s_mov_b64 s[0:1], -1
	s_and_saveexec_b64 s[44:45], vcc
; %bb.945:
	s_xor_b64 s[0:1], exec, -1
; %bb.946:
	s_or_b64 exec, exec, s[44:45]
	s_and_b64 s[0:1], s[0:1], exec
	s_or_saveexec_b64 s[42:43], s[42:43]
	v_mov_b32_e32 v3, 0x7f800001
	s_xor_b64 exec, exec, s[42:43]
	s_cbranch_execnz .LBB185_965
.LBB185_947:
	s_or_b64 exec, exec, s[42:43]
	s_and_saveexec_b64 s[42:43], s[0:1]
	s_cbranch_execz .LBB185_949
.LBB185_948:
	v_lshlrev_b32_e32 v3, 24, v5
	v_and_b32_e32 v5, 0xffff, v5
	v_and_b32_e32 v6, 7, v5
	v_ffbh_u32_e32 v8, v6
	v_min_u32_e32 v8, 32, v8
	v_subrev_u32_e32 v9, 28, v8
	v_bfe_u32 v7, v5, 3, 4
	v_lshlrev_b32_e32 v5, v9, v5
	v_sub_u32_e32 v8, 29, v8
	v_and_b32_e32 v5, 7, v5
	v_cmp_eq_u32_e32 vcc, 0, v7
	v_cndmask_b32_e32 v7, v7, v8, vcc
	v_cndmask_b32_e32 v5, v6, v5, vcc
	v_mov_b32_e32 v6, 0x3b800000
	v_lshlrev_b32_e32 v5, 20, v5
	v_and_b32_e32 v3, 0x80000000, v3
	v_lshl_add_u32 v6, v7, 23, v6
	v_or3_b32 v3, v3, v6, v5
.LBB185_949:
	s_or_b64 exec, exec, s[42:43]
.LBB185_950:
	s_mov_b64 s[0:1], -1
.LBB185_951:
	s_mov_b64 s[42:43], 0
.LBB185_952:
	s_and_b64 vcc, exec, s[42:43]
	s_cbranch_vccz .LBB185_987
; %bb.953:
	s_cmp_gt_i32 s47, 22
	s_cbranch_scc0 .LBB185_963
; %bb.954:
	s_cmp_lt_i32 s47, 24
	s_cbranch_scc1 .LBB185_966
; %bb.955:
	s_cmp_gt_i32 s47, 24
	s_cbranch_scc0 .LBB185_967
; %bb.956:
	global_load_ubyte v5, v[0:1], off
	s_movk_i32 s0, 0x7f
	s_waitcnt vmcnt(0)
	v_cmp_lt_i16_e32 vcc, s0, v5
	s_mov_b64 s[0:1], 0
	s_and_saveexec_b64 s[42:43], vcc
	s_xor_b64 s[42:43], exec, s[42:43]
	s_cbranch_execz .LBB185_979
; %bb.957:
	s_movk_i32 s0, 0x80
	v_cmp_eq_u16_e32 vcc, s0, v5
	s_mov_b64 s[0:1], -1
	s_and_saveexec_b64 s[44:45], vcc
; %bb.958:
	s_xor_b64 s[0:1], exec, -1
; %bb.959:
	s_or_b64 exec, exec, s[44:45]
	s_and_b64 s[0:1], s[0:1], exec
	s_or_saveexec_b64 s[42:43], s[42:43]
	v_mov_b32_e32 v3, 0x7f800001
	s_xor_b64 exec, exec, s[42:43]
	s_cbranch_execnz .LBB185_980
.LBB185_960:
	s_or_b64 exec, exec, s[42:43]
	s_and_saveexec_b64 s[42:43], s[0:1]
	s_cbranch_execz .LBB185_962
.LBB185_961:
	v_lshlrev_b32_e32 v3, 24, v5
	v_and_b32_e32 v5, 0xffff, v5
	v_and_b32_e32 v6, 3, v5
	v_ffbh_u32_e32 v8, v6
	v_min_u32_e32 v8, 32, v8
	v_subrev_u32_e32 v9, 29, v8
	v_bfe_u32 v7, v5, 2, 5
	v_lshlrev_b32_e32 v5, v9, v5
	v_sub_u32_e32 v8, 30, v8
	v_and_b32_e32 v5, 3, v5
	v_cmp_eq_u32_e32 vcc, 0, v7
	v_cndmask_b32_e32 v7, v7, v8, vcc
	v_cndmask_b32_e32 v5, v6, v5, vcc
	v_mov_b32_e32 v6, 0x37800000
	v_lshlrev_b32_e32 v5, 21, v5
	v_and_b32_e32 v3, 0x80000000, v3
	v_lshl_add_u32 v6, v7, 23, v6
	v_or3_b32 v3, v3, v6, v5
.LBB185_962:
	s_or_b64 exec, exec, s[42:43]
	s_mov_b64 s[0:1], 0
	s_branch .LBB185_968
.LBB185_963:
	s_mov_b64 s[42:43], -1
                                        ; implicit-def: $vgpr3
	s_branch .LBB185_974
.LBB185_964:
	s_or_saveexec_b64 s[42:43], s[42:43]
	v_mov_b32_e32 v3, 0x7f800001
	s_xor_b64 exec, exec, s[42:43]
	s_cbranch_execz .LBB185_947
.LBB185_965:
	v_cmp_ne_u16_e32 vcc, 0, v5
	s_andn2_b64 s[0:1], s[0:1], exec
	s_and_b64 s[44:45], vcc, exec
	v_mov_b32_e32 v3, 0
	s_or_b64 s[0:1], s[0:1], s[44:45]
	s_or_b64 exec, exec, s[42:43]
	s_and_saveexec_b64 s[42:43], s[0:1]
	s_cbranch_execnz .LBB185_948
	s_branch .LBB185_949
.LBB185_966:
	s_mov_b64 s[0:1], -1
                                        ; implicit-def: $vgpr3
	s_branch .LBB185_971
.LBB185_967:
	s_mov_b64 s[0:1], -1
                                        ; implicit-def: $vgpr3
.LBB185_968:
	s_and_b64 vcc, exec, s[0:1]
	s_cbranch_vccz .LBB185_970
; %bb.969:
	global_load_ubyte v3, v[0:1], off
	s_mov_b32 s0, 0x7f800000
	s_waitcnt vmcnt(0)
	v_lshlrev_b32_e32 v3, 24, v3
	v_and_b32_e32 v5, 0x7f000000, v3
	v_ffbh_u32_e32 v6, v5
	v_min_u32_e32 v6, 32, v6
	v_sub_u32_e64 v6, v6, 4 clamp
	v_lshlrev_b32_e32 v8, v6, v5
	v_lshlrev_b32_e32 v6, 23, v6
	v_lshrrev_b32_e32 v8, 4, v8
	v_add_u32_e32 v7, 0x1000000, v5
	v_sub_u32_e32 v6, v8, v6
	v_ashrrev_i32_e32 v7, 8, v7
	v_add_u32_e32 v6, 0x3c000000, v6
	v_and_or_b32 v6, v7, s0, v6
	v_cmp_ne_u32_e32 vcc, 0, v5
	v_cndmask_b32_e32 v5, 0, v6, vcc
	s_brev_b32 s0, 1
	v_and_or_b32 v3, v3, s0, v5
.LBB185_970:
	s_mov_b64 s[0:1], 0
.LBB185_971:
	s_andn2_b64 vcc, exec, s[0:1]
	s_cbranch_vccnz .LBB185_973
; %bb.972:
	global_load_ubyte v3, v[0:1], off
	s_movk_i32 s0, 0x7f00
	s_brev_b32 s1, 16
	s_waitcnt vmcnt(0)
	v_lshlrev_b16_e32 v5, 8, v3
	v_lshlrev_b32_e32 v3, 25, v3
	v_lshrrev_b32_e32 v6, 4, v3
	v_and_or_b32 v7, v5, s0, 0.5
	v_or_b32_e32 v6, 0x70000000, v6
	v_add_f32_e32 v7, -0.5, v7
	v_mul_f32_e32 v6, 0x7800000, v6
	v_cmp_gt_u32_e32 vcc, s1, v3
	v_bfe_i32 v5, v5, 0, 16
	v_cndmask_b32_e32 v3, v6, v7, vcc
	s_brev_b32 s0, 1
	v_and_or_b32 v3, v5, s0, v3
.LBB185_973:
	s_mov_b64 s[42:43], 0
	s_mov_b64 s[0:1], -1
.LBB185_974:
	s_andn2_b64 vcc, exec, s[42:43]
	s_cbranch_vccnz .LBB185_987
; %bb.975:
	s_cmp_gt_i32 s47, 14
	s_cbranch_scc0 .LBB185_978
; %bb.976:
	s_cmp_eq_u32 s47, 15
	s_cbranch_scc0 .LBB185_981
; %bb.977:
	global_load_ushort v3, v[0:1], off
	s_mov_b64 s[0:1], -1
	s_mov_b64 s[40:41], 0
	s_waitcnt vmcnt(0)
	v_lshlrev_b32_e32 v3, 16, v3
	s_branch .LBB185_982
.LBB185_978:
	s_mov_b64 s[42:43], -1
                                        ; implicit-def: $vgpr3
	s_branch .LBB185_983
.LBB185_979:
	s_or_saveexec_b64 s[42:43], s[42:43]
	v_mov_b32_e32 v3, 0x7f800001
	s_xor_b64 exec, exec, s[42:43]
	s_cbranch_execz .LBB185_960
.LBB185_980:
	v_cmp_ne_u16_e32 vcc, 0, v5
	s_andn2_b64 s[0:1], s[0:1], exec
	s_and_b64 s[44:45], vcc, exec
	v_mov_b32_e32 v3, 0
	s_or_b64 s[0:1], s[0:1], s[44:45]
	s_or_b64 exec, exec, s[42:43]
	s_and_saveexec_b64 s[42:43], s[0:1]
	s_cbranch_execnz .LBB185_961
	s_branch .LBB185_962
.LBB185_981:
	s_mov_b64 s[40:41], -1
                                        ; implicit-def: $vgpr3
.LBB185_982:
	s_mov_b64 s[42:43], 0
.LBB185_983:
	s_and_b64 vcc, exec, s[42:43]
	s_cbranch_vccz .LBB185_987
; %bb.984:
	s_cmp_eq_u32 s47, 11
	s_cbranch_scc0 .LBB185_986
; %bb.985:
	global_load_ubyte v3, v[0:1], off
	s_mov_b64 s[0:1], -1
	s_mov_b64 s[40:41], 0
	s_waitcnt vmcnt(0)
	v_cmp_ne_u16_e32 vcc, 0, v3
	v_cndmask_b32_e64 v3, 0, 1.0, vcc
	s_branch .LBB185_987
.LBB185_986:
	s_mov_b64 s[40:41], -1
                                        ; implicit-def: $vgpr3
.LBB185_987:
	s_mov_b64 s[42:43], 0
.LBB185_988:
	s_and_b64 vcc, exec, s[42:43]
	s_cbranch_vccz .LBB185_1037
; %bb.989:
	s_and_b32 s42, 0xffff, s46
	s_cmp_lt_i32 s42, 5
	s_cbranch_scc1 .LBB185_994
; %bb.990:
	s_cmp_lt_i32 s42, 8
	s_cbranch_scc1 .LBB185_995
; %bb.991:
	;; [unrolled: 3-line block ×3, first 2 shown]
	s_cmp_gt_i32 s42, 9
	s_cbranch_scc0 .LBB185_997
; %bb.993:
	global_load_dwordx2 v[5:6], v[0:1], off
	s_mov_b64 s[0:1], 0
	s_waitcnt vmcnt(0)
	v_cvt_f32_f64_e32 v3, v[5:6]
	s_branch .LBB185_998
.LBB185_994:
	s_mov_b64 s[0:1], -1
                                        ; implicit-def: $vgpr3
	s_branch .LBB185_1016
.LBB185_995:
	s_mov_b64 s[0:1], -1
                                        ; implicit-def: $vgpr3
	s_branch .LBB185_1004
.LBB185_996:
	s_mov_b64 s[0:1], -1
                                        ; implicit-def: $vgpr3
	s_branch .LBB185_1001
.LBB185_997:
	s_mov_b64 s[0:1], -1
                                        ; implicit-def: $vgpr3
.LBB185_998:
	s_andn2_b64 vcc, exec, s[0:1]
	s_cbranch_vccnz .LBB185_1000
; %bb.999:
	global_load_dword v3, v[0:1], off
.LBB185_1000:
	s_mov_b64 s[0:1], 0
.LBB185_1001:
	s_andn2_b64 vcc, exec, s[0:1]
	s_cbranch_vccnz .LBB185_1003
; %bb.1002:
	global_load_dword v3, v[0:1], off
	s_waitcnt vmcnt(0)
	v_cvt_f32_f16_e32 v3, v3
.LBB185_1003:
	s_mov_b64 s[0:1], 0
.LBB185_1004:
	s_andn2_b64 vcc, exec, s[0:1]
	s_cbranch_vccnz .LBB185_1015
; %bb.1005:
	s_cmp_lt_i32 s42, 6
	s_cbranch_scc1 .LBB185_1008
; %bb.1006:
	s_cmp_gt_i32 s42, 6
	s_cbranch_scc0 .LBB185_1009
; %bb.1007:
	global_load_dwordx2 v[5:6], v[0:1], off
	s_mov_b64 s[0:1], 0
	s_waitcnt vmcnt(0)
	v_cvt_f32_f64_e32 v3, v[5:6]
	s_branch .LBB185_1010
.LBB185_1008:
	s_mov_b64 s[0:1], -1
                                        ; implicit-def: $vgpr3
	s_branch .LBB185_1013
.LBB185_1009:
	s_mov_b64 s[0:1], -1
                                        ; implicit-def: $vgpr3
.LBB185_1010:
	s_andn2_b64 vcc, exec, s[0:1]
	s_cbranch_vccnz .LBB185_1012
; %bb.1011:
	global_load_dword v3, v[0:1], off
.LBB185_1012:
	s_mov_b64 s[0:1], 0
.LBB185_1013:
	s_andn2_b64 vcc, exec, s[0:1]
	s_cbranch_vccnz .LBB185_1015
; %bb.1014:
	global_load_ushort v3, v[0:1], off
	s_waitcnt vmcnt(0)
	v_cvt_f32_f16_e32 v3, v3
.LBB185_1015:
	s_mov_b64 s[0:1], 0
.LBB185_1016:
	s_andn2_b64 vcc, exec, s[0:1]
	s_cbranch_vccnz .LBB185_1036
; %bb.1017:
	s_cmp_lt_i32 s42, 2
	s_cbranch_scc1 .LBB185_1021
; %bb.1018:
	s_cmp_lt_i32 s42, 3
	s_cbranch_scc1 .LBB185_1022
; %bb.1019:
	s_cmp_gt_i32 s42, 3
	s_cbranch_scc0 .LBB185_1023
; %bb.1020:
	global_load_dwordx2 v[5:6], v[0:1], off
	s_mov_b64 s[0:1], 0
	s_waitcnt vmcnt(0)
	v_xor_b32_e32 v7, v5, v6
	v_ffbh_i32_e32 v3, v6
	v_ashrrev_i32_e32 v7, 31, v7
	v_add_u32_e32 v3, -1, v3
	v_add_u32_e32 v7, 32, v7
	v_min_u32_e32 v3, v3, v7
	v_lshlrev_b64 v[5:6], v3, v[5:6]
	v_sub_u32_e32 v3, 32, v3
	v_min_u32_e32 v5, 1, v5
	v_or_b32_e32 v5, v6, v5
	v_cvt_f32_i32_e32 v5, v5
	v_ldexp_f32 v3, v5, v3
	s_branch .LBB185_1024
.LBB185_1021:
	s_mov_b64 s[0:1], -1
                                        ; implicit-def: $vgpr3
	s_branch .LBB185_1030
.LBB185_1022:
	s_mov_b64 s[0:1], -1
                                        ; implicit-def: $vgpr3
	s_branch .LBB185_1027
.LBB185_1023:
	s_mov_b64 s[0:1], -1
                                        ; implicit-def: $vgpr3
.LBB185_1024:
	s_andn2_b64 vcc, exec, s[0:1]
	s_cbranch_vccnz .LBB185_1026
; %bb.1025:
	global_load_dword v3, v[0:1], off
	s_waitcnt vmcnt(0)
	v_cvt_f32_i32_e32 v3, v3
.LBB185_1026:
	s_mov_b64 s[0:1], 0
.LBB185_1027:
	s_andn2_b64 vcc, exec, s[0:1]
	s_cbranch_vccnz .LBB185_1029
; %bb.1028:
	global_load_sshort v3, v[0:1], off
	s_waitcnt vmcnt(0)
	v_cvt_f32_i32_e32 v3, v3
.LBB185_1029:
	s_mov_b64 s[0:1], 0
.LBB185_1030:
	s_andn2_b64 vcc, exec, s[0:1]
	s_cbranch_vccnz .LBB185_1036
; %bb.1031:
	s_cmp_gt_i32 s42, 0
	s_cbranch_scc0 .LBB185_1033
; %bb.1032:
	global_load_sbyte v3, v[0:1], off
	s_mov_b64 s[0:1], 0
	s_waitcnt vmcnt(0)
	v_cvt_f32_i32_e32 v3, v3
	s_branch .LBB185_1034
.LBB185_1033:
	s_mov_b64 s[0:1], -1
                                        ; implicit-def: $vgpr3
.LBB185_1034:
	s_andn2_b64 vcc, exec, s[0:1]
	s_cbranch_vccnz .LBB185_1036
; %bb.1035:
	global_load_ubyte v0, v[0:1], off
	s_waitcnt vmcnt(0)
	v_cvt_f32_ubyte0_e32 v3, v0
.LBB185_1036:
	s_mov_b64 s[0:1], -1
.LBB185_1037:
	s_andn2_b64 vcc, exec, s[0:1]
	s_cbranch_vccnz .LBB185_1045
; %bb.1038:
	v_mul_lo_u32 v0, v4, s12
	v_mov_b32_e32 v1, s2
	s_waitcnt vmcnt(0)
	v_cmp_nge_f32_e32 vcc, s15, v2
	v_cndmask_b32_e32 v2, v1, v3, vcc
	v_ashrrev_i32_e32 v1, 31, v0
	v_mov_b32_e32 v3, s9
	s_and_b32 s48, s3, 0xff
	v_add_co_u32_e32 v0, vcc, s8, v0
	s_cmp_lt_i32 s48, 11
	v_addc_co_u32_e32 v1, vcc, v3, v1, vcc
	s_cbranch_scc1 .LBB185_1046
; %bb.1039:
	s_and_b32 s49, 0xffff, s48
	s_cmp_gt_i32 s49, 25
	s_cbranch_scc0 .LBB185_1047
; %bb.1040:
	s_cmp_gt_i32 s49, 28
	s_cbranch_scc0 .LBB185_1048
; %bb.1041:
	;; [unrolled: 3-line block ×4, first 2 shown]
	s_mov_b64 s[44:45], 0
	s_mov_b64 s[0:1], -1
	s_cmp_eq_u32 s49, 46
	s_mov_b64 s[42:43], 0
	s_cbranch_scc0 .LBB185_1051
; %bb.1044:
	v_bfe_u32 v3, v2, 16, 1
	s_movk_i32 s0, 0x7fff
	v_add3_u32 v3, v2, v3, s0
	v_cmp_o_f32_e32 vcc, v2, v2
	v_mov_b32_e32 v5, 0x7fc0
	v_cndmask_b32_sdwa v3, v5, v3, vcc dst_sel:DWORD dst_unused:UNUSED_PAD src0_sel:DWORD src1_sel:WORD_1
	global_store_dword v[0:1], v3, off
	s_mov_b64 s[42:43], -1
	s_mov_b64 s[0:1], 0
	s_branch .LBB185_1051
.LBB185_1045:
	s_mov_b64 s[44:45], 0
                                        ; implicit-def: $vgpr4
	s_mov_b64 s[0:1], s[30:31]
	s_branch .LBB185_1161
.LBB185_1046:
	s_mov_b64 s[44:45], -1
	s_mov_b64 s[42:43], 0
	s_mov_b64 s[0:1], s[30:31]
	s_branch .LBB185_1120
.LBB185_1047:
	s_mov_b64 s[44:45], -1
	s_mov_b64 s[42:43], 0
	s_mov_b64 s[0:1], s[30:31]
	s_branch .LBB185_1078
.LBB185_1048:
	s_mov_b64 s[44:45], -1
	s_mov_b64 s[42:43], 0
	s_mov_b64 s[0:1], s[30:31]
	s_branch .LBB185_1061
.LBB185_1049:
	s_mov_b64 s[44:45], -1
	s_mov_b64 s[42:43], 0
	s_mov_b64 s[0:1], s[30:31]
	s_branch .LBB185_1057
.LBB185_1050:
	s_mov_b64 s[44:45], -1
	s_mov_b64 s[42:43], 0
	s_mov_b64 s[0:1], s[30:31]
.LBB185_1051:
	s_and_b64 vcc, exec, s[44:45]
	s_cbranch_vccz .LBB185_1056
; %bb.1052:
	s_cmp_eq_u32 s49, 44
	s_mov_b64 s[0:1], -1
	s_cbranch_scc0 .LBB185_1056
; %bb.1053:
	v_bfe_u32 v3, v2, 23, 8
	s_movk_i32 s0, 0xff
	v_cmp_ne_u32_e32 vcc, s0, v3
	v_mov_b32_e32 v5, 0xff
	s_and_saveexec_b64 s[42:43], vcc
; %bb.1054:
	s_mov_b32 s0, 0x3fffff
	v_and_b32_e32 v6, 0x400000, v2
	v_and_or_b32 v3, v2, s0, v3
	v_cmp_ne_u32_e32 vcc, 0, v6
	v_cmp_ne_u32_e64 s[0:1], 0, v3
	s_and_b64 s[0:1], vcc, s[0:1]
	v_lshrrev_b32_e32 v5, 23, v2
	v_cndmask_b32_e64 v3, 0, 1, s[0:1]
	v_add_u32_e32 v5, v5, v3
; %bb.1055:
	s_or_b64 exec, exec, s[42:43]
	s_mov_b64 s[42:43], -1
	s_mov_b64 s[0:1], 0
	global_store_byte v[0:1], v5, off
.LBB185_1056:
	s_mov_b64 s[44:45], 0
.LBB185_1057:
	s_and_b64 vcc, exec, s[44:45]
	s_cbranch_vccz .LBB185_1060
; %bb.1058:
	s_cmp_eq_u32 s49, 29
	s_mov_b64 s[0:1], -1
	s_cbranch_scc0 .LBB185_1060
; %bb.1059:
	v_trunc_f32_e32 v3, v2
	v_mul_f32_e32 v5, 0x2f800000, v3
	v_floor_f32_e32 v5, v5
	v_fmac_f32_e32 v3, 0xcf800000, v5
	v_cvt_u32_f32_e32 v6, v5
	v_cvt_u32_f32_e32 v5, v3
	s_mov_b64 s[42:43], -1
	s_mov_b64 s[0:1], 0
	s_mov_b64 s[44:45], 0
	global_store_dwordx2 v[0:1], v[5:6], off
	s_branch .LBB185_1061
.LBB185_1060:
	s_mov_b64 s[44:45], 0
.LBB185_1061:
	s_and_b64 vcc, exec, s[44:45]
	s_cbranch_vccz .LBB185_1077
; %bb.1062:
	s_cmp_lt_i32 s49, 27
	s_mov_b64 s[42:43], -1
	s_cbranch_scc1 .LBB185_1068
; %bb.1063:
	v_cvt_u32_f32_e32 v3, v2
	s_cmp_gt_i32 s49, 27
	s_cbranch_scc0 .LBB185_1065
; %bb.1064:
	s_mov_b64 s[42:43], 0
	global_store_dword v[0:1], v3, off
.LBB185_1065:
	s_andn2_b64 vcc, exec, s[42:43]
	s_cbranch_vccnz .LBB185_1067
; %bb.1066:
	global_store_short v[0:1], v3, off
.LBB185_1067:
	s_mov_b64 s[42:43], 0
.LBB185_1068:
	s_andn2_b64 vcc, exec, s[42:43]
	s_cbranch_vccnz .LBB185_1076
; %bb.1069:
	v_and_b32_e32 v3, 0x7fffffff, v2
	s_mov_b32 s42, 0x43800000
	v_cmp_gt_u32_e32 vcc, s42, v3
	v_mov_b32_e32 v5, 0x80
	s_and_saveexec_b64 s[42:43], vcc
	s_cbranch_execz .LBB185_1075
; %bb.1070:
	s_mov_b32 s44, 0x3bffffff
	v_cmp_lt_u32_e32 vcc, s44, v3
	s_mov_b64 s[44:45], 0
                                        ; implicit-def: $vgpr3
	s_and_saveexec_b64 s[46:47], vcc
	s_xor_b64 s[46:47], exec, s[46:47]
	s_cbranch_execz .LBB185_1177
; %bb.1071:
	v_bfe_u32 v3, v2, 20, 1
	s_mov_b32 s51, 0x487ffff
	v_add3_u32 v3, v2, v3, s51
	s_mov_b64 s[44:45], exec
	v_lshrrev_b32_e32 v3, 20, v3
	s_andn2_saveexec_b64 s[46:47], s[46:47]
	s_cbranch_execnz .LBB185_1178
.LBB185_1072:
	s_or_b64 exec, exec, s[46:47]
	v_mov_b32_e32 v5, 0
	s_and_saveexec_b64 s[46:47], s[44:45]
.LBB185_1073:
	v_lshrrev_b32_e32 v5, 24, v2
	s_movk_i32 s44, 0x80
	v_and_or_b32 v5, v5, s44, v3
.LBB185_1074:
	s_or_b64 exec, exec, s[46:47]
.LBB185_1075:
	s_or_b64 exec, exec, s[42:43]
	global_store_byte v[0:1], v5, off
.LBB185_1076:
	s_mov_b64 s[42:43], -1
.LBB185_1077:
	s_mov_b64 s[44:45], 0
.LBB185_1078:
	s_and_b64 vcc, exec, s[44:45]
	s_cbranch_vccz .LBB185_1119
; %bb.1079:
	s_cmp_gt_i32 s49, 22
	s_mov_b64 s[44:45], -1
	s_cbranch_scc0 .LBB185_1111
; %bb.1080:
	s_cmp_lt_i32 s49, 24
	s_mov_b64 s[42:43], -1
	s_cbranch_scc1 .LBB185_1100
; %bb.1081:
	s_cmp_gt_i32 s49, 24
	s_cbranch_scc0 .LBB185_1089
; %bb.1082:
	v_and_b32_e32 v3, 0x7fffffff, v2
	s_mov_b32 s42, 0x47800000
	v_cmp_gt_u32_e32 vcc, s42, v3
	v_mov_b32_e32 v5, 0x80
	s_and_saveexec_b64 s[42:43], vcc
	s_cbranch_execz .LBB185_1088
; %bb.1083:
	s_mov_b32 s44, 0x37ffffff
	v_cmp_lt_u32_e32 vcc, s44, v3
	s_mov_b64 s[44:45], 0
                                        ; implicit-def: $vgpr3
	s_and_saveexec_b64 s[46:47], vcc
	s_xor_b64 s[46:47], exec, s[46:47]
	s_cbranch_execz .LBB185_2200
; %bb.1084:
	v_bfe_u32 v3, v2, 21, 1
	s_mov_b32 s51, 0x88fffff
	v_add3_u32 v3, v2, v3, s51
	s_mov_b64 s[44:45], exec
	v_lshrrev_b32_e32 v3, 21, v3
	s_andn2_saveexec_b64 s[46:47], s[46:47]
	s_cbranch_execnz .LBB185_2201
.LBB185_1085:
	s_or_b64 exec, exec, s[46:47]
	v_mov_b32_e32 v5, 0
	s_and_saveexec_b64 s[46:47], s[44:45]
.LBB185_1086:
	v_lshrrev_b32_e32 v5, 24, v2
	s_movk_i32 s44, 0x80
	v_and_or_b32 v5, v5, s44, v3
.LBB185_1087:
	s_or_b64 exec, exec, s[46:47]
.LBB185_1088:
	s_or_b64 exec, exec, s[42:43]
	s_mov_b64 s[42:43], 0
	global_store_byte v[0:1], v5, off
.LBB185_1089:
	s_and_b64 vcc, exec, s[42:43]
	s_cbranch_vccz .LBB185_1099
; %bb.1090:
	v_and_b32_e32 v5, 0x7fffffff, v2
	s_mov_b32 s42, 0x43f00000
	v_cmp_gt_u32_e32 vcc, s42, v5
                                        ; implicit-def: $vgpr3
	s_and_saveexec_b64 s[42:43], vcc
	s_xor_b64 s[42:43], exec, s[42:43]
	s_cbranch_execz .LBB185_1096
; %bb.1091:
	s_mov_b32 s44, 0x3c7fffff
	v_cmp_lt_u32_e32 vcc, s44, v5
                                        ; implicit-def: $vgpr3
	s_and_saveexec_b64 s[44:45], vcc
	s_xor_b64 s[44:45], exec, s[44:45]
; %bb.1092:
	v_bfe_u32 v3, v2, 20, 1
	s_mov_b32 s46, 0x407ffff
	v_add3_u32 v3, v2, v3, s46
	v_lshrrev_b32_e32 v5, 20, v3
	v_and_b32_e32 v3, 0xff00000, v3
	s_mov_b32 s46, 0x7f00000
	v_mov_b32_e32 v6, 0x7e
	v_cmp_ne_u32_e32 vcc, s46, v3
	v_cndmask_b32_e32 v3, v6, v5, vcc
; %bb.1093:
	s_andn2_saveexec_b64 s[44:45], s[44:45]
; %bb.1094:
	s_mov_b32 s46, 0x46800000
	v_add_f32_e64 v3, |v2|, s46
; %bb.1095:
	s_or_b64 exec, exec, s[44:45]
                                        ; implicit-def: $vgpr5
.LBB185_1096:
	s_andn2_saveexec_b64 s[42:43], s[42:43]
; %bb.1097:
	s_mov_b32 s44, 0x7f800000
	v_mov_b32_e32 v3, 0x7e
	v_mov_b32_e32 v6, 0x7f
	v_cmp_lt_u32_e32 vcc, s44, v5
	v_cndmask_b32_e32 v3, v3, v6, vcc
; %bb.1098:
	s_or_b64 exec, exec, s[42:43]
	v_lshrrev_b32_e32 v5, 24, v2
	s_movk_i32 s42, 0x80
	v_and_or_b32 v3, v5, s42, v3
	global_store_byte v[0:1], v3, off
.LBB185_1099:
	s_mov_b64 s[42:43], 0
.LBB185_1100:
	s_andn2_b64 vcc, exec, s[42:43]
	s_cbranch_vccnz .LBB185_1110
; %bb.1101:
	v_and_b32_e32 v5, 0x7fffffff, v2
	s_mov_b32 s42, 0x47800000
	v_cmp_gt_u32_e32 vcc, s42, v5
                                        ; implicit-def: $vgpr3
	s_and_saveexec_b64 s[42:43], vcc
	s_xor_b64 s[42:43], exec, s[42:43]
	s_cbranch_execz .LBB185_1107
; %bb.1102:
	s_mov_b32 s44, 0x387fffff
	v_cmp_lt_u32_e32 vcc, s44, v5
                                        ; implicit-def: $vgpr3
	s_and_saveexec_b64 s[44:45], vcc
	s_xor_b64 s[44:45], exec, s[44:45]
; %bb.1103:
	v_bfe_u32 v3, v2, 21, 1
	s_mov_b32 s46, 0x80fffff
	v_add3_u32 v3, v2, v3, s46
	v_lshrrev_b32_e32 v3, 21, v3
; %bb.1104:
	s_andn2_saveexec_b64 s[44:45], s[44:45]
; %bb.1105:
	s_mov_b32 s46, 0x43000000
	v_add_f32_e64 v3, |v2|, s46
; %bb.1106:
	s_or_b64 exec, exec, s[44:45]
                                        ; implicit-def: $vgpr5
.LBB185_1107:
	s_andn2_saveexec_b64 s[42:43], s[42:43]
; %bb.1108:
	s_mov_b32 s44, 0x7f800000
	v_mov_b32_e32 v3, 0x7c
	v_mov_b32_e32 v6, 0x7f
	v_cmp_lt_u32_e32 vcc, s44, v5
	v_cndmask_b32_e32 v3, v3, v6, vcc
; %bb.1109:
	s_or_b64 exec, exec, s[42:43]
	v_lshrrev_b32_e32 v5, 24, v2
	s_movk_i32 s42, 0x80
	v_and_or_b32 v3, v5, s42, v3
	global_store_byte v[0:1], v3, off
.LBB185_1110:
	s_mov_b64 s[44:45], 0
	s_mov_b64 s[42:43], -1
.LBB185_1111:
	s_andn2_b64 vcc, exec, s[44:45]
	s_cbranch_vccnz .LBB185_1119
; %bb.1112:
	s_cmp_gt_i32 s49, 14
	s_mov_b64 s[44:45], -1
	s_cbranch_scc0 .LBB185_1116
; %bb.1113:
	s_cmp_eq_u32 s49, 15
	s_mov_b64 s[0:1], -1
	s_cbranch_scc0 .LBB185_1115
; %bb.1114:
	v_bfe_u32 v3, v2, 16, 1
	s_movk_i32 s0, 0x7fff
	v_add3_u32 v3, v2, v3, s0
	v_cmp_o_f32_e32 vcc, v2, v2
	v_mov_b32_e32 v5, 0x7fc0
	v_cndmask_b32_sdwa v3, v5, v3, vcc dst_sel:DWORD dst_unused:UNUSED_PAD src0_sel:DWORD src1_sel:WORD_1
	global_store_short v[0:1], v3, off
	s_mov_b64 s[42:43], -1
	s_mov_b64 s[0:1], 0
.LBB185_1115:
	s_mov_b64 s[44:45], 0
.LBB185_1116:
	s_and_b64 vcc, exec, s[44:45]
	s_cbranch_vccz .LBB185_1119
; %bb.1117:
	s_cmp_eq_u32 s49, 11
	s_mov_b64 s[0:1], -1
	s_cbranch_scc0 .LBB185_1119
; %bb.1118:
	v_cmp_neq_f32_e32 vcc, 0, v2
	v_cndmask_b32_e64 v3, 0, 1, vcc
	s_mov_b64 s[42:43], -1
	s_mov_b64 s[0:1], 0
	global_store_byte v[0:1], v3, off
.LBB185_1119:
	s_mov_b64 s[44:45], 0
.LBB185_1120:
	s_and_b64 vcc, exec, s[44:45]
	s_cbranch_vccz .LBB185_1159
; %bb.1121:
	s_and_b32 s44, 0xffff, s48
	s_cmp_lt_i32 s44, 5
	s_mov_b64 s[42:43], -1
	s_cbranch_scc1 .LBB185_1142
; %bb.1122:
	s_cmp_lt_i32 s44, 8
	s_cbranch_scc1 .LBB185_1132
; %bb.1123:
	s_cmp_lt_i32 s44, 9
	s_cbranch_scc1 .LBB185_1129
; %bb.1124:
	s_cmp_gt_i32 s44, 9
	s_cbranch_scc0 .LBB185_1126
; %bb.1125:
	v_cvt_f64_f32_e32 v[5:6], v2
	v_mov_b32_e32 v7, 0
	v_mov_b32_e32 v8, v7
	s_mov_b64 s[42:43], 0
	global_store_dwordx4 v[0:1], v[5:8], off
.LBB185_1126:
	s_andn2_b64 vcc, exec, s[42:43]
	s_cbranch_vccnz .LBB185_1128
; %bb.1127:
	v_mov_b32_e32 v3, 0
	global_store_dwordx2 v[0:1], v[2:3], off
.LBB185_1128:
	s_mov_b64 s[42:43], 0
.LBB185_1129:
	s_andn2_b64 vcc, exec, s[42:43]
	s_cbranch_vccnz .LBB185_1131
; %bb.1130:
	v_cvt_f16_f32_e32 v3, v2
	global_store_dword v[0:1], v3, off
.LBB185_1131:
	s_mov_b64 s[42:43], 0
.LBB185_1132:
	s_andn2_b64 vcc, exec, s[42:43]
	s_cbranch_vccnz .LBB185_1141
; %bb.1133:
	s_cmp_lt_i32 s44, 6
	s_mov_b64 s[42:43], -1
	s_cbranch_scc1 .LBB185_1139
; %bb.1134:
	s_cmp_gt_i32 s44, 6
	s_cbranch_scc0 .LBB185_1136
; %bb.1135:
	v_cvt_f64_f32_e32 v[5:6], v2
	s_mov_b64 s[42:43], 0
	global_store_dwordx2 v[0:1], v[5:6], off
.LBB185_1136:
	s_andn2_b64 vcc, exec, s[42:43]
	s_cbranch_vccnz .LBB185_1138
; %bb.1137:
	global_store_dword v[0:1], v2, off
.LBB185_1138:
	s_mov_b64 s[42:43], 0
.LBB185_1139:
	s_andn2_b64 vcc, exec, s[42:43]
	s_cbranch_vccnz .LBB185_1141
; %bb.1140:
	v_cvt_f16_f32_e32 v3, v2
	global_store_short v[0:1], v3, off
.LBB185_1141:
	s_mov_b64 s[42:43], 0
.LBB185_1142:
	s_andn2_b64 vcc, exec, s[42:43]
	s_cbranch_vccnz .LBB185_1158
; %bb.1143:
	s_cmp_lt_i32 s44, 2
	s_mov_b64 s[42:43], -1
	s_cbranch_scc1 .LBB185_1153
; %bb.1144:
	s_cmp_lt_i32 s44, 3
	s_cbranch_scc1 .LBB185_1150
; %bb.1145:
	s_cmp_gt_i32 s44, 3
	s_cbranch_scc0 .LBB185_1147
; %bb.1146:
	v_trunc_f32_e32 v3, v2
	s_mov_b32 s42, 0x2f800000
	v_mul_f32_e64 v5, |v3|, s42
	v_floor_f32_e32 v5, v5
	s_mov_b32 s42, 0xcf800000
	v_cvt_u32_f32_e32 v6, v5
	v_fma_f32 v5, v5, s42, |v3|
	v_cvt_u32_f32_e32 v5, v5
	v_ashrrev_i32_e32 v3, 31, v3
	v_xor_b32_e32 v6, v6, v3
	s_mov_b64 s[42:43], 0
	v_xor_b32_e32 v5, v5, v3
	v_sub_co_u32_e32 v5, vcc, v5, v3
	v_subb_co_u32_e32 v6, vcc, v6, v3, vcc
	global_store_dwordx2 v[0:1], v[5:6], off
.LBB185_1147:
	s_andn2_b64 vcc, exec, s[42:43]
	s_cbranch_vccnz .LBB185_1149
; %bb.1148:
	v_cvt_i32_f32_e32 v3, v2
	global_store_dword v[0:1], v3, off
.LBB185_1149:
	s_mov_b64 s[42:43], 0
.LBB185_1150:
	s_andn2_b64 vcc, exec, s[42:43]
	s_cbranch_vccnz .LBB185_1152
; %bb.1151:
	v_cvt_i32_f32_e32 v3, v2
	global_store_short v[0:1], v3, off
.LBB185_1152:
	s_mov_b64 s[42:43], 0
.LBB185_1153:
	s_andn2_b64 vcc, exec, s[42:43]
	s_cbranch_vccnz .LBB185_1158
; %bb.1154:
	s_cmp_gt_i32 s44, 0
	s_mov_b64 s[42:43], -1
	s_cbranch_scc0 .LBB185_1156
; %bb.1155:
	v_cvt_i32_f32_e32 v3, v2
	s_mov_b64 s[42:43], 0
	global_store_byte v[0:1], v3, off
.LBB185_1156:
	s_andn2_b64 vcc, exec, s[42:43]
	s_cbranch_vccnz .LBB185_1158
; %bb.1157:
	v_trunc_f32_e32 v2, v2
	s_mov_b32 s42, 0x2f800000
	v_mul_f32_e64 v3, |v2|, s42
	v_floor_f32_e32 v3, v3
	s_mov_b32 s42, 0xcf800000
	v_fma_f32 v3, v3, s42, |v2|
	v_cvt_u32_f32_e32 v3, v3
	v_ashrrev_i32_e32 v2, 31, v2
	v_xor_b32_e32 v3, v3, v2
	v_sub_u32_e32 v2, v3, v2
	global_store_byte v[0:1], v2, off
.LBB185_1158:
	s_mov_b64 s[42:43], -1
.LBB185_1159:
	s_andn2_b64 vcc, exec, s[42:43]
	s_cbranch_vccnz .LBB185_1172
; %bb.1160:
	v_add_u32_e32 v4, 0x80, v4
	s_mov_b64 s[44:45], -1
.LBB185_1161:
	s_andn2_b64 s[42:43], s[30:31], exec
	s_and_b64 s[0:1], s[0:1], exec
	s_or_b64 s[42:43], s[42:43], s[0:1]
	s_andn2_b64 s[0:1], s[28:29], exec
	s_and_b64 s[40:41], s[40:41], exec
	s_or_b64 s[40:41], s[0:1], s[40:41]
	;; [unrolled: 3-line block ×3, first 2 shown]
	s_orn2_b64 s[48:49], s[44:45], exec
.LBB185_1162:
	s_or_b64 exec, exec, s[36:37]
	s_mov_b64 s[44:45], 0
	s_mov_b64 s[38:39], 0
	;; [unrolled: 1-line block ×3, first 2 shown]
                                        ; implicit-def: $sgpr57
                                        ; implicit-def: $vgpr0_vgpr1
                                        ; implicit-def: $vgpr3
	s_and_saveexec_b64 s[36:37], s[48:49]
	s_cbranch_execz .LBB185_1246
; %bb.1163:
	v_cmp_gt_i32_e32 vcc, s50, v4
	s_mov_b64 s[48:49], 0
	s_mov_b64 s[50:51], s[0:1]
	;; [unrolled: 1-line block ×4, first 2 shown]
                                        ; implicit-def: $sgpr57
                                        ; implicit-def: $vgpr0_vgpr1
                                        ; implicit-def: $vgpr3
	s_and_saveexec_b64 s[38:39], vcc
	s_cbranch_execz .LBB185_1245
; %bb.1164:
	v_mul_lo_u32 v0, v4, s13
	v_mov_b32_e32 v1, s11
	s_and_b32 s57, s56, 0xff
	s_cmp_lt_i32 s57, 11
	s_waitcnt vmcnt(0)
	v_ashrrev_i32_e32 v2, 31, v0
	v_add_co_u32_e32 v0, vcc, s10, v0
	v_addc_co_u32_e32 v1, vcc, v1, v2, vcc
	s_cbranch_scc1 .LBB185_1171
; %bb.1165:
	s_and_b32 s54, 0xffff, s57
	s_cmp_gt_i32 s54, 25
	s_cbranch_scc0 .LBB185_1173
; %bb.1166:
	s_cmp_gt_i32 s54, 28
	s_cbranch_scc0 .LBB185_1174
; %bb.1167:
	;; [unrolled: 3-line block ×4, first 2 shown]
	s_cmp_eq_u32 s54, 46
	s_mov_b64 s[50:51], 0
	s_cbranch_scc0 .LBB185_1179
; %bb.1170:
	global_load_dword v2, v[0:1], off
	s_mov_b64 s[48:49], -1
	s_waitcnt vmcnt(0)
	v_lshlrev_b32_e32 v3, 16, v2
	s_branch .LBB185_1181
.LBB185_1171:
	s_mov_b64 s[50:51], -1
                                        ; implicit-def: $vgpr3
	s_mov_b64 s[44:45], s[0:1]
	s_branch .LBB185_1244
.LBB185_1172:
	s_mov_b64 s[44:45], 0
	s_branch .LBB185_914
.LBB185_1173:
	s_mov_b64 s[50:51], -1
	s_mov_b64 s[44:45], s[0:1]
                                        ; implicit-def: $vgpr3
	s_branch .LBB185_1210
.LBB185_1174:
	s_mov_b64 s[50:51], -1
	s_mov_b64 s[44:45], s[0:1]
                                        ; implicit-def: $vgpr3
	s_branch .LBB185_1191
.LBB185_1175:
	s_mov_b64 s[50:51], -1
	s_mov_b64 s[44:45], s[0:1]
                                        ; implicit-def: $vgpr3
	s_branch .LBB185_1186
.LBB185_1176:
	s_mov_b64 s[50:51], -1
	s_mov_b64 s[44:45], s[0:1]
	s_branch .LBB185_1180
.LBB185_1177:
	s_andn2_saveexec_b64 s[46:47], s[46:47]
	s_cbranch_execz .LBB185_1072
.LBB185_1178:
	s_mov_b32 s51, 0x46000000
	v_add_f32_e64 v3, |v2|, s51
	v_and_b32_e32 v3, 0xff, v3
	v_cmp_ne_u32_e32 vcc, 0, v3
	s_andn2_b64 s[44:45], s[44:45], exec
	s_and_b64 s[52:53], vcc, exec
	s_or_b64 s[44:45], s[44:45], s[52:53]
	s_or_b64 exec, exec, s[46:47]
	v_mov_b32_e32 v5, 0
	s_and_saveexec_b64 s[46:47], s[44:45]
	s_cbranch_execnz .LBB185_1073
	s_branch .LBB185_1074
.LBB185_1179:
	s_mov_b64 s[44:45], -1
.LBB185_1180:
                                        ; implicit-def: $vgpr3
.LBB185_1181:
	s_and_b64 vcc, exec, s[50:51]
	s_cbranch_vccz .LBB185_1185
; %bb.1182:
	s_cmp_eq_u32 s54, 44
	s_cbranch_scc0 .LBB185_1184
; %bb.1183:
	global_load_ubyte v2, v[0:1], off
	s_movk_i32 s48, 0xff
	v_mov_b32_e32 v3, 0x7f800001
	v_mov_b32_e32 v5, 0x400000
	s_mov_b64 s[44:45], 0
	s_waitcnt vmcnt(0)
	v_lshlrev_b32_e32 v6, 23, v2
	v_cmp_ne_u32_e32 vcc, s48, v2
	v_cndmask_b32_e32 v3, v3, v6, vcc
	v_cmp_ne_u32_e32 vcc, 0, v2
	v_cndmask_b32_e32 v3, v5, v3, vcc
	s_mov_b64 s[48:49], -1
	s_branch .LBB185_1185
.LBB185_1184:
	s_mov_b64 s[44:45], -1
                                        ; implicit-def: $vgpr3
.LBB185_1185:
	s_mov_b64 s[50:51], 0
.LBB185_1186:
	s_and_b64 vcc, exec, s[50:51]
	s_cbranch_vccz .LBB185_1190
; %bb.1187:
	s_cmp_eq_u32 s54, 29
	s_cbranch_scc0 .LBB185_1189
; %bb.1188:
	global_load_dwordx2 v[2:3], v[0:1], off
	s_mov_b64 s[44:45], 0
	s_mov_b64 s[48:49], -1
	s_mov_b64 s[50:51], 0
	s_waitcnt vmcnt(0)
	v_ffbh_u32_e32 v5, v3
	v_min_u32_e32 v5, 32, v5
	v_lshlrev_b64 v[2:3], v5, v[2:3]
	v_min_u32_e32 v2, 1, v2
	v_or_b32_e32 v2, v3, v2
	v_cvt_f32_u32_e32 v2, v2
	v_sub_u32_e32 v3, 32, v5
	v_ldexp_f32 v3, v2, v3
	s_branch .LBB185_1191
.LBB185_1189:
	s_mov_b64 s[44:45], -1
                                        ; implicit-def: $vgpr3
.LBB185_1190:
	s_mov_b64 s[50:51], 0
.LBB185_1191:
	s_and_b64 vcc, exec, s[50:51]
	s_cbranch_vccz .LBB185_1209
; %bb.1192:
	s_cmp_lt_i32 s54, 27
	s_cbranch_scc1 .LBB185_1195
; %bb.1193:
	s_cmp_gt_i32 s54, 27
	s_cbranch_scc0 .LBB185_1196
; %bb.1194:
	global_load_dword v2, v[0:1], off
	s_mov_b64 s[48:49], 0
	s_waitcnt vmcnt(0)
	v_cvt_f32_u32_e32 v3, v2
	s_branch .LBB185_1197
.LBB185_1195:
	s_mov_b64 s[48:49], -1
                                        ; implicit-def: $vgpr3
	s_branch .LBB185_1200
.LBB185_1196:
	s_mov_b64 s[48:49], -1
                                        ; implicit-def: $vgpr3
.LBB185_1197:
	s_andn2_b64 vcc, exec, s[48:49]
	s_cbranch_vccnz .LBB185_1199
; %bb.1198:
	global_load_ushort v2, v[0:1], off
	s_waitcnt vmcnt(0)
	v_cvt_f32_u32_e32 v3, v2
.LBB185_1199:
	s_mov_b64 s[48:49], 0
.LBB185_1200:
	s_andn2_b64 vcc, exec, s[48:49]
	s_cbranch_vccnz .LBB185_1208
; %bb.1201:
	global_load_ubyte v2, v[0:1], off
	s_movk_i32 s48, 0x7f
	s_waitcnt vmcnt(0)
	v_cmp_lt_i16_e32 vcc, s48, v2
	s_mov_b64 s[48:49], 0
	s_and_saveexec_b64 s[50:51], vcc
	s_xor_b64 s[50:51], exec, s[50:51]
	s_cbranch_execz .LBB185_1222
; %bb.1202:
	s_movk_i32 s48, 0x80
	v_cmp_eq_u16_e32 vcc, s48, v2
	s_mov_b64 s[48:49], -1
	s_and_saveexec_b64 s[52:53], vcc
; %bb.1203:
	s_xor_b64 s[48:49], exec, -1
; %bb.1204:
	s_or_b64 exec, exec, s[52:53]
	s_and_b64 s[48:49], s[48:49], exec
	s_or_saveexec_b64 s[50:51], s[50:51]
	v_mov_b32_e32 v3, 0x7f800001
	s_xor_b64 exec, exec, s[50:51]
	s_cbranch_execnz .LBB185_1223
.LBB185_1205:
	s_or_b64 exec, exec, s[50:51]
	s_and_saveexec_b64 s[50:51], s[48:49]
	s_cbranch_execz .LBB185_1207
.LBB185_1206:
	v_lshlrev_b32_e32 v3, 24, v2
	v_and_b32_e32 v2, 0xffff, v2
	v_and_b32_e32 v5, 7, v2
	v_ffbh_u32_e32 v7, v5
	v_min_u32_e32 v7, 32, v7
	v_subrev_u32_e32 v8, 28, v7
	v_bfe_u32 v6, v2, 3, 4
	v_lshlrev_b32_e32 v2, v8, v2
	v_sub_u32_e32 v7, 29, v7
	v_and_b32_e32 v2, 7, v2
	v_cmp_eq_u32_e32 vcc, 0, v6
	v_cndmask_b32_e32 v6, v6, v7, vcc
	v_cndmask_b32_e32 v2, v5, v2, vcc
	v_mov_b32_e32 v5, 0x3b800000
	v_lshlrev_b32_e32 v2, 20, v2
	v_and_b32_e32 v3, 0x80000000, v3
	v_lshl_add_u32 v5, v6, 23, v5
	v_or3_b32 v3, v3, v5, v2
.LBB185_1207:
	s_or_b64 exec, exec, s[50:51]
.LBB185_1208:
	s_mov_b64 s[48:49], -1
.LBB185_1209:
	s_mov_b64 s[50:51], 0
.LBB185_1210:
	s_and_b64 vcc, exec, s[50:51]
	s_cbranch_vccz .LBB185_1243
; %bb.1211:
	s_cmp_gt_i32 s54, 22
	s_cbranch_scc0 .LBB185_1221
; %bb.1212:
	s_cmp_lt_i32 s54, 24
	s_cbranch_scc1 .LBB185_1224
; %bb.1213:
	s_cmp_gt_i32 s54, 24
	s_cbranch_scc0 .LBB185_1225
; %bb.1214:
	global_load_ubyte v2, v[0:1], off
	s_movk_i32 s46, 0x7f
	s_waitcnt vmcnt(0)
	v_cmp_lt_i16_e32 vcc, s46, v2
	s_mov_b64 s[46:47], 0
	s_and_saveexec_b64 s[48:49], vcc
	s_xor_b64 s[48:49], exec, s[48:49]
	s_cbranch_execz .LBB185_1237
; %bb.1215:
	s_movk_i32 s46, 0x80
	v_cmp_eq_u16_e32 vcc, s46, v2
	s_mov_b64 s[46:47], -1
	s_and_saveexec_b64 s[50:51], vcc
; %bb.1216:
	s_xor_b64 s[46:47], exec, -1
; %bb.1217:
	s_or_b64 exec, exec, s[50:51]
	s_and_b64 s[46:47], s[46:47], exec
	s_or_saveexec_b64 s[48:49], s[48:49]
	v_mov_b32_e32 v3, 0x7f800001
	s_xor_b64 exec, exec, s[48:49]
	s_cbranch_execnz .LBB185_1238
.LBB185_1218:
	s_or_b64 exec, exec, s[48:49]
	s_and_saveexec_b64 s[48:49], s[46:47]
	s_cbranch_execz .LBB185_1220
.LBB185_1219:
	v_lshlrev_b32_e32 v3, 24, v2
	v_and_b32_e32 v2, 0xffff, v2
	v_and_b32_e32 v5, 3, v2
	v_ffbh_u32_e32 v7, v5
	v_min_u32_e32 v7, 32, v7
	v_subrev_u32_e32 v8, 29, v7
	v_bfe_u32 v6, v2, 2, 5
	v_lshlrev_b32_e32 v2, v8, v2
	v_sub_u32_e32 v7, 30, v7
	v_and_b32_e32 v2, 3, v2
	v_cmp_eq_u32_e32 vcc, 0, v6
	v_cndmask_b32_e32 v6, v6, v7, vcc
	v_cndmask_b32_e32 v2, v5, v2, vcc
	v_mov_b32_e32 v5, 0x37800000
	v_lshlrev_b32_e32 v2, 21, v2
	v_and_b32_e32 v3, 0x80000000, v3
	v_lshl_add_u32 v5, v6, 23, v5
	v_or3_b32 v3, v3, v5, v2
.LBB185_1220:
	s_or_b64 exec, exec, s[48:49]
	s_mov_b64 s[46:47], 0
	s_branch .LBB185_1226
.LBB185_1221:
	s_mov_b64 s[46:47], -1
                                        ; implicit-def: $vgpr3
	s_branch .LBB185_1232
.LBB185_1222:
	s_or_saveexec_b64 s[50:51], s[50:51]
	v_mov_b32_e32 v3, 0x7f800001
	s_xor_b64 exec, exec, s[50:51]
	s_cbranch_execz .LBB185_1205
.LBB185_1223:
	v_cmp_ne_u16_e32 vcc, 0, v2
	s_andn2_b64 s[48:49], s[48:49], exec
	s_and_b64 s[52:53], vcc, exec
	v_mov_b32_e32 v3, 0
	s_or_b64 s[48:49], s[48:49], s[52:53]
	s_or_b64 exec, exec, s[50:51]
	s_and_saveexec_b64 s[50:51], s[48:49]
	s_cbranch_execnz .LBB185_1206
	s_branch .LBB185_1207
.LBB185_1224:
	s_mov_b64 s[46:47], -1
                                        ; implicit-def: $vgpr3
	s_branch .LBB185_1229
.LBB185_1225:
	s_mov_b64 s[46:47], -1
                                        ; implicit-def: $vgpr3
.LBB185_1226:
	s_and_b64 vcc, exec, s[46:47]
	s_cbranch_vccz .LBB185_1228
; %bb.1227:
	global_load_ubyte v2, v[0:1], off
	s_mov_b32 s46, 0x7f800000
	s_waitcnt vmcnt(0)
	v_lshlrev_b32_e32 v2, 24, v2
	v_and_b32_e32 v3, 0x7f000000, v2
	v_ffbh_u32_e32 v5, v3
	v_min_u32_e32 v5, 32, v5
	v_sub_u32_e64 v5, v5, 4 clamp
	v_lshlrev_b32_e32 v7, v5, v3
	v_lshlrev_b32_e32 v5, 23, v5
	v_lshrrev_b32_e32 v7, 4, v7
	v_add_u32_e32 v6, 0x1000000, v3
	v_sub_u32_e32 v5, v7, v5
	v_ashrrev_i32_e32 v6, 8, v6
	v_add_u32_e32 v5, 0x3c000000, v5
	v_and_or_b32 v5, v6, s46, v5
	v_cmp_ne_u32_e32 vcc, 0, v3
	v_cndmask_b32_e32 v3, 0, v5, vcc
	s_brev_b32 s46, 1
	v_and_or_b32 v3, v2, s46, v3
.LBB185_1228:
	s_mov_b64 s[46:47], 0
.LBB185_1229:
	s_andn2_b64 vcc, exec, s[46:47]
	s_cbranch_vccnz .LBB185_1231
; %bb.1230:
	global_load_ubyte v2, v[0:1], off
	s_movk_i32 s46, 0x7f00
	s_brev_b32 s47, 16
	s_waitcnt vmcnt(0)
	v_lshlrev_b16_e32 v3, 8, v2
	v_lshlrev_b32_e32 v2, 25, v2
	v_lshrrev_b32_e32 v5, 4, v2
	v_and_or_b32 v6, v3, s46, 0.5
	v_or_b32_e32 v5, 0x70000000, v5
	v_add_f32_e32 v6, -0.5, v6
	v_mul_f32_e32 v5, 0x7800000, v5
	v_cmp_gt_u32_e32 vcc, s47, v2
	v_bfe_i32 v3, v3, 0, 16
	v_cndmask_b32_e32 v2, v5, v6, vcc
	s_brev_b32 s46, 1
	v_and_or_b32 v3, v3, s46, v2
.LBB185_1231:
	s_mov_b64 s[46:47], 0
	s_mov_b64 s[48:49], -1
.LBB185_1232:
	s_andn2_b64 vcc, exec, s[46:47]
	s_mov_b64 s[46:47], 0
	s_cbranch_vccnz .LBB185_1243
; %bb.1233:
	s_cmp_gt_i32 s54, 14
	s_cbranch_scc0 .LBB185_1236
; %bb.1234:
	s_cmp_eq_u32 s54, 15
	s_cbranch_scc0 .LBB185_1239
; %bb.1235:
	global_load_ushort v2, v[0:1], off
	s_mov_b64 s[44:45], 0
	s_mov_b64 s[48:49], -1
	s_waitcnt vmcnt(0)
	v_lshlrev_b32_e32 v3, 16, v2
	s_branch .LBB185_1240
.LBB185_1236:
	s_mov_b64 s[50:51], -1
                                        ; implicit-def: $vgpr3
	s_branch .LBB185_1241
.LBB185_1237:
	s_or_saveexec_b64 s[48:49], s[48:49]
	v_mov_b32_e32 v3, 0x7f800001
	s_xor_b64 exec, exec, s[48:49]
	s_cbranch_execz .LBB185_1218
.LBB185_1238:
	v_cmp_ne_u16_e32 vcc, 0, v2
	s_andn2_b64 s[46:47], s[46:47], exec
	s_and_b64 s[50:51], vcc, exec
	v_mov_b32_e32 v3, 0
	s_or_b64 s[46:47], s[46:47], s[50:51]
	s_or_b64 exec, exec, s[48:49]
	s_and_saveexec_b64 s[48:49], s[46:47]
	s_cbranch_execnz .LBB185_1219
	s_branch .LBB185_1220
.LBB185_1239:
	s_mov_b64 s[44:45], -1
                                        ; implicit-def: $vgpr3
.LBB185_1240:
	s_mov_b64 s[50:51], 0
.LBB185_1241:
	s_and_b64 vcc, exec, s[50:51]
	s_cbranch_vccz .LBB185_1243
; %bb.1242:
	s_cmp_lg_u32 s54, 11
	s_cselect_b64 s[50:51], -1, 0
	s_andn2_b64 s[44:45], s[44:45], exec
	s_and_b64 s[50:51], s[50:51], exec
	s_mov_b64 s[46:47], -1
	s_or_b64 s[44:45], s[44:45], s[50:51]
.LBB185_1243:
	s_mov_b64 s[50:51], 0
.LBB185_1244:
	s_and_b64 s[54:55], s[48:49], exec
	s_and_b64 s[48:49], s[46:47], exec
	s_andn2_b64 s[46:47], s[0:1], exec
	s_and_b64 s[44:45], s[44:45], exec
	s_and_b64 s[52:53], s[50:51], exec
	s_or_b64 s[50:51], s[46:47], s[44:45]
.LBB185_1245:
	s_or_b64 exec, exec, s[38:39]
	s_and_b64 s[44:45], s[48:49], exec
	s_andn2_b64 s[0:1], s[0:1], exec
	s_and_b64 s[48:49], s[50:51], exec
	s_and_b64 s[46:47], s[54:55], exec
	;; [unrolled: 1-line block ×3, first 2 shown]
	s_or_b64 s[0:1], s[0:1], s[48:49]
.LBB185_1246:
	s_or_b64 exec, exec, s[36:37]
	s_andn2_b64 s[30:31], s[30:31], exec
	s_and_b64 s[36:37], s[42:43], exec
	s_or_b64 s[30:31], s[30:31], s[36:37]
	s_andn2_b64 s[28:29], s[28:29], exec
	s_and_b64 s[36:37], s[40:41], exec
	s_andn2_b64 s[26:27], s[26:27], exec
	s_and_b64 s[0:1], s[0:1], exec
	s_or_b64 s[28:29], s[28:29], s[36:37]
	s_and_b64 s[40:41], s[46:47], exec
	s_and_b64 s[38:39], s[38:39], exec
	s_and_b64 s[36:37], s[44:45], exec
	s_or_b64 s[26:27], s[26:27], s[0:1]
.LBB185_1247:
	s_or_b64 exec, exec, s[34:35]
	s_andn2_b64 s[0:1], s[18:19], exec
	s_and_b64 s[18:19], s[30:31], exec
	s_or_b64 s[18:19], s[0:1], s[18:19]
	s_andn2_b64 s[0:1], s[20:21], exec
	s_and_b64 s[20:21], s[28:29], exec
	s_or_b64 s[20:21], s[0:1], s[20:21]
	s_andn2_b64 s[0:1], s[22:23], exec
	s_and_b64 s[22:23], s[26:27], exec
	s_and_b64 s[30:31], s[40:41], exec
	;; [unrolled: 1-line block ×4, first 2 shown]
	s_or_b64 s[22:23], s[0:1], s[22:23]
	s_or_b64 exec, exec, s[24:25]
	s_mov_b64 s[24:25], 0
	s_and_saveexec_b64 s[0:1], s[22:23]
	s_cbranch_execz .LBB185_393
.LBB185_1248:
	s_mov_b64 s[24:25], exec
	s_andn2_b64 s[28:29], s[28:29], exec
	s_trap 2
	s_or_b64 exec, exec, s[0:1]
	s_and_saveexec_b64 s[0:1], s[28:29]
	s_xor_b64 s[0:1], exec, s[0:1]
	s_cbranch_execnz .LBB185_394
.LBB185_1249:
	s_or_b64 exec, exec, s[0:1]
	s_and_saveexec_b64 s[0:1], s[34:35]
	s_cbranch_execz .LBB185_1295
.LBB185_1250:
	s_sext_i32_i16 s22, s57
	s_cmp_lt_i32 s22, 5
	s_cbranch_scc1 .LBB185_1255
; %bb.1251:
	s_cmp_lt_i32 s22, 8
	s_cbranch_scc1 .LBB185_1256
; %bb.1252:
	;; [unrolled: 3-line block ×3, first 2 shown]
	s_cmp_gt_i32 s22, 9
	s_cbranch_scc0 .LBB185_1258
; %bb.1254:
	global_load_dwordx2 v[2:3], v[0:1], off
	s_mov_b64 s[22:23], 0
	s_waitcnt vmcnt(0)
	v_cvt_f32_f64_e32 v3, v[2:3]
	s_branch .LBB185_1259
.LBB185_1255:
                                        ; implicit-def: $vgpr3
	s_branch .LBB185_1276
.LBB185_1256:
                                        ; implicit-def: $vgpr3
	s_branch .LBB185_1265
.LBB185_1257:
	s_mov_b64 s[22:23], -1
                                        ; implicit-def: $vgpr3
	s_branch .LBB185_1262
.LBB185_1258:
	s_mov_b64 s[22:23], -1
                                        ; implicit-def: $vgpr3
.LBB185_1259:
	s_andn2_b64 vcc, exec, s[22:23]
	s_cbranch_vccnz .LBB185_1261
; %bb.1260:
	global_load_dword v3, v[0:1], off
.LBB185_1261:
	s_mov_b64 s[22:23], 0
.LBB185_1262:
	s_andn2_b64 vcc, exec, s[22:23]
	s_cbranch_vccnz .LBB185_1264
; %bb.1263:
	global_load_dword v2, v[0:1], off
	s_waitcnt vmcnt(0)
	v_cvt_f32_f16_e32 v3, v2
.LBB185_1264:
	s_cbranch_execnz .LBB185_1275
.LBB185_1265:
	s_sext_i32_i16 s22, s57
	s_cmp_lt_i32 s22, 6
	s_cbranch_scc1 .LBB185_1268
; %bb.1266:
	s_cmp_gt_i32 s22, 6
	s_cbranch_scc0 .LBB185_1269
; %bb.1267:
	global_load_dwordx2 v[2:3], v[0:1], off
	s_mov_b64 s[22:23], 0
	s_waitcnt vmcnt(0)
	v_cvt_f32_f64_e32 v3, v[2:3]
	s_branch .LBB185_1270
.LBB185_1268:
	s_mov_b64 s[22:23], -1
                                        ; implicit-def: $vgpr3
	s_branch .LBB185_1273
.LBB185_1269:
	s_mov_b64 s[22:23], -1
                                        ; implicit-def: $vgpr3
.LBB185_1270:
	s_andn2_b64 vcc, exec, s[22:23]
	s_cbranch_vccnz .LBB185_1272
; %bb.1271:
	global_load_dword v3, v[0:1], off
.LBB185_1272:
	s_mov_b64 s[22:23], 0
.LBB185_1273:
	s_andn2_b64 vcc, exec, s[22:23]
	s_cbranch_vccnz .LBB185_1275
; %bb.1274:
	global_load_ushort v2, v[0:1], off
	s_waitcnt vmcnt(0)
	v_cvt_f32_f16_e32 v3, v2
.LBB185_1275:
	s_cbranch_execnz .LBB185_1294
.LBB185_1276:
	s_sext_i32_i16 s22, s57
	s_cmp_lt_i32 s22, 2
	s_cbranch_scc1 .LBB185_1280
; %bb.1277:
	s_cmp_lt_i32 s22, 3
	s_cbranch_scc1 .LBB185_1281
; %bb.1278:
	s_cmp_gt_i32 s22, 3
	s_cbranch_scc0 .LBB185_1282
; %bb.1279:
	global_load_dwordx2 v[2:3], v[0:1], off
	s_mov_b64 s[22:23], 0
	s_waitcnt vmcnt(0)
	v_xor_b32_e32 v6, v2, v3
	v_ffbh_i32_e32 v5, v3
	v_ashrrev_i32_e32 v6, 31, v6
	v_add_u32_e32 v5, -1, v5
	v_add_u32_e32 v6, 32, v6
	v_min_u32_e32 v5, v5, v6
	v_lshlrev_b64 v[2:3], v5, v[2:3]
	v_min_u32_e32 v2, 1, v2
	v_or_b32_e32 v2, v3, v2
	v_cvt_f32_i32_e32 v2, v2
	v_sub_u32_e32 v3, 32, v5
	v_ldexp_f32 v3, v2, v3
	s_branch .LBB185_1283
.LBB185_1280:
                                        ; implicit-def: $vgpr3
	s_branch .LBB185_1289
.LBB185_1281:
	s_mov_b64 s[22:23], -1
                                        ; implicit-def: $vgpr3
	s_branch .LBB185_1286
.LBB185_1282:
	s_mov_b64 s[22:23], -1
                                        ; implicit-def: $vgpr3
.LBB185_1283:
	s_andn2_b64 vcc, exec, s[22:23]
	s_cbranch_vccnz .LBB185_1285
; %bb.1284:
	global_load_dword v2, v[0:1], off
	s_waitcnt vmcnt(0)
	v_cvt_f32_i32_e32 v3, v2
.LBB185_1285:
	s_mov_b64 s[22:23], 0
.LBB185_1286:
	s_andn2_b64 vcc, exec, s[22:23]
	s_cbranch_vccnz .LBB185_1288
; %bb.1287:
	global_load_sshort v2, v[0:1], off
	s_waitcnt vmcnt(0)
	v_cvt_f32_i32_e32 v3, v2
.LBB185_1288:
	s_cbranch_execnz .LBB185_1294
.LBB185_1289:
	s_sext_i32_i16 s22, s57
	s_cmp_gt_i32 s22, 0
	s_cbranch_scc0 .LBB185_1291
; %bb.1290:
	global_load_sbyte v2, v[0:1], off
	s_mov_b64 s[22:23], 0
	s_waitcnt vmcnt(0)
	v_cvt_f32_i32_e32 v3, v2
	s_branch .LBB185_1292
.LBB185_1291:
	s_mov_b64 s[22:23], -1
                                        ; implicit-def: $vgpr3
.LBB185_1292:
	s_andn2_b64 vcc, exec, s[22:23]
	s_cbranch_vccnz .LBB185_1294
; %bb.1293:
	global_load_ubyte v0, v[0:1], off
	s_waitcnt vmcnt(0)
	v_cvt_f32_ubyte0_e32 v3, v0
.LBB185_1294:
	s_or_b64 s[30:31], s[30:31], exec
.LBB185_1295:
	s_or_b64 exec, exec, s[0:1]
	s_mov_b64 s[26:27], 0
	s_mov_b64 s[34:35], 0
	;; [unrolled: 1-line block ×3, first 2 shown]
                                        ; implicit-def: $sgpr36
                                        ; implicit-def: $vgpr0_vgpr1
                                        ; implicit-def: $vgpr5
	s_and_saveexec_b64 s[0:1], s[30:31]
	s_cbranch_execz .LBB185_1303
; %bb.1296:
	v_mul_lo_u32 v0, v4, s14
	v_mov_b32_e32 v1, s17
	s_and_b32 s36, s33, 0xff
	s_cmp_lt_i32 s36, 11
	s_waitcnt vmcnt(0)
	v_ashrrev_i32_e32 v2, 31, v0
	v_add_co_u32_e32 v0, vcc, s16, v0
	v_addc_co_u32_e32 v1, vcc, v1, v2, vcc
	s_cbranch_scc1 .LBB185_1306
; %bb.1297:
	s_and_b32 s37, 0xffff, s36
	s_cmp_gt_i32 s37, 25
	s_cbranch_scc0 .LBB185_1307
; %bb.1298:
	s_cmp_gt_i32 s37, 28
	s_cbranch_scc0 .LBB185_1308
; %bb.1299:
	;; [unrolled: 3-line block ×4, first 2 shown]
	s_cmp_eq_u32 s37, 46
	s_mov_b64 s[30:31], 0
	s_cbranch_scc0 .LBB185_1311
; %bb.1302:
	global_load_dword v2, v[0:1], off
	s_mov_b64 s[22:23], 0
	s_mov_b64 s[28:29], -1
	s_waitcnt vmcnt(0)
	v_lshlrev_b32_e32 v5, 16, v2
	s_branch .LBB185_1313
.LBB185_1303:
	s_or_b64 exec, exec, s[0:1]
	s_and_saveexec_b64 s[0:1], s[20:21]
	s_cbranch_execnz .LBB185_1376
.LBB185_1304:
	s_or_b64 exec, exec, s[0:1]
	s_and_saveexec_b64 s[0:1], s[26:27]
	s_xor_b64 s[0:1], exec, s[0:1]
	s_cbranch_execz .LBB185_1377
.LBB185_1305:
	global_load_ubyte v2, v[0:1], off
	s_or_b64 s[28:29], s[28:29], exec
	s_waitcnt vmcnt(0)
	v_cmp_ne_u16_e32 vcc, 0, v2
	v_cndmask_b32_e64 v5, 0, 1.0, vcc
	s_or_b64 exec, exec, s[0:1]
	s_and_saveexec_b64 s[0:1], s[34:35]
	s_cbranch_execz .LBB185_1423
	s_branch .LBB185_1378
.LBB185_1306:
	s_mov_b64 s[30:31], -1
                                        ; implicit-def: $vgpr5
	s_mov_b64 s[22:23], s[20:21]
	s_branch .LBB185_1375
.LBB185_1307:
	s_mov_b64 s[22:23], s[20:21]
                                        ; implicit-def: $vgpr5
	s_cbranch_execnz .LBB185_1342
	s_branch .LBB185_1374
.LBB185_1308:
	s_mov_b64 s[30:31], -1
	s_mov_b64 s[22:23], s[20:21]
                                        ; implicit-def: $vgpr5
	s_branch .LBB185_1323
.LBB185_1309:
	s_mov_b64 s[30:31], -1
	s_mov_b64 s[22:23], s[20:21]
                                        ; implicit-def: $vgpr5
	s_branch .LBB185_1318
.LBB185_1310:
	s_mov_b64 s[30:31], -1
	s_mov_b64 s[22:23], s[20:21]
	s_branch .LBB185_1312
.LBB185_1311:
	s_mov_b64 s[22:23], -1
.LBB185_1312:
                                        ; implicit-def: $vgpr5
.LBB185_1313:
	s_and_b64 vcc, exec, s[30:31]
	s_cbranch_vccz .LBB185_1317
; %bb.1314:
	s_cmp_eq_u32 s37, 44
	s_cbranch_scc0 .LBB185_1316
; %bb.1315:
	global_load_ubyte v2, v[0:1], off
	s_movk_i32 s28, 0xff
	v_mov_b32_e32 v5, 0x7f800001
	v_mov_b32_e32 v6, 0x400000
	s_mov_b64 s[22:23], 0
	s_waitcnt vmcnt(0)
	v_lshlrev_b32_e32 v7, 23, v2
	v_cmp_ne_u32_e32 vcc, s28, v2
	v_cndmask_b32_e32 v5, v5, v7, vcc
	v_cmp_ne_u32_e32 vcc, 0, v2
	v_cndmask_b32_e32 v5, v6, v5, vcc
	s_mov_b64 s[28:29], -1
	s_branch .LBB185_1317
.LBB185_1316:
	s_mov_b64 s[22:23], -1
                                        ; implicit-def: $vgpr5
.LBB185_1317:
	s_mov_b64 s[30:31], 0
.LBB185_1318:
	s_and_b64 vcc, exec, s[30:31]
	s_cbranch_vccz .LBB185_1322
; %bb.1319:
	s_cmp_eq_u32 s37, 29
	s_cbranch_scc0 .LBB185_1321
; %bb.1320:
	global_load_dwordx2 v[5:6], v[0:1], off
	s_mov_b64 s[22:23], 0
	s_mov_b64 s[28:29], -1
	s_mov_b64 s[30:31], 0
	s_waitcnt vmcnt(0)
	v_ffbh_u32_e32 v2, v6
	v_min_u32_e32 v2, 32, v2
	v_lshlrev_b64 v[5:6], v2, v[5:6]
	v_sub_u32_e32 v2, 32, v2
	v_min_u32_e32 v5, 1, v5
	v_or_b32_e32 v5, v6, v5
	v_cvt_f32_u32_e32 v5, v5
	v_ldexp_f32 v5, v5, v2
	s_branch .LBB185_1323
.LBB185_1321:
	s_mov_b64 s[22:23], -1
                                        ; implicit-def: $vgpr5
.LBB185_1322:
	s_mov_b64 s[30:31], 0
.LBB185_1323:
	s_and_b64 vcc, exec, s[30:31]
	s_cbranch_vccz .LBB185_1341
; %bb.1324:
	s_cmp_lt_i32 s37, 27
	s_cbranch_scc1 .LBB185_1327
; %bb.1325:
	s_cmp_gt_i32 s37, 27
	s_cbranch_scc0 .LBB185_1328
; %bb.1326:
	global_load_dword v2, v[0:1], off
	s_mov_b64 s[28:29], 0
	s_waitcnt vmcnt(0)
	v_cvt_f32_u32_e32 v5, v2
	s_branch .LBB185_1329
.LBB185_1327:
	s_mov_b64 s[28:29], -1
                                        ; implicit-def: $vgpr5
	s_branch .LBB185_1332
.LBB185_1328:
	s_mov_b64 s[28:29], -1
                                        ; implicit-def: $vgpr5
.LBB185_1329:
	s_andn2_b64 vcc, exec, s[28:29]
	s_cbranch_vccnz .LBB185_1331
; %bb.1330:
	global_load_ushort v2, v[0:1], off
	s_waitcnt vmcnt(0)
	v_cvt_f32_u32_e32 v5, v2
.LBB185_1331:
	s_mov_b64 s[28:29], 0
.LBB185_1332:
	s_andn2_b64 vcc, exec, s[28:29]
	s_cbranch_vccnz .LBB185_1340
; %bb.1333:
	global_load_ubyte v2, v[0:1], off
	s_movk_i32 s28, 0x7f
	s_waitcnt vmcnt(0)
	v_cmp_lt_i16_e32 vcc, s28, v2
	s_mov_b64 s[28:29], 0
	s_and_saveexec_b64 s[30:31], vcc
	s_xor_b64 s[30:31], exec, s[30:31]
	s_cbranch_execz .LBB185_1353
; %bb.1334:
	s_movk_i32 s28, 0x80
	v_cmp_eq_u16_e32 vcc, s28, v2
	s_mov_b64 s[28:29], -1
	s_and_saveexec_b64 s[34:35], vcc
; %bb.1335:
	s_xor_b64 s[28:29], exec, -1
; %bb.1336:
	s_or_b64 exec, exec, s[34:35]
	s_and_b64 s[28:29], s[28:29], exec
	s_or_saveexec_b64 s[30:31], s[30:31]
	v_mov_b32_e32 v5, 0x7f800001
	s_xor_b64 exec, exec, s[30:31]
	s_cbranch_execnz .LBB185_1354
.LBB185_1337:
	s_or_b64 exec, exec, s[30:31]
	s_and_saveexec_b64 s[30:31], s[28:29]
	s_cbranch_execz .LBB185_1339
.LBB185_1338:
	v_lshlrev_b32_e32 v5, 24, v2
	v_and_b32_e32 v2, 0xffff, v2
	v_and_b32_e32 v6, 7, v2
	v_ffbh_u32_e32 v8, v6
	v_min_u32_e32 v8, 32, v8
	v_subrev_u32_e32 v9, 28, v8
	v_bfe_u32 v7, v2, 3, 4
	v_lshlrev_b32_e32 v2, v9, v2
	v_sub_u32_e32 v8, 29, v8
	v_and_b32_e32 v2, 7, v2
	v_cmp_eq_u32_e32 vcc, 0, v7
	v_cndmask_b32_e32 v7, v7, v8, vcc
	v_cndmask_b32_e32 v2, v6, v2, vcc
	v_mov_b32_e32 v6, 0x3b800000
	v_lshlrev_b32_e32 v2, 20, v2
	v_and_b32_e32 v5, 0x80000000, v5
	v_lshl_add_u32 v6, v7, 23, v6
	v_or3_b32 v5, v5, v6, v2
.LBB185_1339:
	s_or_b64 exec, exec, s[30:31]
.LBB185_1340:
	s_mov_b64 s[28:29], -1
.LBB185_1341:
	s_branch .LBB185_1374
.LBB185_1342:
	s_cmp_gt_i32 s37, 22
	s_cbranch_scc0 .LBB185_1352
; %bb.1343:
	s_cmp_lt_i32 s37, 24
	s_cbranch_scc1 .LBB185_1355
; %bb.1344:
	s_cmp_gt_i32 s37, 24
	s_cbranch_scc0 .LBB185_1356
; %bb.1345:
	global_load_ubyte v2, v[0:1], off
	s_movk_i32 s26, 0x7f
	s_waitcnt vmcnt(0)
	v_cmp_lt_i16_e32 vcc, s26, v2
	s_mov_b64 s[26:27], 0
	s_and_saveexec_b64 s[28:29], vcc
	s_xor_b64 s[28:29], exec, s[28:29]
	s_cbranch_execz .LBB185_1368
; %bb.1346:
	s_movk_i32 s26, 0x80
	v_cmp_eq_u16_e32 vcc, s26, v2
	s_mov_b64 s[26:27], -1
	s_and_saveexec_b64 s[30:31], vcc
; %bb.1347:
	s_xor_b64 s[26:27], exec, -1
; %bb.1348:
	s_or_b64 exec, exec, s[30:31]
	s_and_b64 s[26:27], s[26:27], exec
	s_or_saveexec_b64 s[28:29], s[28:29]
	v_mov_b32_e32 v5, 0x7f800001
	s_xor_b64 exec, exec, s[28:29]
	s_cbranch_execnz .LBB185_1369
.LBB185_1349:
	s_or_b64 exec, exec, s[28:29]
	s_and_saveexec_b64 s[28:29], s[26:27]
	s_cbranch_execz .LBB185_1351
.LBB185_1350:
	v_lshlrev_b32_e32 v5, 24, v2
	v_and_b32_e32 v2, 0xffff, v2
	v_and_b32_e32 v6, 3, v2
	v_ffbh_u32_e32 v8, v6
	v_min_u32_e32 v8, 32, v8
	v_subrev_u32_e32 v9, 29, v8
	v_bfe_u32 v7, v2, 2, 5
	v_lshlrev_b32_e32 v2, v9, v2
	v_sub_u32_e32 v8, 30, v8
	v_and_b32_e32 v2, 3, v2
	v_cmp_eq_u32_e32 vcc, 0, v7
	v_cndmask_b32_e32 v7, v7, v8, vcc
	v_cndmask_b32_e32 v2, v6, v2, vcc
	v_mov_b32_e32 v6, 0x37800000
	v_lshlrev_b32_e32 v2, 21, v2
	v_and_b32_e32 v5, 0x80000000, v5
	v_lshl_add_u32 v6, v7, 23, v6
	v_or3_b32 v5, v5, v6, v2
.LBB185_1351:
	s_or_b64 exec, exec, s[28:29]
	s_mov_b64 s[26:27], 0
	s_branch .LBB185_1357
.LBB185_1352:
	s_mov_b64 s[26:27], -1
                                        ; implicit-def: $vgpr5
	s_branch .LBB185_1363
.LBB185_1353:
	s_or_saveexec_b64 s[30:31], s[30:31]
	v_mov_b32_e32 v5, 0x7f800001
	s_xor_b64 exec, exec, s[30:31]
	s_cbranch_execz .LBB185_1337
.LBB185_1354:
	v_cmp_ne_u16_e32 vcc, 0, v2
	s_andn2_b64 s[28:29], s[28:29], exec
	s_and_b64 s[34:35], vcc, exec
	v_mov_b32_e32 v5, 0
	s_or_b64 s[28:29], s[28:29], s[34:35]
	s_or_b64 exec, exec, s[30:31]
	s_and_saveexec_b64 s[30:31], s[28:29]
	s_cbranch_execnz .LBB185_1338
	s_branch .LBB185_1339
.LBB185_1355:
	s_mov_b64 s[26:27], -1
                                        ; implicit-def: $vgpr5
	s_branch .LBB185_1360
.LBB185_1356:
	s_mov_b64 s[26:27], -1
                                        ; implicit-def: $vgpr5
.LBB185_1357:
	s_and_b64 vcc, exec, s[26:27]
	s_cbranch_vccz .LBB185_1359
; %bb.1358:
	global_load_ubyte v2, v[0:1], off
	s_mov_b32 s26, 0x7f800000
	s_waitcnt vmcnt(0)
	v_lshlrev_b32_e32 v2, 24, v2
	v_and_b32_e32 v5, 0x7f000000, v2
	v_ffbh_u32_e32 v6, v5
	v_min_u32_e32 v6, 32, v6
	v_sub_u32_e64 v6, v6, 4 clamp
	v_lshlrev_b32_e32 v8, v6, v5
	v_lshlrev_b32_e32 v6, 23, v6
	v_lshrrev_b32_e32 v8, 4, v8
	v_add_u32_e32 v7, 0x1000000, v5
	v_sub_u32_e32 v6, v8, v6
	v_ashrrev_i32_e32 v7, 8, v7
	v_add_u32_e32 v6, 0x3c000000, v6
	v_and_or_b32 v6, v7, s26, v6
	v_cmp_ne_u32_e32 vcc, 0, v5
	v_cndmask_b32_e32 v5, 0, v6, vcc
	s_brev_b32 s26, 1
	v_and_or_b32 v5, v2, s26, v5
.LBB185_1359:
	s_mov_b64 s[26:27], 0
.LBB185_1360:
	s_andn2_b64 vcc, exec, s[26:27]
	s_cbranch_vccnz .LBB185_1362
; %bb.1361:
	global_load_ubyte v2, v[0:1], off
	s_movk_i32 s26, 0x7f00
	s_brev_b32 s27, 16
	s_waitcnt vmcnt(0)
	v_lshlrev_b16_e32 v5, 8, v2
	v_lshlrev_b32_e32 v2, 25, v2
	v_lshrrev_b32_e32 v6, 4, v2
	v_and_or_b32 v7, v5, s26, 0.5
	v_or_b32_e32 v6, 0x70000000, v6
	v_add_f32_e32 v7, -0.5, v7
	v_mul_f32_e32 v6, 0x7800000, v6
	v_cmp_gt_u32_e32 vcc, s27, v2
	v_bfe_i32 v5, v5, 0, 16
	v_cndmask_b32_e32 v2, v6, v7, vcc
	s_brev_b32 s26, 1
	v_and_or_b32 v5, v5, s26, v2
.LBB185_1362:
	s_mov_b64 s[26:27], 0
	s_mov_b64 s[28:29], -1
.LBB185_1363:
	s_andn2_b64 vcc, exec, s[26:27]
	s_mov_b64 s[26:27], 0
	s_cbranch_vccnz .LBB185_1374
; %bb.1364:
	s_cmp_gt_i32 s37, 14
	s_cbranch_scc0 .LBB185_1367
; %bb.1365:
	s_cmp_eq_u32 s37, 15
	s_cbranch_scc0 .LBB185_1370
; %bb.1366:
	global_load_ushort v2, v[0:1], off
	s_mov_b64 s[22:23], 0
	s_mov_b64 s[28:29], -1
	s_waitcnt vmcnt(0)
	v_lshlrev_b32_e32 v5, 16, v2
	s_branch .LBB185_1371
.LBB185_1367:
	s_mov_b64 s[30:31], -1
                                        ; implicit-def: $vgpr5
	s_branch .LBB185_1372
.LBB185_1368:
	s_or_saveexec_b64 s[28:29], s[28:29]
	v_mov_b32_e32 v5, 0x7f800001
	s_xor_b64 exec, exec, s[28:29]
	s_cbranch_execz .LBB185_1349
.LBB185_1369:
	v_cmp_ne_u16_e32 vcc, 0, v2
	s_andn2_b64 s[26:27], s[26:27], exec
	s_and_b64 s[30:31], vcc, exec
	v_mov_b32_e32 v5, 0
	s_or_b64 s[26:27], s[26:27], s[30:31]
	s_or_b64 exec, exec, s[28:29]
	s_and_saveexec_b64 s[28:29], s[26:27]
	s_cbranch_execnz .LBB185_1350
	s_branch .LBB185_1351
.LBB185_1370:
	s_mov_b64 s[22:23], -1
                                        ; implicit-def: $vgpr5
.LBB185_1371:
	s_mov_b64 s[30:31], 0
.LBB185_1372:
	s_and_b64 vcc, exec, s[30:31]
	s_cbranch_vccz .LBB185_1374
; %bb.1373:
	s_cmp_lg_u32 s37, 11
	s_cselect_b64 s[30:31], -1, 0
	s_andn2_b64 s[22:23], s[22:23], exec
	s_and_b64 s[30:31], s[30:31], exec
	s_mov_b64 s[26:27], -1
	s_or_b64 s[22:23], s[22:23], s[30:31]
.LBB185_1374:
	s_mov_b64 s[30:31], 0
.LBB185_1375:
	s_andn2_b64 s[20:21], s[20:21], exec
	s_and_b64 s[22:23], s[22:23], exec
	s_and_b64 s[28:29], s[28:29], exec
	;; [unrolled: 1-line block ×4, first 2 shown]
	s_or_b64 s[20:21], s[20:21], s[22:23]
	s_or_b64 exec, exec, s[0:1]
	s_and_saveexec_b64 s[0:1], s[20:21]
	s_cbranch_execz .LBB185_1304
.LBB185_1376:
	s_or_b64 s[24:25], s[24:25], exec
	s_andn2_b64 s[26:27], s[26:27], exec
	s_trap 2
	s_or_b64 exec, exec, s[0:1]
	s_and_saveexec_b64 s[0:1], s[26:27]
	s_xor_b64 s[0:1], exec, s[0:1]
	s_cbranch_execnz .LBB185_1305
.LBB185_1377:
	s_or_b64 exec, exec, s[0:1]
	s_and_saveexec_b64 s[0:1], s[34:35]
	s_cbranch_execz .LBB185_1423
.LBB185_1378:
	s_sext_i32_i16 s20, s36
	s_cmp_lt_i32 s20, 5
	s_cbranch_scc1 .LBB185_1383
; %bb.1379:
	s_cmp_lt_i32 s20, 8
	s_cbranch_scc1 .LBB185_1384
; %bb.1380:
	;; [unrolled: 3-line block ×3, first 2 shown]
	s_cmp_gt_i32 s20, 9
	s_cbranch_scc0 .LBB185_1386
; %bb.1382:
	global_load_dwordx2 v[5:6], v[0:1], off
	s_mov_b64 s[20:21], 0
	s_waitcnt vmcnt(0)
	v_cvt_f32_f64_e32 v5, v[5:6]
	s_branch .LBB185_1387
.LBB185_1383:
                                        ; implicit-def: $vgpr5
	s_branch .LBB185_1404
.LBB185_1384:
                                        ; implicit-def: $vgpr5
	s_branch .LBB185_1393
.LBB185_1385:
	s_mov_b64 s[20:21], -1
                                        ; implicit-def: $vgpr5
	s_branch .LBB185_1390
.LBB185_1386:
	s_mov_b64 s[20:21], -1
                                        ; implicit-def: $vgpr5
.LBB185_1387:
	s_andn2_b64 vcc, exec, s[20:21]
	s_cbranch_vccnz .LBB185_1389
; %bb.1388:
	global_load_dword v5, v[0:1], off
.LBB185_1389:
	s_mov_b64 s[20:21], 0
.LBB185_1390:
	s_andn2_b64 vcc, exec, s[20:21]
	s_cbranch_vccnz .LBB185_1392
; %bb.1391:
	global_load_dword v2, v[0:1], off
	s_waitcnt vmcnt(0)
	v_cvt_f32_f16_e32 v5, v2
.LBB185_1392:
	s_cbranch_execnz .LBB185_1403
.LBB185_1393:
	s_sext_i32_i16 s20, s36
	s_cmp_lt_i32 s20, 6
	s_cbranch_scc1 .LBB185_1396
; %bb.1394:
	s_cmp_gt_i32 s20, 6
	s_cbranch_scc0 .LBB185_1397
; %bb.1395:
	global_load_dwordx2 v[5:6], v[0:1], off
	s_mov_b64 s[20:21], 0
	s_waitcnt vmcnt(0)
	v_cvt_f32_f64_e32 v5, v[5:6]
	s_branch .LBB185_1398
.LBB185_1396:
	s_mov_b64 s[20:21], -1
                                        ; implicit-def: $vgpr5
	s_branch .LBB185_1401
.LBB185_1397:
	s_mov_b64 s[20:21], -1
                                        ; implicit-def: $vgpr5
.LBB185_1398:
	s_andn2_b64 vcc, exec, s[20:21]
	s_cbranch_vccnz .LBB185_1400
; %bb.1399:
	global_load_dword v5, v[0:1], off
.LBB185_1400:
	s_mov_b64 s[20:21], 0
.LBB185_1401:
	s_andn2_b64 vcc, exec, s[20:21]
	s_cbranch_vccnz .LBB185_1403
; %bb.1402:
	global_load_ushort v2, v[0:1], off
	s_waitcnt vmcnt(0)
	v_cvt_f32_f16_e32 v5, v2
.LBB185_1403:
	s_cbranch_execnz .LBB185_1422
.LBB185_1404:
	s_sext_i32_i16 s20, s36
	s_cmp_lt_i32 s20, 2
	s_cbranch_scc1 .LBB185_1408
; %bb.1405:
	s_cmp_lt_i32 s20, 3
	s_cbranch_scc1 .LBB185_1409
; %bb.1406:
	s_cmp_gt_i32 s20, 3
	s_cbranch_scc0 .LBB185_1410
; %bb.1407:
	global_load_dwordx2 v[5:6], v[0:1], off
	s_mov_b64 s[20:21], 0
	s_waitcnt vmcnt(0)
	v_xor_b32_e32 v7, v5, v6
	v_ffbh_i32_e32 v2, v6
	v_ashrrev_i32_e32 v7, 31, v7
	v_add_u32_e32 v2, -1, v2
	v_add_u32_e32 v7, 32, v7
	v_min_u32_e32 v2, v2, v7
	v_lshlrev_b64 v[5:6], v2, v[5:6]
	v_sub_u32_e32 v2, 32, v2
	v_min_u32_e32 v5, 1, v5
	v_or_b32_e32 v5, v6, v5
	v_cvt_f32_i32_e32 v5, v5
	v_ldexp_f32 v5, v5, v2
	s_branch .LBB185_1411
.LBB185_1408:
                                        ; implicit-def: $vgpr5
	s_branch .LBB185_1417
.LBB185_1409:
	s_mov_b64 s[20:21], -1
                                        ; implicit-def: $vgpr5
	s_branch .LBB185_1414
.LBB185_1410:
	s_mov_b64 s[20:21], -1
                                        ; implicit-def: $vgpr5
.LBB185_1411:
	s_andn2_b64 vcc, exec, s[20:21]
	s_cbranch_vccnz .LBB185_1413
; %bb.1412:
	global_load_dword v2, v[0:1], off
	s_waitcnt vmcnt(0)
	v_cvt_f32_i32_e32 v5, v2
.LBB185_1413:
	s_mov_b64 s[20:21], 0
.LBB185_1414:
	s_andn2_b64 vcc, exec, s[20:21]
	s_cbranch_vccnz .LBB185_1416
; %bb.1415:
	global_load_sshort v2, v[0:1], off
	s_waitcnt vmcnt(0)
	v_cvt_f32_i32_e32 v5, v2
.LBB185_1416:
	s_cbranch_execnz .LBB185_1422
.LBB185_1417:
	s_sext_i32_i16 s20, s36
	s_cmp_gt_i32 s20, 0
	s_cbranch_scc0 .LBB185_1419
; %bb.1418:
	global_load_sbyte v2, v[0:1], off
	s_mov_b64 s[20:21], 0
	s_waitcnt vmcnt(0)
	v_cvt_f32_i32_e32 v5, v2
	s_branch .LBB185_1420
.LBB185_1419:
	s_mov_b64 s[20:21], -1
                                        ; implicit-def: $vgpr5
.LBB185_1420:
	s_andn2_b64 vcc, exec, s[20:21]
	s_cbranch_vccnz .LBB185_1422
; %bb.1421:
	global_load_ubyte v0, v[0:1], off
	s_waitcnt vmcnt(0)
	v_cvt_f32_ubyte0_e32 v5, v0
.LBB185_1422:
	s_or_b64 s[28:29], s[28:29], exec
.LBB185_1423:
	s_or_b64 exec, exec, s[0:1]
	s_mov_b64 s[26:27], 0
	s_mov_b64 s[22:23], 0
                                        ; implicit-def: $sgpr34
                                        ; implicit-def: $vgpr0_vgpr1
                                        ; implicit-def: $vgpr2
	s_and_saveexec_b64 s[20:21], s[28:29]
	s_cbranch_execz .LBB185_1441
; %bb.1424:
	v_mul_lo_u32 v0, v4, s12
	v_mov_b32_e32 v1, s2
	s_waitcnt vmcnt(0)
	v_cmp_nge_f32_e32 vcc, s15, v3
	v_cndmask_b32_e32 v2, v1, v5, vcc
	v_ashrrev_i32_e32 v1, 31, v0
	v_mov_b32_e32 v3, s9
	s_and_b32 s34, s3, 0xff
	v_add_co_u32_e32 v0, vcc, s8, v0
	s_cmp_lt_i32 s34, 11
	v_addc_co_u32_e32 v1, vcc, v3, v1, vcc
	s_cbranch_scc1 .LBB185_1444
; %bb.1425:
	s_and_b32 s35, 0xffff, s34
	s_mov_b64 s[26:27], -1
	s_cmp_gt_i32 s35, 25
	s_mov_b64 s[0:1], s[18:19]
	s_cbranch_scc0 .LBB185_1462
; %bb.1426:
	s_mov_b64 s[22:23], -1
	s_cmp_gt_i32 s35, 28
	s_mov_b64 s[0:1], s[18:19]
	s_cbranch_scc0 .LBB185_1446
; %bb.1427:
	s_cmp_gt_i32 s35, 43
	s_mov_b64 s[0:1], s[18:19]
	s_cbranch_scc0 .LBB185_1438
; %bb.1428:
	;; [unrolled: 4-line block ×3, first 2 shown]
	s_cmp_eq_u32 s35, 46
	s_mov_b64 s[0:1], -1
	s_cbranch_scc0 .LBB185_1431
; %bb.1430:
	v_bfe_u32 v3, v2, 16, 1
	s_movk_i32 s0, 0x7fff
	v_add3_u32 v3, v2, v3, s0
	v_cmp_o_f32_e32 vcc, v2, v2
	v_mov_b32_e32 v4, 0x7fc0
	v_cndmask_b32_sdwa v3, v4, v3, vcc dst_sel:DWORD dst_unused:UNUSED_PAD src0_sel:DWORD src1_sel:WORD_1
	global_store_dword v[0:1], v3, off
	s_mov_b64 s[0:1], 0
.LBB185_1431:
	s_mov_b64 s[22:23], 0
.LBB185_1432:
	s_and_b64 vcc, exec, s[22:23]
	s_cbranch_vccz .LBB185_1437
; %bb.1433:
	s_cmp_eq_u32 s35, 44
	s_mov_b64 s[0:1], -1
	s_cbranch_scc0 .LBB185_1437
; %bb.1434:
	v_bfe_u32 v3, v2, 23, 8
	s_movk_i32 s0, 0xff
	v_cmp_ne_u32_e32 vcc, s0, v3
	v_mov_b32_e32 v4, 0xff
	s_and_saveexec_b64 s[22:23], vcc
; %bb.1435:
	s_mov_b32 s0, 0x3fffff
	v_and_b32_e32 v5, 0x400000, v2
	v_and_or_b32 v3, v2, s0, v3
	v_cmp_ne_u32_e32 vcc, 0, v5
	v_cmp_ne_u32_e64 s[0:1], 0, v3
	s_and_b64 s[0:1], vcc, s[0:1]
	v_lshrrev_b32_e32 v4, 23, v2
	v_cndmask_b32_e64 v3, 0, 1, s[0:1]
	v_add_u32_e32 v4, v4, v3
; %bb.1436:
	s_or_b64 exec, exec, s[22:23]
	s_mov_b64 s[0:1], 0
	global_store_byte v[0:1], v4, off
.LBB185_1437:
	s_mov_b64 s[22:23], 0
.LBB185_1438:
	s_and_b64 vcc, exec, s[22:23]
	s_cbranch_vccz .LBB185_1445
; %bb.1439:
	s_cmp_eq_u32 s35, 29
	s_mov_b64 s[0:1], -1
	s_cbranch_scc0 .LBB185_1445
; %bb.1440:
	v_trunc_f32_e32 v3, v2
	v_mul_f32_e32 v4, 0x2f800000, v3
	v_floor_f32_e32 v5, v4
	v_fmac_f32_e32 v3, 0xcf800000, v5
	v_cvt_u32_f32_e32 v4, v5
	v_cvt_u32_f32_e32 v3, v3
	s_mov_b64 s[0:1], 0
	s_mov_b64 s[22:23], 0
	global_store_dwordx2 v[0:1], v[3:4], off
	s_branch .LBB185_1446
.LBB185_1441:
	s_or_b64 exec, exec, s[20:21]
	s_and_saveexec_b64 s[0:1], s[18:19]
	s_cbranch_execnz .LBB185_1504
.LBB185_1442:
	s_or_b64 exec, exec, s[0:1]
	s_and_saveexec_b64 s[0:1], s[26:27]
	s_xor_b64 s[0:1], exec, s[0:1]
	s_cbranch_execz .LBB185_1505
.LBB185_1443:
	s_waitcnt vmcnt(0)
	v_cmp_neq_f32_e32 vcc, 0, v2
	v_cndmask_b32_e64 v3, 0, 1, vcc
	global_store_byte v[0:1], v3, off
	s_or_b64 exec, exec, s[0:1]
	s_and_saveexec_b64 s[0:1], s[22:23]
	s_xor_b64 s[0:1], exec, s[0:1]
	s_cbranch_execz .LBB185_1543
	s_branch .LBB185_1506
.LBB185_1444:
	s_mov_b64 s[22:23], -1
	s_mov_b64 s[0:1], s[18:19]
	s_branch .LBB185_1503
.LBB185_1445:
	s_mov_b64 s[22:23], 0
.LBB185_1446:
	s_and_b64 vcc, exec, s[22:23]
	s_cbranch_vccz .LBB185_1461
; %bb.1447:
	s_cmp_lt_i32 s35, 27
	s_mov_b64 s[22:23], -1
	s_cbranch_scc1 .LBB185_1453
; %bb.1448:
	v_cvt_u32_f32_e32 v3, v2
	s_cmp_gt_i32 s35, 27
	s_cbranch_scc0 .LBB185_1450
; %bb.1449:
	s_mov_b64 s[22:23], 0
	global_store_dword v[0:1], v3, off
.LBB185_1450:
	s_andn2_b64 vcc, exec, s[22:23]
	s_cbranch_vccnz .LBB185_1452
; %bb.1451:
	global_store_short v[0:1], v3, off
.LBB185_1452:
	s_mov_b64 s[22:23], 0
.LBB185_1453:
	s_andn2_b64 vcc, exec, s[22:23]
	s_cbranch_vccnz .LBB185_1461
; %bb.1454:
	v_and_b32_e32 v3, 0x7fffffff, v2
	s_mov_b32 s22, 0x43800000
	v_cmp_gt_u32_e32 vcc, s22, v3
	v_mov_b32_e32 v4, 0x80
	s_and_saveexec_b64 s[22:23], vcc
	s_cbranch_execz .LBB185_1460
; %bb.1455:
	s_mov_b32 s26, 0x3bffffff
	v_cmp_lt_u32_e32 vcc, s26, v3
	s_mov_b64 s[26:27], 0
                                        ; implicit-def: $vgpr3
	s_and_saveexec_b64 s[28:29], vcc
	s_xor_b64 s[28:29], exec, s[28:29]
	s_cbranch_execz .LBB185_1558
; %bb.1456:
	v_bfe_u32 v3, v2, 20, 1
	s_mov_b32 s30, 0x487ffff
	v_add3_u32 v3, v2, v3, s30
	s_mov_b64 s[26:27], exec
	v_lshrrev_b32_e32 v3, 20, v3
	s_andn2_saveexec_b64 s[28:29], s[28:29]
	s_cbranch_execnz .LBB185_1559
.LBB185_1457:
	s_or_b64 exec, exec, s[28:29]
	v_mov_b32_e32 v4, 0
	s_and_saveexec_b64 s[28:29], s[26:27]
.LBB185_1458:
	v_lshrrev_b32_e32 v4, 24, v2
	s_movk_i32 s26, 0x80
	v_and_or_b32 v4, v4, s26, v3
.LBB185_1459:
	s_or_b64 exec, exec, s[28:29]
.LBB185_1460:
	s_or_b64 exec, exec, s[22:23]
	global_store_byte v[0:1], v4, off
.LBB185_1461:
	s_mov_b64 s[26:27], 0
.LBB185_1462:
	s_mov_b64 s[22:23], 0
	s_and_b64 vcc, exec, s[26:27]
	s_cbranch_vccz .LBB185_1502
; %bb.1463:
	s_cmp_gt_i32 s35, 22
	s_mov_b64 s[26:27], -1
	s_cbranch_scc0 .LBB185_1495
; %bb.1464:
	s_cmp_lt_i32 s35, 24
	s_cbranch_scc1 .LBB185_1484
; %bb.1465:
	s_cmp_gt_i32 s35, 24
	s_cbranch_scc0 .LBB185_1473
; %bb.1466:
	v_and_b32_e32 v3, 0x7fffffff, v2
	s_mov_b32 s26, 0x47800000
	v_cmp_gt_u32_e32 vcc, s26, v3
	v_mov_b32_e32 v4, 0x80
	s_and_saveexec_b64 s[26:27], vcc
	s_cbranch_execz .LBB185_1472
; %bb.1467:
	s_mov_b32 s28, 0x37ffffff
	v_cmp_lt_u32_e32 vcc, s28, v3
	s_mov_b64 s[28:29], 0
                                        ; implicit-def: $vgpr3
	s_and_saveexec_b64 s[30:31], vcc
	s_xor_b64 s[30:31], exec, s[30:31]
	s_cbranch_execz .LBB185_1683
; %bb.1468:
	v_bfe_u32 v3, v2, 21, 1
	s_mov_b32 s36, 0x88fffff
	v_add3_u32 v3, v2, v3, s36
	s_mov_b64 s[28:29], exec
	v_lshrrev_b32_e32 v3, 21, v3
	s_andn2_saveexec_b64 s[30:31], s[30:31]
	s_cbranch_execnz .LBB185_1684
.LBB185_1469:
	s_or_b64 exec, exec, s[30:31]
	v_mov_b32_e32 v4, 0
	s_and_saveexec_b64 s[30:31], s[28:29]
.LBB185_1470:
	v_lshrrev_b32_e32 v4, 24, v2
	s_movk_i32 s28, 0x80
	v_and_or_b32 v4, v4, s28, v3
.LBB185_1471:
	s_or_b64 exec, exec, s[30:31]
.LBB185_1472:
	s_or_b64 exec, exec, s[26:27]
	s_mov_b64 s[26:27], 0
	global_store_byte v[0:1], v4, off
.LBB185_1473:
	s_and_b64 vcc, exec, s[26:27]
	s_cbranch_vccz .LBB185_1483
; %bb.1474:
	v_and_b32_e32 v4, 0x7fffffff, v2
	s_mov_b32 s26, 0x43f00000
	v_cmp_gt_u32_e32 vcc, s26, v4
                                        ; implicit-def: $vgpr3
	s_and_saveexec_b64 s[26:27], vcc
	s_xor_b64 s[26:27], exec, s[26:27]
	s_cbranch_execz .LBB185_1480
; %bb.1475:
	s_mov_b32 s28, 0x3c7fffff
	v_cmp_lt_u32_e32 vcc, s28, v4
                                        ; implicit-def: $vgpr3
	s_and_saveexec_b64 s[28:29], vcc
	s_xor_b64 s[28:29], exec, s[28:29]
; %bb.1476:
	v_bfe_u32 v3, v2, 20, 1
	s_mov_b32 s30, 0x407ffff
	v_add3_u32 v3, v2, v3, s30
	v_lshrrev_b32_e32 v4, 20, v3
	v_and_b32_e32 v3, 0xff00000, v3
	s_mov_b32 s30, 0x7f00000
	v_mov_b32_e32 v5, 0x7e
	v_cmp_ne_u32_e32 vcc, s30, v3
	v_cndmask_b32_e32 v3, v5, v4, vcc
; %bb.1477:
	s_andn2_saveexec_b64 s[28:29], s[28:29]
; %bb.1478:
	s_mov_b32 s30, 0x46800000
	v_add_f32_e64 v3, |v2|, s30
; %bb.1479:
	s_or_b64 exec, exec, s[28:29]
                                        ; implicit-def: $vgpr4
.LBB185_1480:
	s_andn2_saveexec_b64 s[26:27], s[26:27]
; %bb.1481:
	s_mov_b32 s28, 0x7f800000
	v_mov_b32_e32 v3, 0x7e
	v_mov_b32_e32 v5, 0x7f
	v_cmp_lt_u32_e32 vcc, s28, v4
	v_cndmask_b32_e32 v3, v3, v5, vcc
; %bb.1482:
	s_or_b64 exec, exec, s[26:27]
	v_lshrrev_b32_e32 v4, 24, v2
	s_movk_i32 s26, 0x80
	v_and_or_b32 v3, v4, s26, v3
	global_store_byte v[0:1], v3, off
.LBB185_1483:
	s_mov_b64 s[26:27], 0
.LBB185_1484:
	s_andn2_b64 vcc, exec, s[26:27]
	s_cbranch_vccnz .LBB185_1494
; %bb.1485:
	v_and_b32_e32 v4, 0x7fffffff, v2
	s_mov_b32 s26, 0x47800000
	v_cmp_gt_u32_e32 vcc, s26, v4
                                        ; implicit-def: $vgpr3
	s_and_saveexec_b64 s[26:27], vcc
	s_xor_b64 s[26:27], exec, s[26:27]
	s_cbranch_execz .LBB185_1491
; %bb.1486:
	s_mov_b32 s28, 0x387fffff
	v_cmp_lt_u32_e32 vcc, s28, v4
                                        ; implicit-def: $vgpr3
	s_and_saveexec_b64 s[28:29], vcc
	s_xor_b64 s[28:29], exec, s[28:29]
; %bb.1487:
	v_bfe_u32 v3, v2, 21, 1
	s_mov_b32 s30, 0x80fffff
	v_add3_u32 v3, v2, v3, s30
	v_lshrrev_b32_e32 v3, 21, v3
; %bb.1488:
	s_andn2_saveexec_b64 s[28:29], s[28:29]
; %bb.1489:
	s_mov_b32 s30, 0x43000000
	v_add_f32_e64 v3, |v2|, s30
; %bb.1490:
	s_or_b64 exec, exec, s[28:29]
                                        ; implicit-def: $vgpr4
.LBB185_1491:
	s_andn2_saveexec_b64 s[26:27], s[26:27]
; %bb.1492:
	s_mov_b32 s28, 0x7f800000
	v_mov_b32_e32 v3, 0x7c
	v_mov_b32_e32 v5, 0x7f
	v_cmp_lt_u32_e32 vcc, s28, v4
	v_cndmask_b32_e32 v3, v3, v5, vcc
; %bb.1493:
	s_or_b64 exec, exec, s[26:27]
	v_lshrrev_b32_e32 v4, 24, v2
	s_movk_i32 s26, 0x80
	v_and_or_b32 v3, v4, s26, v3
	global_store_byte v[0:1], v3, off
.LBB185_1494:
	s_mov_b64 s[26:27], 0
.LBB185_1495:
	s_andn2_b64 vcc, exec, s[26:27]
	s_mov_b64 s[26:27], 0
	s_cbranch_vccnz .LBB185_1503
; %bb.1496:
	s_cmp_gt_i32 s35, 14
	s_mov_b64 s[28:29], -1
	s_cbranch_scc0 .LBB185_1500
; %bb.1497:
	s_cmp_eq_u32 s35, 15
	s_mov_b64 s[0:1], -1
	s_cbranch_scc0 .LBB185_1499
; %bb.1498:
	v_bfe_u32 v3, v2, 16, 1
	s_movk_i32 s0, 0x7fff
	v_add3_u32 v3, v2, v3, s0
	v_cmp_o_f32_e32 vcc, v2, v2
	v_mov_b32_e32 v4, 0x7fc0
	v_cndmask_b32_sdwa v3, v4, v3, vcc dst_sel:DWORD dst_unused:UNUSED_PAD src0_sel:DWORD src1_sel:WORD_1
	global_store_short v[0:1], v3, off
	s_mov_b64 s[0:1], 0
.LBB185_1499:
	s_mov_b64 s[28:29], 0
.LBB185_1500:
	s_and_b64 vcc, exec, s[28:29]
	s_cbranch_vccz .LBB185_1503
; %bb.1501:
	s_cmp_lg_u32 s35, 11
	s_cselect_b64 s[28:29], -1, 0
	s_andn2_b64 s[0:1], s[0:1], exec
	s_and_b64 s[28:29], s[28:29], exec
	s_mov_b64 s[26:27], -1
	s_or_b64 s[0:1], s[0:1], s[28:29]
	s_branch .LBB185_1503
.LBB185_1502:
	s_mov_b64 s[26:27], 0
.LBB185_1503:
	s_andn2_b64 s[18:19], s[18:19], exec
	s_and_b64 s[0:1], s[0:1], exec
	s_and_b64 s[22:23], s[22:23], exec
	;; [unrolled: 1-line block ×3, first 2 shown]
	s_or_b64 s[18:19], s[18:19], s[0:1]
	s_or_b64 exec, exec, s[20:21]
	s_and_saveexec_b64 s[0:1], s[18:19]
	s_cbranch_execz .LBB185_1442
.LBB185_1504:
	s_or_b64 s[24:25], s[24:25], exec
	s_andn2_b64 s[26:27], s[26:27], exec
	s_trap 2
	s_or_b64 exec, exec, s[0:1]
	s_and_saveexec_b64 s[0:1], s[26:27]
	s_xor_b64 s[0:1], exec, s[0:1]
	s_cbranch_execnz .LBB185_1443
.LBB185_1505:
	s_or_b64 exec, exec, s[0:1]
	s_and_saveexec_b64 s[0:1], s[22:23]
	s_xor_b64 s[0:1], exec, s[0:1]
	s_cbranch_execz .LBB185_1543
.LBB185_1506:
	s_sext_i32_i16 s20, s34
	s_cmp_lt_i32 s20, 5
	s_mov_b64 s[18:19], -1
	s_cbranch_scc1 .LBB185_1527
; %bb.1507:
	s_cmp_lt_i32 s20, 8
	s_cbranch_scc1 .LBB185_1517
; %bb.1508:
	s_cmp_lt_i32 s20, 9
	s_cbranch_scc1 .LBB185_1514
; %bb.1509:
	s_cmp_gt_i32 s20, 9
	s_cbranch_scc0 .LBB185_1511
; %bb.1510:
	s_waitcnt vmcnt(0)
	v_cvt_f64_f32_e32 v[3:4], v2
	v_mov_b32_e32 v5, 0
	v_mov_b32_e32 v6, v5
	s_mov_b64 s[18:19], 0
	global_store_dwordx4 v[0:1], v[3:6], off
.LBB185_1511:
	s_andn2_b64 vcc, exec, s[18:19]
	s_cbranch_vccnz .LBB185_1513
; %bb.1512:
	s_waitcnt vmcnt(0)
	v_mov_b32_e32 v3, 0
	global_store_dwordx2 v[0:1], v[2:3], off
.LBB185_1513:
	s_mov_b64 s[18:19], 0
.LBB185_1514:
	s_andn2_b64 vcc, exec, s[18:19]
	s_cbranch_vccnz .LBB185_1516
; %bb.1515:
	s_waitcnt vmcnt(0)
	v_cvt_f16_f32_e32 v3, v2
	global_store_dword v[0:1], v3, off
.LBB185_1516:
	s_mov_b64 s[18:19], 0
.LBB185_1517:
	s_andn2_b64 vcc, exec, s[18:19]
	s_cbranch_vccnz .LBB185_1526
; %bb.1518:
	s_sext_i32_i16 s20, s34
	s_cmp_lt_i32 s20, 6
	s_mov_b64 s[18:19], -1
	s_cbranch_scc1 .LBB185_1524
; %bb.1519:
	s_cmp_gt_i32 s20, 6
	s_cbranch_scc0 .LBB185_1521
; %bb.1520:
	s_waitcnt vmcnt(0)
	v_cvt_f64_f32_e32 v[3:4], v2
	s_mov_b64 s[18:19], 0
	global_store_dwordx2 v[0:1], v[3:4], off
.LBB185_1521:
	s_andn2_b64 vcc, exec, s[18:19]
	s_cbranch_vccnz .LBB185_1523
; %bb.1522:
	s_waitcnt vmcnt(0)
	global_store_dword v[0:1], v2, off
.LBB185_1523:
	s_mov_b64 s[18:19], 0
.LBB185_1524:
	s_andn2_b64 vcc, exec, s[18:19]
	s_cbranch_vccnz .LBB185_1526
; %bb.1525:
	s_waitcnt vmcnt(0)
	v_cvt_f16_f32_e32 v3, v2
	global_store_short v[0:1], v3, off
.LBB185_1526:
	s_mov_b64 s[18:19], 0
.LBB185_1527:
	s_andn2_b64 vcc, exec, s[18:19]
	s_cbranch_vccnz .LBB185_1543
; %bb.1528:
	s_sext_i32_i16 s20, s34
	s_cmp_lt_i32 s20, 2
	s_mov_b64 s[18:19], -1
	s_cbranch_scc1 .LBB185_1538
; %bb.1529:
	s_cmp_lt_i32 s20, 3
	s_cbranch_scc1 .LBB185_1535
; %bb.1530:
	s_cmp_gt_i32 s20, 3
	s_cbranch_scc0 .LBB185_1532
; %bb.1531:
	s_waitcnt vmcnt(0)
	v_trunc_f32_e32 v3, v2
	s_mov_b32 s18, 0x2f800000
	v_mul_f32_e64 v4, |v3|, s18
	v_floor_f32_e32 v4, v4
	s_mov_b32 s18, 0xcf800000
	v_cvt_u32_f32_e32 v5, v4
	v_fma_f32 v4, v4, s18, |v3|
	v_cvt_u32_f32_e32 v4, v4
	v_ashrrev_i32_e32 v6, 31, v3
	v_xor_b32_e32 v5, v5, v6
	s_mov_b64 s[18:19], 0
	v_xor_b32_e32 v3, v4, v6
	v_sub_co_u32_e32 v3, vcc, v3, v6
	v_subb_co_u32_e32 v4, vcc, v5, v6, vcc
	global_store_dwordx2 v[0:1], v[3:4], off
.LBB185_1532:
	s_andn2_b64 vcc, exec, s[18:19]
	s_cbranch_vccnz .LBB185_1534
; %bb.1533:
	s_waitcnt vmcnt(0)
	v_cvt_i32_f32_e32 v3, v2
	global_store_dword v[0:1], v3, off
.LBB185_1534:
	s_mov_b64 s[18:19], 0
.LBB185_1535:
	s_andn2_b64 vcc, exec, s[18:19]
	s_cbranch_vccnz .LBB185_1537
; %bb.1536:
	s_waitcnt vmcnt(0)
	v_cvt_i32_f32_e32 v3, v2
	global_store_short v[0:1], v3, off
.LBB185_1537:
	s_mov_b64 s[18:19], 0
.LBB185_1538:
	s_andn2_b64 vcc, exec, s[18:19]
	s_cbranch_vccnz .LBB185_1543
; %bb.1539:
	s_sext_i32_i16 s18, s34
	s_cmp_gt_i32 s18, 0
	s_mov_b64 s[18:19], -1
	s_cbranch_scc0 .LBB185_1541
; %bb.1540:
	s_waitcnt vmcnt(0)
	v_cvt_i32_f32_e32 v3, v2
	s_mov_b64 s[18:19], 0
	global_store_byte v[0:1], v3, off
.LBB185_1541:
	s_andn2_b64 vcc, exec, s[18:19]
	s_cbranch_vccnz .LBB185_1543
; %bb.1542:
	s_waitcnt vmcnt(0)
	v_trunc_f32_e32 v2, v2
	s_mov_b32 s18, 0x2f800000
	v_mul_f32_e64 v3, |v2|, s18
	v_floor_f32_e32 v3, v3
	s_mov_b32 s18, 0xcf800000
	v_fma_f32 v3, v3, s18, |v2|
	v_cvt_u32_f32_e32 v3, v3
	v_ashrrev_i32_e32 v2, 31, v2
	v_xor_b32_e32 v3, v3, v2
	v_sub_u32_e32 v2, v3, v2
	global_store_byte v[0:1], v2, off
.LBB185_1543:
	s_or_b64 exec, exec, s[0:1]
	s_and_b64 s[18:19], s[24:25], exec
                                        ; implicit-def: $vgpr4
.LBB185_1544:
	s_or_saveexec_b64 s[6:7], s[6:7]
	s_mov_b64 s[0:1], 0
                                        ; implicit-def: $sgpr24
                                        ; implicit-def: $vgpr0_vgpr1
                                        ; implicit-def: $vgpr2
	s_xor_b64 exec, exec, s[6:7]
	s_cbranch_execz .LBB185_3014
; %bb.1545:
	s_waitcnt vmcnt(0)
	v_mul_lo_u32 v5, s13, v4
	v_mov_b32_e32 v1, s11
	s_and_b32 s28, s56, 0xff
	s_cmp_lt_i32 s28, 11
	v_ashrrev_i32_e32 v2, 31, v5
	v_add_co_u32_e32 v0, vcc, s10, v5
	v_addc_co_u32_e32 v1, vcc, v1, v2, vcc
	s_cbranch_scc1 .LBB185_1552
; %bb.1546:
	s_and_b32 s26, 0xffff, s28
	s_cmp_gt_i32 s26, 25
	s_cbranch_scc0 .LBB185_1554
; %bb.1547:
	s_cmp_gt_i32 s26, 28
	s_cbranch_scc0 .LBB185_1555
; %bb.1548:
	;; [unrolled: 3-line block ×4, first 2 shown]
	s_cmp_eq_u32 s26, 46
	s_mov_b64 s[20:21], 0
	s_cbranch_scc0 .LBB185_1560
; %bb.1551:
	global_load_dword v2, v[0:1], off
	s_mov_b64 s[22:23], -1
	s_waitcnt vmcnt(0)
	v_lshlrev_b32_e32 v2, 16, v2
	s_branch .LBB185_1561
.LBB185_1552:
	s_mov_b64 s[22:23], 0
                                        ; implicit-def: $vgpr2
	s_mov_b64 s[20:21], s[18:19]
	s_cbranch_execnz .LBB185_1624
.LBB185_1553:
	s_andn2_b64 vcc, exec, s[22:23]
	s_cbranch_vccz .LBB185_1669
	s_branch .LBB185_3012
.LBB185_1554:
	s_mov_b64 s[22:23], 0
                                        ; implicit-def: $vgpr2
	s_cbranch_execnz .LBB185_1589
	s_branch .LBB185_1620
.LBB185_1555:
	s_mov_b64 s[20:21], -1
	s_mov_b64 s[22:23], 0
                                        ; implicit-def: $vgpr2
	s_branch .LBB185_1570
.LBB185_1556:
	s_mov_b64 s[22:23], 0
                                        ; implicit-def: $vgpr2
	s_cbranch_execnz .LBB185_1566
	s_branch .LBB185_1569
.LBB185_1557:
	s_mov_b64 s[20:21], -1
	s_mov_b64 s[22:23], 0
                                        ; implicit-def: $vgpr2
	s_branch .LBB185_1561
.LBB185_1558:
	s_andn2_saveexec_b64 s[28:29], s[28:29]
	s_cbranch_execz .LBB185_1457
.LBB185_1559:
	s_mov_b32 s30, 0x46000000
	v_add_f32_e64 v3, |v2|, s30
	v_and_b32_e32 v3, 0xff, v3
	v_cmp_ne_u32_e32 vcc, 0, v3
	s_andn2_b64 s[26:27], s[26:27], exec
	s_and_b64 s[30:31], vcc, exec
	s_or_b64 s[26:27], s[26:27], s[30:31]
	s_or_b64 exec, exec, s[28:29]
	v_mov_b32_e32 v4, 0
	s_and_saveexec_b64 s[28:29], s[26:27]
	s_cbranch_execnz .LBB185_1458
	s_branch .LBB185_1459
.LBB185_1560:
	s_mov_b64 s[0:1], -1
                                        ; implicit-def: $vgpr2
	s_mov_b64 s[22:23], 0
.LBB185_1561:
	s_and_b64 vcc, exec, s[20:21]
	s_cbranch_vccz .LBB185_1564
; %bb.1562:
	s_cmp_eq_u32 s26, 44
	s_cbranch_scc0 .LBB185_1565
; %bb.1563:
	global_load_ubyte v2, v[0:1], off
	s_movk_i32 s20, 0xff
	v_mov_b32_e32 v3, 0x7f800001
	v_mov_b32_e32 v6, 0x400000
	s_mov_b64 s[0:1], 0
	s_mov_b64 s[22:23], -1
	s_waitcnt vmcnt(0)
	v_lshlrev_b32_e32 v7, 23, v2
	v_cmp_ne_u32_e32 vcc, s20, v2
	v_cndmask_b32_e32 v3, v3, v7, vcc
	v_cmp_ne_u32_e32 vcc, 0, v2
	v_cndmask_b32_e32 v2, v6, v3, vcc
.LBB185_1564:
	s_branch .LBB185_1569
.LBB185_1565:
	s_mov_b64 s[0:1], -1
                                        ; implicit-def: $vgpr2
	s_branch .LBB185_1569
.LBB185_1566:
	s_cmp_eq_u32 s26, 29
	s_cbranch_scc0 .LBB185_1568
; %bb.1567:
	global_load_dwordx2 v[2:3], v[0:1], off
	s_mov_b64 s[0:1], 0
	s_mov_b64 s[22:23], -1
	s_mov_b64 s[20:21], 0
	s_waitcnt vmcnt(0)
	v_ffbh_u32_e32 v6, v3
	v_min_u32_e32 v6, 32, v6
	v_lshlrev_b64 v[2:3], v6, v[2:3]
	v_min_u32_e32 v2, 1, v2
	v_or_b32_e32 v2, v3, v2
	v_cvt_f32_u32_e32 v2, v2
	v_sub_u32_e32 v3, 32, v6
	v_ldexp_f32 v2, v2, v3
	s_branch .LBB185_1570
.LBB185_1568:
	s_mov_b64 s[0:1], -1
                                        ; implicit-def: $vgpr2
.LBB185_1569:
	s_mov_b64 s[20:21], 0
.LBB185_1570:
	s_and_b64 vcc, exec, s[20:21]
	s_cbranch_vccz .LBB185_1588
; %bb.1571:
	s_cmp_lt_i32 s26, 27
	s_cbranch_scc1 .LBB185_1574
; %bb.1572:
	s_cmp_gt_i32 s26, 27
	s_cbranch_scc0 .LBB185_1575
; %bb.1573:
	global_load_dword v2, v[0:1], off
	s_mov_b64 s[20:21], 0
	s_waitcnt vmcnt(0)
	v_cvt_f32_u32_e32 v2, v2
	s_branch .LBB185_1576
.LBB185_1574:
	s_mov_b64 s[20:21], -1
                                        ; implicit-def: $vgpr2
	s_branch .LBB185_1579
.LBB185_1575:
	s_mov_b64 s[20:21], -1
                                        ; implicit-def: $vgpr2
.LBB185_1576:
	s_andn2_b64 vcc, exec, s[20:21]
	s_cbranch_vccnz .LBB185_1578
; %bb.1577:
	global_load_ushort v2, v[0:1], off
	s_waitcnt vmcnt(0)
	v_cvt_f32_u32_e32 v2, v2
.LBB185_1578:
	s_mov_b64 s[20:21], 0
.LBB185_1579:
	s_andn2_b64 vcc, exec, s[20:21]
	s_cbranch_vccnz .LBB185_1587
; %bb.1580:
	global_load_ubyte v3, v[0:1], off
	s_movk_i32 s20, 0x7f
	s_waitcnt vmcnt(0)
	v_cmp_lt_i16_e32 vcc, s20, v3
	s_mov_b64 s[20:21], 0
	s_and_saveexec_b64 s[22:23], vcc
	s_xor_b64 s[22:23], exec, s[22:23]
	s_cbranch_execz .LBB185_1600
; %bb.1581:
	s_movk_i32 s20, 0x80
	v_cmp_eq_u16_e32 vcc, s20, v3
	s_mov_b64 s[20:21], -1
	s_and_saveexec_b64 s[24:25], vcc
; %bb.1582:
	s_xor_b64 s[20:21], exec, -1
; %bb.1583:
	s_or_b64 exec, exec, s[24:25]
	s_and_b64 s[20:21], s[20:21], exec
	s_or_saveexec_b64 s[22:23], s[22:23]
	v_mov_b32_e32 v2, 0x7f800001
	s_xor_b64 exec, exec, s[22:23]
	s_cbranch_execnz .LBB185_1601
.LBB185_1584:
	s_or_b64 exec, exec, s[22:23]
	s_and_saveexec_b64 s[22:23], s[20:21]
	s_cbranch_execz .LBB185_1586
.LBB185_1585:
	v_lshlrev_b32_e32 v2, 24, v3
	v_and_b32_e32 v3, 0xffff, v3
	v_and_b32_e32 v6, 7, v3
	v_ffbh_u32_e32 v8, v6
	v_min_u32_e32 v8, 32, v8
	v_subrev_u32_e32 v9, 28, v8
	v_bfe_u32 v7, v3, 3, 4
	v_lshlrev_b32_e32 v3, v9, v3
	v_sub_u32_e32 v8, 29, v8
	v_and_b32_e32 v3, 7, v3
	v_cmp_eq_u32_e32 vcc, 0, v7
	v_cndmask_b32_e32 v7, v7, v8, vcc
	v_cndmask_b32_e32 v3, v6, v3, vcc
	v_mov_b32_e32 v6, 0x3b800000
	v_lshlrev_b32_e32 v3, 20, v3
	v_and_b32_e32 v2, 0x80000000, v2
	v_lshl_add_u32 v6, v7, 23, v6
	v_or3_b32 v2, v2, v6, v3
.LBB185_1586:
	s_or_b64 exec, exec, s[22:23]
.LBB185_1587:
	s_mov_b64 s[22:23], -1
.LBB185_1588:
	s_branch .LBB185_1620
.LBB185_1589:
	s_cmp_gt_i32 s26, 22
	s_cbranch_scc0 .LBB185_1599
; %bb.1590:
	s_cmp_lt_i32 s26, 24
	s_cbranch_scc1 .LBB185_1602
; %bb.1591:
	s_cmp_gt_i32 s26, 24
	s_cbranch_scc0 .LBB185_1603
; %bb.1592:
	global_load_ubyte v3, v[0:1], off
	s_movk_i32 s4, 0x7f
	s_waitcnt vmcnt(0)
	v_cmp_lt_i16_e32 vcc, s4, v3
	s_mov_b64 s[4:5], 0
	s_and_saveexec_b64 s[20:21], vcc
	s_xor_b64 s[20:21], exec, s[20:21]
	s_cbranch_execz .LBB185_1614
; %bb.1593:
	s_movk_i32 s4, 0x80
	v_cmp_eq_u16_e32 vcc, s4, v3
	s_mov_b64 s[4:5], -1
	s_and_saveexec_b64 s[22:23], vcc
; %bb.1594:
	s_xor_b64 s[4:5], exec, -1
; %bb.1595:
	s_or_b64 exec, exec, s[22:23]
	s_and_b64 s[4:5], s[4:5], exec
	s_or_saveexec_b64 s[20:21], s[20:21]
	v_mov_b32_e32 v2, 0x7f800001
	s_xor_b64 exec, exec, s[20:21]
	s_cbranch_execnz .LBB185_1615
.LBB185_1596:
	s_or_b64 exec, exec, s[20:21]
	s_and_saveexec_b64 s[20:21], s[4:5]
	s_cbranch_execz .LBB185_1598
.LBB185_1597:
	v_lshlrev_b32_e32 v2, 24, v3
	v_and_b32_e32 v3, 0xffff, v3
	v_and_b32_e32 v6, 3, v3
	v_ffbh_u32_e32 v8, v6
	v_min_u32_e32 v8, 32, v8
	v_subrev_u32_e32 v9, 29, v8
	v_bfe_u32 v7, v3, 2, 5
	v_lshlrev_b32_e32 v3, v9, v3
	v_sub_u32_e32 v8, 30, v8
	v_and_b32_e32 v3, 3, v3
	v_cmp_eq_u32_e32 vcc, 0, v7
	v_cndmask_b32_e32 v7, v7, v8, vcc
	v_cndmask_b32_e32 v3, v6, v3, vcc
	v_mov_b32_e32 v6, 0x37800000
	v_lshlrev_b32_e32 v3, 21, v3
	v_and_b32_e32 v2, 0x80000000, v2
	v_lshl_add_u32 v6, v7, 23, v6
	v_or3_b32 v2, v2, v6, v3
.LBB185_1598:
	s_or_b64 exec, exec, s[20:21]
	s_mov_b64 s[4:5], 0
	s_branch .LBB185_1604
.LBB185_1599:
                                        ; implicit-def: $vgpr2
	s_mov_b64 s[4:5], 0
	s_branch .LBB185_1610
.LBB185_1600:
	s_or_saveexec_b64 s[22:23], s[22:23]
	v_mov_b32_e32 v2, 0x7f800001
	s_xor_b64 exec, exec, s[22:23]
	s_cbranch_execz .LBB185_1584
.LBB185_1601:
	v_cmp_ne_u16_e32 vcc, 0, v3
	s_andn2_b64 s[20:21], s[20:21], exec
	s_and_b64 s[24:25], vcc, exec
	v_mov_b32_e32 v2, 0
	s_or_b64 s[20:21], s[20:21], s[24:25]
	s_or_b64 exec, exec, s[22:23]
	s_and_saveexec_b64 s[22:23], s[20:21]
	s_cbranch_execnz .LBB185_1585
	s_branch .LBB185_1586
.LBB185_1602:
	s_mov_b64 s[4:5], -1
                                        ; implicit-def: $vgpr2
	s_branch .LBB185_1607
.LBB185_1603:
	s_mov_b64 s[4:5], -1
                                        ; implicit-def: $vgpr2
.LBB185_1604:
	s_and_b64 vcc, exec, s[4:5]
	s_cbranch_vccz .LBB185_1606
; %bb.1605:
	global_load_ubyte v2, v[0:1], off
	s_mov_b32 s4, 0x7f800000
	s_waitcnt vmcnt(0)
	v_lshlrev_b32_e32 v2, 24, v2
	v_and_b32_e32 v3, 0x7f000000, v2
	v_ffbh_u32_e32 v6, v3
	v_min_u32_e32 v6, 32, v6
	v_sub_u32_e64 v6, v6, 4 clamp
	v_lshlrev_b32_e32 v8, v6, v3
	v_lshlrev_b32_e32 v6, 23, v6
	v_lshrrev_b32_e32 v8, 4, v8
	v_add_u32_e32 v7, 0x1000000, v3
	v_sub_u32_e32 v6, v8, v6
	v_ashrrev_i32_e32 v7, 8, v7
	v_add_u32_e32 v6, 0x3c000000, v6
	v_and_or_b32 v6, v7, s4, v6
	v_cmp_ne_u32_e32 vcc, 0, v3
	v_cndmask_b32_e32 v3, 0, v6, vcc
	s_brev_b32 s4, 1
	v_and_or_b32 v2, v2, s4, v3
.LBB185_1606:
	s_mov_b64 s[4:5], 0
.LBB185_1607:
	s_andn2_b64 vcc, exec, s[4:5]
	s_cbranch_vccnz .LBB185_1609
; %bb.1608:
	global_load_ubyte v2, v[0:1], off
	s_movk_i32 s4, 0x7f00
	s_brev_b32 s5, 16
	s_waitcnt vmcnt(0)
	v_lshlrev_b16_e32 v3, 8, v2
	v_lshlrev_b32_e32 v2, 25, v2
	v_lshrrev_b32_e32 v6, 4, v2
	v_and_or_b32 v7, v3, s4, 0.5
	v_or_b32_e32 v6, 0x70000000, v6
	v_add_f32_e32 v7, -0.5, v7
	v_mul_f32_e32 v6, 0x7800000, v6
	v_cmp_gt_u32_e32 vcc, s5, v2
	v_bfe_i32 v3, v3, 0, 16
	v_cndmask_b32_e32 v2, v6, v7, vcc
	s_brev_b32 s4, 1
	v_and_or_b32 v2, v3, s4, v2
.LBB185_1609:
	s_mov_b64 s[22:23], -1
	s_mov_b64 s[4:5], 0
	s_cbranch_execnz .LBB185_1620
.LBB185_1610:
	s_cmp_gt_i32 s26, 14
	s_cbranch_scc0 .LBB185_1613
; %bb.1611:
	s_cmp_eq_u32 s26, 15
	s_cbranch_scc0 .LBB185_1616
; %bb.1612:
	global_load_ushort v2, v[0:1], off
	s_mov_b64 s[0:1], 0
	s_mov_b64 s[22:23], -1
	s_waitcnt vmcnt(0)
	v_lshlrev_b32_e32 v2, 16, v2
	s_branch .LBB185_1617
.LBB185_1613:
	s_mov_b64 s[20:21], -1
                                        ; implicit-def: $vgpr2
	s_branch .LBB185_1618
.LBB185_1614:
	s_or_saveexec_b64 s[20:21], s[20:21]
	v_mov_b32_e32 v2, 0x7f800001
	s_xor_b64 exec, exec, s[20:21]
	s_cbranch_execz .LBB185_1596
.LBB185_1615:
	v_cmp_ne_u16_e32 vcc, 0, v3
	s_andn2_b64 s[4:5], s[4:5], exec
	s_and_b64 s[22:23], vcc, exec
	v_mov_b32_e32 v2, 0
	s_or_b64 s[4:5], s[4:5], s[22:23]
	s_or_b64 exec, exec, s[20:21]
	s_and_saveexec_b64 s[20:21], s[4:5]
	s_cbranch_execnz .LBB185_1597
	s_branch .LBB185_1598
.LBB185_1616:
	s_mov_b64 s[0:1], -1
                                        ; implicit-def: $vgpr2
.LBB185_1617:
	s_mov_b64 s[20:21], 0
.LBB185_1618:
	s_and_b64 vcc, exec, s[20:21]
	s_cbranch_vccz .LBB185_1620
; %bb.1619:
	s_cmp_lg_u32 s26, 11
	s_mov_b64 s[4:5], -1
	s_cselect_b64 s[0:1], -1, 0
.LBB185_1620:
	s_and_b64 vcc, exec, s[0:1]
	s_mov_b64 s[20:21], s[18:19]
	s_cbranch_vccnz .LBB185_1681
; %bb.1621:
	s_andn2_b64 vcc, exec, s[4:5]
	s_cbranch_vccnz .LBB185_1623
.LBB185_1622:
	global_load_ubyte v2, v[0:1], off
	s_mov_b64 s[22:23], -1
	s_waitcnt vmcnt(0)
	v_cmp_ne_u16_e32 vcc, 0, v2
	v_cndmask_b32_e64 v2, 0, 1.0, vcc
.LBB185_1623:
	s_branch .LBB185_1553
.LBB185_1624:
	s_and_b32 s4, 0xffff, s28
	s_cmp_lt_i32 s4, 5
	s_cbranch_scc1 .LBB185_1629
; %bb.1625:
	s_cmp_lt_i32 s4, 8
	s_cbranch_scc1 .LBB185_1630
; %bb.1626:
	;; [unrolled: 3-line block ×3, first 2 shown]
	s_cmp_gt_i32 s4, 9
	s_cbranch_scc0 .LBB185_1632
; %bb.1628:
	global_load_dwordx2 v[2:3], v[0:1], off
	s_mov_b64 s[0:1], 0
	s_waitcnt vmcnt(0)
	v_cvt_f32_f64_e32 v2, v[2:3]
	s_branch .LBB185_1633
.LBB185_1629:
                                        ; implicit-def: $vgpr2
	s_branch .LBB185_1650
.LBB185_1630:
                                        ; implicit-def: $vgpr2
	s_branch .LBB185_1639
.LBB185_1631:
	s_mov_b64 s[0:1], -1
                                        ; implicit-def: $vgpr2
	s_branch .LBB185_1636
.LBB185_1632:
	s_mov_b64 s[0:1], -1
                                        ; implicit-def: $vgpr2
.LBB185_1633:
	s_andn2_b64 vcc, exec, s[0:1]
	s_cbranch_vccnz .LBB185_1635
; %bb.1634:
	global_load_dword v2, v[0:1], off
.LBB185_1635:
	s_mov_b64 s[0:1], 0
.LBB185_1636:
	s_andn2_b64 vcc, exec, s[0:1]
	s_cbranch_vccnz .LBB185_1638
; %bb.1637:
	global_load_dword v2, v[0:1], off
	s_waitcnt vmcnt(0)
	v_cvt_f32_f16_e32 v2, v2
.LBB185_1638:
	s_cbranch_execnz .LBB185_1649
.LBB185_1639:
	s_cmp_lt_i32 s4, 6
	s_cbranch_scc1 .LBB185_1642
; %bb.1640:
	s_cmp_gt_i32 s4, 6
	s_cbranch_scc0 .LBB185_1643
; %bb.1641:
	global_load_dwordx2 v[2:3], v[0:1], off
	s_mov_b64 s[0:1], 0
	s_waitcnt vmcnt(0)
	v_cvt_f32_f64_e32 v2, v[2:3]
	s_branch .LBB185_1644
.LBB185_1642:
	s_mov_b64 s[0:1], -1
                                        ; implicit-def: $vgpr2
	s_branch .LBB185_1647
.LBB185_1643:
	s_mov_b64 s[0:1], -1
                                        ; implicit-def: $vgpr2
.LBB185_1644:
	s_andn2_b64 vcc, exec, s[0:1]
	s_cbranch_vccnz .LBB185_1646
; %bb.1645:
	global_load_dword v2, v[0:1], off
.LBB185_1646:
	s_mov_b64 s[0:1], 0
.LBB185_1647:
	s_andn2_b64 vcc, exec, s[0:1]
	s_cbranch_vccnz .LBB185_1649
; %bb.1648:
	global_load_ushort v2, v[0:1], off
	s_waitcnt vmcnt(0)
	v_cvt_f32_f16_e32 v2, v2
.LBB185_1649:
	s_cbranch_execnz .LBB185_1668
.LBB185_1650:
	s_cmp_lt_i32 s4, 2
	s_cbranch_scc1 .LBB185_1654
; %bb.1651:
	s_cmp_lt_i32 s4, 3
	s_cbranch_scc1 .LBB185_1655
; %bb.1652:
	s_cmp_gt_i32 s4, 3
	s_cbranch_scc0 .LBB185_1656
; %bb.1653:
	global_load_dwordx2 v[2:3], v[0:1], off
	s_mov_b64 s[0:1], 0
	s_waitcnt vmcnt(0)
	v_xor_b32_e32 v7, v2, v3
	v_ffbh_i32_e32 v6, v3
	v_ashrrev_i32_e32 v7, 31, v7
	v_add_u32_e32 v6, -1, v6
	v_add_u32_e32 v7, 32, v7
	v_min_u32_e32 v6, v6, v7
	v_lshlrev_b64 v[2:3], v6, v[2:3]
	v_min_u32_e32 v2, 1, v2
	v_or_b32_e32 v2, v3, v2
	v_cvt_f32_i32_e32 v2, v2
	v_sub_u32_e32 v3, 32, v6
	v_ldexp_f32 v2, v2, v3
	s_branch .LBB185_1657
.LBB185_1654:
                                        ; implicit-def: $vgpr2
	s_branch .LBB185_1663
.LBB185_1655:
	s_mov_b64 s[0:1], -1
                                        ; implicit-def: $vgpr2
	s_branch .LBB185_1660
.LBB185_1656:
	s_mov_b64 s[0:1], -1
                                        ; implicit-def: $vgpr2
.LBB185_1657:
	s_andn2_b64 vcc, exec, s[0:1]
	s_cbranch_vccnz .LBB185_1659
; %bb.1658:
	global_load_dword v2, v[0:1], off
	s_waitcnt vmcnt(0)
	v_cvt_f32_i32_e32 v2, v2
.LBB185_1659:
	s_mov_b64 s[0:1], 0
.LBB185_1660:
	s_andn2_b64 vcc, exec, s[0:1]
	s_cbranch_vccnz .LBB185_1662
; %bb.1661:
	global_load_sshort v2, v[0:1], off
	s_waitcnt vmcnt(0)
	v_cvt_f32_i32_e32 v2, v2
.LBB185_1662:
	s_cbranch_execnz .LBB185_1668
.LBB185_1663:
	s_cmp_gt_i32 s4, 0
	s_cbranch_scc0 .LBB185_1665
; %bb.1664:
	global_load_sbyte v2, v[0:1], off
	s_mov_b64 s[0:1], 0
	s_waitcnt vmcnt(0)
	v_cvt_f32_i32_e32 v2, v2
	s_branch .LBB185_1666
.LBB185_1665:
	s_mov_b64 s[0:1], -1
                                        ; implicit-def: $vgpr2
.LBB185_1666:
	s_andn2_b64 vcc, exec, s[0:1]
	s_cbranch_vccnz .LBB185_1668
; %bb.1667:
	global_load_ubyte v0, v[0:1], off
	s_waitcnt vmcnt(0)
	v_cvt_f32_ubyte0_e32 v2, v0
.LBB185_1668:
.LBB185_1669:
	v_mul_lo_u32 v6, s14, v4
	v_mov_b32_e32 v1, s17
	s_and_b32 s29, s33, 0xff
	s_cmp_lt_i32 s29, 11
	v_ashrrev_i32_e32 v3, 31, v6
	v_add_co_u32_e32 v0, vcc, s16, v6
	v_addc_co_u32_e32 v1, vcc, v1, v3, vcc
	s_cbranch_scc1 .LBB185_1676
; %bb.1670:
	s_and_b32 s30, 0xffff, s29
	s_cmp_gt_i32 s30, 25
	s_mov_b64 s[4:5], 0
	s_cbranch_scc0 .LBB185_1678
; %bb.1671:
	s_cmp_gt_i32 s30, 28
	s_cbranch_scc0 .LBB185_1679
; %bb.1672:
	s_cmp_gt_i32 s30, 43
	;; [unrolled: 3-line block ×3, first 2 shown]
	s_cbranch_scc0 .LBB185_1682
; %bb.1674:
	s_cmp_eq_u32 s30, 46
	s_mov_b64 s[24:25], 0
	s_cbranch_scc0 .LBB185_1685
; %bb.1675:
	global_load_dword v3, v[0:1], off
	s_mov_b64 s[0:1], 0
	s_mov_b64 s[22:23], -1
	s_waitcnt vmcnt(0)
	v_lshlrev_b32_e32 v3, 16, v3
	s_branch .LBB185_1686
.LBB185_1676:
	s_mov_b64 s[22:23], 0
                                        ; implicit-def: $vgpr3
	s_cbranch_execnz .LBB185_1751
.LBB185_1677:
	s_andn2_b64 vcc, exec, s[22:23]
	s_cbranch_vccnz .LBB185_3012
	s_branch .LBB185_1798
.LBB185_1678:
	s_mov_b64 s[22:23], 0
	s_mov_b64 s[0:1], 0
                                        ; implicit-def: $vgpr3
	s_cbranch_execnz .LBB185_1715
	s_branch .LBB185_1747
.LBB185_1679:
	s_mov_b64 s[24:25], -1
	s_mov_b64 s[22:23], 0
	s_mov_b64 s[0:1], 0
                                        ; implicit-def: $vgpr3
	s_branch .LBB185_1696
.LBB185_1680:
	s_mov_b64 s[24:25], -1
	s_mov_b64 s[22:23], 0
	s_mov_b64 s[0:1], 0
                                        ; implicit-def: $vgpr3
	s_branch .LBB185_1691
.LBB185_1681:
	s_or_b64 s[20:21], s[18:19], exec
	s_trap 2
	s_cbranch_execz .LBB185_1622
	s_branch .LBB185_1623
.LBB185_1682:
	s_mov_b64 s[24:25], -1
	s_mov_b64 s[22:23], 0
	s_mov_b64 s[0:1], 0
                                        ; implicit-def: $vgpr3
	s_branch .LBB185_1686
.LBB185_1683:
	s_andn2_saveexec_b64 s[30:31], s[30:31]
	s_cbranch_execz .LBB185_1469
.LBB185_1684:
	s_mov_b32 s36, 0x42800000
	v_add_f32_e64 v3, |v2|, s36
	v_and_b32_e32 v3, 0xff, v3
	v_cmp_ne_u32_e32 vcc, 0, v3
	s_andn2_b64 s[28:29], s[28:29], exec
	s_and_b64 s[36:37], vcc, exec
	s_or_b64 s[28:29], s[28:29], s[36:37]
	s_or_b64 exec, exec, s[30:31]
	v_mov_b32_e32 v4, 0
	s_and_saveexec_b64 s[30:31], s[28:29]
	s_cbranch_execnz .LBB185_1470
	s_branch .LBB185_1471
.LBB185_1685:
	s_mov_b64 s[0:1], -1
                                        ; implicit-def: $vgpr3
	s_mov_b64 s[22:23], 0
.LBB185_1686:
	s_and_b64 vcc, exec, s[24:25]
	s_cbranch_vccz .LBB185_1690
; %bb.1687:
	s_cmp_eq_u32 s30, 44
	s_cbranch_scc0 .LBB185_1689
; %bb.1688:
	global_load_ubyte v3, v[0:1], off
	s_movk_i32 s22, 0xff
	v_mov_b32_e32 v7, 0x7f800001
	v_mov_b32_e32 v8, 0x400000
	s_mov_b64 s[0:1], 0
	s_waitcnt vmcnt(0)
	v_lshlrev_b32_e32 v9, 23, v3
	v_cmp_ne_u32_e32 vcc, s22, v3
	v_cndmask_b32_e32 v7, v7, v9, vcc
	v_cmp_ne_u32_e32 vcc, 0, v3
	v_cndmask_b32_e32 v3, v8, v7, vcc
	s_mov_b64 s[22:23], -1
	s_branch .LBB185_1690
.LBB185_1689:
	s_mov_b64 s[0:1], -1
                                        ; implicit-def: $vgpr3
.LBB185_1690:
	s_mov_b64 s[24:25], 0
.LBB185_1691:
	s_and_b64 vcc, exec, s[24:25]
	s_cbranch_vccz .LBB185_1695
; %bb.1692:
	s_cmp_eq_u32 s30, 29
	s_cbranch_scc0 .LBB185_1694
; %bb.1693:
	global_load_dwordx2 v[7:8], v[0:1], off
	s_mov_b64 s[0:1], 0
	s_mov_b64 s[22:23], -1
	s_mov_b64 s[24:25], 0
	s_waitcnt vmcnt(0)
	v_ffbh_u32_e32 v3, v8
	v_min_u32_e32 v3, 32, v3
	v_lshlrev_b64 v[7:8], v3, v[7:8]
	v_sub_u32_e32 v3, 32, v3
	v_min_u32_e32 v7, 1, v7
	v_or_b32_e32 v7, v8, v7
	v_cvt_f32_u32_e32 v7, v7
	v_ldexp_f32 v3, v7, v3
	s_branch .LBB185_1696
.LBB185_1694:
	s_mov_b64 s[0:1], -1
                                        ; implicit-def: $vgpr3
.LBB185_1695:
	s_mov_b64 s[24:25], 0
.LBB185_1696:
	s_and_b64 vcc, exec, s[24:25]
	s_cbranch_vccz .LBB185_1714
; %bb.1697:
	s_cmp_lt_i32 s30, 27
	s_cbranch_scc1 .LBB185_1700
; %bb.1698:
	s_cmp_gt_i32 s30, 27
	s_cbranch_scc0 .LBB185_1701
; %bb.1699:
	global_load_dword v3, v[0:1], off
	s_mov_b64 s[22:23], 0
	s_waitcnt vmcnt(0)
	v_cvt_f32_u32_e32 v3, v3
	s_branch .LBB185_1702
.LBB185_1700:
	s_mov_b64 s[22:23], -1
                                        ; implicit-def: $vgpr3
	s_branch .LBB185_1705
.LBB185_1701:
	s_mov_b64 s[22:23], -1
                                        ; implicit-def: $vgpr3
.LBB185_1702:
	s_andn2_b64 vcc, exec, s[22:23]
	s_cbranch_vccnz .LBB185_1704
; %bb.1703:
	global_load_ushort v3, v[0:1], off
	s_waitcnt vmcnt(0)
	v_cvt_f32_u32_e32 v3, v3
.LBB185_1704:
	s_mov_b64 s[22:23], 0
.LBB185_1705:
	s_andn2_b64 vcc, exec, s[22:23]
	s_cbranch_vccnz .LBB185_1713
; %bb.1706:
	global_load_ubyte v7, v[0:1], off
	s_movk_i32 s22, 0x7f
	s_waitcnt vmcnt(0)
	v_cmp_lt_i16_e32 vcc, s22, v7
	s_mov_b64 s[22:23], 0
	s_and_saveexec_b64 s[24:25], vcc
	s_xor_b64 s[24:25], exec, s[24:25]
	s_cbranch_execz .LBB185_1726
; %bb.1707:
	s_movk_i32 s22, 0x80
	v_cmp_eq_u16_e32 vcc, s22, v7
	s_mov_b64 s[22:23], -1
	s_and_saveexec_b64 s[26:27], vcc
; %bb.1708:
	s_xor_b64 s[22:23], exec, -1
; %bb.1709:
	s_or_b64 exec, exec, s[26:27]
	s_and_b64 s[22:23], s[22:23], exec
	s_or_saveexec_b64 s[24:25], s[24:25]
	v_mov_b32_e32 v3, 0x7f800001
	s_xor_b64 exec, exec, s[24:25]
	s_cbranch_execnz .LBB185_1727
.LBB185_1710:
	s_or_b64 exec, exec, s[24:25]
	s_and_saveexec_b64 s[24:25], s[22:23]
	s_cbranch_execz .LBB185_1712
.LBB185_1711:
	v_lshlrev_b32_e32 v3, 24, v7
	v_and_b32_e32 v7, 0xffff, v7
	v_and_b32_e32 v8, 7, v7
	v_ffbh_u32_e32 v10, v8
	v_min_u32_e32 v10, 32, v10
	v_subrev_u32_e32 v11, 28, v10
	v_bfe_u32 v9, v7, 3, 4
	v_lshlrev_b32_e32 v7, v11, v7
	v_sub_u32_e32 v10, 29, v10
	v_and_b32_e32 v7, 7, v7
	v_cmp_eq_u32_e32 vcc, 0, v9
	v_cndmask_b32_e32 v9, v9, v10, vcc
	v_cndmask_b32_e32 v7, v8, v7, vcc
	v_mov_b32_e32 v8, 0x3b800000
	v_lshlrev_b32_e32 v7, 20, v7
	v_and_b32_e32 v3, 0x80000000, v3
	v_lshl_add_u32 v8, v9, 23, v8
	v_or3_b32 v3, v3, v8, v7
.LBB185_1712:
	s_or_b64 exec, exec, s[24:25]
.LBB185_1713:
	s_mov_b64 s[22:23], -1
.LBB185_1714:
	s_branch .LBB185_1747
.LBB185_1715:
	s_cmp_gt_i32 s30, 22
	s_cbranch_scc0 .LBB185_1725
; %bb.1716:
	s_cmp_lt_i32 s30, 24
	s_cbranch_scc1 .LBB185_1728
; %bb.1717:
	s_cmp_gt_i32 s30, 24
	s_cbranch_scc0 .LBB185_1729
; %bb.1718:
	global_load_ubyte v7, v[0:1], off
	s_movk_i32 s4, 0x7f
	s_waitcnt vmcnt(0)
	v_cmp_lt_i16_e32 vcc, s4, v7
	s_mov_b64 s[4:5], 0
	s_and_saveexec_b64 s[22:23], vcc
	s_xor_b64 s[22:23], exec, s[22:23]
	s_cbranch_execz .LBB185_1741
; %bb.1719:
	s_movk_i32 s4, 0x80
	v_cmp_eq_u16_e32 vcc, s4, v7
	s_mov_b64 s[4:5], -1
	s_and_saveexec_b64 s[24:25], vcc
; %bb.1720:
	s_xor_b64 s[4:5], exec, -1
; %bb.1721:
	s_or_b64 exec, exec, s[24:25]
	s_and_b64 s[4:5], s[4:5], exec
	s_or_saveexec_b64 s[22:23], s[22:23]
	v_mov_b32_e32 v3, 0x7f800001
	s_xor_b64 exec, exec, s[22:23]
	s_cbranch_execnz .LBB185_1742
.LBB185_1722:
	s_or_b64 exec, exec, s[22:23]
	s_and_saveexec_b64 s[22:23], s[4:5]
	s_cbranch_execz .LBB185_1724
.LBB185_1723:
	v_lshlrev_b32_e32 v3, 24, v7
	v_and_b32_e32 v7, 0xffff, v7
	v_and_b32_e32 v8, 3, v7
	v_ffbh_u32_e32 v10, v8
	v_min_u32_e32 v10, 32, v10
	v_subrev_u32_e32 v11, 29, v10
	v_bfe_u32 v9, v7, 2, 5
	v_lshlrev_b32_e32 v7, v11, v7
	v_sub_u32_e32 v10, 30, v10
	v_and_b32_e32 v7, 3, v7
	v_cmp_eq_u32_e32 vcc, 0, v9
	v_cndmask_b32_e32 v9, v9, v10, vcc
	v_cndmask_b32_e32 v7, v8, v7, vcc
	v_mov_b32_e32 v8, 0x37800000
	v_lshlrev_b32_e32 v7, 21, v7
	v_and_b32_e32 v3, 0x80000000, v3
	v_lshl_add_u32 v8, v9, 23, v8
	v_or3_b32 v3, v3, v8, v7
.LBB185_1724:
	s_or_b64 exec, exec, s[22:23]
	s_mov_b64 s[4:5], 0
	s_branch .LBB185_1730
.LBB185_1725:
	s_mov_b64 s[4:5], -1
                                        ; implicit-def: $vgpr3
	s_branch .LBB185_1736
.LBB185_1726:
	s_or_saveexec_b64 s[24:25], s[24:25]
	v_mov_b32_e32 v3, 0x7f800001
	s_xor_b64 exec, exec, s[24:25]
	s_cbranch_execz .LBB185_1710
.LBB185_1727:
	v_cmp_ne_u16_e32 vcc, 0, v7
	s_andn2_b64 s[22:23], s[22:23], exec
	s_and_b64 s[26:27], vcc, exec
	v_mov_b32_e32 v3, 0
	s_or_b64 s[22:23], s[22:23], s[26:27]
	s_or_b64 exec, exec, s[24:25]
	s_and_saveexec_b64 s[24:25], s[22:23]
	s_cbranch_execnz .LBB185_1711
	s_branch .LBB185_1712
.LBB185_1728:
	s_mov_b64 s[4:5], -1
                                        ; implicit-def: $vgpr3
	s_branch .LBB185_1733
.LBB185_1729:
	s_mov_b64 s[4:5], -1
                                        ; implicit-def: $vgpr3
.LBB185_1730:
	s_and_b64 vcc, exec, s[4:5]
	s_cbranch_vccz .LBB185_1732
; %bb.1731:
	global_load_ubyte v3, v[0:1], off
	s_mov_b32 s4, 0x7f800000
	s_waitcnt vmcnt(0)
	v_lshlrev_b32_e32 v3, 24, v3
	v_and_b32_e32 v7, 0x7f000000, v3
	v_ffbh_u32_e32 v8, v7
	v_min_u32_e32 v8, 32, v8
	v_sub_u32_e64 v8, v8, 4 clamp
	v_lshlrev_b32_e32 v10, v8, v7
	v_lshlrev_b32_e32 v8, 23, v8
	v_lshrrev_b32_e32 v10, 4, v10
	v_add_u32_e32 v9, 0x1000000, v7
	v_sub_u32_e32 v8, v10, v8
	v_ashrrev_i32_e32 v9, 8, v9
	v_add_u32_e32 v8, 0x3c000000, v8
	v_and_or_b32 v8, v9, s4, v8
	v_cmp_ne_u32_e32 vcc, 0, v7
	v_cndmask_b32_e32 v7, 0, v8, vcc
	s_brev_b32 s4, 1
	v_and_or_b32 v3, v3, s4, v7
.LBB185_1732:
	s_mov_b64 s[4:5], 0
.LBB185_1733:
	s_andn2_b64 vcc, exec, s[4:5]
	s_cbranch_vccnz .LBB185_1735
; %bb.1734:
	global_load_ubyte v3, v[0:1], off
	s_movk_i32 s4, 0x7f00
	s_brev_b32 s5, 16
	s_waitcnt vmcnt(0)
	v_lshlrev_b16_e32 v7, 8, v3
	v_lshlrev_b32_e32 v3, 25, v3
	v_lshrrev_b32_e32 v8, 4, v3
	v_and_or_b32 v9, v7, s4, 0.5
	v_or_b32_e32 v8, 0x70000000, v8
	v_add_f32_e32 v9, -0.5, v9
	v_mul_f32_e32 v8, 0x7800000, v8
	v_cmp_gt_u32_e32 vcc, s5, v3
	v_bfe_i32 v7, v7, 0, 16
	v_cndmask_b32_e32 v3, v8, v9, vcc
	s_brev_b32 s4, 1
	v_and_or_b32 v3, v7, s4, v3
.LBB185_1735:
	s_mov_b64 s[4:5], 0
	s_mov_b64 s[22:23], -1
.LBB185_1736:
	s_andn2_b64 vcc, exec, s[4:5]
	s_mov_b64 s[4:5], 0
	s_cbranch_vccnz .LBB185_1747
; %bb.1737:
	s_cmp_gt_i32 s30, 14
	s_cbranch_scc0 .LBB185_1740
; %bb.1738:
	s_cmp_eq_u32 s30, 15
	s_cbranch_scc0 .LBB185_1743
; %bb.1739:
	global_load_ushort v3, v[0:1], off
	s_mov_b64 s[0:1], 0
	s_mov_b64 s[22:23], -1
	s_waitcnt vmcnt(0)
	v_lshlrev_b32_e32 v3, 16, v3
	s_branch .LBB185_1744
.LBB185_1740:
	s_mov_b64 s[24:25], -1
                                        ; implicit-def: $vgpr3
	s_branch .LBB185_1745
.LBB185_1741:
	s_or_saveexec_b64 s[22:23], s[22:23]
	v_mov_b32_e32 v3, 0x7f800001
	s_xor_b64 exec, exec, s[22:23]
	s_cbranch_execz .LBB185_1722
.LBB185_1742:
	v_cmp_ne_u16_e32 vcc, 0, v7
	s_andn2_b64 s[4:5], s[4:5], exec
	s_and_b64 s[24:25], vcc, exec
	v_mov_b32_e32 v3, 0
	s_or_b64 s[4:5], s[4:5], s[24:25]
	s_or_b64 exec, exec, s[22:23]
	s_and_saveexec_b64 s[22:23], s[4:5]
	s_cbranch_execnz .LBB185_1723
	s_branch .LBB185_1724
.LBB185_1743:
	s_mov_b64 s[0:1], -1
                                        ; implicit-def: $vgpr3
.LBB185_1744:
	s_mov_b64 s[24:25], 0
.LBB185_1745:
	s_and_b64 vcc, exec, s[24:25]
	s_cbranch_vccz .LBB185_1747
; %bb.1746:
	s_cmp_lg_u32 s30, 11
	s_mov_b64 s[4:5], -1
	s_cselect_b64 s[0:1], -1, 0
.LBB185_1747:
	s_and_b64 vcc, exec, s[0:1]
	s_cbranch_vccnz .LBB185_1810
; %bb.1748:
	s_andn2_b64 vcc, exec, s[4:5]
	s_cbranch_vccnz .LBB185_1750
.LBB185_1749:
	global_load_ubyte v3, v[0:1], off
	s_mov_b64 s[22:23], -1
	s_waitcnt vmcnt(0)
	v_cmp_ne_u16_e32 vcc, 0, v3
	v_cndmask_b32_e64 v3, 0, 1.0, vcc
.LBB185_1750:
	s_branch .LBB185_1677
.LBB185_1751:
	s_and_b32 s4, 0xffff, s29
	s_cmp_lt_i32 s4, 5
	s_cbranch_scc1 .LBB185_1756
; %bb.1752:
	s_cmp_lt_i32 s4, 8
	s_cbranch_scc1 .LBB185_1757
; %bb.1753:
	;; [unrolled: 3-line block ×3, first 2 shown]
	s_cmp_gt_i32 s4, 9
	s_cbranch_scc0 .LBB185_1759
; %bb.1755:
	global_load_dwordx2 v[7:8], v[0:1], off
	s_mov_b64 s[0:1], 0
	s_waitcnt vmcnt(0)
	v_cvt_f32_f64_e32 v3, v[7:8]
	s_branch .LBB185_1760
.LBB185_1756:
                                        ; implicit-def: $vgpr3
	s_branch .LBB185_1778
.LBB185_1757:
	s_mov_b64 s[0:1], -1
                                        ; implicit-def: $vgpr3
	s_branch .LBB185_1766
.LBB185_1758:
	s_mov_b64 s[0:1], -1
                                        ; implicit-def: $vgpr3
	s_branch .LBB185_1763
.LBB185_1759:
	s_mov_b64 s[0:1], -1
                                        ; implicit-def: $vgpr3
.LBB185_1760:
	s_andn2_b64 vcc, exec, s[0:1]
	s_cbranch_vccnz .LBB185_1762
; %bb.1761:
	global_load_dword v3, v[0:1], off
.LBB185_1762:
	s_mov_b64 s[0:1], 0
.LBB185_1763:
	s_andn2_b64 vcc, exec, s[0:1]
	s_cbranch_vccnz .LBB185_1765
; %bb.1764:
	global_load_dword v3, v[0:1], off
	s_waitcnt vmcnt(0)
	v_cvt_f32_f16_e32 v3, v3
.LBB185_1765:
	s_mov_b64 s[0:1], 0
.LBB185_1766:
	s_andn2_b64 vcc, exec, s[0:1]
	s_cbranch_vccnz .LBB185_1777
; %bb.1767:
	s_cmp_lt_i32 s4, 6
	s_cbranch_scc1 .LBB185_1770
; %bb.1768:
	s_cmp_gt_i32 s4, 6
	s_cbranch_scc0 .LBB185_1771
; %bb.1769:
	global_load_dwordx2 v[7:8], v[0:1], off
	s_mov_b64 s[0:1], 0
	s_waitcnt vmcnt(0)
	v_cvt_f32_f64_e32 v3, v[7:8]
	s_branch .LBB185_1772
.LBB185_1770:
	s_mov_b64 s[0:1], -1
                                        ; implicit-def: $vgpr3
	s_branch .LBB185_1775
.LBB185_1771:
	s_mov_b64 s[0:1], -1
                                        ; implicit-def: $vgpr3
.LBB185_1772:
	s_andn2_b64 vcc, exec, s[0:1]
	s_cbranch_vccnz .LBB185_1774
; %bb.1773:
	global_load_dword v3, v[0:1], off
.LBB185_1774:
	s_mov_b64 s[0:1], 0
.LBB185_1775:
	s_andn2_b64 vcc, exec, s[0:1]
	s_cbranch_vccnz .LBB185_1777
; %bb.1776:
	global_load_ushort v3, v[0:1], off
	s_waitcnt vmcnt(0)
	v_cvt_f32_f16_e32 v3, v3
.LBB185_1777:
	s_cbranch_execnz .LBB185_1797
.LBB185_1778:
	s_cmp_lt_i32 s4, 2
	s_cbranch_scc1 .LBB185_1782
; %bb.1779:
	s_cmp_lt_i32 s4, 3
	s_cbranch_scc1 .LBB185_1783
; %bb.1780:
	s_cmp_gt_i32 s4, 3
	s_cbranch_scc0 .LBB185_1784
; %bb.1781:
	global_load_dwordx2 v[7:8], v[0:1], off
	s_mov_b64 s[0:1], 0
	s_waitcnt vmcnt(0)
	v_xor_b32_e32 v9, v7, v8
	v_ffbh_i32_e32 v3, v8
	v_ashrrev_i32_e32 v9, 31, v9
	v_add_u32_e32 v3, -1, v3
	v_add_u32_e32 v9, 32, v9
	v_min_u32_e32 v3, v3, v9
	v_lshlrev_b64 v[7:8], v3, v[7:8]
	v_sub_u32_e32 v3, 32, v3
	v_min_u32_e32 v7, 1, v7
	v_or_b32_e32 v7, v8, v7
	v_cvt_f32_i32_e32 v7, v7
	v_ldexp_f32 v3, v7, v3
	s_branch .LBB185_1785
.LBB185_1782:
	s_mov_b64 s[0:1], -1
                                        ; implicit-def: $vgpr3
	s_branch .LBB185_1791
.LBB185_1783:
	s_mov_b64 s[0:1], -1
                                        ; implicit-def: $vgpr3
	s_branch .LBB185_1788
.LBB185_1784:
	s_mov_b64 s[0:1], -1
                                        ; implicit-def: $vgpr3
.LBB185_1785:
	s_andn2_b64 vcc, exec, s[0:1]
	s_cbranch_vccnz .LBB185_1787
; %bb.1786:
	global_load_dword v3, v[0:1], off
	s_waitcnt vmcnt(0)
	v_cvt_f32_i32_e32 v3, v3
.LBB185_1787:
	s_mov_b64 s[0:1], 0
.LBB185_1788:
	s_andn2_b64 vcc, exec, s[0:1]
	s_cbranch_vccnz .LBB185_1790
; %bb.1789:
	global_load_sshort v3, v[0:1], off
	s_waitcnt vmcnt(0)
	v_cvt_f32_i32_e32 v3, v3
.LBB185_1790:
	s_mov_b64 s[0:1], 0
.LBB185_1791:
	s_andn2_b64 vcc, exec, s[0:1]
	s_cbranch_vccnz .LBB185_1797
; %bb.1792:
	s_cmp_gt_i32 s4, 0
	s_cbranch_scc0 .LBB185_1794
; %bb.1793:
	global_load_sbyte v3, v[0:1], off
	s_mov_b64 s[0:1], 0
	s_waitcnt vmcnt(0)
	v_cvt_f32_i32_e32 v3, v3
	s_branch .LBB185_1795
.LBB185_1794:
	s_mov_b64 s[0:1], -1
                                        ; implicit-def: $vgpr3
.LBB185_1795:
	s_andn2_b64 vcc, exec, s[0:1]
	s_cbranch_vccnz .LBB185_1797
; %bb.1796:
	global_load_ubyte v0, v[0:1], off
	s_waitcnt vmcnt(0)
	v_cvt_f32_ubyte0_e32 v3, v0
.LBB185_1797:
.LBB185_1798:
	s_lshl_b32 s13, s13, 7
	v_add_u32_e32 v7, s13, v5
	v_ashrrev_i32_e32 v1, 31, v7
	v_mov_b32_e32 v5, s11
	v_add_co_u32_e32 v0, vcc, s10, v7
	s_cmp_lt_i32 s28, 11
	v_addc_co_u32_e32 v1, vcc, v5, v1, vcc
	s_cbranch_scc1 .LBB185_1805
; %bb.1799:
	s_and_b32 s30, 0xffff, s28
	s_cmp_gt_i32 s30, 25
	s_mov_b64 s[4:5], 0
	s_cbranch_scc0 .LBB185_1807
; %bb.1800:
	s_cmp_gt_i32 s30, 28
	s_cbranch_scc0 .LBB185_1808
; %bb.1801:
	s_cmp_gt_i32 s30, 43
	;; [unrolled: 3-line block ×3, first 2 shown]
	s_cbranch_scc0 .LBB185_1811
; %bb.1803:
	s_cmp_eq_u32 s30, 46
	s_mov_b64 s[24:25], 0
	s_cbranch_scc0 .LBB185_1812
; %bb.1804:
	global_load_dword v5, v[0:1], off
	s_mov_b64 s[0:1], 0
	s_mov_b64 s[22:23], -1
	s_waitcnt vmcnt(0)
	v_lshlrev_b32_e32 v5, 16, v5
	s_branch .LBB185_1813
.LBB185_1805:
	s_mov_b64 s[22:23], 0
                                        ; implicit-def: $vgpr5
	s_cbranch_execnz .LBB185_1879
.LBB185_1806:
	s_andn2_b64 vcc, exec, s[22:23]
	s_cbranch_vccnz .LBB185_3012
	s_branch .LBB185_1927
.LBB185_1807:
	s_mov_b64 s[24:25], -1
	s_mov_b64 s[22:23], 0
	s_mov_b64 s[0:1], 0
                                        ; implicit-def: $vgpr5
	s_branch .LBB185_1842
.LBB185_1808:
	s_mov_b64 s[24:25], -1
	s_mov_b64 s[22:23], 0
	s_mov_b64 s[0:1], 0
                                        ; implicit-def: $vgpr5
	s_branch .LBB185_1823
.LBB185_1809:
	s_mov_b64 s[24:25], -1
	s_mov_b64 s[22:23], 0
	s_mov_b64 s[0:1], 0
                                        ; implicit-def: $vgpr5
	s_branch .LBB185_1818
.LBB185_1810:
	s_trap 2
	s_or_b64 s[20:21], s[20:21], exec
	s_cbranch_execz .LBB185_1749
	s_branch .LBB185_1750
.LBB185_1811:
	s_mov_b64 s[24:25], -1
	s_mov_b64 s[22:23], 0
	s_mov_b64 s[0:1], 0
                                        ; implicit-def: $vgpr5
	s_branch .LBB185_1813
.LBB185_1812:
	s_mov_b64 s[0:1], -1
                                        ; implicit-def: $vgpr5
	s_mov_b64 s[22:23], 0
.LBB185_1813:
	s_and_b64 vcc, exec, s[24:25]
	s_cbranch_vccz .LBB185_1817
; %bb.1814:
	s_cmp_eq_u32 s30, 44
	s_cbranch_scc0 .LBB185_1816
; %bb.1815:
	global_load_ubyte v5, v[0:1], off
	s_movk_i32 s22, 0xff
	v_mov_b32_e32 v8, 0x7f800001
	v_mov_b32_e32 v9, 0x400000
	s_mov_b64 s[0:1], 0
	s_waitcnt vmcnt(0)
	v_lshlrev_b32_e32 v10, 23, v5
	v_cmp_ne_u32_e32 vcc, s22, v5
	v_cndmask_b32_e32 v8, v8, v10, vcc
	v_cmp_ne_u32_e32 vcc, 0, v5
	v_cndmask_b32_e32 v5, v9, v8, vcc
	s_mov_b64 s[22:23], -1
	s_branch .LBB185_1817
.LBB185_1816:
	s_mov_b64 s[0:1], -1
                                        ; implicit-def: $vgpr5
.LBB185_1817:
	s_mov_b64 s[24:25], 0
.LBB185_1818:
	s_and_b64 vcc, exec, s[24:25]
	s_cbranch_vccz .LBB185_1822
; %bb.1819:
	s_cmp_eq_u32 s30, 29
	s_cbranch_scc0 .LBB185_1821
; %bb.1820:
	global_load_dwordx2 v[8:9], v[0:1], off
	s_mov_b64 s[0:1], 0
	s_mov_b64 s[22:23], -1
	s_mov_b64 s[24:25], 0
	s_waitcnt vmcnt(0)
	v_ffbh_u32_e32 v5, v9
	v_min_u32_e32 v5, 32, v5
	v_lshlrev_b64 v[8:9], v5, v[8:9]
	v_sub_u32_e32 v5, 32, v5
	v_min_u32_e32 v8, 1, v8
	v_or_b32_e32 v8, v9, v8
	v_cvt_f32_u32_e32 v8, v8
	v_ldexp_f32 v5, v8, v5
	s_branch .LBB185_1823
.LBB185_1821:
	s_mov_b64 s[0:1], -1
                                        ; implicit-def: $vgpr5
.LBB185_1822:
	s_mov_b64 s[24:25], 0
.LBB185_1823:
	s_and_b64 vcc, exec, s[24:25]
	s_cbranch_vccz .LBB185_1841
; %bb.1824:
	s_cmp_lt_i32 s30, 27
	s_cbranch_scc1 .LBB185_1827
; %bb.1825:
	s_cmp_gt_i32 s30, 27
	s_cbranch_scc0 .LBB185_1828
; %bb.1826:
	global_load_dword v5, v[0:1], off
	s_mov_b64 s[22:23], 0
	s_waitcnt vmcnt(0)
	v_cvt_f32_u32_e32 v5, v5
	s_branch .LBB185_1829
.LBB185_1827:
	s_mov_b64 s[22:23], -1
                                        ; implicit-def: $vgpr5
	s_branch .LBB185_1832
.LBB185_1828:
	s_mov_b64 s[22:23], -1
                                        ; implicit-def: $vgpr5
.LBB185_1829:
	s_andn2_b64 vcc, exec, s[22:23]
	s_cbranch_vccnz .LBB185_1831
; %bb.1830:
	global_load_ushort v5, v[0:1], off
	s_waitcnt vmcnt(0)
	v_cvt_f32_u32_e32 v5, v5
.LBB185_1831:
	s_mov_b64 s[22:23], 0
.LBB185_1832:
	s_andn2_b64 vcc, exec, s[22:23]
	s_cbranch_vccnz .LBB185_1840
; %bb.1833:
	global_load_ubyte v8, v[0:1], off
	s_movk_i32 s22, 0x7f
	s_waitcnt vmcnt(0)
	v_cmp_lt_i16_e32 vcc, s22, v8
	s_mov_b64 s[22:23], 0
	s_and_saveexec_b64 s[24:25], vcc
	s_xor_b64 s[24:25], exec, s[24:25]
	s_cbranch_execz .LBB185_1854
; %bb.1834:
	s_movk_i32 s22, 0x80
	v_cmp_eq_u16_e32 vcc, s22, v8
	s_mov_b64 s[22:23], -1
	s_and_saveexec_b64 s[26:27], vcc
; %bb.1835:
	s_xor_b64 s[22:23], exec, -1
; %bb.1836:
	s_or_b64 exec, exec, s[26:27]
	s_and_b64 s[22:23], s[22:23], exec
	s_or_saveexec_b64 s[24:25], s[24:25]
	v_mov_b32_e32 v5, 0x7f800001
	s_xor_b64 exec, exec, s[24:25]
	s_cbranch_execnz .LBB185_1855
.LBB185_1837:
	s_or_b64 exec, exec, s[24:25]
	s_and_saveexec_b64 s[24:25], s[22:23]
	s_cbranch_execz .LBB185_1839
.LBB185_1838:
	v_lshlrev_b32_e32 v5, 24, v8
	v_and_b32_e32 v8, 0xffff, v8
	v_and_b32_e32 v9, 7, v8
	v_ffbh_u32_e32 v11, v9
	v_min_u32_e32 v11, 32, v11
	v_subrev_u32_e32 v12, 28, v11
	v_bfe_u32 v10, v8, 3, 4
	v_lshlrev_b32_e32 v8, v12, v8
	v_sub_u32_e32 v11, 29, v11
	v_and_b32_e32 v8, 7, v8
	v_cmp_eq_u32_e32 vcc, 0, v10
	v_cndmask_b32_e32 v10, v10, v11, vcc
	v_cndmask_b32_e32 v8, v9, v8, vcc
	v_mov_b32_e32 v9, 0x3b800000
	v_lshlrev_b32_e32 v8, 20, v8
	v_and_b32_e32 v5, 0x80000000, v5
	v_lshl_add_u32 v9, v10, 23, v9
	v_or3_b32 v5, v5, v9, v8
.LBB185_1839:
	s_or_b64 exec, exec, s[24:25]
.LBB185_1840:
	s_mov_b64 s[22:23], -1
.LBB185_1841:
	s_mov_b64 s[24:25], 0
.LBB185_1842:
	s_and_b64 vcc, exec, s[24:25]
	s_cbranch_vccz .LBB185_1875
; %bb.1843:
	s_cmp_gt_i32 s30, 22
	s_cbranch_scc0 .LBB185_1853
; %bb.1844:
	s_cmp_lt_i32 s30, 24
	s_cbranch_scc1 .LBB185_1856
; %bb.1845:
	s_cmp_gt_i32 s30, 24
	s_cbranch_scc0 .LBB185_1857
; %bb.1846:
	global_load_ubyte v8, v[0:1], off
	s_movk_i32 s4, 0x7f
	s_waitcnt vmcnt(0)
	v_cmp_lt_i16_e32 vcc, s4, v8
	s_mov_b64 s[4:5], 0
	s_and_saveexec_b64 s[22:23], vcc
	s_xor_b64 s[22:23], exec, s[22:23]
	s_cbranch_execz .LBB185_1869
; %bb.1847:
	s_movk_i32 s4, 0x80
	v_cmp_eq_u16_e32 vcc, s4, v8
	s_mov_b64 s[4:5], -1
	s_and_saveexec_b64 s[24:25], vcc
; %bb.1848:
	s_xor_b64 s[4:5], exec, -1
; %bb.1849:
	s_or_b64 exec, exec, s[24:25]
	s_and_b64 s[4:5], s[4:5], exec
	s_or_saveexec_b64 s[22:23], s[22:23]
	v_mov_b32_e32 v5, 0x7f800001
	s_xor_b64 exec, exec, s[22:23]
	s_cbranch_execnz .LBB185_1870
.LBB185_1850:
	s_or_b64 exec, exec, s[22:23]
	s_and_saveexec_b64 s[22:23], s[4:5]
	s_cbranch_execz .LBB185_1852
.LBB185_1851:
	v_lshlrev_b32_e32 v5, 24, v8
	v_and_b32_e32 v8, 0xffff, v8
	v_and_b32_e32 v9, 3, v8
	v_ffbh_u32_e32 v11, v9
	v_min_u32_e32 v11, 32, v11
	v_subrev_u32_e32 v12, 29, v11
	v_bfe_u32 v10, v8, 2, 5
	v_lshlrev_b32_e32 v8, v12, v8
	v_sub_u32_e32 v11, 30, v11
	v_and_b32_e32 v8, 3, v8
	v_cmp_eq_u32_e32 vcc, 0, v10
	v_cndmask_b32_e32 v10, v10, v11, vcc
	v_cndmask_b32_e32 v8, v9, v8, vcc
	v_mov_b32_e32 v9, 0x37800000
	v_lshlrev_b32_e32 v8, 21, v8
	v_and_b32_e32 v5, 0x80000000, v5
	v_lshl_add_u32 v9, v10, 23, v9
	v_or3_b32 v5, v5, v9, v8
.LBB185_1852:
	s_or_b64 exec, exec, s[22:23]
	s_mov_b64 s[4:5], 0
	s_branch .LBB185_1858
.LBB185_1853:
	s_mov_b64 s[4:5], -1
                                        ; implicit-def: $vgpr5
	s_branch .LBB185_1864
.LBB185_1854:
	s_or_saveexec_b64 s[24:25], s[24:25]
	v_mov_b32_e32 v5, 0x7f800001
	s_xor_b64 exec, exec, s[24:25]
	s_cbranch_execz .LBB185_1837
.LBB185_1855:
	v_cmp_ne_u16_e32 vcc, 0, v8
	s_andn2_b64 s[22:23], s[22:23], exec
	s_and_b64 s[26:27], vcc, exec
	v_mov_b32_e32 v5, 0
	s_or_b64 s[22:23], s[22:23], s[26:27]
	s_or_b64 exec, exec, s[24:25]
	s_and_saveexec_b64 s[24:25], s[22:23]
	s_cbranch_execnz .LBB185_1838
	s_branch .LBB185_1839
.LBB185_1856:
	s_mov_b64 s[4:5], -1
                                        ; implicit-def: $vgpr5
	s_branch .LBB185_1861
.LBB185_1857:
	s_mov_b64 s[4:5], -1
                                        ; implicit-def: $vgpr5
.LBB185_1858:
	s_and_b64 vcc, exec, s[4:5]
	s_cbranch_vccz .LBB185_1860
; %bb.1859:
	global_load_ubyte v5, v[0:1], off
	s_mov_b32 s4, 0x7f800000
	s_waitcnt vmcnt(0)
	v_lshlrev_b32_e32 v5, 24, v5
	v_and_b32_e32 v8, 0x7f000000, v5
	v_ffbh_u32_e32 v9, v8
	v_min_u32_e32 v9, 32, v9
	v_sub_u32_e64 v9, v9, 4 clamp
	v_lshlrev_b32_e32 v11, v9, v8
	v_lshlrev_b32_e32 v9, 23, v9
	v_lshrrev_b32_e32 v11, 4, v11
	v_add_u32_e32 v10, 0x1000000, v8
	v_sub_u32_e32 v9, v11, v9
	v_ashrrev_i32_e32 v10, 8, v10
	v_add_u32_e32 v9, 0x3c000000, v9
	v_and_or_b32 v9, v10, s4, v9
	v_cmp_ne_u32_e32 vcc, 0, v8
	v_cndmask_b32_e32 v8, 0, v9, vcc
	s_brev_b32 s4, 1
	v_and_or_b32 v5, v5, s4, v8
.LBB185_1860:
	s_mov_b64 s[4:5], 0
.LBB185_1861:
	s_andn2_b64 vcc, exec, s[4:5]
	s_cbranch_vccnz .LBB185_1863
; %bb.1862:
	global_load_ubyte v5, v[0:1], off
	s_movk_i32 s4, 0x7f00
	s_brev_b32 s5, 16
	s_waitcnt vmcnt(0)
	v_lshlrev_b16_e32 v8, 8, v5
	v_lshlrev_b32_e32 v5, 25, v5
	v_lshrrev_b32_e32 v9, 4, v5
	v_and_or_b32 v10, v8, s4, 0.5
	v_or_b32_e32 v9, 0x70000000, v9
	v_add_f32_e32 v10, -0.5, v10
	v_mul_f32_e32 v9, 0x7800000, v9
	v_cmp_gt_u32_e32 vcc, s5, v5
	v_bfe_i32 v8, v8, 0, 16
	v_cndmask_b32_e32 v5, v9, v10, vcc
	s_brev_b32 s4, 1
	v_and_or_b32 v5, v8, s4, v5
.LBB185_1863:
	s_mov_b64 s[4:5], 0
	s_mov_b64 s[22:23], -1
.LBB185_1864:
	s_andn2_b64 vcc, exec, s[4:5]
	s_mov_b64 s[4:5], 0
	s_cbranch_vccnz .LBB185_1875
; %bb.1865:
	s_cmp_gt_i32 s30, 14
	s_cbranch_scc0 .LBB185_1868
; %bb.1866:
	s_cmp_eq_u32 s30, 15
	s_cbranch_scc0 .LBB185_1871
; %bb.1867:
	global_load_ushort v5, v[0:1], off
	s_mov_b64 s[0:1], 0
	s_mov_b64 s[22:23], -1
	s_waitcnt vmcnt(0)
	v_lshlrev_b32_e32 v5, 16, v5
	s_branch .LBB185_1872
.LBB185_1868:
	s_mov_b64 s[24:25], -1
                                        ; implicit-def: $vgpr5
	s_branch .LBB185_1873
.LBB185_1869:
	s_or_saveexec_b64 s[22:23], s[22:23]
	v_mov_b32_e32 v5, 0x7f800001
	s_xor_b64 exec, exec, s[22:23]
	s_cbranch_execz .LBB185_1850
.LBB185_1870:
	v_cmp_ne_u16_e32 vcc, 0, v8
	s_andn2_b64 s[4:5], s[4:5], exec
	s_and_b64 s[24:25], vcc, exec
	v_mov_b32_e32 v5, 0
	s_or_b64 s[4:5], s[4:5], s[24:25]
	s_or_b64 exec, exec, s[22:23]
	s_and_saveexec_b64 s[22:23], s[4:5]
	s_cbranch_execnz .LBB185_1851
	s_branch .LBB185_1852
.LBB185_1871:
	s_mov_b64 s[0:1], -1
                                        ; implicit-def: $vgpr5
.LBB185_1872:
	s_mov_b64 s[24:25], 0
.LBB185_1873:
	s_and_b64 vcc, exec, s[24:25]
	s_cbranch_vccz .LBB185_1875
; %bb.1874:
	s_cmp_lg_u32 s30, 11
	s_mov_b64 s[4:5], -1
	s_cselect_b64 s[0:1], -1, 0
.LBB185_1875:
	s_and_b64 vcc, exec, s[0:1]
	s_cbranch_vccnz .LBB185_1938
; %bb.1876:
	s_andn2_b64 vcc, exec, s[4:5]
	s_cbranch_vccnz .LBB185_1878
.LBB185_1877:
	global_load_ubyte v5, v[0:1], off
	s_mov_b64 s[22:23], -1
	s_waitcnt vmcnt(0)
	v_cmp_ne_u16_e32 vcc, 0, v5
	v_cndmask_b32_e64 v5, 0, 1.0, vcc
.LBB185_1878:
	s_branch .LBB185_1806
.LBB185_1879:
	s_and_b32 s4, 0xffff, s28
	s_cmp_lt_i32 s4, 5
	s_cbranch_scc1 .LBB185_1884
; %bb.1880:
	s_cmp_lt_i32 s4, 8
	s_cbranch_scc1 .LBB185_1885
; %bb.1881:
	;; [unrolled: 3-line block ×3, first 2 shown]
	s_cmp_gt_i32 s4, 9
	s_cbranch_scc0 .LBB185_1887
; %bb.1883:
	global_load_dwordx2 v[8:9], v[0:1], off
	s_mov_b64 s[0:1], 0
	s_waitcnt vmcnt(0)
	v_cvt_f32_f64_e32 v5, v[8:9]
	s_branch .LBB185_1888
.LBB185_1884:
	s_mov_b64 s[0:1], -1
                                        ; implicit-def: $vgpr5
	s_branch .LBB185_1906
.LBB185_1885:
	s_mov_b64 s[0:1], -1
                                        ; implicit-def: $vgpr5
	s_branch .LBB185_1894
.LBB185_1886:
	s_mov_b64 s[0:1], -1
                                        ; implicit-def: $vgpr5
	s_branch .LBB185_1891
.LBB185_1887:
	s_mov_b64 s[0:1], -1
                                        ; implicit-def: $vgpr5
.LBB185_1888:
	s_andn2_b64 vcc, exec, s[0:1]
	s_cbranch_vccnz .LBB185_1890
; %bb.1889:
	global_load_dword v5, v[0:1], off
.LBB185_1890:
	s_mov_b64 s[0:1], 0
.LBB185_1891:
	s_andn2_b64 vcc, exec, s[0:1]
	s_cbranch_vccnz .LBB185_1893
; %bb.1892:
	global_load_dword v5, v[0:1], off
	s_waitcnt vmcnt(0)
	v_cvt_f32_f16_e32 v5, v5
.LBB185_1893:
	s_mov_b64 s[0:1], 0
.LBB185_1894:
	s_andn2_b64 vcc, exec, s[0:1]
	s_cbranch_vccnz .LBB185_1905
; %bb.1895:
	s_cmp_lt_i32 s4, 6
	s_cbranch_scc1 .LBB185_1898
; %bb.1896:
	s_cmp_gt_i32 s4, 6
	s_cbranch_scc0 .LBB185_1899
; %bb.1897:
	global_load_dwordx2 v[8:9], v[0:1], off
	s_mov_b64 s[0:1], 0
	s_waitcnt vmcnt(0)
	v_cvt_f32_f64_e32 v5, v[8:9]
	s_branch .LBB185_1900
.LBB185_1898:
	s_mov_b64 s[0:1], -1
                                        ; implicit-def: $vgpr5
	s_branch .LBB185_1903
.LBB185_1899:
	s_mov_b64 s[0:1], -1
                                        ; implicit-def: $vgpr5
.LBB185_1900:
	s_andn2_b64 vcc, exec, s[0:1]
	s_cbranch_vccnz .LBB185_1902
; %bb.1901:
	global_load_dword v5, v[0:1], off
.LBB185_1902:
	s_mov_b64 s[0:1], 0
.LBB185_1903:
	s_andn2_b64 vcc, exec, s[0:1]
	s_cbranch_vccnz .LBB185_1905
; %bb.1904:
	global_load_ushort v5, v[0:1], off
	s_waitcnt vmcnt(0)
	v_cvt_f32_f16_e32 v5, v5
.LBB185_1905:
	s_mov_b64 s[0:1], 0
.LBB185_1906:
	s_andn2_b64 vcc, exec, s[0:1]
	s_cbranch_vccnz .LBB185_1926
; %bb.1907:
	s_cmp_lt_i32 s4, 2
	s_cbranch_scc1 .LBB185_1911
; %bb.1908:
	s_cmp_lt_i32 s4, 3
	s_cbranch_scc1 .LBB185_1912
; %bb.1909:
	s_cmp_gt_i32 s4, 3
	s_cbranch_scc0 .LBB185_1913
; %bb.1910:
	global_load_dwordx2 v[8:9], v[0:1], off
	s_mov_b64 s[0:1], 0
	s_waitcnt vmcnt(0)
	v_xor_b32_e32 v10, v8, v9
	v_ffbh_i32_e32 v5, v9
	v_ashrrev_i32_e32 v10, 31, v10
	v_add_u32_e32 v5, -1, v5
	v_add_u32_e32 v10, 32, v10
	v_min_u32_e32 v5, v5, v10
	v_lshlrev_b64 v[8:9], v5, v[8:9]
	v_sub_u32_e32 v5, 32, v5
	v_min_u32_e32 v8, 1, v8
	v_or_b32_e32 v8, v9, v8
	v_cvt_f32_i32_e32 v8, v8
	v_ldexp_f32 v5, v8, v5
	s_branch .LBB185_1914
.LBB185_1911:
	s_mov_b64 s[0:1], -1
                                        ; implicit-def: $vgpr5
	s_branch .LBB185_1920
.LBB185_1912:
	s_mov_b64 s[0:1], -1
                                        ; implicit-def: $vgpr5
	s_branch .LBB185_1917
.LBB185_1913:
	s_mov_b64 s[0:1], -1
                                        ; implicit-def: $vgpr5
.LBB185_1914:
	s_andn2_b64 vcc, exec, s[0:1]
	s_cbranch_vccnz .LBB185_1916
; %bb.1915:
	global_load_dword v5, v[0:1], off
	s_waitcnt vmcnt(0)
	v_cvt_f32_i32_e32 v5, v5
.LBB185_1916:
	s_mov_b64 s[0:1], 0
.LBB185_1917:
	s_andn2_b64 vcc, exec, s[0:1]
	s_cbranch_vccnz .LBB185_1919
; %bb.1918:
	global_load_sshort v5, v[0:1], off
	s_waitcnt vmcnt(0)
	v_cvt_f32_i32_e32 v5, v5
.LBB185_1919:
	s_mov_b64 s[0:1], 0
.LBB185_1920:
	s_andn2_b64 vcc, exec, s[0:1]
	s_cbranch_vccnz .LBB185_1926
; %bb.1921:
	s_cmp_gt_i32 s4, 0
	s_cbranch_scc0 .LBB185_1923
; %bb.1922:
	global_load_sbyte v5, v[0:1], off
	s_mov_b64 s[0:1], 0
	s_waitcnt vmcnt(0)
	v_cvt_f32_i32_e32 v5, v5
	s_branch .LBB185_1924
.LBB185_1923:
	s_mov_b64 s[0:1], -1
                                        ; implicit-def: $vgpr5
.LBB185_1924:
	s_andn2_b64 vcc, exec, s[0:1]
	s_cbranch_vccnz .LBB185_1926
; %bb.1925:
	global_load_ubyte v0, v[0:1], off
	s_waitcnt vmcnt(0)
	v_cvt_f32_ubyte0_e32 v5, v0
.LBB185_1926:
.LBB185_1927:
	s_lshl_b32 s14, s14, 7
	v_add_u32_e32 v8, s14, v6
	v_ashrrev_i32_e32 v1, 31, v8
	v_mov_b32_e32 v6, s17
	v_add_co_u32_e32 v0, vcc, s16, v8
	s_cmp_lt_i32 s29, 11
	v_addc_co_u32_e32 v1, vcc, v6, v1, vcc
	s_cbranch_scc1 .LBB185_1934
; %bb.1928:
	s_and_b32 s30, 0xffff, s29
	s_cmp_gt_i32 s30, 25
	s_mov_b64 s[4:5], 0
	s_cbranch_scc0 .LBB185_1935
; %bb.1929:
	s_cmp_gt_i32 s30, 28
	s_cbranch_scc0 .LBB185_1936
; %bb.1930:
	s_cmp_gt_i32 s30, 43
	;; [unrolled: 3-line block ×3, first 2 shown]
	s_cbranch_scc0 .LBB185_1939
; %bb.1932:
	s_cmp_eq_u32 s30, 46
	s_mov_b64 s[24:25], 0
	s_cbranch_scc0 .LBB185_1940
; %bb.1933:
	global_load_dword v6, v[0:1], off
	s_mov_b64 s[0:1], 0
	s_mov_b64 s[22:23], -1
	s_waitcnt vmcnt(0)
	v_lshlrev_b32_e32 v6, 16, v6
	s_branch .LBB185_1941
.LBB185_1934:
	s_mov_b64 s[0:1], -1
	s_mov_b64 s[22:23], 0
                                        ; implicit-def: $vgpr6
	s_branch .LBB185_2007
.LBB185_1935:
	s_mov_b64 s[24:25], -1
	s_mov_b64 s[22:23], 0
	s_mov_b64 s[0:1], 0
                                        ; implicit-def: $vgpr6
	s_branch .LBB185_1970
.LBB185_1936:
	s_mov_b64 s[24:25], -1
	s_mov_b64 s[22:23], 0
	s_mov_b64 s[0:1], 0
                                        ; implicit-def: $vgpr6
	s_branch .LBB185_1951
.LBB185_1937:
	s_mov_b64 s[24:25], -1
	s_mov_b64 s[22:23], 0
	s_mov_b64 s[0:1], 0
                                        ; implicit-def: $vgpr6
	s_branch .LBB185_1946
.LBB185_1938:
	s_trap 2
	s_or_b64 s[20:21], s[20:21], exec
	s_cbranch_execz .LBB185_1877
	s_branch .LBB185_1878
.LBB185_1939:
	s_mov_b64 s[24:25], -1
	s_mov_b64 s[22:23], 0
	s_mov_b64 s[0:1], 0
                                        ; implicit-def: $vgpr6
	s_branch .LBB185_1941
.LBB185_1940:
	s_mov_b64 s[0:1], -1
                                        ; implicit-def: $vgpr6
	s_mov_b64 s[22:23], 0
.LBB185_1941:
	s_and_b64 vcc, exec, s[24:25]
	s_cbranch_vccz .LBB185_1945
; %bb.1942:
	s_cmp_eq_u32 s30, 44
	s_cbranch_scc0 .LBB185_1944
; %bb.1943:
	global_load_ubyte v6, v[0:1], off
	s_movk_i32 s22, 0xff
	v_mov_b32_e32 v9, 0x7f800001
	v_mov_b32_e32 v10, 0x400000
	s_mov_b64 s[0:1], 0
	s_waitcnt vmcnt(0)
	v_lshlrev_b32_e32 v11, 23, v6
	v_cmp_ne_u32_e32 vcc, s22, v6
	v_cndmask_b32_e32 v9, v9, v11, vcc
	v_cmp_ne_u32_e32 vcc, 0, v6
	v_cndmask_b32_e32 v6, v10, v9, vcc
	s_mov_b64 s[22:23], -1
	s_branch .LBB185_1945
.LBB185_1944:
	s_mov_b64 s[0:1], -1
                                        ; implicit-def: $vgpr6
.LBB185_1945:
	s_mov_b64 s[24:25], 0
.LBB185_1946:
	s_and_b64 vcc, exec, s[24:25]
	s_cbranch_vccz .LBB185_1950
; %bb.1947:
	s_cmp_eq_u32 s30, 29
	s_cbranch_scc0 .LBB185_1949
; %bb.1948:
	global_load_dwordx2 v[9:10], v[0:1], off
	s_mov_b64 s[0:1], 0
	s_mov_b64 s[22:23], -1
	s_mov_b64 s[24:25], 0
	s_waitcnt vmcnt(0)
	v_ffbh_u32_e32 v6, v10
	v_min_u32_e32 v6, 32, v6
	v_lshlrev_b64 v[9:10], v6, v[9:10]
	v_sub_u32_e32 v6, 32, v6
	v_min_u32_e32 v9, 1, v9
	v_or_b32_e32 v9, v10, v9
	v_cvt_f32_u32_e32 v9, v9
	v_ldexp_f32 v6, v9, v6
	s_branch .LBB185_1951
.LBB185_1949:
	s_mov_b64 s[0:1], -1
                                        ; implicit-def: $vgpr6
.LBB185_1950:
	s_mov_b64 s[24:25], 0
.LBB185_1951:
	s_and_b64 vcc, exec, s[24:25]
	s_cbranch_vccz .LBB185_1969
; %bb.1952:
	s_cmp_lt_i32 s30, 27
	s_cbranch_scc1 .LBB185_1955
; %bb.1953:
	s_cmp_gt_i32 s30, 27
	s_cbranch_scc0 .LBB185_1956
; %bb.1954:
	global_load_dword v6, v[0:1], off
	s_mov_b64 s[22:23], 0
	s_waitcnt vmcnt(0)
	v_cvt_f32_u32_e32 v6, v6
	s_branch .LBB185_1957
.LBB185_1955:
	s_mov_b64 s[22:23], -1
                                        ; implicit-def: $vgpr6
	s_branch .LBB185_1960
.LBB185_1956:
	s_mov_b64 s[22:23], -1
                                        ; implicit-def: $vgpr6
.LBB185_1957:
	s_andn2_b64 vcc, exec, s[22:23]
	s_cbranch_vccnz .LBB185_1959
; %bb.1958:
	global_load_ushort v6, v[0:1], off
	s_waitcnt vmcnt(0)
	v_cvt_f32_u32_e32 v6, v6
.LBB185_1959:
	s_mov_b64 s[22:23], 0
.LBB185_1960:
	s_andn2_b64 vcc, exec, s[22:23]
	s_cbranch_vccnz .LBB185_1968
; %bb.1961:
	global_load_ubyte v9, v[0:1], off
	s_movk_i32 s22, 0x7f
	s_waitcnt vmcnt(0)
	v_cmp_lt_i16_e32 vcc, s22, v9
	s_mov_b64 s[22:23], 0
	s_and_saveexec_b64 s[24:25], vcc
	s_xor_b64 s[24:25], exec, s[24:25]
	s_cbranch_execz .LBB185_1982
; %bb.1962:
	s_movk_i32 s22, 0x80
	v_cmp_eq_u16_e32 vcc, s22, v9
	s_mov_b64 s[22:23], -1
	s_and_saveexec_b64 s[26:27], vcc
; %bb.1963:
	s_xor_b64 s[22:23], exec, -1
; %bb.1964:
	s_or_b64 exec, exec, s[26:27]
	s_and_b64 s[22:23], s[22:23], exec
	s_or_saveexec_b64 s[24:25], s[24:25]
	v_mov_b32_e32 v6, 0x7f800001
	s_xor_b64 exec, exec, s[24:25]
	s_cbranch_execnz .LBB185_1983
.LBB185_1965:
	s_or_b64 exec, exec, s[24:25]
	s_and_saveexec_b64 s[24:25], s[22:23]
	s_cbranch_execz .LBB185_1967
.LBB185_1966:
	v_lshlrev_b32_e32 v6, 24, v9
	v_and_b32_e32 v9, 0xffff, v9
	v_and_b32_e32 v10, 7, v9
	v_ffbh_u32_e32 v12, v10
	v_min_u32_e32 v12, 32, v12
	v_subrev_u32_e32 v13, 28, v12
	v_bfe_u32 v11, v9, 3, 4
	v_lshlrev_b32_e32 v9, v13, v9
	v_sub_u32_e32 v12, 29, v12
	v_and_b32_e32 v9, 7, v9
	v_cmp_eq_u32_e32 vcc, 0, v11
	v_cndmask_b32_e32 v11, v11, v12, vcc
	v_cndmask_b32_e32 v9, v10, v9, vcc
	v_mov_b32_e32 v10, 0x3b800000
	v_lshlrev_b32_e32 v9, 20, v9
	v_and_b32_e32 v6, 0x80000000, v6
	v_lshl_add_u32 v10, v11, 23, v10
	v_or3_b32 v6, v6, v10, v9
.LBB185_1967:
	s_or_b64 exec, exec, s[24:25]
.LBB185_1968:
	s_mov_b64 s[22:23], -1
.LBB185_1969:
	s_mov_b64 s[24:25], 0
.LBB185_1970:
	s_and_b64 vcc, exec, s[24:25]
	s_cbranch_vccz .LBB185_2003
; %bb.1971:
	s_cmp_gt_i32 s30, 22
	s_cbranch_scc0 .LBB185_1981
; %bb.1972:
	s_cmp_lt_i32 s30, 24
	s_cbranch_scc1 .LBB185_1984
; %bb.1973:
	s_cmp_gt_i32 s30, 24
	s_cbranch_scc0 .LBB185_1985
; %bb.1974:
	global_load_ubyte v9, v[0:1], off
	s_movk_i32 s4, 0x7f
	s_waitcnt vmcnt(0)
	v_cmp_lt_i16_e32 vcc, s4, v9
	s_mov_b64 s[4:5], 0
	s_and_saveexec_b64 s[22:23], vcc
	s_xor_b64 s[22:23], exec, s[22:23]
	s_cbranch_execz .LBB185_1997
; %bb.1975:
	s_movk_i32 s4, 0x80
	v_cmp_eq_u16_e32 vcc, s4, v9
	s_mov_b64 s[4:5], -1
	s_and_saveexec_b64 s[24:25], vcc
; %bb.1976:
	s_xor_b64 s[4:5], exec, -1
; %bb.1977:
	s_or_b64 exec, exec, s[24:25]
	s_and_b64 s[4:5], s[4:5], exec
	s_or_saveexec_b64 s[22:23], s[22:23]
	v_mov_b32_e32 v6, 0x7f800001
	s_xor_b64 exec, exec, s[22:23]
	s_cbranch_execnz .LBB185_1998
.LBB185_1978:
	s_or_b64 exec, exec, s[22:23]
	s_and_saveexec_b64 s[22:23], s[4:5]
	s_cbranch_execz .LBB185_1980
.LBB185_1979:
	v_lshlrev_b32_e32 v6, 24, v9
	v_and_b32_e32 v9, 0xffff, v9
	v_and_b32_e32 v10, 3, v9
	v_ffbh_u32_e32 v12, v10
	v_min_u32_e32 v12, 32, v12
	v_subrev_u32_e32 v13, 29, v12
	v_bfe_u32 v11, v9, 2, 5
	v_lshlrev_b32_e32 v9, v13, v9
	v_sub_u32_e32 v12, 30, v12
	v_and_b32_e32 v9, 3, v9
	v_cmp_eq_u32_e32 vcc, 0, v11
	v_cndmask_b32_e32 v11, v11, v12, vcc
	v_cndmask_b32_e32 v9, v10, v9, vcc
	v_mov_b32_e32 v10, 0x37800000
	v_lshlrev_b32_e32 v9, 21, v9
	v_and_b32_e32 v6, 0x80000000, v6
	v_lshl_add_u32 v10, v11, 23, v10
	v_or3_b32 v6, v6, v10, v9
.LBB185_1980:
	s_or_b64 exec, exec, s[22:23]
	s_mov_b64 s[4:5], 0
	s_branch .LBB185_1986
.LBB185_1981:
	s_mov_b64 s[4:5], -1
                                        ; implicit-def: $vgpr6
	s_branch .LBB185_1992
.LBB185_1982:
	s_or_saveexec_b64 s[24:25], s[24:25]
	v_mov_b32_e32 v6, 0x7f800001
	s_xor_b64 exec, exec, s[24:25]
	s_cbranch_execz .LBB185_1965
.LBB185_1983:
	v_cmp_ne_u16_e32 vcc, 0, v9
	s_andn2_b64 s[22:23], s[22:23], exec
	s_and_b64 s[26:27], vcc, exec
	v_mov_b32_e32 v6, 0
	s_or_b64 s[22:23], s[22:23], s[26:27]
	s_or_b64 exec, exec, s[24:25]
	s_and_saveexec_b64 s[24:25], s[22:23]
	s_cbranch_execnz .LBB185_1966
	s_branch .LBB185_1967
.LBB185_1984:
	s_mov_b64 s[4:5], -1
                                        ; implicit-def: $vgpr6
	s_branch .LBB185_1989
.LBB185_1985:
	s_mov_b64 s[4:5], -1
                                        ; implicit-def: $vgpr6
.LBB185_1986:
	s_and_b64 vcc, exec, s[4:5]
	s_cbranch_vccz .LBB185_1988
; %bb.1987:
	global_load_ubyte v6, v[0:1], off
	s_mov_b32 s4, 0x7f800000
	s_waitcnt vmcnt(0)
	v_lshlrev_b32_e32 v6, 24, v6
	v_and_b32_e32 v9, 0x7f000000, v6
	v_ffbh_u32_e32 v10, v9
	v_min_u32_e32 v10, 32, v10
	v_sub_u32_e64 v10, v10, 4 clamp
	v_lshlrev_b32_e32 v12, v10, v9
	v_lshlrev_b32_e32 v10, 23, v10
	v_lshrrev_b32_e32 v12, 4, v12
	v_add_u32_e32 v11, 0x1000000, v9
	v_sub_u32_e32 v10, v12, v10
	v_ashrrev_i32_e32 v11, 8, v11
	v_add_u32_e32 v10, 0x3c000000, v10
	v_and_or_b32 v10, v11, s4, v10
	v_cmp_ne_u32_e32 vcc, 0, v9
	v_cndmask_b32_e32 v9, 0, v10, vcc
	s_brev_b32 s4, 1
	v_and_or_b32 v6, v6, s4, v9
.LBB185_1988:
	s_mov_b64 s[4:5], 0
.LBB185_1989:
	s_andn2_b64 vcc, exec, s[4:5]
	s_cbranch_vccnz .LBB185_1991
; %bb.1990:
	global_load_ubyte v6, v[0:1], off
	s_movk_i32 s4, 0x7f00
	s_brev_b32 s5, 16
	s_waitcnt vmcnt(0)
	v_lshlrev_b16_e32 v9, 8, v6
	v_lshlrev_b32_e32 v6, 25, v6
	v_lshrrev_b32_e32 v10, 4, v6
	v_and_or_b32 v11, v9, s4, 0.5
	v_or_b32_e32 v10, 0x70000000, v10
	v_add_f32_e32 v11, -0.5, v11
	v_mul_f32_e32 v10, 0x7800000, v10
	v_cmp_gt_u32_e32 vcc, s5, v6
	v_bfe_i32 v9, v9, 0, 16
	v_cndmask_b32_e32 v6, v10, v11, vcc
	s_brev_b32 s4, 1
	v_and_or_b32 v6, v9, s4, v6
.LBB185_1991:
	s_mov_b64 s[4:5], 0
	s_mov_b64 s[22:23], -1
.LBB185_1992:
	s_andn2_b64 vcc, exec, s[4:5]
	s_mov_b64 s[4:5], 0
	s_cbranch_vccnz .LBB185_2003
; %bb.1993:
	s_cmp_gt_i32 s30, 14
	s_cbranch_scc0 .LBB185_1996
; %bb.1994:
	s_cmp_eq_u32 s30, 15
	s_cbranch_scc0 .LBB185_1999
; %bb.1995:
	global_load_ushort v6, v[0:1], off
	s_mov_b64 s[0:1], 0
	s_mov_b64 s[22:23], -1
	s_waitcnt vmcnt(0)
	v_lshlrev_b32_e32 v6, 16, v6
	s_branch .LBB185_2000
.LBB185_1996:
	s_mov_b64 s[24:25], -1
                                        ; implicit-def: $vgpr6
	s_branch .LBB185_2001
.LBB185_1997:
	s_or_saveexec_b64 s[22:23], s[22:23]
	v_mov_b32_e32 v6, 0x7f800001
	s_xor_b64 exec, exec, s[22:23]
	s_cbranch_execz .LBB185_1978
.LBB185_1998:
	v_cmp_ne_u16_e32 vcc, 0, v9
	s_andn2_b64 s[4:5], s[4:5], exec
	s_and_b64 s[24:25], vcc, exec
	v_mov_b32_e32 v6, 0
	s_or_b64 s[4:5], s[4:5], s[24:25]
	s_or_b64 exec, exec, s[22:23]
	s_and_saveexec_b64 s[22:23], s[4:5]
	s_cbranch_execnz .LBB185_1979
	s_branch .LBB185_1980
.LBB185_1999:
	s_mov_b64 s[0:1], -1
                                        ; implicit-def: $vgpr6
.LBB185_2000:
	s_mov_b64 s[24:25], 0
.LBB185_2001:
	s_and_b64 vcc, exec, s[24:25]
	s_cbranch_vccz .LBB185_2003
; %bb.2002:
	s_cmp_lg_u32 s30, 11
	s_mov_b64 s[4:5], -1
	s_cselect_b64 s[0:1], -1, 0
.LBB185_2003:
	s_and_b64 vcc, exec, s[0:1]
	s_cbranch_vccnz .LBB185_2068
; %bb.2004:
	s_andn2_b64 vcc, exec, s[4:5]
	s_cbranch_vccnz .LBB185_2006
.LBB185_2005:
	global_load_ubyte v6, v[0:1], off
	s_mov_b64 s[22:23], -1
	s_waitcnt vmcnt(0)
	v_cmp_ne_u16_e32 vcc, 0, v6
	v_cndmask_b32_e64 v6, 0, 1.0, vcc
.LBB185_2006:
	s_mov_b64 s[0:1], 0
.LBB185_2007:
	s_and_b64 vcc, exec, s[0:1]
	s_cbranch_vccz .LBB185_2056
; %bb.2008:
	s_and_b32 s4, 0xffff, s29
	s_cmp_lt_i32 s4, 5
	s_cbranch_scc1 .LBB185_2013
; %bb.2009:
	s_cmp_lt_i32 s4, 8
	s_cbranch_scc1 .LBB185_2014
; %bb.2010:
	;; [unrolled: 3-line block ×3, first 2 shown]
	s_cmp_gt_i32 s4, 9
	s_cbranch_scc0 .LBB185_2016
; %bb.2012:
	global_load_dwordx2 v[9:10], v[0:1], off
	s_mov_b64 s[0:1], 0
	s_waitcnt vmcnt(0)
	v_cvt_f32_f64_e32 v6, v[9:10]
	s_branch .LBB185_2017
.LBB185_2013:
	s_mov_b64 s[0:1], -1
                                        ; implicit-def: $vgpr6
	s_branch .LBB185_2035
.LBB185_2014:
	s_mov_b64 s[0:1], -1
                                        ; implicit-def: $vgpr6
	s_branch .LBB185_2023
.LBB185_2015:
	s_mov_b64 s[0:1], -1
                                        ; implicit-def: $vgpr6
	s_branch .LBB185_2020
.LBB185_2016:
	s_mov_b64 s[0:1], -1
                                        ; implicit-def: $vgpr6
.LBB185_2017:
	s_andn2_b64 vcc, exec, s[0:1]
	s_cbranch_vccnz .LBB185_2019
; %bb.2018:
	global_load_dword v6, v[0:1], off
.LBB185_2019:
	s_mov_b64 s[0:1], 0
.LBB185_2020:
	s_andn2_b64 vcc, exec, s[0:1]
	s_cbranch_vccnz .LBB185_2022
; %bb.2021:
	global_load_dword v6, v[0:1], off
	s_waitcnt vmcnt(0)
	v_cvt_f32_f16_e32 v6, v6
.LBB185_2022:
	s_mov_b64 s[0:1], 0
.LBB185_2023:
	s_andn2_b64 vcc, exec, s[0:1]
	s_cbranch_vccnz .LBB185_2034
; %bb.2024:
	s_cmp_lt_i32 s4, 6
	s_cbranch_scc1 .LBB185_2027
; %bb.2025:
	s_cmp_gt_i32 s4, 6
	s_cbranch_scc0 .LBB185_2028
; %bb.2026:
	global_load_dwordx2 v[9:10], v[0:1], off
	s_mov_b64 s[0:1], 0
	s_waitcnt vmcnt(0)
	v_cvt_f32_f64_e32 v6, v[9:10]
	s_branch .LBB185_2029
.LBB185_2027:
	s_mov_b64 s[0:1], -1
                                        ; implicit-def: $vgpr6
	s_branch .LBB185_2032
.LBB185_2028:
	s_mov_b64 s[0:1], -1
                                        ; implicit-def: $vgpr6
.LBB185_2029:
	s_andn2_b64 vcc, exec, s[0:1]
	s_cbranch_vccnz .LBB185_2031
; %bb.2030:
	global_load_dword v6, v[0:1], off
.LBB185_2031:
	s_mov_b64 s[0:1], 0
.LBB185_2032:
	s_andn2_b64 vcc, exec, s[0:1]
	s_cbranch_vccnz .LBB185_2034
; %bb.2033:
	global_load_ushort v6, v[0:1], off
	s_waitcnt vmcnt(0)
	v_cvt_f32_f16_e32 v6, v6
.LBB185_2034:
	s_mov_b64 s[0:1], 0
.LBB185_2035:
	s_andn2_b64 vcc, exec, s[0:1]
	s_cbranch_vccnz .LBB185_2055
; %bb.2036:
	s_cmp_lt_i32 s4, 2
	s_cbranch_scc1 .LBB185_2040
; %bb.2037:
	s_cmp_lt_i32 s4, 3
	s_cbranch_scc1 .LBB185_2041
; %bb.2038:
	s_cmp_gt_i32 s4, 3
	s_cbranch_scc0 .LBB185_2042
; %bb.2039:
	global_load_dwordx2 v[9:10], v[0:1], off
	s_mov_b64 s[0:1], 0
	s_waitcnt vmcnt(0)
	v_xor_b32_e32 v11, v9, v10
	v_ffbh_i32_e32 v6, v10
	v_ashrrev_i32_e32 v11, 31, v11
	v_add_u32_e32 v6, -1, v6
	v_add_u32_e32 v11, 32, v11
	v_min_u32_e32 v6, v6, v11
	v_lshlrev_b64 v[9:10], v6, v[9:10]
	v_sub_u32_e32 v6, 32, v6
	v_min_u32_e32 v9, 1, v9
	v_or_b32_e32 v9, v10, v9
	v_cvt_f32_i32_e32 v9, v9
	v_ldexp_f32 v6, v9, v6
	s_branch .LBB185_2043
.LBB185_2040:
	s_mov_b64 s[0:1], -1
                                        ; implicit-def: $vgpr6
	s_branch .LBB185_2049
.LBB185_2041:
	s_mov_b64 s[0:1], -1
                                        ; implicit-def: $vgpr6
	s_branch .LBB185_2046
.LBB185_2042:
	s_mov_b64 s[0:1], -1
                                        ; implicit-def: $vgpr6
.LBB185_2043:
	s_andn2_b64 vcc, exec, s[0:1]
	s_cbranch_vccnz .LBB185_2045
; %bb.2044:
	global_load_dword v6, v[0:1], off
	s_waitcnt vmcnt(0)
	v_cvt_f32_i32_e32 v6, v6
.LBB185_2045:
	s_mov_b64 s[0:1], 0
.LBB185_2046:
	s_andn2_b64 vcc, exec, s[0:1]
	s_cbranch_vccnz .LBB185_2048
; %bb.2047:
	global_load_sshort v6, v[0:1], off
	s_waitcnt vmcnt(0)
	v_cvt_f32_i32_e32 v6, v6
.LBB185_2048:
	s_mov_b64 s[0:1], 0
.LBB185_2049:
	s_andn2_b64 vcc, exec, s[0:1]
	s_cbranch_vccnz .LBB185_2055
; %bb.2050:
	s_cmp_gt_i32 s4, 0
	s_cbranch_scc0 .LBB185_2052
; %bb.2051:
	global_load_sbyte v6, v[0:1], off
	s_mov_b64 s[0:1], 0
	s_waitcnt vmcnt(0)
	v_cvt_f32_i32_e32 v6, v6
	s_branch .LBB185_2053
.LBB185_2052:
	s_mov_b64 s[0:1], -1
                                        ; implicit-def: $vgpr6
.LBB185_2053:
	s_andn2_b64 vcc, exec, s[0:1]
	s_cbranch_vccnz .LBB185_2055
; %bb.2054:
	global_load_ubyte v0, v[0:1], off
	s_waitcnt vmcnt(0)
	v_cvt_f32_ubyte0_e32 v6, v0
.LBB185_2055:
	s_mov_b64 s[22:23], -1
.LBB185_2056:
	s_andn2_b64 vcc, exec, s[22:23]
	s_cbranch_vccnz .LBB185_3012
; %bb.2057:
	v_add_u32_e32 v9, s13, v7
	v_ashrrev_i32_e32 v1, 31, v9
	v_mov_b32_e32 v7, s11
	v_add_co_u32_e32 v0, vcc, s10, v9
	s_cmp_lt_i32 s28, 11
	v_addc_co_u32_e32 v1, vcc, v7, v1, vcc
	s_cbranch_scc1 .LBB185_2064
; %bb.2058:
	s_and_b32 s30, 0xffff, s28
	s_cmp_gt_i32 s30, 25
	s_mov_b64 s[4:5], 0
	s_cbranch_scc0 .LBB185_2065
; %bb.2059:
	s_cmp_gt_i32 s30, 28
	s_cbranch_scc0 .LBB185_2066
; %bb.2060:
	s_cmp_gt_i32 s30, 43
	;; [unrolled: 3-line block ×3, first 2 shown]
	s_cbranch_scc0 .LBB185_2069
; %bb.2062:
	s_cmp_eq_u32 s30, 46
	s_mov_b64 s[24:25], 0
	s_cbranch_scc0 .LBB185_2070
; %bb.2063:
	global_load_dword v7, v[0:1], off
	s_mov_b64 s[0:1], 0
	s_mov_b64 s[22:23], -1
	s_waitcnt vmcnt(0)
	v_lshlrev_b32_e32 v7, 16, v7
	s_branch .LBB185_2071
.LBB185_2064:
	s_mov_b64 s[0:1], -1
	s_mov_b64 s[22:23], 0
                                        ; implicit-def: $vgpr7
	s_branch .LBB185_2137
.LBB185_2065:
	s_mov_b64 s[24:25], -1
	s_mov_b64 s[22:23], 0
	s_mov_b64 s[0:1], 0
                                        ; implicit-def: $vgpr7
	s_branch .LBB185_2100
.LBB185_2066:
	s_mov_b64 s[24:25], -1
	s_mov_b64 s[22:23], 0
	s_mov_b64 s[0:1], 0
                                        ; implicit-def: $vgpr7
	s_branch .LBB185_2081
.LBB185_2067:
	s_mov_b64 s[24:25], -1
	s_mov_b64 s[22:23], 0
	s_mov_b64 s[0:1], 0
                                        ; implicit-def: $vgpr7
	s_branch .LBB185_2076
.LBB185_2068:
	s_trap 2
	s_or_b64 s[20:21], s[20:21], exec
	s_cbranch_execz .LBB185_2005
	s_branch .LBB185_2006
.LBB185_2069:
	s_mov_b64 s[24:25], -1
	s_mov_b64 s[22:23], 0
	s_mov_b64 s[0:1], 0
                                        ; implicit-def: $vgpr7
	s_branch .LBB185_2071
.LBB185_2070:
	s_mov_b64 s[0:1], -1
                                        ; implicit-def: $vgpr7
	s_mov_b64 s[22:23], 0
.LBB185_2071:
	s_and_b64 vcc, exec, s[24:25]
	s_cbranch_vccz .LBB185_2075
; %bb.2072:
	s_cmp_eq_u32 s30, 44
	s_cbranch_scc0 .LBB185_2074
; %bb.2073:
	global_load_ubyte v7, v[0:1], off
	s_movk_i32 s22, 0xff
	v_mov_b32_e32 v10, 0x7f800001
	v_mov_b32_e32 v11, 0x400000
	s_mov_b64 s[0:1], 0
	s_waitcnt vmcnt(0)
	v_lshlrev_b32_e32 v12, 23, v7
	v_cmp_ne_u32_e32 vcc, s22, v7
	v_cndmask_b32_e32 v10, v10, v12, vcc
	v_cmp_ne_u32_e32 vcc, 0, v7
	v_cndmask_b32_e32 v7, v11, v10, vcc
	s_mov_b64 s[22:23], -1
	s_branch .LBB185_2075
.LBB185_2074:
	s_mov_b64 s[0:1], -1
                                        ; implicit-def: $vgpr7
.LBB185_2075:
	s_mov_b64 s[24:25], 0
.LBB185_2076:
	s_and_b64 vcc, exec, s[24:25]
	s_cbranch_vccz .LBB185_2080
; %bb.2077:
	s_cmp_eq_u32 s30, 29
	s_cbranch_scc0 .LBB185_2079
; %bb.2078:
	global_load_dwordx2 v[10:11], v[0:1], off
	s_mov_b64 s[0:1], 0
	s_mov_b64 s[22:23], -1
	s_mov_b64 s[24:25], 0
	s_waitcnt vmcnt(0)
	v_ffbh_u32_e32 v7, v11
	v_min_u32_e32 v7, 32, v7
	v_lshlrev_b64 v[10:11], v7, v[10:11]
	v_sub_u32_e32 v7, 32, v7
	v_min_u32_e32 v10, 1, v10
	v_or_b32_e32 v10, v11, v10
	v_cvt_f32_u32_e32 v10, v10
	v_ldexp_f32 v7, v10, v7
	s_branch .LBB185_2081
.LBB185_2079:
	s_mov_b64 s[0:1], -1
                                        ; implicit-def: $vgpr7
.LBB185_2080:
	s_mov_b64 s[24:25], 0
.LBB185_2081:
	s_and_b64 vcc, exec, s[24:25]
	s_cbranch_vccz .LBB185_2099
; %bb.2082:
	s_cmp_lt_i32 s30, 27
	s_cbranch_scc1 .LBB185_2085
; %bb.2083:
	s_cmp_gt_i32 s30, 27
	s_cbranch_scc0 .LBB185_2086
; %bb.2084:
	global_load_dword v7, v[0:1], off
	s_mov_b64 s[22:23], 0
	s_waitcnt vmcnt(0)
	v_cvt_f32_u32_e32 v7, v7
	s_branch .LBB185_2087
.LBB185_2085:
	s_mov_b64 s[22:23], -1
                                        ; implicit-def: $vgpr7
	s_branch .LBB185_2090
.LBB185_2086:
	s_mov_b64 s[22:23], -1
                                        ; implicit-def: $vgpr7
.LBB185_2087:
	s_andn2_b64 vcc, exec, s[22:23]
	s_cbranch_vccnz .LBB185_2089
; %bb.2088:
	global_load_ushort v7, v[0:1], off
	s_waitcnt vmcnt(0)
	v_cvt_f32_u32_e32 v7, v7
.LBB185_2089:
	s_mov_b64 s[22:23], 0
.LBB185_2090:
	s_andn2_b64 vcc, exec, s[22:23]
	s_cbranch_vccnz .LBB185_2098
; %bb.2091:
	global_load_ubyte v10, v[0:1], off
	s_movk_i32 s22, 0x7f
	s_waitcnt vmcnt(0)
	v_cmp_lt_i16_e32 vcc, s22, v10
	s_mov_b64 s[22:23], 0
	s_and_saveexec_b64 s[24:25], vcc
	s_xor_b64 s[24:25], exec, s[24:25]
	s_cbranch_execz .LBB185_2112
; %bb.2092:
	s_movk_i32 s22, 0x80
	v_cmp_eq_u16_e32 vcc, s22, v10
	s_mov_b64 s[22:23], -1
	s_and_saveexec_b64 s[26:27], vcc
; %bb.2093:
	s_xor_b64 s[22:23], exec, -1
; %bb.2094:
	s_or_b64 exec, exec, s[26:27]
	s_and_b64 s[22:23], s[22:23], exec
	s_or_saveexec_b64 s[24:25], s[24:25]
	v_mov_b32_e32 v7, 0x7f800001
	s_xor_b64 exec, exec, s[24:25]
	s_cbranch_execnz .LBB185_2113
.LBB185_2095:
	s_or_b64 exec, exec, s[24:25]
	s_and_saveexec_b64 s[24:25], s[22:23]
	s_cbranch_execz .LBB185_2097
.LBB185_2096:
	v_lshlrev_b32_e32 v7, 24, v10
	v_and_b32_e32 v10, 0xffff, v10
	v_and_b32_e32 v11, 7, v10
	v_ffbh_u32_e32 v13, v11
	v_min_u32_e32 v13, 32, v13
	v_subrev_u32_e32 v14, 28, v13
	v_bfe_u32 v12, v10, 3, 4
	v_lshlrev_b32_e32 v10, v14, v10
	v_sub_u32_e32 v13, 29, v13
	v_and_b32_e32 v10, 7, v10
	v_cmp_eq_u32_e32 vcc, 0, v12
	v_cndmask_b32_e32 v12, v12, v13, vcc
	v_cndmask_b32_e32 v10, v11, v10, vcc
	v_mov_b32_e32 v11, 0x3b800000
	v_lshlrev_b32_e32 v10, 20, v10
	v_and_b32_e32 v7, 0x80000000, v7
	v_lshl_add_u32 v11, v12, 23, v11
	v_or3_b32 v7, v7, v11, v10
.LBB185_2097:
	s_or_b64 exec, exec, s[24:25]
.LBB185_2098:
	s_mov_b64 s[22:23], -1
.LBB185_2099:
	s_mov_b64 s[24:25], 0
.LBB185_2100:
	s_and_b64 vcc, exec, s[24:25]
	s_cbranch_vccz .LBB185_2133
; %bb.2101:
	s_cmp_gt_i32 s30, 22
	s_cbranch_scc0 .LBB185_2111
; %bb.2102:
	s_cmp_lt_i32 s30, 24
	s_cbranch_scc1 .LBB185_2114
; %bb.2103:
	s_cmp_gt_i32 s30, 24
	s_cbranch_scc0 .LBB185_2115
; %bb.2104:
	global_load_ubyte v10, v[0:1], off
	s_movk_i32 s4, 0x7f
	s_waitcnt vmcnt(0)
	v_cmp_lt_i16_e32 vcc, s4, v10
	s_mov_b64 s[4:5], 0
	s_and_saveexec_b64 s[22:23], vcc
	s_xor_b64 s[22:23], exec, s[22:23]
	s_cbranch_execz .LBB185_2127
; %bb.2105:
	s_movk_i32 s4, 0x80
	v_cmp_eq_u16_e32 vcc, s4, v10
	s_mov_b64 s[4:5], -1
	s_and_saveexec_b64 s[24:25], vcc
; %bb.2106:
	s_xor_b64 s[4:5], exec, -1
; %bb.2107:
	s_or_b64 exec, exec, s[24:25]
	s_and_b64 s[4:5], s[4:5], exec
	s_or_saveexec_b64 s[22:23], s[22:23]
	v_mov_b32_e32 v7, 0x7f800001
	s_xor_b64 exec, exec, s[22:23]
	s_cbranch_execnz .LBB185_2128
.LBB185_2108:
	s_or_b64 exec, exec, s[22:23]
	s_and_saveexec_b64 s[22:23], s[4:5]
	s_cbranch_execz .LBB185_2110
.LBB185_2109:
	v_lshlrev_b32_e32 v7, 24, v10
	v_and_b32_e32 v10, 0xffff, v10
	v_and_b32_e32 v11, 3, v10
	v_ffbh_u32_e32 v13, v11
	v_min_u32_e32 v13, 32, v13
	v_subrev_u32_e32 v14, 29, v13
	v_bfe_u32 v12, v10, 2, 5
	v_lshlrev_b32_e32 v10, v14, v10
	v_sub_u32_e32 v13, 30, v13
	v_and_b32_e32 v10, 3, v10
	v_cmp_eq_u32_e32 vcc, 0, v12
	v_cndmask_b32_e32 v12, v12, v13, vcc
	v_cndmask_b32_e32 v10, v11, v10, vcc
	v_mov_b32_e32 v11, 0x37800000
	v_lshlrev_b32_e32 v10, 21, v10
	v_and_b32_e32 v7, 0x80000000, v7
	v_lshl_add_u32 v11, v12, 23, v11
	v_or3_b32 v7, v7, v11, v10
.LBB185_2110:
	s_or_b64 exec, exec, s[22:23]
	s_mov_b64 s[4:5], 0
	s_branch .LBB185_2116
.LBB185_2111:
	s_mov_b64 s[4:5], -1
                                        ; implicit-def: $vgpr7
	s_branch .LBB185_2122
.LBB185_2112:
	s_or_saveexec_b64 s[24:25], s[24:25]
	v_mov_b32_e32 v7, 0x7f800001
	s_xor_b64 exec, exec, s[24:25]
	s_cbranch_execz .LBB185_2095
.LBB185_2113:
	v_cmp_ne_u16_e32 vcc, 0, v10
	s_andn2_b64 s[22:23], s[22:23], exec
	s_and_b64 s[26:27], vcc, exec
	v_mov_b32_e32 v7, 0
	s_or_b64 s[22:23], s[22:23], s[26:27]
	s_or_b64 exec, exec, s[24:25]
	s_and_saveexec_b64 s[24:25], s[22:23]
	s_cbranch_execnz .LBB185_2096
	s_branch .LBB185_2097
.LBB185_2114:
	s_mov_b64 s[4:5], -1
                                        ; implicit-def: $vgpr7
	s_branch .LBB185_2119
.LBB185_2115:
	s_mov_b64 s[4:5], -1
                                        ; implicit-def: $vgpr7
.LBB185_2116:
	s_and_b64 vcc, exec, s[4:5]
	s_cbranch_vccz .LBB185_2118
; %bb.2117:
	global_load_ubyte v7, v[0:1], off
	s_mov_b32 s4, 0x7f800000
	s_waitcnt vmcnt(0)
	v_lshlrev_b32_e32 v7, 24, v7
	v_and_b32_e32 v10, 0x7f000000, v7
	v_ffbh_u32_e32 v11, v10
	v_min_u32_e32 v11, 32, v11
	v_sub_u32_e64 v11, v11, 4 clamp
	v_lshlrev_b32_e32 v13, v11, v10
	v_lshlrev_b32_e32 v11, 23, v11
	v_lshrrev_b32_e32 v13, 4, v13
	v_add_u32_e32 v12, 0x1000000, v10
	v_sub_u32_e32 v11, v13, v11
	v_ashrrev_i32_e32 v12, 8, v12
	v_add_u32_e32 v11, 0x3c000000, v11
	v_and_or_b32 v11, v12, s4, v11
	v_cmp_ne_u32_e32 vcc, 0, v10
	v_cndmask_b32_e32 v10, 0, v11, vcc
	s_brev_b32 s4, 1
	v_and_or_b32 v7, v7, s4, v10
.LBB185_2118:
	s_mov_b64 s[4:5], 0
.LBB185_2119:
	s_andn2_b64 vcc, exec, s[4:5]
	s_cbranch_vccnz .LBB185_2121
; %bb.2120:
	global_load_ubyte v7, v[0:1], off
	s_movk_i32 s4, 0x7f00
	s_brev_b32 s5, 16
	s_waitcnt vmcnt(0)
	v_lshlrev_b16_e32 v10, 8, v7
	v_lshlrev_b32_e32 v7, 25, v7
	v_lshrrev_b32_e32 v11, 4, v7
	v_and_or_b32 v12, v10, s4, 0.5
	v_or_b32_e32 v11, 0x70000000, v11
	v_add_f32_e32 v12, -0.5, v12
	v_mul_f32_e32 v11, 0x7800000, v11
	v_cmp_gt_u32_e32 vcc, s5, v7
	v_bfe_i32 v10, v10, 0, 16
	v_cndmask_b32_e32 v7, v11, v12, vcc
	s_brev_b32 s4, 1
	v_and_or_b32 v7, v10, s4, v7
.LBB185_2121:
	s_mov_b64 s[4:5], 0
	s_mov_b64 s[22:23], -1
.LBB185_2122:
	s_andn2_b64 vcc, exec, s[4:5]
	s_mov_b64 s[4:5], 0
	s_cbranch_vccnz .LBB185_2133
; %bb.2123:
	s_cmp_gt_i32 s30, 14
	s_cbranch_scc0 .LBB185_2126
; %bb.2124:
	s_cmp_eq_u32 s30, 15
	s_cbranch_scc0 .LBB185_2129
; %bb.2125:
	global_load_ushort v7, v[0:1], off
	s_mov_b64 s[0:1], 0
	s_mov_b64 s[22:23], -1
	s_waitcnt vmcnt(0)
	v_lshlrev_b32_e32 v7, 16, v7
	s_branch .LBB185_2130
.LBB185_2126:
	s_mov_b64 s[24:25], -1
                                        ; implicit-def: $vgpr7
	s_branch .LBB185_2131
.LBB185_2127:
	s_or_saveexec_b64 s[22:23], s[22:23]
	v_mov_b32_e32 v7, 0x7f800001
	s_xor_b64 exec, exec, s[22:23]
	s_cbranch_execz .LBB185_2108
.LBB185_2128:
	v_cmp_ne_u16_e32 vcc, 0, v10
	s_andn2_b64 s[4:5], s[4:5], exec
	s_and_b64 s[24:25], vcc, exec
	v_mov_b32_e32 v7, 0
	s_or_b64 s[4:5], s[4:5], s[24:25]
	s_or_b64 exec, exec, s[22:23]
	s_and_saveexec_b64 s[22:23], s[4:5]
	s_cbranch_execnz .LBB185_2109
	s_branch .LBB185_2110
.LBB185_2129:
	s_mov_b64 s[0:1], -1
                                        ; implicit-def: $vgpr7
.LBB185_2130:
	s_mov_b64 s[24:25], 0
.LBB185_2131:
	s_and_b64 vcc, exec, s[24:25]
	s_cbranch_vccz .LBB185_2133
; %bb.2132:
	s_cmp_lg_u32 s30, 11
	s_mov_b64 s[4:5], -1
	s_cselect_b64 s[0:1], -1, 0
.LBB185_2133:
	s_and_b64 vcc, exec, s[0:1]
	s_cbranch_vccnz .LBB185_2198
; %bb.2134:
	s_andn2_b64 vcc, exec, s[4:5]
	s_cbranch_vccnz .LBB185_2136
.LBB185_2135:
	global_load_ubyte v7, v[0:1], off
	s_mov_b64 s[22:23], -1
	s_waitcnt vmcnt(0)
	v_cmp_ne_u16_e32 vcc, 0, v7
	v_cndmask_b32_e64 v7, 0, 1.0, vcc
.LBB185_2136:
	s_mov_b64 s[0:1], 0
.LBB185_2137:
	s_and_b64 vcc, exec, s[0:1]
	s_cbranch_vccz .LBB185_2186
; %bb.2138:
	s_and_b32 s4, 0xffff, s28
	s_cmp_lt_i32 s4, 5
	s_cbranch_scc1 .LBB185_2143
; %bb.2139:
	s_cmp_lt_i32 s4, 8
	s_cbranch_scc1 .LBB185_2144
; %bb.2140:
	;; [unrolled: 3-line block ×3, first 2 shown]
	s_cmp_gt_i32 s4, 9
	s_cbranch_scc0 .LBB185_2146
; %bb.2142:
	global_load_dwordx2 v[10:11], v[0:1], off
	s_mov_b64 s[0:1], 0
	s_waitcnt vmcnt(0)
	v_cvt_f32_f64_e32 v7, v[10:11]
	s_branch .LBB185_2147
.LBB185_2143:
	s_mov_b64 s[0:1], -1
                                        ; implicit-def: $vgpr7
	s_branch .LBB185_2165
.LBB185_2144:
	s_mov_b64 s[0:1], -1
                                        ; implicit-def: $vgpr7
	s_branch .LBB185_2153
.LBB185_2145:
	s_mov_b64 s[0:1], -1
                                        ; implicit-def: $vgpr7
	s_branch .LBB185_2150
.LBB185_2146:
	s_mov_b64 s[0:1], -1
                                        ; implicit-def: $vgpr7
.LBB185_2147:
	s_andn2_b64 vcc, exec, s[0:1]
	s_cbranch_vccnz .LBB185_2149
; %bb.2148:
	global_load_dword v7, v[0:1], off
.LBB185_2149:
	s_mov_b64 s[0:1], 0
.LBB185_2150:
	s_andn2_b64 vcc, exec, s[0:1]
	s_cbranch_vccnz .LBB185_2152
; %bb.2151:
	global_load_dword v7, v[0:1], off
	s_waitcnt vmcnt(0)
	v_cvt_f32_f16_e32 v7, v7
.LBB185_2152:
	s_mov_b64 s[0:1], 0
.LBB185_2153:
	s_andn2_b64 vcc, exec, s[0:1]
	s_cbranch_vccnz .LBB185_2164
; %bb.2154:
	s_cmp_lt_i32 s4, 6
	s_cbranch_scc1 .LBB185_2157
; %bb.2155:
	s_cmp_gt_i32 s4, 6
	s_cbranch_scc0 .LBB185_2158
; %bb.2156:
	global_load_dwordx2 v[10:11], v[0:1], off
	s_mov_b64 s[0:1], 0
	s_waitcnt vmcnt(0)
	v_cvt_f32_f64_e32 v7, v[10:11]
	s_branch .LBB185_2159
.LBB185_2157:
	s_mov_b64 s[0:1], -1
                                        ; implicit-def: $vgpr7
	s_branch .LBB185_2162
.LBB185_2158:
	s_mov_b64 s[0:1], -1
                                        ; implicit-def: $vgpr7
.LBB185_2159:
	s_andn2_b64 vcc, exec, s[0:1]
	s_cbranch_vccnz .LBB185_2161
; %bb.2160:
	global_load_dword v7, v[0:1], off
.LBB185_2161:
	s_mov_b64 s[0:1], 0
.LBB185_2162:
	s_andn2_b64 vcc, exec, s[0:1]
	s_cbranch_vccnz .LBB185_2164
; %bb.2163:
	global_load_ushort v7, v[0:1], off
	s_waitcnt vmcnt(0)
	v_cvt_f32_f16_e32 v7, v7
.LBB185_2164:
	s_mov_b64 s[0:1], 0
.LBB185_2165:
	s_andn2_b64 vcc, exec, s[0:1]
	s_cbranch_vccnz .LBB185_2185
; %bb.2166:
	s_cmp_lt_i32 s4, 2
	s_cbranch_scc1 .LBB185_2170
; %bb.2167:
	s_cmp_lt_i32 s4, 3
	s_cbranch_scc1 .LBB185_2171
; %bb.2168:
	s_cmp_gt_i32 s4, 3
	s_cbranch_scc0 .LBB185_2172
; %bb.2169:
	global_load_dwordx2 v[10:11], v[0:1], off
	s_mov_b64 s[0:1], 0
	s_waitcnt vmcnt(0)
	v_xor_b32_e32 v12, v10, v11
	v_ffbh_i32_e32 v7, v11
	v_ashrrev_i32_e32 v12, 31, v12
	v_add_u32_e32 v7, -1, v7
	v_add_u32_e32 v12, 32, v12
	v_min_u32_e32 v7, v7, v12
	v_lshlrev_b64 v[10:11], v7, v[10:11]
	v_sub_u32_e32 v7, 32, v7
	v_min_u32_e32 v10, 1, v10
	v_or_b32_e32 v10, v11, v10
	v_cvt_f32_i32_e32 v10, v10
	v_ldexp_f32 v7, v10, v7
	s_branch .LBB185_2173
.LBB185_2170:
	s_mov_b64 s[0:1], -1
                                        ; implicit-def: $vgpr7
	s_branch .LBB185_2179
.LBB185_2171:
	s_mov_b64 s[0:1], -1
                                        ; implicit-def: $vgpr7
	s_branch .LBB185_2176
.LBB185_2172:
	s_mov_b64 s[0:1], -1
                                        ; implicit-def: $vgpr7
.LBB185_2173:
	s_andn2_b64 vcc, exec, s[0:1]
	s_cbranch_vccnz .LBB185_2175
; %bb.2174:
	global_load_dword v7, v[0:1], off
	s_waitcnt vmcnt(0)
	v_cvt_f32_i32_e32 v7, v7
.LBB185_2175:
	s_mov_b64 s[0:1], 0
.LBB185_2176:
	s_andn2_b64 vcc, exec, s[0:1]
	s_cbranch_vccnz .LBB185_2178
; %bb.2177:
	global_load_sshort v7, v[0:1], off
	s_waitcnt vmcnt(0)
	v_cvt_f32_i32_e32 v7, v7
.LBB185_2178:
	s_mov_b64 s[0:1], 0
.LBB185_2179:
	s_andn2_b64 vcc, exec, s[0:1]
	s_cbranch_vccnz .LBB185_2185
; %bb.2180:
	s_cmp_gt_i32 s4, 0
	s_cbranch_scc0 .LBB185_2182
; %bb.2181:
	global_load_sbyte v7, v[0:1], off
	s_mov_b64 s[0:1], 0
	s_waitcnt vmcnt(0)
	v_cvt_f32_i32_e32 v7, v7
	s_branch .LBB185_2183
.LBB185_2182:
	s_mov_b64 s[0:1], -1
                                        ; implicit-def: $vgpr7
.LBB185_2183:
	s_andn2_b64 vcc, exec, s[0:1]
	s_cbranch_vccnz .LBB185_2185
; %bb.2184:
	global_load_ubyte v0, v[0:1], off
	s_waitcnt vmcnt(0)
	v_cvt_f32_ubyte0_e32 v7, v0
.LBB185_2185:
	s_mov_b64 s[22:23], -1
.LBB185_2186:
	s_andn2_b64 vcc, exec, s[22:23]
	s_cbranch_vccnz .LBB185_3012
; %bb.2187:
	v_add_u32_e32 v10, s14, v8
	v_ashrrev_i32_e32 v1, 31, v10
	v_mov_b32_e32 v8, s17
	v_add_co_u32_e32 v0, vcc, s16, v10
	s_cmp_lt_i32 s29, 11
	v_addc_co_u32_e32 v1, vcc, v8, v1, vcc
	s_cbranch_scc1 .LBB185_2194
; %bb.2188:
	s_and_b32 s30, 0xffff, s29
	s_cmp_gt_i32 s30, 25
	s_mov_b64 s[4:5], 0
	s_cbranch_scc0 .LBB185_2195
; %bb.2189:
	s_cmp_gt_i32 s30, 28
	s_cbranch_scc0 .LBB185_2196
; %bb.2190:
	s_cmp_gt_i32 s30, 43
	;; [unrolled: 3-line block ×3, first 2 shown]
	s_cbranch_scc0 .LBB185_2199
; %bb.2192:
	s_cmp_eq_u32 s30, 46
	s_mov_b64 s[24:25], 0
	s_cbranch_scc0 .LBB185_2202
; %bb.2193:
	global_load_dword v8, v[0:1], off
	s_mov_b64 s[0:1], 0
	s_mov_b64 s[22:23], -1
	s_waitcnt vmcnt(0)
	v_lshlrev_b32_e32 v8, 16, v8
	s_branch .LBB185_2203
.LBB185_2194:
	s_mov_b64 s[0:1], -1
	s_mov_b64 s[22:23], 0
                                        ; implicit-def: $vgpr8
	s_branch .LBB185_2269
.LBB185_2195:
	s_mov_b64 s[24:25], -1
	s_mov_b64 s[22:23], 0
	s_mov_b64 s[0:1], 0
                                        ; implicit-def: $vgpr8
	s_branch .LBB185_2232
.LBB185_2196:
	s_mov_b64 s[24:25], -1
	s_mov_b64 s[22:23], 0
	s_mov_b64 s[0:1], 0
                                        ; implicit-def: $vgpr8
	s_branch .LBB185_2213
.LBB185_2197:
	s_mov_b64 s[24:25], -1
	s_mov_b64 s[22:23], 0
	s_mov_b64 s[0:1], 0
                                        ; implicit-def: $vgpr8
	s_branch .LBB185_2208
.LBB185_2198:
	s_trap 2
	s_or_b64 s[20:21], s[20:21], exec
	s_cbranch_execz .LBB185_2135
	s_branch .LBB185_2136
.LBB185_2199:
	s_mov_b64 s[24:25], -1
	s_mov_b64 s[22:23], 0
	s_mov_b64 s[0:1], 0
                                        ; implicit-def: $vgpr8
	s_branch .LBB185_2203
.LBB185_2200:
	s_andn2_saveexec_b64 s[46:47], s[46:47]
	s_cbranch_execz .LBB185_1085
.LBB185_2201:
	s_mov_b32 s51, 0x42800000
	v_add_f32_e64 v3, |v2|, s51
	v_and_b32_e32 v3, 0xff, v3
	v_cmp_ne_u32_e32 vcc, 0, v3
	s_andn2_b64 s[44:45], s[44:45], exec
	s_and_b64 s[52:53], vcc, exec
	s_or_b64 s[44:45], s[44:45], s[52:53]
	s_or_b64 exec, exec, s[46:47]
	v_mov_b32_e32 v5, 0
	s_and_saveexec_b64 s[46:47], s[44:45]
	s_cbranch_execnz .LBB185_1086
	s_branch .LBB185_1087
.LBB185_2202:
	s_mov_b64 s[0:1], -1
                                        ; implicit-def: $vgpr8
	s_mov_b64 s[22:23], 0
.LBB185_2203:
	s_and_b64 vcc, exec, s[24:25]
	s_cbranch_vccz .LBB185_2207
; %bb.2204:
	s_cmp_eq_u32 s30, 44
	s_cbranch_scc0 .LBB185_2206
; %bb.2205:
	global_load_ubyte v8, v[0:1], off
	s_movk_i32 s22, 0xff
	v_mov_b32_e32 v11, 0x7f800001
	v_mov_b32_e32 v12, 0x400000
	s_mov_b64 s[0:1], 0
	s_waitcnt vmcnt(0)
	v_lshlrev_b32_e32 v13, 23, v8
	v_cmp_ne_u32_e32 vcc, s22, v8
	v_cndmask_b32_e32 v11, v11, v13, vcc
	v_cmp_ne_u32_e32 vcc, 0, v8
	v_cndmask_b32_e32 v8, v12, v11, vcc
	s_mov_b64 s[22:23], -1
	s_branch .LBB185_2207
.LBB185_2206:
	s_mov_b64 s[0:1], -1
                                        ; implicit-def: $vgpr8
.LBB185_2207:
	s_mov_b64 s[24:25], 0
.LBB185_2208:
	s_and_b64 vcc, exec, s[24:25]
	s_cbranch_vccz .LBB185_2212
; %bb.2209:
	s_cmp_eq_u32 s30, 29
	s_cbranch_scc0 .LBB185_2211
; %bb.2210:
	global_load_dwordx2 v[11:12], v[0:1], off
	s_mov_b64 s[0:1], 0
	s_mov_b64 s[22:23], -1
	s_mov_b64 s[24:25], 0
	s_waitcnt vmcnt(0)
	v_ffbh_u32_e32 v8, v12
	v_min_u32_e32 v8, 32, v8
	v_lshlrev_b64 v[11:12], v8, v[11:12]
	v_sub_u32_e32 v8, 32, v8
	v_min_u32_e32 v11, 1, v11
	v_or_b32_e32 v11, v12, v11
	v_cvt_f32_u32_e32 v11, v11
	v_ldexp_f32 v8, v11, v8
	s_branch .LBB185_2213
.LBB185_2211:
	s_mov_b64 s[0:1], -1
                                        ; implicit-def: $vgpr8
.LBB185_2212:
	s_mov_b64 s[24:25], 0
.LBB185_2213:
	s_and_b64 vcc, exec, s[24:25]
	s_cbranch_vccz .LBB185_2231
; %bb.2214:
	s_cmp_lt_i32 s30, 27
	s_cbranch_scc1 .LBB185_2217
; %bb.2215:
	s_cmp_gt_i32 s30, 27
	s_cbranch_scc0 .LBB185_2218
; %bb.2216:
	global_load_dword v8, v[0:1], off
	s_mov_b64 s[22:23], 0
	s_waitcnt vmcnt(0)
	v_cvt_f32_u32_e32 v8, v8
	s_branch .LBB185_2219
.LBB185_2217:
	s_mov_b64 s[22:23], -1
                                        ; implicit-def: $vgpr8
	s_branch .LBB185_2222
.LBB185_2218:
	s_mov_b64 s[22:23], -1
                                        ; implicit-def: $vgpr8
.LBB185_2219:
	s_andn2_b64 vcc, exec, s[22:23]
	s_cbranch_vccnz .LBB185_2221
; %bb.2220:
	global_load_ushort v8, v[0:1], off
	s_waitcnt vmcnt(0)
	v_cvt_f32_u32_e32 v8, v8
.LBB185_2221:
	s_mov_b64 s[22:23], 0
.LBB185_2222:
	s_andn2_b64 vcc, exec, s[22:23]
	s_cbranch_vccnz .LBB185_2230
; %bb.2223:
	global_load_ubyte v11, v[0:1], off
	s_movk_i32 s22, 0x7f
	s_waitcnt vmcnt(0)
	v_cmp_lt_i16_e32 vcc, s22, v11
	s_mov_b64 s[22:23], 0
	s_and_saveexec_b64 s[24:25], vcc
	s_xor_b64 s[24:25], exec, s[24:25]
	s_cbranch_execz .LBB185_2244
; %bb.2224:
	s_movk_i32 s22, 0x80
	v_cmp_eq_u16_e32 vcc, s22, v11
	s_mov_b64 s[22:23], -1
	s_and_saveexec_b64 s[26:27], vcc
; %bb.2225:
	s_xor_b64 s[22:23], exec, -1
; %bb.2226:
	s_or_b64 exec, exec, s[26:27]
	s_and_b64 s[22:23], s[22:23], exec
	s_or_saveexec_b64 s[24:25], s[24:25]
	v_mov_b32_e32 v8, 0x7f800001
	s_xor_b64 exec, exec, s[24:25]
	s_cbranch_execnz .LBB185_2245
.LBB185_2227:
	s_or_b64 exec, exec, s[24:25]
	s_and_saveexec_b64 s[24:25], s[22:23]
	s_cbranch_execz .LBB185_2229
.LBB185_2228:
	v_lshlrev_b32_e32 v8, 24, v11
	v_and_b32_e32 v11, 0xffff, v11
	v_and_b32_e32 v12, 7, v11
	v_ffbh_u32_e32 v14, v12
	v_min_u32_e32 v14, 32, v14
	v_subrev_u32_e32 v15, 28, v14
	v_bfe_u32 v13, v11, 3, 4
	v_lshlrev_b32_e32 v11, v15, v11
	v_sub_u32_e32 v14, 29, v14
	v_and_b32_e32 v11, 7, v11
	v_cmp_eq_u32_e32 vcc, 0, v13
	v_cndmask_b32_e32 v13, v13, v14, vcc
	v_cndmask_b32_e32 v11, v12, v11, vcc
	v_mov_b32_e32 v12, 0x3b800000
	v_lshlrev_b32_e32 v11, 20, v11
	v_and_b32_e32 v8, 0x80000000, v8
	v_lshl_add_u32 v12, v13, 23, v12
	v_or3_b32 v8, v8, v12, v11
.LBB185_2229:
	s_or_b64 exec, exec, s[24:25]
.LBB185_2230:
	s_mov_b64 s[22:23], -1
.LBB185_2231:
	s_mov_b64 s[24:25], 0
.LBB185_2232:
	s_and_b64 vcc, exec, s[24:25]
	s_cbranch_vccz .LBB185_2265
; %bb.2233:
	s_cmp_gt_i32 s30, 22
	s_cbranch_scc0 .LBB185_2243
; %bb.2234:
	s_cmp_lt_i32 s30, 24
	s_cbranch_scc1 .LBB185_2246
; %bb.2235:
	s_cmp_gt_i32 s30, 24
	s_cbranch_scc0 .LBB185_2247
; %bb.2236:
	global_load_ubyte v11, v[0:1], off
	s_movk_i32 s4, 0x7f
	s_waitcnt vmcnt(0)
	v_cmp_lt_i16_e32 vcc, s4, v11
	s_mov_b64 s[4:5], 0
	s_and_saveexec_b64 s[22:23], vcc
	s_xor_b64 s[22:23], exec, s[22:23]
	s_cbranch_execz .LBB185_2259
; %bb.2237:
	s_movk_i32 s4, 0x80
	v_cmp_eq_u16_e32 vcc, s4, v11
	s_mov_b64 s[4:5], -1
	s_and_saveexec_b64 s[24:25], vcc
; %bb.2238:
	s_xor_b64 s[4:5], exec, -1
; %bb.2239:
	s_or_b64 exec, exec, s[24:25]
	s_and_b64 s[4:5], s[4:5], exec
	s_or_saveexec_b64 s[22:23], s[22:23]
	v_mov_b32_e32 v8, 0x7f800001
	s_xor_b64 exec, exec, s[22:23]
	s_cbranch_execnz .LBB185_2260
.LBB185_2240:
	s_or_b64 exec, exec, s[22:23]
	s_and_saveexec_b64 s[22:23], s[4:5]
	s_cbranch_execz .LBB185_2242
.LBB185_2241:
	v_lshlrev_b32_e32 v8, 24, v11
	v_and_b32_e32 v11, 0xffff, v11
	v_and_b32_e32 v12, 3, v11
	v_ffbh_u32_e32 v14, v12
	v_min_u32_e32 v14, 32, v14
	v_subrev_u32_e32 v15, 29, v14
	v_bfe_u32 v13, v11, 2, 5
	v_lshlrev_b32_e32 v11, v15, v11
	v_sub_u32_e32 v14, 30, v14
	v_and_b32_e32 v11, 3, v11
	v_cmp_eq_u32_e32 vcc, 0, v13
	v_cndmask_b32_e32 v13, v13, v14, vcc
	v_cndmask_b32_e32 v11, v12, v11, vcc
	v_mov_b32_e32 v12, 0x37800000
	v_lshlrev_b32_e32 v11, 21, v11
	v_and_b32_e32 v8, 0x80000000, v8
	v_lshl_add_u32 v12, v13, 23, v12
	v_or3_b32 v8, v8, v12, v11
.LBB185_2242:
	s_or_b64 exec, exec, s[22:23]
	s_mov_b64 s[4:5], 0
	s_branch .LBB185_2248
.LBB185_2243:
	s_mov_b64 s[4:5], -1
                                        ; implicit-def: $vgpr8
	s_branch .LBB185_2254
.LBB185_2244:
	s_or_saveexec_b64 s[24:25], s[24:25]
	v_mov_b32_e32 v8, 0x7f800001
	s_xor_b64 exec, exec, s[24:25]
	s_cbranch_execz .LBB185_2227
.LBB185_2245:
	v_cmp_ne_u16_e32 vcc, 0, v11
	s_andn2_b64 s[22:23], s[22:23], exec
	s_and_b64 s[26:27], vcc, exec
	v_mov_b32_e32 v8, 0
	s_or_b64 s[22:23], s[22:23], s[26:27]
	s_or_b64 exec, exec, s[24:25]
	s_and_saveexec_b64 s[24:25], s[22:23]
	s_cbranch_execnz .LBB185_2228
	s_branch .LBB185_2229
.LBB185_2246:
	s_mov_b64 s[4:5], -1
                                        ; implicit-def: $vgpr8
	s_branch .LBB185_2251
.LBB185_2247:
	s_mov_b64 s[4:5], -1
                                        ; implicit-def: $vgpr8
.LBB185_2248:
	s_and_b64 vcc, exec, s[4:5]
	s_cbranch_vccz .LBB185_2250
; %bb.2249:
	global_load_ubyte v8, v[0:1], off
	s_mov_b32 s4, 0x7f800000
	s_waitcnt vmcnt(0)
	v_lshlrev_b32_e32 v8, 24, v8
	v_and_b32_e32 v11, 0x7f000000, v8
	v_ffbh_u32_e32 v12, v11
	v_min_u32_e32 v12, 32, v12
	v_sub_u32_e64 v12, v12, 4 clamp
	v_lshlrev_b32_e32 v14, v12, v11
	v_lshlrev_b32_e32 v12, 23, v12
	v_lshrrev_b32_e32 v14, 4, v14
	v_add_u32_e32 v13, 0x1000000, v11
	v_sub_u32_e32 v12, v14, v12
	v_ashrrev_i32_e32 v13, 8, v13
	v_add_u32_e32 v12, 0x3c000000, v12
	v_and_or_b32 v12, v13, s4, v12
	v_cmp_ne_u32_e32 vcc, 0, v11
	v_cndmask_b32_e32 v11, 0, v12, vcc
	s_brev_b32 s4, 1
	v_and_or_b32 v8, v8, s4, v11
.LBB185_2250:
	s_mov_b64 s[4:5], 0
.LBB185_2251:
	s_andn2_b64 vcc, exec, s[4:5]
	s_cbranch_vccnz .LBB185_2253
; %bb.2252:
	global_load_ubyte v8, v[0:1], off
	s_movk_i32 s4, 0x7f00
	s_brev_b32 s5, 16
	s_waitcnt vmcnt(0)
	v_lshlrev_b16_e32 v11, 8, v8
	v_lshlrev_b32_e32 v8, 25, v8
	v_lshrrev_b32_e32 v12, 4, v8
	v_and_or_b32 v13, v11, s4, 0.5
	v_or_b32_e32 v12, 0x70000000, v12
	v_add_f32_e32 v13, -0.5, v13
	v_mul_f32_e32 v12, 0x7800000, v12
	v_cmp_gt_u32_e32 vcc, s5, v8
	v_bfe_i32 v11, v11, 0, 16
	v_cndmask_b32_e32 v8, v12, v13, vcc
	s_brev_b32 s4, 1
	v_and_or_b32 v8, v11, s4, v8
.LBB185_2253:
	s_mov_b64 s[4:5], 0
	s_mov_b64 s[22:23], -1
.LBB185_2254:
	s_andn2_b64 vcc, exec, s[4:5]
	s_mov_b64 s[4:5], 0
	s_cbranch_vccnz .LBB185_2265
; %bb.2255:
	s_cmp_gt_i32 s30, 14
	s_cbranch_scc0 .LBB185_2258
; %bb.2256:
	s_cmp_eq_u32 s30, 15
	s_cbranch_scc0 .LBB185_2261
; %bb.2257:
	global_load_ushort v8, v[0:1], off
	s_mov_b64 s[0:1], 0
	s_mov_b64 s[22:23], -1
	s_waitcnt vmcnt(0)
	v_lshlrev_b32_e32 v8, 16, v8
	s_branch .LBB185_2262
.LBB185_2258:
	s_mov_b64 s[24:25], -1
                                        ; implicit-def: $vgpr8
	s_branch .LBB185_2263
.LBB185_2259:
	s_or_saveexec_b64 s[22:23], s[22:23]
	v_mov_b32_e32 v8, 0x7f800001
	s_xor_b64 exec, exec, s[22:23]
	s_cbranch_execz .LBB185_2240
.LBB185_2260:
	v_cmp_ne_u16_e32 vcc, 0, v11
	s_andn2_b64 s[4:5], s[4:5], exec
	s_and_b64 s[24:25], vcc, exec
	v_mov_b32_e32 v8, 0
	s_or_b64 s[4:5], s[4:5], s[24:25]
	s_or_b64 exec, exec, s[22:23]
	s_and_saveexec_b64 s[22:23], s[4:5]
	s_cbranch_execnz .LBB185_2241
	s_branch .LBB185_2242
.LBB185_2261:
	s_mov_b64 s[0:1], -1
                                        ; implicit-def: $vgpr8
.LBB185_2262:
	s_mov_b64 s[24:25], 0
.LBB185_2263:
	s_and_b64 vcc, exec, s[24:25]
	s_cbranch_vccz .LBB185_2265
; %bb.2264:
	s_cmp_lg_u32 s30, 11
	s_mov_b64 s[4:5], -1
	s_cselect_b64 s[0:1], -1, 0
.LBB185_2265:
	s_and_b64 vcc, exec, s[0:1]
	s_cbranch_vccnz .LBB185_2330
; %bb.2266:
	s_andn2_b64 vcc, exec, s[4:5]
	s_cbranch_vccnz .LBB185_2268
.LBB185_2267:
	global_load_ubyte v8, v[0:1], off
	s_mov_b64 s[22:23], -1
	s_waitcnt vmcnt(0)
	v_cmp_ne_u16_e32 vcc, 0, v8
	v_cndmask_b32_e64 v8, 0, 1.0, vcc
.LBB185_2268:
	s_mov_b64 s[0:1], 0
.LBB185_2269:
	s_and_b64 vcc, exec, s[0:1]
	s_cbranch_vccz .LBB185_2318
; %bb.2270:
	s_and_b32 s4, 0xffff, s29
	s_cmp_lt_i32 s4, 5
	s_cbranch_scc1 .LBB185_2275
; %bb.2271:
	s_cmp_lt_i32 s4, 8
	s_cbranch_scc1 .LBB185_2276
; %bb.2272:
	;; [unrolled: 3-line block ×3, first 2 shown]
	s_cmp_gt_i32 s4, 9
	s_cbranch_scc0 .LBB185_2278
; %bb.2274:
	global_load_dwordx2 v[11:12], v[0:1], off
	s_mov_b64 s[0:1], 0
	s_waitcnt vmcnt(0)
	v_cvt_f32_f64_e32 v8, v[11:12]
	s_branch .LBB185_2279
.LBB185_2275:
	s_mov_b64 s[0:1], -1
                                        ; implicit-def: $vgpr8
	s_branch .LBB185_2297
.LBB185_2276:
	s_mov_b64 s[0:1], -1
                                        ; implicit-def: $vgpr8
	s_branch .LBB185_2285
.LBB185_2277:
	s_mov_b64 s[0:1], -1
                                        ; implicit-def: $vgpr8
	s_branch .LBB185_2282
.LBB185_2278:
	s_mov_b64 s[0:1], -1
                                        ; implicit-def: $vgpr8
.LBB185_2279:
	s_andn2_b64 vcc, exec, s[0:1]
	s_cbranch_vccnz .LBB185_2281
; %bb.2280:
	global_load_dword v8, v[0:1], off
.LBB185_2281:
	s_mov_b64 s[0:1], 0
.LBB185_2282:
	s_andn2_b64 vcc, exec, s[0:1]
	s_cbranch_vccnz .LBB185_2284
; %bb.2283:
	global_load_dword v8, v[0:1], off
	s_waitcnt vmcnt(0)
	v_cvt_f32_f16_e32 v8, v8
.LBB185_2284:
	s_mov_b64 s[0:1], 0
.LBB185_2285:
	s_andn2_b64 vcc, exec, s[0:1]
	s_cbranch_vccnz .LBB185_2296
; %bb.2286:
	s_cmp_lt_i32 s4, 6
	s_cbranch_scc1 .LBB185_2289
; %bb.2287:
	s_cmp_gt_i32 s4, 6
	s_cbranch_scc0 .LBB185_2290
; %bb.2288:
	global_load_dwordx2 v[11:12], v[0:1], off
	s_mov_b64 s[0:1], 0
	s_waitcnt vmcnt(0)
	v_cvt_f32_f64_e32 v8, v[11:12]
	s_branch .LBB185_2291
.LBB185_2289:
	s_mov_b64 s[0:1], -1
                                        ; implicit-def: $vgpr8
	s_branch .LBB185_2294
.LBB185_2290:
	s_mov_b64 s[0:1], -1
                                        ; implicit-def: $vgpr8
.LBB185_2291:
	s_andn2_b64 vcc, exec, s[0:1]
	s_cbranch_vccnz .LBB185_2293
; %bb.2292:
	global_load_dword v8, v[0:1], off
.LBB185_2293:
	s_mov_b64 s[0:1], 0
.LBB185_2294:
	s_andn2_b64 vcc, exec, s[0:1]
	s_cbranch_vccnz .LBB185_2296
; %bb.2295:
	global_load_ushort v8, v[0:1], off
	s_waitcnt vmcnt(0)
	v_cvt_f32_f16_e32 v8, v8
.LBB185_2296:
	s_mov_b64 s[0:1], 0
.LBB185_2297:
	s_andn2_b64 vcc, exec, s[0:1]
	s_cbranch_vccnz .LBB185_2317
; %bb.2298:
	s_cmp_lt_i32 s4, 2
	s_cbranch_scc1 .LBB185_2302
; %bb.2299:
	s_cmp_lt_i32 s4, 3
	s_cbranch_scc1 .LBB185_2303
; %bb.2300:
	s_cmp_gt_i32 s4, 3
	s_cbranch_scc0 .LBB185_2304
; %bb.2301:
	global_load_dwordx2 v[11:12], v[0:1], off
	s_mov_b64 s[0:1], 0
	s_waitcnt vmcnt(0)
	v_xor_b32_e32 v13, v11, v12
	v_ffbh_i32_e32 v8, v12
	v_ashrrev_i32_e32 v13, 31, v13
	v_add_u32_e32 v8, -1, v8
	v_add_u32_e32 v13, 32, v13
	v_min_u32_e32 v8, v8, v13
	v_lshlrev_b64 v[11:12], v8, v[11:12]
	v_sub_u32_e32 v8, 32, v8
	v_min_u32_e32 v11, 1, v11
	v_or_b32_e32 v11, v12, v11
	v_cvt_f32_i32_e32 v11, v11
	v_ldexp_f32 v8, v11, v8
	s_branch .LBB185_2305
.LBB185_2302:
	s_mov_b64 s[0:1], -1
                                        ; implicit-def: $vgpr8
	s_branch .LBB185_2311
.LBB185_2303:
	s_mov_b64 s[0:1], -1
                                        ; implicit-def: $vgpr8
	s_branch .LBB185_2308
.LBB185_2304:
	s_mov_b64 s[0:1], -1
                                        ; implicit-def: $vgpr8
.LBB185_2305:
	s_andn2_b64 vcc, exec, s[0:1]
	s_cbranch_vccnz .LBB185_2307
; %bb.2306:
	global_load_dword v8, v[0:1], off
	s_waitcnt vmcnt(0)
	v_cvt_f32_i32_e32 v8, v8
.LBB185_2307:
	s_mov_b64 s[0:1], 0
.LBB185_2308:
	s_andn2_b64 vcc, exec, s[0:1]
	s_cbranch_vccnz .LBB185_2310
; %bb.2309:
	global_load_sshort v8, v[0:1], off
	s_waitcnt vmcnt(0)
	v_cvt_f32_i32_e32 v8, v8
.LBB185_2310:
	s_mov_b64 s[0:1], 0
.LBB185_2311:
	s_andn2_b64 vcc, exec, s[0:1]
	s_cbranch_vccnz .LBB185_2317
; %bb.2312:
	s_cmp_gt_i32 s4, 0
	s_cbranch_scc0 .LBB185_2314
; %bb.2313:
	global_load_sbyte v8, v[0:1], off
	s_mov_b64 s[0:1], 0
	s_waitcnt vmcnt(0)
	v_cvt_f32_i32_e32 v8, v8
	s_branch .LBB185_2315
.LBB185_2314:
	s_mov_b64 s[0:1], -1
                                        ; implicit-def: $vgpr8
.LBB185_2315:
	s_andn2_b64 vcc, exec, s[0:1]
	s_cbranch_vccnz .LBB185_2317
; %bb.2316:
	global_load_ubyte v0, v[0:1], off
	s_waitcnt vmcnt(0)
	v_cvt_f32_ubyte0_e32 v8, v0
.LBB185_2317:
	s_mov_b64 s[22:23], -1
.LBB185_2318:
	s_andn2_b64 vcc, exec, s[22:23]
	s_cbranch_vccnz .LBB185_3012
; %bb.2319:
	v_add_u32_e32 v0, s13, v9
	v_ashrrev_i32_e32 v1, 31, v0
	v_mov_b32_e32 v9, s11
	v_add_co_u32_e32 v0, vcc, s10, v0
	s_cmp_lt_i32 s28, 11
	v_addc_co_u32_e32 v1, vcc, v9, v1, vcc
	s_cbranch_scc1 .LBB185_2326
; %bb.2320:
	s_and_b32 s13, 0xffff, s28
	s_cmp_gt_i32 s13, 25
	s_mov_b64 s[4:5], 0
	s_cbranch_scc0 .LBB185_2327
; %bb.2321:
	s_cmp_gt_i32 s13, 28
	s_cbranch_scc0 .LBB185_2328
; %bb.2322:
	s_cmp_gt_i32 s13, 43
	;; [unrolled: 3-line block ×3, first 2 shown]
	s_cbranch_scc0 .LBB185_2331
; %bb.2324:
	s_cmp_eq_u32 s13, 46
	s_mov_b64 s[22:23], 0
	s_cbranch_scc0 .LBB185_2332
; %bb.2325:
	global_load_dword v9, v[0:1], off
	s_mov_b64 s[0:1], 0
	s_mov_b64 s[10:11], -1
	s_waitcnt vmcnt(0)
	v_lshlrev_b32_e32 v9, 16, v9
	s_branch .LBB185_2333
.LBB185_2326:
	s_mov_b64 s[0:1], -1
	s_mov_b64 s[10:11], 0
                                        ; implicit-def: $vgpr9
	s_branch .LBB185_2399
.LBB185_2327:
	s_mov_b64 s[22:23], -1
	s_mov_b64 s[10:11], 0
	s_mov_b64 s[0:1], 0
                                        ; implicit-def: $vgpr9
	s_branch .LBB185_2362
.LBB185_2328:
	s_mov_b64 s[22:23], -1
	s_mov_b64 s[10:11], 0
	s_mov_b64 s[0:1], 0
                                        ; implicit-def: $vgpr9
	s_branch .LBB185_2343
.LBB185_2329:
	s_mov_b64 s[22:23], -1
	s_mov_b64 s[10:11], 0
	s_mov_b64 s[0:1], 0
                                        ; implicit-def: $vgpr9
	s_branch .LBB185_2338
.LBB185_2330:
	s_trap 2
	s_or_b64 s[20:21], s[20:21], exec
	s_cbranch_execz .LBB185_2267
	s_branch .LBB185_2268
.LBB185_2331:
	s_mov_b64 s[22:23], -1
	s_mov_b64 s[10:11], 0
	s_mov_b64 s[0:1], 0
                                        ; implicit-def: $vgpr9
	s_branch .LBB185_2333
.LBB185_2332:
	s_mov_b64 s[0:1], -1
                                        ; implicit-def: $vgpr9
	s_mov_b64 s[10:11], 0
.LBB185_2333:
	s_and_b64 vcc, exec, s[22:23]
	s_cbranch_vccz .LBB185_2337
; %bb.2334:
	s_cmp_eq_u32 s13, 44
	s_cbranch_scc0 .LBB185_2336
; %bb.2335:
	global_load_ubyte v9, v[0:1], off
	s_movk_i32 s10, 0xff
	v_mov_b32_e32 v11, 0x7f800001
	v_mov_b32_e32 v12, 0x400000
	s_mov_b64 s[0:1], 0
	s_waitcnt vmcnt(0)
	v_lshlrev_b32_e32 v13, 23, v9
	v_cmp_ne_u32_e32 vcc, s10, v9
	v_cndmask_b32_e32 v11, v11, v13, vcc
	v_cmp_ne_u32_e32 vcc, 0, v9
	v_cndmask_b32_e32 v9, v12, v11, vcc
	s_mov_b64 s[10:11], -1
	s_branch .LBB185_2337
.LBB185_2336:
	s_mov_b64 s[0:1], -1
                                        ; implicit-def: $vgpr9
.LBB185_2337:
	s_mov_b64 s[22:23], 0
.LBB185_2338:
	s_and_b64 vcc, exec, s[22:23]
	s_cbranch_vccz .LBB185_2342
; %bb.2339:
	s_cmp_eq_u32 s13, 29
	s_cbranch_scc0 .LBB185_2341
; %bb.2340:
	global_load_dwordx2 v[11:12], v[0:1], off
	s_mov_b64 s[0:1], 0
	s_mov_b64 s[10:11], -1
	s_mov_b64 s[22:23], 0
	s_waitcnt vmcnt(0)
	v_ffbh_u32_e32 v9, v12
	v_min_u32_e32 v9, 32, v9
	v_lshlrev_b64 v[11:12], v9, v[11:12]
	v_sub_u32_e32 v9, 32, v9
	v_min_u32_e32 v11, 1, v11
	v_or_b32_e32 v11, v12, v11
	v_cvt_f32_u32_e32 v11, v11
	v_ldexp_f32 v9, v11, v9
	s_branch .LBB185_2343
.LBB185_2341:
	s_mov_b64 s[0:1], -1
                                        ; implicit-def: $vgpr9
.LBB185_2342:
	s_mov_b64 s[22:23], 0
.LBB185_2343:
	s_and_b64 vcc, exec, s[22:23]
	s_cbranch_vccz .LBB185_2361
; %bb.2344:
	s_cmp_lt_i32 s13, 27
	s_cbranch_scc1 .LBB185_2347
; %bb.2345:
	s_cmp_gt_i32 s13, 27
	s_cbranch_scc0 .LBB185_2348
; %bb.2346:
	global_load_dword v9, v[0:1], off
	s_mov_b64 s[10:11], 0
	s_waitcnt vmcnt(0)
	v_cvt_f32_u32_e32 v9, v9
	s_branch .LBB185_2349
.LBB185_2347:
	s_mov_b64 s[10:11], -1
                                        ; implicit-def: $vgpr9
	s_branch .LBB185_2352
.LBB185_2348:
	s_mov_b64 s[10:11], -1
                                        ; implicit-def: $vgpr9
.LBB185_2349:
	s_andn2_b64 vcc, exec, s[10:11]
	s_cbranch_vccnz .LBB185_2351
; %bb.2350:
	global_load_ushort v9, v[0:1], off
	s_waitcnt vmcnt(0)
	v_cvt_f32_u32_e32 v9, v9
.LBB185_2351:
	s_mov_b64 s[10:11], 0
.LBB185_2352:
	s_andn2_b64 vcc, exec, s[10:11]
	s_cbranch_vccnz .LBB185_2360
; %bb.2353:
	global_load_ubyte v11, v[0:1], off
	s_movk_i32 s10, 0x7f
	s_waitcnt vmcnt(0)
	v_cmp_lt_i16_e32 vcc, s10, v11
	s_mov_b64 s[10:11], 0
	s_and_saveexec_b64 s[22:23], vcc
	s_xor_b64 s[22:23], exec, s[22:23]
	s_cbranch_execz .LBB185_2374
; %bb.2354:
	s_movk_i32 s10, 0x80
	v_cmp_eq_u16_e32 vcc, s10, v11
	s_mov_b64 s[10:11], -1
	s_and_saveexec_b64 s[24:25], vcc
; %bb.2355:
	s_xor_b64 s[10:11], exec, -1
; %bb.2356:
	s_or_b64 exec, exec, s[24:25]
	s_and_b64 s[10:11], s[10:11], exec
	s_or_saveexec_b64 s[22:23], s[22:23]
	v_mov_b32_e32 v9, 0x7f800001
	s_xor_b64 exec, exec, s[22:23]
	s_cbranch_execnz .LBB185_2375
.LBB185_2357:
	s_or_b64 exec, exec, s[22:23]
	s_and_saveexec_b64 s[22:23], s[10:11]
	s_cbranch_execz .LBB185_2359
.LBB185_2358:
	v_lshlrev_b32_e32 v9, 24, v11
	v_and_b32_e32 v11, 0xffff, v11
	v_and_b32_e32 v12, 7, v11
	v_ffbh_u32_e32 v14, v12
	v_min_u32_e32 v14, 32, v14
	v_subrev_u32_e32 v15, 28, v14
	v_bfe_u32 v13, v11, 3, 4
	v_lshlrev_b32_e32 v11, v15, v11
	v_sub_u32_e32 v14, 29, v14
	v_and_b32_e32 v11, 7, v11
	v_cmp_eq_u32_e32 vcc, 0, v13
	v_cndmask_b32_e32 v13, v13, v14, vcc
	v_cndmask_b32_e32 v11, v12, v11, vcc
	v_mov_b32_e32 v12, 0x3b800000
	v_lshlrev_b32_e32 v11, 20, v11
	v_and_b32_e32 v9, 0x80000000, v9
	v_lshl_add_u32 v12, v13, 23, v12
	v_or3_b32 v9, v9, v12, v11
.LBB185_2359:
	s_or_b64 exec, exec, s[22:23]
.LBB185_2360:
	s_mov_b64 s[10:11], -1
.LBB185_2361:
	s_mov_b64 s[22:23], 0
.LBB185_2362:
	s_and_b64 vcc, exec, s[22:23]
	s_cbranch_vccz .LBB185_2395
; %bb.2363:
	s_cmp_gt_i32 s13, 22
	s_cbranch_scc0 .LBB185_2373
; %bb.2364:
	s_cmp_lt_i32 s13, 24
	s_cbranch_scc1 .LBB185_2376
; %bb.2365:
	s_cmp_gt_i32 s13, 24
	s_cbranch_scc0 .LBB185_2377
; %bb.2366:
	global_load_ubyte v11, v[0:1], off
	s_movk_i32 s4, 0x7f
	s_waitcnt vmcnt(0)
	v_cmp_lt_i16_e32 vcc, s4, v11
	s_mov_b64 s[4:5], 0
	s_and_saveexec_b64 s[10:11], vcc
	s_xor_b64 s[10:11], exec, s[10:11]
	s_cbranch_execz .LBB185_2389
; %bb.2367:
	s_movk_i32 s4, 0x80
	v_cmp_eq_u16_e32 vcc, s4, v11
	s_mov_b64 s[4:5], -1
	s_and_saveexec_b64 s[22:23], vcc
; %bb.2368:
	s_xor_b64 s[4:5], exec, -1
; %bb.2369:
	s_or_b64 exec, exec, s[22:23]
	s_and_b64 s[4:5], s[4:5], exec
	s_or_saveexec_b64 s[10:11], s[10:11]
	v_mov_b32_e32 v9, 0x7f800001
	s_xor_b64 exec, exec, s[10:11]
	s_cbranch_execnz .LBB185_2390
.LBB185_2370:
	s_or_b64 exec, exec, s[10:11]
	s_and_saveexec_b64 s[10:11], s[4:5]
	s_cbranch_execz .LBB185_2372
.LBB185_2371:
	v_lshlrev_b32_e32 v9, 24, v11
	v_and_b32_e32 v11, 0xffff, v11
	v_and_b32_e32 v12, 3, v11
	v_ffbh_u32_e32 v14, v12
	v_min_u32_e32 v14, 32, v14
	v_subrev_u32_e32 v15, 29, v14
	v_bfe_u32 v13, v11, 2, 5
	v_lshlrev_b32_e32 v11, v15, v11
	v_sub_u32_e32 v14, 30, v14
	v_and_b32_e32 v11, 3, v11
	v_cmp_eq_u32_e32 vcc, 0, v13
	v_cndmask_b32_e32 v13, v13, v14, vcc
	v_cndmask_b32_e32 v11, v12, v11, vcc
	v_mov_b32_e32 v12, 0x37800000
	v_lshlrev_b32_e32 v11, 21, v11
	v_and_b32_e32 v9, 0x80000000, v9
	v_lshl_add_u32 v12, v13, 23, v12
	v_or3_b32 v9, v9, v12, v11
.LBB185_2372:
	s_or_b64 exec, exec, s[10:11]
	s_mov_b64 s[4:5], 0
	s_branch .LBB185_2378
.LBB185_2373:
	s_mov_b64 s[4:5], -1
                                        ; implicit-def: $vgpr9
	s_branch .LBB185_2384
.LBB185_2374:
	s_or_saveexec_b64 s[22:23], s[22:23]
	v_mov_b32_e32 v9, 0x7f800001
	s_xor_b64 exec, exec, s[22:23]
	s_cbranch_execz .LBB185_2357
.LBB185_2375:
	v_cmp_ne_u16_e32 vcc, 0, v11
	s_andn2_b64 s[10:11], s[10:11], exec
	s_and_b64 s[24:25], vcc, exec
	v_mov_b32_e32 v9, 0
	s_or_b64 s[10:11], s[10:11], s[24:25]
	s_or_b64 exec, exec, s[22:23]
	s_and_saveexec_b64 s[22:23], s[10:11]
	s_cbranch_execnz .LBB185_2358
	s_branch .LBB185_2359
.LBB185_2376:
	s_mov_b64 s[4:5], -1
                                        ; implicit-def: $vgpr9
	s_branch .LBB185_2381
.LBB185_2377:
	s_mov_b64 s[4:5], -1
                                        ; implicit-def: $vgpr9
.LBB185_2378:
	s_and_b64 vcc, exec, s[4:5]
	s_cbranch_vccz .LBB185_2380
; %bb.2379:
	global_load_ubyte v9, v[0:1], off
	s_mov_b32 s4, 0x7f800000
	s_waitcnt vmcnt(0)
	v_lshlrev_b32_e32 v9, 24, v9
	v_and_b32_e32 v11, 0x7f000000, v9
	v_ffbh_u32_e32 v12, v11
	v_min_u32_e32 v12, 32, v12
	v_sub_u32_e64 v12, v12, 4 clamp
	v_lshlrev_b32_e32 v14, v12, v11
	v_lshlrev_b32_e32 v12, 23, v12
	v_lshrrev_b32_e32 v14, 4, v14
	v_add_u32_e32 v13, 0x1000000, v11
	v_sub_u32_e32 v12, v14, v12
	v_ashrrev_i32_e32 v13, 8, v13
	v_add_u32_e32 v12, 0x3c000000, v12
	v_and_or_b32 v12, v13, s4, v12
	v_cmp_ne_u32_e32 vcc, 0, v11
	v_cndmask_b32_e32 v11, 0, v12, vcc
	s_brev_b32 s4, 1
	v_and_or_b32 v9, v9, s4, v11
.LBB185_2380:
	s_mov_b64 s[4:5], 0
.LBB185_2381:
	s_andn2_b64 vcc, exec, s[4:5]
	s_cbranch_vccnz .LBB185_2383
; %bb.2382:
	global_load_ubyte v9, v[0:1], off
	s_movk_i32 s4, 0x7f00
	s_brev_b32 s5, 16
	s_waitcnt vmcnt(0)
	v_lshlrev_b16_e32 v11, 8, v9
	v_lshlrev_b32_e32 v9, 25, v9
	v_lshrrev_b32_e32 v12, 4, v9
	v_and_or_b32 v13, v11, s4, 0.5
	v_or_b32_e32 v12, 0x70000000, v12
	v_add_f32_e32 v13, -0.5, v13
	v_mul_f32_e32 v12, 0x7800000, v12
	v_cmp_gt_u32_e32 vcc, s5, v9
	v_bfe_i32 v11, v11, 0, 16
	v_cndmask_b32_e32 v9, v12, v13, vcc
	s_brev_b32 s4, 1
	v_and_or_b32 v9, v11, s4, v9
.LBB185_2383:
	s_mov_b64 s[4:5], 0
	s_mov_b64 s[10:11], -1
.LBB185_2384:
	s_andn2_b64 vcc, exec, s[4:5]
	s_mov_b64 s[4:5], 0
	s_cbranch_vccnz .LBB185_2395
; %bb.2385:
	s_cmp_gt_i32 s13, 14
	s_cbranch_scc0 .LBB185_2388
; %bb.2386:
	s_cmp_eq_u32 s13, 15
	s_cbranch_scc0 .LBB185_2391
; %bb.2387:
	global_load_ushort v9, v[0:1], off
	s_mov_b64 s[0:1], 0
	s_mov_b64 s[10:11], -1
	s_waitcnt vmcnt(0)
	v_lshlrev_b32_e32 v9, 16, v9
	s_branch .LBB185_2392
.LBB185_2388:
	s_mov_b64 s[22:23], -1
                                        ; implicit-def: $vgpr9
	s_branch .LBB185_2393
.LBB185_2389:
	s_or_saveexec_b64 s[10:11], s[10:11]
	v_mov_b32_e32 v9, 0x7f800001
	s_xor_b64 exec, exec, s[10:11]
	s_cbranch_execz .LBB185_2370
.LBB185_2390:
	v_cmp_ne_u16_e32 vcc, 0, v11
	s_andn2_b64 s[4:5], s[4:5], exec
	s_and_b64 s[22:23], vcc, exec
	v_mov_b32_e32 v9, 0
	s_or_b64 s[4:5], s[4:5], s[22:23]
	s_or_b64 exec, exec, s[10:11]
	s_and_saveexec_b64 s[10:11], s[4:5]
	s_cbranch_execnz .LBB185_2371
	s_branch .LBB185_2372
.LBB185_2391:
	s_mov_b64 s[0:1], -1
                                        ; implicit-def: $vgpr9
.LBB185_2392:
	s_mov_b64 s[22:23], 0
.LBB185_2393:
	s_and_b64 vcc, exec, s[22:23]
	s_cbranch_vccz .LBB185_2395
; %bb.2394:
	s_cmp_lg_u32 s13, 11
	s_mov_b64 s[4:5], -1
	s_cselect_b64 s[0:1], -1, 0
.LBB185_2395:
	s_and_b64 vcc, exec, s[0:1]
	s_cbranch_vccnz .LBB185_2460
; %bb.2396:
	s_andn2_b64 vcc, exec, s[4:5]
	s_cbranch_vccnz .LBB185_2398
.LBB185_2397:
	global_load_ubyte v9, v[0:1], off
	s_mov_b64 s[10:11], -1
	s_waitcnt vmcnt(0)
	v_cmp_ne_u16_e32 vcc, 0, v9
	v_cndmask_b32_e64 v9, 0, 1.0, vcc
.LBB185_2398:
	s_mov_b64 s[0:1], 0
.LBB185_2399:
	s_and_b64 vcc, exec, s[0:1]
	s_cbranch_vccz .LBB185_2448
; %bb.2400:
	s_and_b32 s4, 0xffff, s28
	s_cmp_lt_i32 s4, 5
	s_cbranch_scc1 .LBB185_2405
; %bb.2401:
	s_cmp_lt_i32 s4, 8
	s_cbranch_scc1 .LBB185_2406
; %bb.2402:
	;; [unrolled: 3-line block ×3, first 2 shown]
	s_cmp_gt_i32 s4, 9
	s_cbranch_scc0 .LBB185_2408
; %bb.2404:
	global_load_dwordx2 v[11:12], v[0:1], off
	s_mov_b64 s[0:1], 0
	s_waitcnt vmcnt(0)
	v_cvt_f32_f64_e32 v9, v[11:12]
	s_branch .LBB185_2409
.LBB185_2405:
	s_mov_b64 s[0:1], -1
                                        ; implicit-def: $vgpr9
	s_branch .LBB185_2427
.LBB185_2406:
	s_mov_b64 s[0:1], -1
                                        ; implicit-def: $vgpr9
	s_branch .LBB185_2415
.LBB185_2407:
	s_mov_b64 s[0:1], -1
                                        ; implicit-def: $vgpr9
	s_branch .LBB185_2412
.LBB185_2408:
	s_mov_b64 s[0:1], -1
                                        ; implicit-def: $vgpr9
.LBB185_2409:
	s_andn2_b64 vcc, exec, s[0:1]
	s_cbranch_vccnz .LBB185_2411
; %bb.2410:
	global_load_dword v9, v[0:1], off
.LBB185_2411:
	s_mov_b64 s[0:1], 0
.LBB185_2412:
	s_andn2_b64 vcc, exec, s[0:1]
	s_cbranch_vccnz .LBB185_2414
; %bb.2413:
	global_load_dword v9, v[0:1], off
	s_waitcnt vmcnt(0)
	v_cvt_f32_f16_e32 v9, v9
.LBB185_2414:
	s_mov_b64 s[0:1], 0
.LBB185_2415:
	s_andn2_b64 vcc, exec, s[0:1]
	s_cbranch_vccnz .LBB185_2426
; %bb.2416:
	s_cmp_lt_i32 s4, 6
	s_cbranch_scc1 .LBB185_2419
; %bb.2417:
	s_cmp_gt_i32 s4, 6
	s_cbranch_scc0 .LBB185_2420
; %bb.2418:
	global_load_dwordx2 v[11:12], v[0:1], off
	s_mov_b64 s[0:1], 0
	s_waitcnt vmcnt(0)
	v_cvt_f32_f64_e32 v9, v[11:12]
	s_branch .LBB185_2421
.LBB185_2419:
	s_mov_b64 s[0:1], -1
                                        ; implicit-def: $vgpr9
	s_branch .LBB185_2424
.LBB185_2420:
	s_mov_b64 s[0:1], -1
                                        ; implicit-def: $vgpr9
.LBB185_2421:
	s_andn2_b64 vcc, exec, s[0:1]
	s_cbranch_vccnz .LBB185_2423
; %bb.2422:
	global_load_dword v9, v[0:1], off
.LBB185_2423:
	s_mov_b64 s[0:1], 0
.LBB185_2424:
	s_andn2_b64 vcc, exec, s[0:1]
	s_cbranch_vccnz .LBB185_2426
; %bb.2425:
	global_load_ushort v9, v[0:1], off
	s_waitcnt vmcnt(0)
	v_cvt_f32_f16_e32 v9, v9
.LBB185_2426:
	s_mov_b64 s[0:1], 0
.LBB185_2427:
	s_andn2_b64 vcc, exec, s[0:1]
	s_cbranch_vccnz .LBB185_2447
; %bb.2428:
	s_cmp_lt_i32 s4, 2
	s_cbranch_scc1 .LBB185_2432
; %bb.2429:
	s_cmp_lt_i32 s4, 3
	s_cbranch_scc1 .LBB185_2433
; %bb.2430:
	s_cmp_gt_i32 s4, 3
	s_cbranch_scc0 .LBB185_2434
; %bb.2431:
	global_load_dwordx2 v[11:12], v[0:1], off
	s_mov_b64 s[0:1], 0
	s_waitcnt vmcnt(0)
	v_xor_b32_e32 v13, v11, v12
	v_ffbh_i32_e32 v9, v12
	v_ashrrev_i32_e32 v13, 31, v13
	v_add_u32_e32 v9, -1, v9
	v_add_u32_e32 v13, 32, v13
	v_min_u32_e32 v9, v9, v13
	v_lshlrev_b64 v[11:12], v9, v[11:12]
	v_sub_u32_e32 v9, 32, v9
	v_min_u32_e32 v11, 1, v11
	v_or_b32_e32 v11, v12, v11
	v_cvt_f32_i32_e32 v11, v11
	v_ldexp_f32 v9, v11, v9
	s_branch .LBB185_2435
.LBB185_2432:
	s_mov_b64 s[0:1], -1
                                        ; implicit-def: $vgpr9
	s_branch .LBB185_2441
.LBB185_2433:
	s_mov_b64 s[0:1], -1
                                        ; implicit-def: $vgpr9
	s_branch .LBB185_2438
.LBB185_2434:
	s_mov_b64 s[0:1], -1
                                        ; implicit-def: $vgpr9
.LBB185_2435:
	s_andn2_b64 vcc, exec, s[0:1]
	s_cbranch_vccnz .LBB185_2437
; %bb.2436:
	global_load_dword v9, v[0:1], off
	s_waitcnt vmcnt(0)
	v_cvt_f32_i32_e32 v9, v9
.LBB185_2437:
	s_mov_b64 s[0:1], 0
.LBB185_2438:
	s_andn2_b64 vcc, exec, s[0:1]
	s_cbranch_vccnz .LBB185_2440
; %bb.2439:
	global_load_sshort v9, v[0:1], off
	s_waitcnt vmcnt(0)
	v_cvt_f32_i32_e32 v9, v9
.LBB185_2440:
	s_mov_b64 s[0:1], 0
.LBB185_2441:
	s_andn2_b64 vcc, exec, s[0:1]
	s_cbranch_vccnz .LBB185_2447
; %bb.2442:
	s_cmp_gt_i32 s4, 0
	s_cbranch_scc0 .LBB185_2444
; %bb.2443:
	global_load_sbyte v9, v[0:1], off
	s_mov_b64 s[0:1], 0
	s_waitcnt vmcnt(0)
	v_cvt_f32_i32_e32 v9, v9
	s_branch .LBB185_2445
.LBB185_2444:
	s_mov_b64 s[0:1], -1
                                        ; implicit-def: $vgpr9
.LBB185_2445:
	s_andn2_b64 vcc, exec, s[0:1]
	s_cbranch_vccnz .LBB185_2447
; %bb.2446:
	global_load_ubyte v0, v[0:1], off
	s_waitcnt vmcnt(0)
	v_cvt_f32_ubyte0_e32 v9, v0
.LBB185_2447:
	s_mov_b64 s[10:11], -1
.LBB185_2448:
	s_andn2_b64 vcc, exec, s[10:11]
	s_cbranch_vccnz .LBB185_3012
; %bb.2449:
	v_add_u32_e32 v0, s14, v10
	v_ashrrev_i32_e32 v1, 31, v0
	v_mov_b32_e32 v10, s17
	v_add_co_u32_e32 v0, vcc, s16, v0
	s_cmp_lt_i32 s29, 11
	v_addc_co_u32_e32 v1, vcc, v10, v1, vcc
	s_cbranch_scc1 .LBB185_2456
; %bb.2450:
	s_and_b32 s13, 0xffff, s29
	s_cmp_gt_i32 s13, 25
	s_mov_b64 s[4:5], 0
	s_cbranch_scc0 .LBB185_2457
; %bb.2451:
	s_cmp_gt_i32 s13, 28
	s_cbranch_scc0 .LBB185_2458
; %bb.2452:
	s_cmp_gt_i32 s13, 43
	;; [unrolled: 3-line block ×3, first 2 shown]
	s_cbranch_scc0 .LBB185_2461
; %bb.2454:
	s_cmp_eq_u32 s13, 46
	s_mov_b64 s[16:17], 0
	s_cbranch_scc0 .LBB185_2462
; %bb.2455:
	global_load_dword v10, v[0:1], off
	s_mov_b64 s[0:1], 0
	s_mov_b64 s[10:11], -1
	s_waitcnt vmcnt(0)
	v_lshlrev_b32_e32 v10, 16, v10
	s_branch .LBB185_2463
.LBB185_2456:
	s_mov_b64 s[0:1], -1
	s_mov_b64 s[10:11], 0
                                        ; implicit-def: $vgpr10
	s_branch .LBB185_2529
.LBB185_2457:
	s_mov_b64 s[16:17], -1
	s_mov_b64 s[10:11], 0
	s_mov_b64 s[0:1], 0
                                        ; implicit-def: $vgpr10
	s_branch .LBB185_2492
.LBB185_2458:
	s_mov_b64 s[16:17], -1
	s_mov_b64 s[10:11], 0
	s_mov_b64 s[0:1], 0
                                        ; implicit-def: $vgpr10
	s_branch .LBB185_2473
.LBB185_2459:
	s_mov_b64 s[16:17], -1
	s_mov_b64 s[10:11], 0
	s_mov_b64 s[0:1], 0
                                        ; implicit-def: $vgpr10
	s_branch .LBB185_2468
.LBB185_2460:
	s_trap 2
	s_or_b64 s[20:21], s[20:21], exec
	s_cbranch_execz .LBB185_2397
	s_branch .LBB185_2398
.LBB185_2461:
	s_mov_b64 s[16:17], -1
	s_mov_b64 s[10:11], 0
	s_mov_b64 s[0:1], 0
                                        ; implicit-def: $vgpr10
	s_branch .LBB185_2463
.LBB185_2462:
	s_mov_b64 s[0:1], -1
                                        ; implicit-def: $vgpr10
	s_mov_b64 s[10:11], 0
.LBB185_2463:
	s_and_b64 vcc, exec, s[16:17]
	s_cbranch_vccz .LBB185_2467
; %bb.2464:
	s_cmp_eq_u32 s13, 44
	s_cbranch_scc0 .LBB185_2466
; %bb.2465:
	global_load_ubyte v10, v[0:1], off
	s_movk_i32 s10, 0xff
	v_mov_b32_e32 v11, 0x7f800001
	v_mov_b32_e32 v12, 0x400000
	s_mov_b64 s[0:1], 0
	s_waitcnt vmcnt(0)
	v_lshlrev_b32_e32 v13, 23, v10
	v_cmp_ne_u32_e32 vcc, s10, v10
	v_cndmask_b32_e32 v11, v11, v13, vcc
	v_cmp_ne_u32_e32 vcc, 0, v10
	v_cndmask_b32_e32 v10, v12, v11, vcc
	s_mov_b64 s[10:11], -1
	s_branch .LBB185_2467
.LBB185_2466:
	s_mov_b64 s[0:1], -1
                                        ; implicit-def: $vgpr10
.LBB185_2467:
	s_mov_b64 s[16:17], 0
.LBB185_2468:
	s_and_b64 vcc, exec, s[16:17]
	s_cbranch_vccz .LBB185_2472
; %bb.2469:
	s_cmp_eq_u32 s13, 29
	s_cbranch_scc0 .LBB185_2471
; %bb.2470:
	global_load_dwordx2 v[10:11], v[0:1], off
	s_mov_b64 s[0:1], 0
	s_mov_b64 s[10:11], -1
	s_mov_b64 s[16:17], 0
	s_waitcnt vmcnt(0)
	v_ffbh_u32_e32 v12, v11
	v_min_u32_e32 v12, 32, v12
	v_lshlrev_b64 v[10:11], v12, v[10:11]
	v_min_u32_e32 v10, 1, v10
	v_or_b32_e32 v10, v11, v10
	v_cvt_f32_u32_e32 v10, v10
	v_sub_u32_e32 v11, 32, v12
	v_ldexp_f32 v10, v10, v11
	s_branch .LBB185_2473
.LBB185_2471:
	s_mov_b64 s[0:1], -1
                                        ; implicit-def: $vgpr10
.LBB185_2472:
	s_mov_b64 s[16:17], 0
.LBB185_2473:
	s_and_b64 vcc, exec, s[16:17]
	s_cbranch_vccz .LBB185_2491
; %bb.2474:
	s_cmp_lt_i32 s13, 27
	s_cbranch_scc1 .LBB185_2477
; %bb.2475:
	s_cmp_gt_i32 s13, 27
	s_cbranch_scc0 .LBB185_2478
; %bb.2476:
	global_load_dword v10, v[0:1], off
	s_mov_b64 s[10:11], 0
	s_waitcnt vmcnt(0)
	v_cvt_f32_u32_e32 v10, v10
	s_branch .LBB185_2479
.LBB185_2477:
	s_mov_b64 s[10:11], -1
                                        ; implicit-def: $vgpr10
	s_branch .LBB185_2482
.LBB185_2478:
	s_mov_b64 s[10:11], -1
                                        ; implicit-def: $vgpr10
.LBB185_2479:
	s_andn2_b64 vcc, exec, s[10:11]
	s_cbranch_vccnz .LBB185_2481
; %bb.2480:
	global_load_ushort v10, v[0:1], off
	s_waitcnt vmcnt(0)
	v_cvt_f32_u32_e32 v10, v10
.LBB185_2481:
	s_mov_b64 s[10:11], 0
.LBB185_2482:
	s_andn2_b64 vcc, exec, s[10:11]
	s_cbranch_vccnz .LBB185_2490
; %bb.2483:
	global_load_ubyte v11, v[0:1], off
	s_movk_i32 s10, 0x7f
	s_waitcnt vmcnt(0)
	v_cmp_lt_i16_e32 vcc, s10, v11
	s_mov_b64 s[10:11], 0
	s_and_saveexec_b64 s[16:17], vcc
	s_xor_b64 s[16:17], exec, s[16:17]
	s_cbranch_execz .LBB185_2504
; %bb.2484:
	s_movk_i32 s10, 0x80
	v_cmp_eq_u16_e32 vcc, s10, v11
	s_mov_b64 s[10:11], -1
	s_and_saveexec_b64 s[22:23], vcc
; %bb.2485:
	s_xor_b64 s[10:11], exec, -1
; %bb.2486:
	s_or_b64 exec, exec, s[22:23]
	s_and_b64 s[10:11], s[10:11], exec
	s_or_saveexec_b64 s[16:17], s[16:17]
	v_mov_b32_e32 v10, 0x7f800001
	s_xor_b64 exec, exec, s[16:17]
	s_cbranch_execnz .LBB185_2505
.LBB185_2487:
	s_or_b64 exec, exec, s[16:17]
	s_and_saveexec_b64 s[16:17], s[10:11]
	s_cbranch_execz .LBB185_2489
.LBB185_2488:
	v_lshlrev_b32_e32 v10, 24, v11
	v_and_b32_e32 v11, 0xffff, v11
	v_and_b32_e32 v12, 7, v11
	v_ffbh_u32_e32 v14, v12
	v_min_u32_e32 v14, 32, v14
	v_subrev_u32_e32 v15, 28, v14
	v_bfe_u32 v13, v11, 3, 4
	v_lshlrev_b32_e32 v11, v15, v11
	v_sub_u32_e32 v14, 29, v14
	v_and_b32_e32 v11, 7, v11
	v_cmp_eq_u32_e32 vcc, 0, v13
	v_cndmask_b32_e32 v13, v13, v14, vcc
	v_cndmask_b32_e32 v11, v12, v11, vcc
	v_mov_b32_e32 v12, 0x3b800000
	v_lshlrev_b32_e32 v11, 20, v11
	v_and_b32_e32 v10, 0x80000000, v10
	v_lshl_add_u32 v12, v13, 23, v12
	v_or3_b32 v10, v10, v12, v11
.LBB185_2489:
	s_or_b64 exec, exec, s[16:17]
.LBB185_2490:
	s_mov_b64 s[10:11], -1
.LBB185_2491:
	s_mov_b64 s[16:17], 0
.LBB185_2492:
	s_and_b64 vcc, exec, s[16:17]
	s_cbranch_vccz .LBB185_2525
; %bb.2493:
	s_cmp_gt_i32 s13, 22
	s_cbranch_scc0 .LBB185_2503
; %bb.2494:
	s_cmp_lt_i32 s13, 24
	s_cbranch_scc1 .LBB185_2506
; %bb.2495:
	s_cmp_gt_i32 s13, 24
	s_cbranch_scc0 .LBB185_2507
; %bb.2496:
	global_load_ubyte v11, v[0:1], off
	s_movk_i32 s4, 0x7f
	s_waitcnt vmcnt(0)
	v_cmp_lt_i16_e32 vcc, s4, v11
	s_mov_b64 s[4:5], 0
	s_and_saveexec_b64 s[10:11], vcc
	s_xor_b64 s[10:11], exec, s[10:11]
	s_cbranch_execz .LBB185_2519
; %bb.2497:
	s_movk_i32 s4, 0x80
	v_cmp_eq_u16_e32 vcc, s4, v11
	s_mov_b64 s[4:5], -1
	s_and_saveexec_b64 s[16:17], vcc
; %bb.2498:
	s_xor_b64 s[4:5], exec, -1
; %bb.2499:
	s_or_b64 exec, exec, s[16:17]
	s_and_b64 s[4:5], s[4:5], exec
	s_or_saveexec_b64 s[10:11], s[10:11]
	v_mov_b32_e32 v10, 0x7f800001
	s_xor_b64 exec, exec, s[10:11]
	s_cbranch_execnz .LBB185_2520
.LBB185_2500:
	s_or_b64 exec, exec, s[10:11]
	s_and_saveexec_b64 s[10:11], s[4:5]
	s_cbranch_execz .LBB185_2502
.LBB185_2501:
	v_lshlrev_b32_e32 v10, 24, v11
	v_and_b32_e32 v11, 0xffff, v11
	v_and_b32_e32 v12, 3, v11
	v_ffbh_u32_e32 v14, v12
	v_min_u32_e32 v14, 32, v14
	v_subrev_u32_e32 v15, 29, v14
	v_bfe_u32 v13, v11, 2, 5
	v_lshlrev_b32_e32 v11, v15, v11
	v_sub_u32_e32 v14, 30, v14
	v_and_b32_e32 v11, 3, v11
	v_cmp_eq_u32_e32 vcc, 0, v13
	v_cndmask_b32_e32 v13, v13, v14, vcc
	v_cndmask_b32_e32 v11, v12, v11, vcc
	v_mov_b32_e32 v12, 0x37800000
	v_lshlrev_b32_e32 v11, 21, v11
	v_and_b32_e32 v10, 0x80000000, v10
	v_lshl_add_u32 v12, v13, 23, v12
	v_or3_b32 v10, v10, v12, v11
.LBB185_2502:
	s_or_b64 exec, exec, s[10:11]
	s_mov_b64 s[4:5], 0
	s_branch .LBB185_2508
.LBB185_2503:
	s_mov_b64 s[4:5], -1
                                        ; implicit-def: $vgpr10
	s_branch .LBB185_2514
.LBB185_2504:
	s_or_saveexec_b64 s[16:17], s[16:17]
	v_mov_b32_e32 v10, 0x7f800001
	s_xor_b64 exec, exec, s[16:17]
	s_cbranch_execz .LBB185_2487
.LBB185_2505:
	v_cmp_ne_u16_e32 vcc, 0, v11
	s_andn2_b64 s[10:11], s[10:11], exec
	s_and_b64 s[22:23], vcc, exec
	v_mov_b32_e32 v10, 0
	s_or_b64 s[10:11], s[10:11], s[22:23]
	s_or_b64 exec, exec, s[16:17]
	s_and_saveexec_b64 s[16:17], s[10:11]
	s_cbranch_execnz .LBB185_2488
	s_branch .LBB185_2489
.LBB185_2506:
	s_mov_b64 s[4:5], -1
                                        ; implicit-def: $vgpr10
	s_branch .LBB185_2511
.LBB185_2507:
	s_mov_b64 s[4:5], -1
                                        ; implicit-def: $vgpr10
.LBB185_2508:
	s_and_b64 vcc, exec, s[4:5]
	s_cbranch_vccz .LBB185_2510
; %bb.2509:
	global_load_ubyte v10, v[0:1], off
	s_mov_b32 s4, 0x7f800000
	s_waitcnt vmcnt(0)
	v_lshlrev_b32_e32 v10, 24, v10
	v_and_b32_e32 v11, 0x7f000000, v10
	v_ffbh_u32_e32 v12, v11
	v_min_u32_e32 v12, 32, v12
	v_sub_u32_e64 v12, v12, 4 clamp
	v_lshlrev_b32_e32 v14, v12, v11
	v_lshlrev_b32_e32 v12, 23, v12
	v_lshrrev_b32_e32 v14, 4, v14
	v_add_u32_e32 v13, 0x1000000, v11
	v_sub_u32_e32 v12, v14, v12
	v_ashrrev_i32_e32 v13, 8, v13
	v_add_u32_e32 v12, 0x3c000000, v12
	v_and_or_b32 v12, v13, s4, v12
	v_cmp_ne_u32_e32 vcc, 0, v11
	v_cndmask_b32_e32 v11, 0, v12, vcc
	s_brev_b32 s4, 1
	v_and_or_b32 v10, v10, s4, v11
.LBB185_2510:
	s_mov_b64 s[4:5], 0
.LBB185_2511:
	s_andn2_b64 vcc, exec, s[4:5]
	s_cbranch_vccnz .LBB185_2513
; %bb.2512:
	global_load_ubyte v10, v[0:1], off
	s_movk_i32 s4, 0x7f00
	s_brev_b32 s5, 16
	s_waitcnt vmcnt(0)
	v_lshlrev_b16_e32 v11, 8, v10
	v_lshlrev_b32_e32 v10, 25, v10
	v_lshrrev_b32_e32 v12, 4, v10
	v_and_or_b32 v13, v11, s4, 0.5
	v_or_b32_e32 v12, 0x70000000, v12
	v_add_f32_e32 v13, -0.5, v13
	v_mul_f32_e32 v12, 0x7800000, v12
	v_cmp_gt_u32_e32 vcc, s5, v10
	v_bfe_i32 v11, v11, 0, 16
	v_cndmask_b32_e32 v10, v12, v13, vcc
	s_brev_b32 s4, 1
	v_and_or_b32 v10, v11, s4, v10
.LBB185_2513:
	s_mov_b64 s[4:5], 0
	s_mov_b64 s[10:11], -1
.LBB185_2514:
	s_andn2_b64 vcc, exec, s[4:5]
	s_mov_b64 s[4:5], 0
	s_cbranch_vccnz .LBB185_2525
; %bb.2515:
	s_cmp_gt_i32 s13, 14
	s_cbranch_scc0 .LBB185_2518
; %bb.2516:
	s_cmp_eq_u32 s13, 15
	s_cbranch_scc0 .LBB185_2521
; %bb.2517:
	global_load_ushort v10, v[0:1], off
	s_mov_b64 s[0:1], 0
	s_mov_b64 s[10:11], -1
	s_waitcnt vmcnt(0)
	v_lshlrev_b32_e32 v10, 16, v10
	s_branch .LBB185_2522
.LBB185_2518:
	s_mov_b64 s[16:17], -1
                                        ; implicit-def: $vgpr10
	s_branch .LBB185_2523
.LBB185_2519:
	s_or_saveexec_b64 s[10:11], s[10:11]
	v_mov_b32_e32 v10, 0x7f800001
	s_xor_b64 exec, exec, s[10:11]
	s_cbranch_execz .LBB185_2500
.LBB185_2520:
	v_cmp_ne_u16_e32 vcc, 0, v11
	s_andn2_b64 s[4:5], s[4:5], exec
	s_and_b64 s[16:17], vcc, exec
	v_mov_b32_e32 v10, 0
	s_or_b64 s[4:5], s[4:5], s[16:17]
	s_or_b64 exec, exec, s[10:11]
	s_and_saveexec_b64 s[10:11], s[4:5]
	s_cbranch_execnz .LBB185_2501
	s_branch .LBB185_2502
.LBB185_2521:
	s_mov_b64 s[0:1], -1
                                        ; implicit-def: $vgpr10
.LBB185_2522:
	s_mov_b64 s[16:17], 0
.LBB185_2523:
	s_and_b64 vcc, exec, s[16:17]
	s_cbranch_vccz .LBB185_2525
; %bb.2524:
	s_cmp_lg_u32 s13, 11
	s_mov_b64 s[4:5], -1
	s_cselect_b64 s[0:1], -1, 0
.LBB185_2525:
	s_and_b64 vcc, exec, s[0:1]
	s_cbranch_vccnz .LBB185_3058
; %bb.2526:
	s_andn2_b64 vcc, exec, s[4:5]
	s_cbranch_vccnz .LBB185_2528
.LBB185_2527:
	global_load_ubyte v10, v[0:1], off
	s_mov_b64 s[10:11], -1
	s_waitcnt vmcnt(0)
	v_cmp_ne_u16_e32 vcc, 0, v10
	v_cndmask_b32_e64 v10, 0, 1.0, vcc
.LBB185_2528:
	s_mov_b64 s[0:1], 0
.LBB185_2529:
	s_and_b64 vcc, exec, s[0:1]
	s_cbranch_vccz .LBB185_2578
; %bb.2530:
	s_and_b32 s4, 0xffff, s29
	s_cmp_lt_i32 s4, 5
	s_cbranch_scc1 .LBB185_2535
; %bb.2531:
	s_cmp_lt_i32 s4, 8
	s_cbranch_scc1 .LBB185_2536
; %bb.2532:
	;; [unrolled: 3-line block ×3, first 2 shown]
	s_cmp_gt_i32 s4, 9
	s_cbranch_scc0 .LBB185_2538
; %bb.2534:
	global_load_dwordx2 v[10:11], v[0:1], off
	s_mov_b64 s[0:1], 0
	s_waitcnt vmcnt(0)
	v_cvt_f32_f64_e32 v10, v[10:11]
	s_branch .LBB185_2539
.LBB185_2535:
	s_mov_b64 s[0:1], -1
                                        ; implicit-def: $vgpr10
	s_branch .LBB185_2557
.LBB185_2536:
	s_mov_b64 s[0:1], -1
                                        ; implicit-def: $vgpr10
	s_branch .LBB185_2545
.LBB185_2537:
	s_mov_b64 s[0:1], -1
                                        ; implicit-def: $vgpr10
	s_branch .LBB185_2542
.LBB185_2538:
	s_mov_b64 s[0:1], -1
                                        ; implicit-def: $vgpr10
.LBB185_2539:
	s_andn2_b64 vcc, exec, s[0:1]
	s_cbranch_vccnz .LBB185_2541
; %bb.2540:
	global_load_dword v10, v[0:1], off
.LBB185_2541:
	s_mov_b64 s[0:1], 0
.LBB185_2542:
	s_andn2_b64 vcc, exec, s[0:1]
	s_cbranch_vccnz .LBB185_2544
; %bb.2543:
	global_load_dword v10, v[0:1], off
	s_waitcnt vmcnt(0)
	v_cvt_f32_f16_e32 v10, v10
.LBB185_2544:
	s_mov_b64 s[0:1], 0
.LBB185_2545:
	s_andn2_b64 vcc, exec, s[0:1]
	s_cbranch_vccnz .LBB185_2556
; %bb.2546:
	s_cmp_lt_i32 s4, 6
	s_cbranch_scc1 .LBB185_2549
; %bb.2547:
	s_cmp_gt_i32 s4, 6
	s_cbranch_scc0 .LBB185_2550
; %bb.2548:
	global_load_dwordx2 v[10:11], v[0:1], off
	s_mov_b64 s[0:1], 0
	s_waitcnt vmcnt(0)
	v_cvt_f32_f64_e32 v10, v[10:11]
	s_branch .LBB185_2551
.LBB185_2549:
	s_mov_b64 s[0:1], -1
                                        ; implicit-def: $vgpr10
	s_branch .LBB185_2554
.LBB185_2550:
	s_mov_b64 s[0:1], -1
                                        ; implicit-def: $vgpr10
.LBB185_2551:
	s_andn2_b64 vcc, exec, s[0:1]
	s_cbranch_vccnz .LBB185_2553
; %bb.2552:
	global_load_dword v10, v[0:1], off
.LBB185_2553:
	s_mov_b64 s[0:1], 0
.LBB185_2554:
	s_andn2_b64 vcc, exec, s[0:1]
	s_cbranch_vccnz .LBB185_2556
; %bb.2555:
	global_load_ushort v10, v[0:1], off
	s_waitcnt vmcnt(0)
	v_cvt_f32_f16_e32 v10, v10
.LBB185_2556:
	s_mov_b64 s[0:1], 0
.LBB185_2557:
	s_andn2_b64 vcc, exec, s[0:1]
	s_cbranch_vccnz .LBB185_2577
; %bb.2558:
	s_cmp_lt_i32 s4, 2
	s_cbranch_scc1 .LBB185_2562
; %bb.2559:
	s_cmp_lt_i32 s4, 3
	s_cbranch_scc1 .LBB185_2563
; %bb.2560:
	s_cmp_gt_i32 s4, 3
	s_cbranch_scc0 .LBB185_2564
; %bb.2561:
	global_load_dwordx2 v[10:11], v[0:1], off
	s_mov_b64 s[0:1], 0
	s_waitcnt vmcnt(0)
	v_xor_b32_e32 v13, v10, v11
	v_ffbh_i32_e32 v12, v11
	v_ashrrev_i32_e32 v13, 31, v13
	v_add_u32_e32 v12, -1, v12
	v_add_u32_e32 v13, 32, v13
	v_min_u32_e32 v12, v12, v13
	v_lshlrev_b64 v[10:11], v12, v[10:11]
	v_min_u32_e32 v10, 1, v10
	v_or_b32_e32 v10, v11, v10
	v_cvt_f32_i32_e32 v10, v10
	v_sub_u32_e32 v11, 32, v12
	v_ldexp_f32 v10, v10, v11
	s_branch .LBB185_2565
.LBB185_2562:
	s_mov_b64 s[0:1], -1
                                        ; implicit-def: $vgpr10
	s_branch .LBB185_2571
.LBB185_2563:
	s_mov_b64 s[0:1], -1
                                        ; implicit-def: $vgpr10
	s_branch .LBB185_2568
.LBB185_2564:
	s_mov_b64 s[0:1], -1
                                        ; implicit-def: $vgpr10
.LBB185_2565:
	s_andn2_b64 vcc, exec, s[0:1]
	s_cbranch_vccnz .LBB185_2567
; %bb.2566:
	global_load_dword v10, v[0:1], off
	s_waitcnt vmcnt(0)
	v_cvt_f32_i32_e32 v10, v10
.LBB185_2567:
	s_mov_b64 s[0:1], 0
.LBB185_2568:
	s_andn2_b64 vcc, exec, s[0:1]
	s_cbranch_vccnz .LBB185_2570
; %bb.2569:
	global_load_sshort v10, v[0:1], off
	s_waitcnt vmcnt(0)
	v_cvt_f32_i32_e32 v10, v10
.LBB185_2570:
	s_mov_b64 s[0:1], 0
.LBB185_2571:
	s_andn2_b64 vcc, exec, s[0:1]
	s_cbranch_vccnz .LBB185_2577
; %bb.2572:
	s_cmp_gt_i32 s4, 0
	s_cbranch_scc0 .LBB185_2574
; %bb.2573:
	global_load_sbyte v10, v[0:1], off
	s_mov_b64 s[0:1], 0
	s_waitcnt vmcnt(0)
	v_cvt_f32_i32_e32 v10, v10
	s_branch .LBB185_2575
.LBB185_2574:
	s_mov_b64 s[0:1], -1
                                        ; implicit-def: $vgpr10
.LBB185_2575:
	s_andn2_b64 vcc, exec, s[0:1]
	s_cbranch_vccnz .LBB185_2577
; %bb.2576:
	global_load_ubyte v0, v[0:1], off
	s_waitcnt vmcnt(0)
	v_cvt_f32_ubyte0_e32 v10, v0
.LBB185_2577:
	s_mov_b64 s[10:11], -1
.LBB185_2578:
	s_andn2_b64 vcc, exec, s[10:11]
	s_cbranch_vccnz .LBB185_3012
; %bb.2579:
	v_mul_lo_u32 v4, s12, v4
	v_mov_b32_e32 v0, s2
	s_waitcnt vmcnt(0)
	v_cmp_nge_f32_e32 vcc, s15, v2
	v_cndmask_b32_e32 v2, v0, v3, vcc
	v_ashrrev_i32_e32 v1, 31, v4
	v_mov_b32_e32 v3, s9
	s_and_b32 s24, s3, 0xff
	v_add_co_u32_e32 v0, vcc, s8, v4
	s_cmp_lt_i32 s24, 11
	v_addc_co_u32_e32 v1, vcc, v3, v1, vcc
	s_cbranch_scc1 .LBB185_2657
; %bb.2580:
	s_and_b32 s3, 0xffff, s24
	s_mov_b64 s[16:17], -1
	s_mov_b64 s[4:5], 0
	s_cmp_gt_i32 s3, 25
	s_mov_b64 s[10:11], 0
	s_mov_b64 s[0:1], 0
	s_cbranch_scc0 .LBB185_2613
; %bb.2581:
	s_cmp_gt_i32 s3, 28
	s_cbranch_scc0 .LBB185_2596
; %bb.2582:
	s_cmp_gt_i32 s3, 43
	;; [unrolled: 3-line block ×3, first 2 shown]
	s_cbranch_scc0 .LBB185_2586
; %bb.2584:
	s_mov_b64 s[0:1], -1
	s_mov_b64 s[16:17], 0
	s_cmp_eq_u32 s3, 46
	s_cbranch_scc0 .LBB185_2586
; %bb.2585:
	v_bfe_u32 v3, v2, 16, 1
	s_movk_i32 s0, 0x7fff
	v_add3_u32 v3, v2, v3, s0
	v_cmp_o_f32_e32 vcc, v2, v2
	v_mov_b32_e32 v11, 0x7fc0
	v_cndmask_b32_sdwa v3, v11, v3, vcc dst_sel:DWORD dst_unused:UNUSED_PAD src0_sel:DWORD src1_sel:WORD_1
	global_store_dword v[0:1], v3, off
	s_mov_b64 s[0:1], 0
	s_mov_b64 s[10:11], -1
.LBB185_2586:
	s_and_b64 vcc, exec, s[16:17]
	s_cbranch_vccz .LBB185_2591
; %bb.2587:
	s_cmp_eq_u32 s3, 44
	s_mov_b64 s[0:1], -1
	s_cbranch_scc0 .LBB185_2591
; %bb.2588:
	v_bfe_u32 v3, v2, 23, 8
	s_movk_i32 s0, 0xff
	v_cmp_ne_u32_e32 vcc, s0, v3
	v_mov_b32_e32 v11, 0xff
	s_and_saveexec_b64 s[10:11], vcc
; %bb.2589:
	s_mov_b32 s0, 0x3fffff
	v_and_b32_e32 v12, 0x400000, v2
	v_and_or_b32 v3, v2, s0, v3
	v_cmp_ne_u32_e32 vcc, 0, v12
	v_cmp_ne_u32_e64 s[0:1], 0, v3
	s_and_b64 s[0:1], vcc, s[0:1]
	v_lshrrev_b32_e32 v11, 23, v2
	v_cndmask_b32_e64 v3, 0, 1, s[0:1]
	v_add_u32_e32 v11, v11, v3
; %bb.2590:
	s_or_b64 exec, exec, s[10:11]
	s_mov_b64 s[0:1], 0
	s_mov_b64 s[10:11], -1
	global_store_byte v[0:1], v11, off
.LBB185_2591:
	s_mov_b64 s[16:17], 0
.LBB185_2592:
	s_and_b64 vcc, exec, s[16:17]
	s_cbranch_vccz .LBB185_2595
; %bb.2593:
	s_cmp_eq_u32 s3, 29
	s_mov_b64 s[0:1], -1
	s_cbranch_scc0 .LBB185_2595
; %bb.2594:
	v_trunc_f32_e32 v3, v2
	v_mul_f32_e32 v11, 0x2f800000, v3
	v_floor_f32_e32 v11, v11
	v_fmac_f32_e32 v3, 0xcf800000, v11
	v_cvt_u32_f32_e32 v12, v11
	v_cvt_u32_f32_e32 v11, v3
	s_mov_b64 s[0:1], 0
	s_mov_b64 s[10:11], -1
	global_store_dwordx2 v[0:1], v[11:12], off
.LBB185_2595:
	s_mov_b64 s[16:17], 0
.LBB185_2596:
	s_and_b64 vcc, exec, s[16:17]
	s_cbranch_vccz .LBB185_2612
; %bb.2597:
	s_cmp_lt_i32 s3, 27
	s_mov_b64 s[10:11], -1
	s_cbranch_scc1 .LBB185_2603
; %bb.2598:
	v_cvt_u32_f32_e32 v3, v2
	s_cmp_gt_i32 s3, 27
	s_cbranch_scc0 .LBB185_2600
; %bb.2599:
	s_mov_b64 s[10:11], 0
	global_store_dword v[0:1], v3, off
.LBB185_2600:
	s_andn2_b64 vcc, exec, s[10:11]
	s_cbranch_vccnz .LBB185_2602
; %bb.2601:
	global_store_short v[0:1], v3, off
.LBB185_2602:
	s_mov_b64 s[10:11], 0
.LBB185_2603:
	s_andn2_b64 vcc, exec, s[10:11]
	s_cbranch_vccnz .LBB185_2611
; %bb.2604:
	v_and_b32_e32 v3, 0x7fffffff, v2
	s_mov_b32 s10, 0x43800000
	v_cmp_gt_u32_e32 vcc, s10, v3
	v_mov_b32_e32 v11, 0x80
	s_and_saveexec_b64 s[10:11], vcc
	s_cbranch_execz .LBB185_2610
; %bb.2605:
	s_mov_b32 s13, 0x3bffffff
	v_cmp_lt_u32_e32 vcc, s13, v3
	s_mov_b64 s[16:17], 0
                                        ; implicit-def: $vgpr3
	s_and_saveexec_b64 s[22:23], vcc
	s_xor_b64 s[22:23], exec, s[22:23]
	s_cbranch_execz .LBB185_3059
; %bb.2606:
	v_bfe_u32 v3, v2, 20, 1
	s_mov_b32 s13, 0x487ffff
	v_add3_u32 v3, v2, v3, s13
	s_mov_b64 s[16:17], exec
	v_lshrrev_b32_e32 v3, 20, v3
	s_andn2_saveexec_b64 s[22:23], s[22:23]
	s_cbranch_execnz .LBB185_3060
.LBB185_2607:
	s_or_b64 exec, exec, s[22:23]
	v_mov_b32_e32 v11, 0
	s_and_saveexec_b64 s[22:23], s[16:17]
.LBB185_2608:
	v_lshrrev_b32_e32 v11, 24, v2
	s_movk_i32 s13, 0x80
	v_and_or_b32 v11, v11, s13, v3
.LBB185_2609:
	s_or_b64 exec, exec, s[22:23]
.LBB185_2610:
	s_or_b64 exec, exec, s[10:11]
	global_store_byte v[0:1], v11, off
.LBB185_2611:
	s_mov_b64 s[10:11], -1
.LBB185_2612:
	s_mov_b64 s[16:17], 0
.LBB185_2613:
	s_and_b64 vcc, exec, s[16:17]
	s_cbranch_vccz .LBB185_2653
; %bb.2614:
	s_cmp_gt_i32 s3, 22
	s_mov_b64 s[4:5], -1
	s_cbranch_scc0 .LBB185_2646
; %bb.2615:
	s_cmp_lt_i32 s3, 24
	s_cbranch_scc1 .LBB185_2635
; %bb.2616:
	s_cmp_gt_i32 s3, 24
	s_cbranch_scc0 .LBB185_2624
; %bb.2617:
	v_and_b32_e32 v3, 0x7fffffff, v2
	s_mov_b32 s4, 0x47800000
	v_cmp_gt_u32_e32 vcc, s4, v3
	v_mov_b32_e32 v11, 0x80
	s_and_saveexec_b64 s[4:5], vcc
	s_cbranch_execz .LBB185_2623
; %bb.2618:
	s_mov_b32 s10, 0x37ffffff
	v_cmp_lt_u32_e32 vcc, s10, v3
	s_mov_b64 s[10:11], 0
                                        ; implicit-def: $vgpr3
	s_and_saveexec_b64 s[16:17], vcc
	s_xor_b64 s[16:17], exec, s[16:17]
	s_cbranch_execz .LBB185_3062
; %bb.2619:
	v_bfe_u32 v3, v2, 21, 1
	s_mov_b32 s13, 0x88fffff
	v_add3_u32 v3, v2, v3, s13
	s_mov_b64 s[10:11], exec
	v_lshrrev_b32_e32 v3, 21, v3
	s_andn2_saveexec_b64 s[16:17], s[16:17]
	s_cbranch_execnz .LBB185_3063
.LBB185_2620:
	s_or_b64 exec, exec, s[16:17]
	v_mov_b32_e32 v11, 0
	s_and_saveexec_b64 s[16:17], s[10:11]
.LBB185_2621:
	v_lshrrev_b32_e32 v11, 24, v2
	s_movk_i32 s10, 0x80
	v_and_or_b32 v11, v11, s10, v3
.LBB185_2622:
	s_or_b64 exec, exec, s[16:17]
.LBB185_2623:
	s_or_b64 exec, exec, s[4:5]
	s_mov_b64 s[4:5], 0
	global_store_byte v[0:1], v11, off
.LBB185_2624:
	s_and_b64 vcc, exec, s[4:5]
	s_cbranch_vccz .LBB185_2634
; %bb.2625:
	v_and_b32_e32 v11, 0x7fffffff, v2
	s_mov_b32 s4, 0x43f00000
	v_cmp_gt_u32_e32 vcc, s4, v11
                                        ; implicit-def: $vgpr3
	s_and_saveexec_b64 s[4:5], vcc
	s_xor_b64 s[4:5], exec, s[4:5]
	s_cbranch_execz .LBB185_2631
; %bb.2626:
	s_mov_b32 s10, 0x3c7fffff
	v_cmp_lt_u32_e32 vcc, s10, v11
                                        ; implicit-def: $vgpr3
	s_and_saveexec_b64 s[10:11], vcc
	s_xor_b64 s[10:11], exec, s[10:11]
; %bb.2627:
	v_bfe_u32 v3, v2, 20, 1
	s_mov_b32 s13, 0x407ffff
	v_add3_u32 v3, v2, v3, s13
	v_lshrrev_b32_e32 v11, 20, v3
	v_and_b32_e32 v3, 0xff00000, v3
	s_mov_b32 s13, 0x7f00000
	v_mov_b32_e32 v12, 0x7e
	v_cmp_ne_u32_e32 vcc, s13, v3
	v_cndmask_b32_e32 v3, v12, v11, vcc
; %bb.2628:
	s_andn2_saveexec_b64 s[10:11], s[10:11]
; %bb.2629:
	s_mov_b32 s13, 0x46800000
	v_add_f32_e64 v3, |v2|, s13
; %bb.2630:
	s_or_b64 exec, exec, s[10:11]
                                        ; implicit-def: $vgpr11
.LBB185_2631:
	s_andn2_saveexec_b64 s[4:5], s[4:5]
; %bb.2632:
	s_mov_b32 s10, 0x7f800000
	v_mov_b32_e32 v3, 0x7e
	v_mov_b32_e32 v12, 0x7f
	v_cmp_lt_u32_e32 vcc, s10, v11
	v_cndmask_b32_e32 v3, v3, v12, vcc
; %bb.2633:
	s_or_b64 exec, exec, s[4:5]
	v_lshrrev_b32_e32 v11, 24, v2
	s_movk_i32 s4, 0x80
	v_and_or_b32 v3, v11, s4, v3
	global_store_byte v[0:1], v3, off
.LBB185_2634:
	s_mov_b64 s[4:5], 0
.LBB185_2635:
	s_andn2_b64 vcc, exec, s[4:5]
	s_cbranch_vccnz .LBB185_2645
; %bb.2636:
	v_and_b32_e32 v11, 0x7fffffff, v2
	s_mov_b32 s4, 0x47800000
	v_cmp_gt_u32_e32 vcc, s4, v11
                                        ; implicit-def: $vgpr3
	s_and_saveexec_b64 s[4:5], vcc
	s_xor_b64 s[4:5], exec, s[4:5]
	s_cbranch_execz .LBB185_2642
; %bb.2637:
	s_mov_b32 s10, 0x387fffff
	v_cmp_lt_u32_e32 vcc, s10, v11
                                        ; implicit-def: $vgpr3
	s_and_saveexec_b64 s[10:11], vcc
	s_xor_b64 s[10:11], exec, s[10:11]
; %bb.2638:
	v_bfe_u32 v3, v2, 21, 1
	s_mov_b32 s13, 0x80fffff
	v_add3_u32 v3, v2, v3, s13
	v_lshrrev_b32_e32 v3, 21, v3
; %bb.2639:
	s_andn2_saveexec_b64 s[10:11], s[10:11]
; %bb.2640:
	s_mov_b32 s13, 0x43000000
	v_add_f32_e64 v3, |v2|, s13
; %bb.2641:
	s_or_b64 exec, exec, s[10:11]
                                        ; implicit-def: $vgpr11
.LBB185_2642:
	s_andn2_saveexec_b64 s[4:5], s[4:5]
; %bb.2643:
	s_mov_b32 s10, 0x7f800000
	v_mov_b32_e32 v3, 0x7c
	v_mov_b32_e32 v12, 0x7f
	v_cmp_lt_u32_e32 vcc, s10, v11
	v_cndmask_b32_e32 v3, v3, v12, vcc
; %bb.2644:
	s_or_b64 exec, exec, s[4:5]
	v_lshrrev_b32_e32 v11, 24, v2
	s_movk_i32 s4, 0x80
	v_and_or_b32 v3, v11, s4, v3
	global_store_byte v[0:1], v3, off
.LBB185_2645:
	s_mov_b64 s[4:5], 0
	s_mov_b64 s[10:11], -1
.LBB185_2646:
	s_andn2_b64 vcc, exec, s[4:5]
	s_mov_b64 s[4:5], 0
	s_cbranch_vccnz .LBB185_2653
; %bb.2647:
	s_cmp_gt_i32 s3, 14
	s_mov_b64 s[16:17], -1
	s_cbranch_scc0 .LBB185_2651
; %bb.2648:
	s_cmp_eq_u32 s3, 15
	s_mov_b64 s[0:1], -1
	s_cbranch_scc0 .LBB185_2650
; %bb.2649:
	v_bfe_u32 v3, v2, 16, 1
	s_movk_i32 s0, 0x7fff
	v_add3_u32 v3, v2, v3, s0
	v_cmp_o_f32_e32 vcc, v2, v2
	v_mov_b32_e32 v11, 0x7fc0
	v_cndmask_b32_sdwa v3, v11, v3, vcc dst_sel:DWORD dst_unused:UNUSED_PAD src0_sel:DWORD src1_sel:WORD_1
	global_store_short v[0:1], v3, off
	s_mov_b64 s[0:1], 0
	s_mov_b64 s[10:11], -1
.LBB185_2650:
	s_mov_b64 s[16:17], 0
.LBB185_2651:
	s_and_b64 vcc, exec, s[16:17]
	s_cbranch_vccz .LBB185_2653
; %bb.2652:
	s_cmp_lg_u32 s3, 11
	s_mov_b64 s[4:5], -1
	s_cselect_b64 s[0:1], -1, 0
.LBB185_2653:
	s_and_b64 vcc, exec, s[0:1]
	s_cbranch_vccnz .LBB185_3061
; %bb.2654:
	s_andn2_b64 vcc, exec, s[4:5]
	s_cbranch_vccnz .LBB185_2656
.LBB185_2655:
	v_cmp_neq_f32_e32 vcc, 0, v2
	v_cndmask_b32_e64 v3, 0, 1, vcc
	s_mov_b64 s[10:11], -1
	global_store_byte v[0:1], v3, off
.LBB185_2656:
	s_mov_b64 s[0:1], 0
	s_branch .LBB185_2658
.LBB185_2657:
	s_mov_b64 s[0:1], -1
	s_mov_b64 s[10:11], 0
.LBB185_2658:
	s_and_b64 vcc, exec, s[0:1]
	s_cbranch_vccz .LBB185_2697
; %bb.2659:
	s_and_b32 s3, 0xffff, s24
	s_cmp_lt_i32 s3, 5
	s_mov_b64 s[0:1], -1
	s_cbranch_scc1 .LBB185_2680
; %bb.2660:
	s_cmp_lt_i32 s3, 8
	s_cbranch_scc1 .LBB185_2670
; %bb.2661:
	s_cmp_lt_i32 s3, 9
	s_cbranch_scc1 .LBB185_2667
; %bb.2662:
	s_cmp_gt_i32 s3, 9
	s_cbranch_scc0 .LBB185_2664
; %bb.2663:
	v_cvt_f64_f32_e32 v[11:12], v2
	v_mov_b32_e32 v13, 0
	v_mov_b32_e32 v14, v13
	s_mov_b64 s[0:1], 0
	global_store_dwordx4 v[0:1], v[11:14], off
.LBB185_2664:
	s_andn2_b64 vcc, exec, s[0:1]
	s_cbranch_vccnz .LBB185_2666
; %bb.2665:
	v_mov_b32_e32 v3, 0
	global_store_dwordx2 v[0:1], v[2:3], off
.LBB185_2666:
	s_mov_b64 s[0:1], 0
.LBB185_2667:
	s_andn2_b64 vcc, exec, s[0:1]
	s_cbranch_vccnz .LBB185_2669
; %bb.2668:
	v_cvt_f16_f32_e32 v3, v2
	global_store_dword v[0:1], v3, off
.LBB185_2669:
	s_mov_b64 s[0:1], 0
.LBB185_2670:
	s_andn2_b64 vcc, exec, s[0:1]
	s_cbranch_vccnz .LBB185_2679
; %bb.2671:
	s_cmp_lt_i32 s3, 6
	s_mov_b64 s[0:1], -1
	s_cbranch_scc1 .LBB185_2677
; %bb.2672:
	s_cmp_gt_i32 s3, 6
	s_cbranch_scc0 .LBB185_2674
; %bb.2673:
	v_cvt_f64_f32_e32 v[11:12], v2
	s_mov_b64 s[0:1], 0
	global_store_dwordx2 v[0:1], v[11:12], off
.LBB185_2674:
	s_andn2_b64 vcc, exec, s[0:1]
	s_cbranch_vccnz .LBB185_2676
; %bb.2675:
	global_store_dword v[0:1], v2, off
.LBB185_2676:
	s_mov_b64 s[0:1], 0
.LBB185_2677:
	s_andn2_b64 vcc, exec, s[0:1]
	s_cbranch_vccnz .LBB185_2679
; %bb.2678:
	v_cvt_f16_f32_e32 v3, v2
	global_store_short v[0:1], v3, off
.LBB185_2679:
	s_mov_b64 s[0:1], 0
.LBB185_2680:
	s_andn2_b64 vcc, exec, s[0:1]
	s_cbranch_vccnz .LBB185_2696
; %bb.2681:
	s_cmp_lt_i32 s3, 2
	s_mov_b64 s[0:1], -1
	s_cbranch_scc1 .LBB185_2691
; %bb.2682:
	s_cmp_lt_i32 s3, 3
	s_cbranch_scc1 .LBB185_2688
; %bb.2683:
	s_cmp_gt_i32 s3, 3
	s_cbranch_scc0 .LBB185_2685
; %bb.2684:
	v_trunc_f32_e32 v3, v2
	s_mov_b32 s0, 0x2f800000
	v_mul_f32_e64 v11, |v3|, s0
	v_floor_f32_e32 v11, v11
	s_mov_b32 s0, 0xcf800000
	v_cvt_u32_f32_e32 v12, v11
	v_fma_f32 v11, v11, s0, |v3|
	v_cvt_u32_f32_e32 v11, v11
	v_ashrrev_i32_e32 v3, 31, v3
	v_xor_b32_e32 v12, v12, v3
	s_mov_b64 s[0:1], 0
	v_xor_b32_e32 v11, v11, v3
	v_sub_co_u32_e32 v11, vcc, v11, v3
	v_subb_co_u32_e32 v12, vcc, v12, v3, vcc
	global_store_dwordx2 v[0:1], v[11:12], off
.LBB185_2685:
	s_andn2_b64 vcc, exec, s[0:1]
	s_cbranch_vccnz .LBB185_2687
; %bb.2686:
	v_cvt_i32_f32_e32 v3, v2
	global_store_dword v[0:1], v3, off
.LBB185_2687:
	s_mov_b64 s[0:1], 0
.LBB185_2688:
	s_andn2_b64 vcc, exec, s[0:1]
	s_cbranch_vccnz .LBB185_2690
; %bb.2689:
	v_cvt_i32_f32_e32 v3, v2
	global_store_short v[0:1], v3, off
.LBB185_2690:
	s_mov_b64 s[0:1], 0
.LBB185_2691:
	s_andn2_b64 vcc, exec, s[0:1]
	s_cbranch_vccnz .LBB185_2696
; %bb.2692:
	s_cmp_gt_i32 s3, 0
	s_mov_b64 s[0:1], -1
	s_cbranch_scc0 .LBB185_2694
; %bb.2693:
	v_cvt_i32_f32_e32 v3, v2
	s_mov_b64 s[0:1], 0
	global_store_byte v[0:1], v3, off
.LBB185_2694:
	s_andn2_b64 vcc, exec, s[0:1]
	s_cbranch_vccnz .LBB185_2696
; %bb.2695:
	v_trunc_f32_e32 v2, v2
	s_mov_b32 s0, 0x2f800000
	v_mul_f32_e64 v3, |v2|, s0
	v_floor_f32_e32 v3, v3
	s_mov_b32 s0, 0xcf800000
	v_fma_f32 v3, v3, s0, |v2|
	v_cvt_u32_f32_e32 v3, v3
	v_ashrrev_i32_e32 v2, 31, v2
	v_xor_b32_e32 v3, v3, v2
	v_sub_u32_e32 v2, v3, v2
	global_store_byte v[0:1], v2, off
.LBB185_2696:
	s_mov_b64 s[10:11], -1
.LBB185_2697:
	s_andn2_b64 vcc, exec, s[10:11]
	s_cbranch_vccnz .LBB185_3012
; %bb.2698:
	s_lshl_b32 s3, s12, 7
	v_mov_b32_e32 v0, s2
	v_cmp_nge_f32_e32 vcc, s15, v5
	v_add_u32_e32 v4, s3, v4
	v_cndmask_b32_e32 v2, v0, v6, vcc
	v_ashrrev_i32_e32 v1, 31, v4
	v_mov_b32_e32 v3, s9
	v_add_co_u32_e32 v0, vcc, s8, v4
	s_cmp_lt_i32 s24, 11
	v_addc_co_u32_e32 v1, vcc, v3, v1, vcc
	s_cbranch_scc1 .LBB185_2776
; %bb.2699:
	s_and_b32 s14, 0xffff, s24
	s_mov_b64 s[12:13], -1
	s_mov_b64 s[4:5], 0
	s_cmp_gt_i32 s14, 25
	s_mov_b64 s[10:11], 0
	s_mov_b64 s[0:1], 0
	s_cbranch_scc0 .LBB185_2732
; %bb.2700:
	s_cmp_gt_i32 s14, 28
	s_cbranch_scc0 .LBB185_2715
; %bb.2701:
	s_cmp_gt_i32 s14, 43
	;; [unrolled: 3-line block ×3, first 2 shown]
	s_cbranch_scc0 .LBB185_2705
; %bb.2703:
	s_mov_b64 s[0:1], -1
	s_mov_b64 s[12:13], 0
	s_cmp_eq_u32 s14, 46
	s_cbranch_scc0 .LBB185_2705
; %bb.2704:
	v_bfe_u32 v3, v2, 16, 1
	s_movk_i32 s0, 0x7fff
	v_add3_u32 v3, v2, v3, s0
	v_cmp_o_f32_e32 vcc, v2, v2
	v_mov_b32_e32 v5, 0x7fc0
	v_cndmask_b32_sdwa v3, v5, v3, vcc dst_sel:DWORD dst_unused:UNUSED_PAD src0_sel:DWORD src1_sel:WORD_1
	global_store_dword v[0:1], v3, off
	s_mov_b64 s[0:1], 0
	s_mov_b64 s[10:11], -1
.LBB185_2705:
	s_and_b64 vcc, exec, s[12:13]
	s_cbranch_vccz .LBB185_2710
; %bb.2706:
	s_cmp_eq_u32 s14, 44
	s_mov_b64 s[0:1], -1
	s_cbranch_scc0 .LBB185_2710
; %bb.2707:
	v_bfe_u32 v3, v2, 23, 8
	s_movk_i32 s0, 0xff
	v_cmp_ne_u32_e32 vcc, s0, v3
	v_mov_b32_e32 v5, 0xff
	s_and_saveexec_b64 s[10:11], vcc
; %bb.2708:
	s_mov_b32 s0, 0x3fffff
	v_and_b32_e32 v6, 0x400000, v2
	v_and_or_b32 v3, v2, s0, v3
	v_cmp_ne_u32_e32 vcc, 0, v6
	v_cmp_ne_u32_e64 s[0:1], 0, v3
	s_and_b64 s[0:1], vcc, s[0:1]
	v_lshrrev_b32_e32 v5, 23, v2
	v_cndmask_b32_e64 v3, 0, 1, s[0:1]
	v_add_u32_e32 v5, v5, v3
; %bb.2709:
	s_or_b64 exec, exec, s[10:11]
	s_mov_b64 s[0:1], 0
	s_mov_b64 s[10:11], -1
	global_store_byte v[0:1], v5, off
.LBB185_2710:
	s_mov_b64 s[12:13], 0
.LBB185_2711:
	s_and_b64 vcc, exec, s[12:13]
	s_cbranch_vccz .LBB185_2714
; %bb.2712:
	s_cmp_eq_u32 s14, 29
	s_mov_b64 s[0:1], -1
	s_cbranch_scc0 .LBB185_2714
; %bb.2713:
	v_trunc_f32_e32 v3, v2
	v_mul_f32_e32 v5, 0x2f800000, v3
	v_floor_f32_e32 v5, v5
	v_fmac_f32_e32 v3, 0xcf800000, v5
	v_cvt_u32_f32_e32 v6, v5
	v_cvt_u32_f32_e32 v5, v3
	s_mov_b64 s[0:1], 0
	s_mov_b64 s[10:11], -1
	global_store_dwordx2 v[0:1], v[5:6], off
.LBB185_2714:
	s_mov_b64 s[12:13], 0
.LBB185_2715:
	s_and_b64 vcc, exec, s[12:13]
	s_cbranch_vccz .LBB185_2731
; %bb.2716:
	s_cmp_lt_i32 s14, 27
	s_mov_b64 s[10:11], -1
	s_cbranch_scc1 .LBB185_2722
; %bb.2717:
	v_cvt_u32_f32_e32 v3, v2
	s_cmp_gt_i32 s14, 27
	s_cbranch_scc0 .LBB185_2719
; %bb.2718:
	s_mov_b64 s[10:11], 0
	global_store_dword v[0:1], v3, off
.LBB185_2719:
	s_andn2_b64 vcc, exec, s[10:11]
	s_cbranch_vccnz .LBB185_2721
; %bb.2720:
	global_store_short v[0:1], v3, off
.LBB185_2721:
	s_mov_b64 s[10:11], 0
.LBB185_2722:
	s_andn2_b64 vcc, exec, s[10:11]
	s_cbranch_vccnz .LBB185_2730
; %bb.2723:
	v_and_b32_e32 v3, 0x7fffffff, v2
	s_mov_b32 s10, 0x43800000
	v_cmp_gt_u32_e32 vcc, s10, v3
	v_mov_b32_e32 v5, 0x80
	s_and_saveexec_b64 s[10:11], vcc
	s_cbranch_execz .LBB185_2729
; %bb.2724:
	s_mov_b32 s12, 0x3bffffff
	v_cmp_lt_u32_e32 vcc, s12, v3
	s_mov_b64 s[12:13], 0
                                        ; implicit-def: $vgpr3
	s_and_saveexec_b64 s[16:17], vcc
	s_xor_b64 s[16:17], exec, s[16:17]
	s_cbranch_execz .LBB185_3064
; %bb.2725:
	v_bfe_u32 v3, v2, 20, 1
	s_mov_b32 s22, 0x487ffff
	v_add3_u32 v3, v2, v3, s22
	s_mov_b64 s[12:13], exec
	v_lshrrev_b32_e32 v3, 20, v3
	s_andn2_saveexec_b64 s[16:17], s[16:17]
	s_cbranch_execnz .LBB185_3065
.LBB185_2726:
	s_or_b64 exec, exec, s[16:17]
	v_mov_b32_e32 v5, 0
	s_and_saveexec_b64 s[16:17], s[12:13]
.LBB185_2727:
	v_lshrrev_b32_e32 v5, 24, v2
	s_movk_i32 s12, 0x80
	v_and_or_b32 v5, v5, s12, v3
.LBB185_2728:
	s_or_b64 exec, exec, s[16:17]
.LBB185_2729:
	s_or_b64 exec, exec, s[10:11]
	global_store_byte v[0:1], v5, off
.LBB185_2730:
	s_mov_b64 s[10:11], -1
.LBB185_2731:
	s_mov_b64 s[12:13], 0
.LBB185_2732:
	s_and_b64 vcc, exec, s[12:13]
	s_cbranch_vccz .LBB185_2772
; %bb.2733:
	s_cmp_gt_i32 s14, 22
	s_mov_b64 s[4:5], -1
	s_cbranch_scc0 .LBB185_2765
; %bb.2734:
	s_cmp_lt_i32 s14, 24
	s_cbranch_scc1 .LBB185_2754
; %bb.2735:
	s_cmp_gt_i32 s14, 24
	s_cbranch_scc0 .LBB185_2743
; %bb.2736:
	v_and_b32_e32 v3, 0x7fffffff, v2
	s_mov_b32 s4, 0x47800000
	v_cmp_gt_u32_e32 vcc, s4, v3
	v_mov_b32_e32 v5, 0x80
	s_and_saveexec_b64 s[4:5], vcc
	s_cbranch_execz .LBB185_2742
; %bb.2737:
	s_mov_b32 s10, 0x37ffffff
	v_cmp_lt_u32_e32 vcc, s10, v3
	s_mov_b64 s[10:11], 0
                                        ; implicit-def: $vgpr3
	s_and_saveexec_b64 s[12:13], vcc
	s_xor_b64 s[12:13], exec, s[12:13]
	s_cbranch_execz .LBB185_3067
; %bb.2738:
	v_bfe_u32 v3, v2, 21, 1
	s_mov_b32 s16, 0x88fffff
	v_add3_u32 v3, v2, v3, s16
	s_mov_b64 s[10:11], exec
	v_lshrrev_b32_e32 v3, 21, v3
	s_andn2_saveexec_b64 s[12:13], s[12:13]
	s_cbranch_execnz .LBB185_3068
.LBB185_2739:
	s_or_b64 exec, exec, s[12:13]
	v_mov_b32_e32 v5, 0
	s_and_saveexec_b64 s[12:13], s[10:11]
.LBB185_2740:
	v_lshrrev_b32_e32 v5, 24, v2
	s_movk_i32 s10, 0x80
	v_and_or_b32 v5, v5, s10, v3
.LBB185_2741:
	s_or_b64 exec, exec, s[12:13]
.LBB185_2742:
	s_or_b64 exec, exec, s[4:5]
	s_mov_b64 s[4:5], 0
	global_store_byte v[0:1], v5, off
.LBB185_2743:
	s_and_b64 vcc, exec, s[4:5]
	s_cbranch_vccz .LBB185_2753
; %bb.2744:
	v_and_b32_e32 v5, 0x7fffffff, v2
	s_mov_b32 s4, 0x43f00000
	v_cmp_gt_u32_e32 vcc, s4, v5
                                        ; implicit-def: $vgpr3
	s_and_saveexec_b64 s[4:5], vcc
	s_xor_b64 s[4:5], exec, s[4:5]
	s_cbranch_execz .LBB185_2750
; %bb.2745:
	s_mov_b32 s10, 0x3c7fffff
	v_cmp_lt_u32_e32 vcc, s10, v5
                                        ; implicit-def: $vgpr3
	s_and_saveexec_b64 s[10:11], vcc
	s_xor_b64 s[10:11], exec, s[10:11]
; %bb.2746:
	v_bfe_u32 v3, v2, 20, 1
	s_mov_b32 s12, 0x407ffff
	v_add3_u32 v3, v2, v3, s12
	v_lshrrev_b32_e32 v5, 20, v3
	v_and_b32_e32 v3, 0xff00000, v3
	s_mov_b32 s12, 0x7f00000
	v_mov_b32_e32 v6, 0x7e
	v_cmp_ne_u32_e32 vcc, s12, v3
	v_cndmask_b32_e32 v3, v6, v5, vcc
; %bb.2747:
	s_andn2_saveexec_b64 s[10:11], s[10:11]
; %bb.2748:
	s_mov_b32 s12, 0x46800000
	v_add_f32_e64 v3, |v2|, s12
; %bb.2749:
	s_or_b64 exec, exec, s[10:11]
                                        ; implicit-def: $vgpr5
.LBB185_2750:
	s_andn2_saveexec_b64 s[4:5], s[4:5]
; %bb.2751:
	s_mov_b32 s10, 0x7f800000
	v_mov_b32_e32 v3, 0x7e
	v_mov_b32_e32 v6, 0x7f
	v_cmp_lt_u32_e32 vcc, s10, v5
	v_cndmask_b32_e32 v3, v3, v6, vcc
; %bb.2752:
	s_or_b64 exec, exec, s[4:5]
	v_lshrrev_b32_e32 v5, 24, v2
	s_movk_i32 s4, 0x80
	v_and_or_b32 v3, v5, s4, v3
	global_store_byte v[0:1], v3, off
.LBB185_2753:
	s_mov_b64 s[4:5], 0
.LBB185_2754:
	s_andn2_b64 vcc, exec, s[4:5]
	s_cbranch_vccnz .LBB185_2764
; %bb.2755:
	v_and_b32_e32 v5, 0x7fffffff, v2
	s_mov_b32 s4, 0x47800000
	v_cmp_gt_u32_e32 vcc, s4, v5
                                        ; implicit-def: $vgpr3
	s_and_saveexec_b64 s[4:5], vcc
	s_xor_b64 s[4:5], exec, s[4:5]
	s_cbranch_execz .LBB185_2761
; %bb.2756:
	s_mov_b32 s10, 0x387fffff
	v_cmp_lt_u32_e32 vcc, s10, v5
                                        ; implicit-def: $vgpr3
	s_and_saveexec_b64 s[10:11], vcc
	s_xor_b64 s[10:11], exec, s[10:11]
; %bb.2757:
	v_bfe_u32 v3, v2, 21, 1
	s_mov_b32 s12, 0x80fffff
	v_add3_u32 v3, v2, v3, s12
	v_lshrrev_b32_e32 v3, 21, v3
; %bb.2758:
	s_andn2_saveexec_b64 s[10:11], s[10:11]
; %bb.2759:
	s_mov_b32 s12, 0x43000000
	v_add_f32_e64 v3, |v2|, s12
; %bb.2760:
	s_or_b64 exec, exec, s[10:11]
                                        ; implicit-def: $vgpr5
.LBB185_2761:
	s_andn2_saveexec_b64 s[4:5], s[4:5]
; %bb.2762:
	s_mov_b32 s10, 0x7f800000
	v_mov_b32_e32 v3, 0x7c
	v_mov_b32_e32 v6, 0x7f
	v_cmp_lt_u32_e32 vcc, s10, v5
	v_cndmask_b32_e32 v3, v3, v6, vcc
; %bb.2763:
	s_or_b64 exec, exec, s[4:5]
	v_lshrrev_b32_e32 v5, 24, v2
	s_movk_i32 s4, 0x80
	v_and_or_b32 v3, v5, s4, v3
	global_store_byte v[0:1], v3, off
.LBB185_2764:
	s_mov_b64 s[4:5], 0
	s_mov_b64 s[10:11], -1
.LBB185_2765:
	s_andn2_b64 vcc, exec, s[4:5]
	s_mov_b64 s[4:5], 0
	s_cbranch_vccnz .LBB185_2772
; %bb.2766:
	s_cmp_gt_i32 s14, 14
	s_mov_b64 s[12:13], -1
	s_cbranch_scc0 .LBB185_2770
; %bb.2767:
	s_cmp_eq_u32 s14, 15
	s_mov_b64 s[0:1], -1
	s_cbranch_scc0 .LBB185_2769
; %bb.2768:
	v_bfe_u32 v3, v2, 16, 1
	s_movk_i32 s0, 0x7fff
	v_add3_u32 v3, v2, v3, s0
	v_cmp_o_f32_e32 vcc, v2, v2
	v_mov_b32_e32 v5, 0x7fc0
	v_cndmask_b32_sdwa v3, v5, v3, vcc dst_sel:DWORD dst_unused:UNUSED_PAD src0_sel:DWORD src1_sel:WORD_1
	global_store_short v[0:1], v3, off
	s_mov_b64 s[0:1], 0
	s_mov_b64 s[10:11], -1
.LBB185_2769:
	s_mov_b64 s[12:13], 0
.LBB185_2770:
	s_and_b64 vcc, exec, s[12:13]
	s_cbranch_vccz .LBB185_2772
; %bb.2771:
	s_cmp_lg_u32 s14, 11
	s_mov_b64 s[4:5], -1
	s_cselect_b64 s[0:1], -1, 0
.LBB185_2772:
	s_and_b64 vcc, exec, s[0:1]
	s_cbranch_vccnz .LBB185_3066
; %bb.2773:
	s_andn2_b64 vcc, exec, s[4:5]
	s_cbranch_vccnz .LBB185_2775
.LBB185_2774:
	v_cmp_neq_f32_e32 vcc, 0, v2
	v_cndmask_b32_e64 v3, 0, 1, vcc
	s_mov_b64 s[10:11], -1
	global_store_byte v[0:1], v3, off
.LBB185_2775:
	s_mov_b64 s[0:1], 0
	s_branch .LBB185_2777
.LBB185_2776:
	s_mov_b64 s[0:1], -1
	s_mov_b64 s[10:11], 0
.LBB185_2777:
	s_and_b64 vcc, exec, s[0:1]
	s_cbranch_vccz .LBB185_2816
; %bb.2778:
	s_and_b32 s4, 0xffff, s24
	s_cmp_lt_i32 s4, 5
	s_mov_b64 s[0:1], -1
	s_cbranch_scc1 .LBB185_2799
; %bb.2779:
	s_cmp_lt_i32 s4, 8
	s_cbranch_scc1 .LBB185_2789
; %bb.2780:
	s_cmp_lt_i32 s4, 9
	s_cbranch_scc1 .LBB185_2786
; %bb.2781:
	s_cmp_gt_i32 s4, 9
	s_cbranch_scc0 .LBB185_2783
; %bb.2782:
	v_cvt_f64_f32_e32 v[11:12], v2
	v_mov_b32_e32 v13, 0
	v_mov_b32_e32 v14, v13
	s_mov_b64 s[0:1], 0
	global_store_dwordx4 v[0:1], v[11:14], off
.LBB185_2783:
	s_andn2_b64 vcc, exec, s[0:1]
	s_cbranch_vccnz .LBB185_2785
; %bb.2784:
	v_mov_b32_e32 v3, 0
	global_store_dwordx2 v[0:1], v[2:3], off
.LBB185_2785:
	s_mov_b64 s[0:1], 0
.LBB185_2786:
	s_andn2_b64 vcc, exec, s[0:1]
	s_cbranch_vccnz .LBB185_2788
; %bb.2787:
	v_cvt_f16_f32_e32 v3, v2
	global_store_dword v[0:1], v3, off
.LBB185_2788:
	s_mov_b64 s[0:1], 0
.LBB185_2789:
	s_andn2_b64 vcc, exec, s[0:1]
	s_cbranch_vccnz .LBB185_2798
; %bb.2790:
	s_cmp_lt_i32 s4, 6
	s_mov_b64 s[0:1], -1
	s_cbranch_scc1 .LBB185_2796
; %bb.2791:
	s_cmp_gt_i32 s4, 6
	s_cbranch_scc0 .LBB185_2793
; %bb.2792:
	v_cvt_f64_f32_e32 v[5:6], v2
	s_mov_b64 s[0:1], 0
	global_store_dwordx2 v[0:1], v[5:6], off
.LBB185_2793:
	s_andn2_b64 vcc, exec, s[0:1]
	s_cbranch_vccnz .LBB185_2795
; %bb.2794:
	global_store_dword v[0:1], v2, off
.LBB185_2795:
	s_mov_b64 s[0:1], 0
.LBB185_2796:
	s_andn2_b64 vcc, exec, s[0:1]
	s_cbranch_vccnz .LBB185_2798
; %bb.2797:
	v_cvt_f16_f32_e32 v3, v2
	global_store_short v[0:1], v3, off
.LBB185_2798:
	s_mov_b64 s[0:1], 0
.LBB185_2799:
	s_andn2_b64 vcc, exec, s[0:1]
	s_cbranch_vccnz .LBB185_2815
; %bb.2800:
	s_cmp_lt_i32 s4, 2
	s_mov_b64 s[0:1], -1
	s_cbranch_scc1 .LBB185_2810
; %bb.2801:
	s_cmp_lt_i32 s4, 3
	s_cbranch_scc1 .LBB185_2807
; %bb.2802:
	s_cmp_gt_i32 s4, 3
	s_cbranch_scc0 .LBB185_2804
; %bb.2803:
	v_trunc_f32_e32 v3, v2
	s_mov_b32 s0, 0x2f800000
	v_mul_f32_e64 v5, |v3|, s0
	v_floor_f32_e32 v5, v5
	s_mov_b32 s0, 0xcf800000
	v_cvt_u32_f32_e32 v6, v5
	v_fma_f32 v5, v5, s0, |v3|
	v_cvt_u32_f32_e32 v5, v5
	v_ashrrev_i32_e32 v3, 31, v3
	v_xor_b32_e32 v6, v6, v3
	s_mov_b64 s[0:1], 0
	v_xor_b32_e32 v5, v5, v3
	v_sub_co_u32_e32 v5, vcc, v5, v3
	v_subb_co_u32_e32 v6, vcc, v6, v3, vcc
	global_store_dwordx2 v[0:1], v[5:6], off
.LBB185_2804:
	s_andn2_b64 vcc, exec, s[0:1]
	s_cbranch_vccnz .LBB185_2806
; %bb.2805:
	v_cvt_i32_f32_e32 v3, v2
	global_store_dword v[0:1], v3, off
.LBB185_2806:
	s_mov_b64 s[0:1], 0
.LBB185_2807:
	s_andn2_b64 vcc, exec, s[0:1]
	s_cbranch_vccnz .LBB185_2809
; %bb.2808:
	v_cvt_i32_f32_e32 v3, v2
	global_store_short v[0:1], v3, off
.LBB185_2809:
	s_mov_b64 s[0:1], 0
.LBB185_2810:
	s_andn2_b64 vcc, exec, s[0:1]
	s_cbranch_vccnz .LBB185_2815
; %bb.2811:
	s_cmp_gt_i32 s4, 0
	s_mov_b64 s[0:1], -1
	s_cbranch_scc0 .LBB185_2813
; %bb.2812:
	v_cvt_i32_f32_e32 v3, v2
	s_mov_b64 s[0:1], 0
	global_store_byte v[0:1], v3, off
.LBB185_2813:
	s_andn2_b64 vcc, exec, s[0:1]
	s_cbranch_vccnz .LBB185_2815
; %bb.2814:
	v_trunc_f32_e32 v2, v2
	s_mov_b32 s0, 0x2f800000
	v_mul_f32_e64 v3, |v2|, s0
	v_floor_f32_e32 v3, v3
	s_mov_b32 s0, 0xcf800000
	v_fma_f32 v3, v3, s0, |v2|
	v_cvt_u32_f32_e32 v3, v3
	v_ashrrev_i32_e32 v2, 31, v2
	v_xor_b32_e32 v3, v3, v2
	v_sub_u32_e32 v2, v3, v2
	global_store_byte v[0:1], v2, off
.LBB185_2815:
	s_mov_b64 s[10:11], -1
.LBB185_2816:
	s_andn2_b64 vcc, exec, s[10:11]
	s_cbranch_vccnz .LBB185_3012
; %bb.2817:
	v_mov_b32_e32 v0, s2
	v_cmp_nge_f32_e32 vcc, s15, v7
	v_add_u32_e32 v4, s3, v4
	v_cndmask_b32_e32 v2, v0, v8, vcc
	v_ashrrev_i32_e32 v1, 31, v4
	v_mov_b32_e32 v3, s9
	v_add_co_u32_e32 v0, vcc, s8, v4
	s_cmp_lt_i32 s24, 11
	v_addc_co_u32_e32 v1, vcc, v3, v1, vcc
	s_cbranch_scc1 .LBB185_2895
; %bb.2818:
	s_and_b32 s14, 0xffff, s24
	s_mov_b64 s[12:13], -1
	s_mov_b64 s[4:5], 0
	s_cmp_gt_i32 s14, 25
	s_mov_b64 s[10:11], 0
	s_mov_b64 s[0:1], 0
	s_cbranch_scc0 .LBB185_2851
; %bb.2819:
	s_cmp_gt_i32 s14, 28
	s_cbranch_scc0 .LBB185_2834
; %bb.2820:
	s_cmp_gt_i32 s14, 43
	;; [unrolled: 3-line block ×3, first 2 shown]
	s_cbranch_scc0 .LBB185_2824
; %bb.2822:
	s_mov_b64 s[0:1], -1
	s_mov_b64 s[12:13], 0
	s_cmp_eq_u32 s14, 46
	s_cbranch_scc0 .LBB185_2824
; %bb.2823:
	v_bfe_u32 v3, v2, 16, 1
	s_movk_i32 s0, 0x7fff
	v_add3_u32 v3, v2, v3, s0
	v_cmp_o_f32_e32 vcc, v2, v2
	v_mov_b32_e32 v5, 0x7fc0
	v_cndmask_b32_sdwa v3, v5, v3, vcc dst_sel:DWORD dst_unused:UNUSED_PAD src0_sel:DWORD src1_sel:WORD_1
	global_store_dword v[0:1], v3, off
	s_mov_b64 s[0:1], 0
	s_mov_b64 s[10:11], -1
.LBB185_2824:
	s_and_b64 vcc, exec, s[12:13]
	s_cbranch_vccz .LBB185_2829
; %bb.2825:
	s_cmp_eq_u32 s14, 44
	s_mov_b64 s[0:1], -1
	s_cbranch_scc0 .LBB185_2829
; %bb.2826:
	v_bfe_u32 v3, v2, 23, 8
	s_movk_i32 s0, 0xff
	v_cmp_ne_u32_e32 vcc, s0, v3
	v_mov_b32_e32 v5, 0xff
	s_and_saveexec_b64 s[10:11], vcc
; %bb.2827:
	s_mov_b32 s0, 0x3fffff
	v_and_b32_e32 v6, 0x400000, v2
	v_and_or_b32 v3, v2, s0, v3
	v_cmp_ne_u32_e32 vcc, 0, v6
	v_cmp_ne_u32_e64 s[0:1], 0, v3
	s_and_b64 s[0:1], vcc, s[0:1]
	v_lshrrev_b32_e32 v5, 23, v2
	v_cndmask_b32_e64 v3, 0, 1, s[0:1]
	v_add_u32_e32 v5, v5, v3
; %bb.2828:
	s_or_b64 exec, exec, s[10:11]
	s_mov_b64 s[0:1], 0
	s_mov_b64 s[10:11], -1
	global_store_byte v[0:1], v5, off
.LBB185_2829:
	s_mov_b64 s[12:13], 0
.LBB185_2830:
	s_and_b64 vcc, exec, s[12:13]
	s_cbranch_vccz .LBB185_2833
; %bb.2831:
	s_cmp_eq_u32 s14, 29
	s_mov_b64 s[0:1], -1
	s_cbranch_scc0 .LBB185_2833
; %bb.2832:
	v_trunc_f32_e32 v3, v2
	v_mul_f32_e32 v5, 0x2f800000, v3
	v_floor_f32_e32 v5, v5
	v_fmac_f32_e32 v3, 0xcf800000, v5
	v_cvt_u32_f32_e32 v6, v5
	v_cvt_u32_f32_e32 v5, v3
	s_mov_b64 s[0:1], 0
	s_mov_b64 s[10:11], -1
	global_store_dwordx2 v[0:1], v[5:6], off
.LBB185_2833:
	s_mov_b64 s[12:13], 0
.LBB185_2834:
	s_and_b64 vcc, exec, s[12:13]
	s_cbranch_vccz .LBB185_2850
; %bb.2835:
	s_cmp_lt_i32 s14, 27
	s_mov_b64 s[10:11], -1
	s_cbranch_scc1 .LBB185_2841
; %bb.2836:
	v_cvt_u32_f32_e32 v3, v2
	s_cmp_gt_i32 s14, 27
	s_cbranch_scc0 .LBB185_2838
; %bb.2837:
	s_mov_b64 s[10:11], 0
	global_store_dword v[0:1], v3, off
.LBB185_2838:
	s_andn2_b64 vcc, exec, s[10:11]
	s_cbranch_vccnz .LBB185_2840
; %bb.2839:
	global_store_short v[0:1], v3, off
.LBB185_2840:
	s_mov_b64 s[10:11], 0
.LBB185_2841:
	s_andn2_b64 vcc, exec, s[10:11]
	s_cbranch_vccnz .LBB185_2849
; %bb.2842:
	v_and_b32_e32 v3, 0x7fffffff, v2
	s_mov_b32 s10, 0x43800000
	v_cmp_gt_u32_e32 vcc, s10, v3
	v_mov_b32_e32 v5, 0x80
	s_and_saveexec_b64 s[10:11], vcc
	s_cbranch_execz .LBB185_2848
; %bb.2843:
	s_mov_b32 s12, 0x3bffffff
	v_cmp_lt_u32_e32 vcc, s12, v3
	s_mov_b64 s[12:13], 0
                                        ; implicit-def: $vgpr3
	s_and_saveexec_b64 s[16:17], vcc
	s_xor_b64 s[16:17], exec, s[16:17]
	s_cbranch_execz .LBB185_3069
; %bb.2844:
	v_bfe_u32 v3, v2, 20, 1
	s_mov_b32 s22, 0x487ffff
	v_add3_u32 v3, v2, v3, s22
	s_mov_b64 s[12:13], exec
	v_lshrrev_b32_e32 v3, 20, v3
	s_andn2_saveexec_b64 s[16:17], s[16:17]
	s_cbranch_execnz .LBB185_3070
.LBB185_2845:
	s_or_b64 exec, exec, s[16:17]
	v_mov_b32_e32 v5, 0
	s_and_saveexec_b64 s[16:17], s[12:13]
.LBB185_2846:
	v_lshrrev_b32_e32 v5, 24, v2
	s_movk_i32 s12, 0x80
	v_and_or_b32 v5, v5, s12, v3
.LBB185_2847:
	s_or_b64 exec, exec, s[16:17]
.LBB185_2848:
	s_or_b64 exec, exec, s[10:11]
	global_store_byte v[0:1], v5, off
.LBB185_2849:
	s_mov_b64 s[10:11], -1
.LBB185_2850:
	s_mov_b64 s[12:13], 0
.LBB185_2851:
	s_and_b64 vcc, exec, s[12:13]
	s_cbranch_vccz .LBB185_2891
; %bb.2852:
	s_cmp_gt_i32 s14, 22
	s_mov_b64 s[4:5], -1
	s_cbranch_scc0 .LBB185_2884
; %bb.2853:
	s_cmp_lt_i32 s14, 24
	s_cbranch_scc1 .LBB185_2873
; %bb.2854:
	s_cmp_gt_i32 s14, 24
	s_cbranch_scc0 .LBB185_2862
; %bb.2855:
	v_and_b32_e32 v3, 0x7fffffff, v2
	s_mov_b32 s4, 0x47800000
	v_cmp_gt_u32_e32 vcc, s4, v3
	v_mov_b32_e32 v5, 0x80
	s_and_saveexec_b64 s[4:5], vcc
	s_cbranch_execz .LBB185_2861
; %bb.2856:
	s_mov_b32 s10, 0x37ffffff
	v_cmp_lt_u32_e32 vcc, s10, v3
	s_mov_b64 s[10:11], 0
                                        ; implicit-def: $vgpr3
	s_and_saveexec_b64 s[12:13], vcc
	s_xor_b64 s[12:13], exec, s[12:13]
	s_cbranch_execz .LBB185_3072
; %bb.2857:
	v_bfe_u32 v3, v2, 21, 1
	s_mov_b32 s16, 0x88fffff
	v_add3_u32 v3, v2, v3, s16
	s_mov_b64 s[10:11], exec
	v_lshrrev_b32_e32 v3, 21, v3
	s_andn2_saveexec_b64 s[12:13], s[12:13]
	s_cbranch_execnz .LBB185_3073
.LBB185_2858:
	s_or_b64 exec, exec, s[12:13]
	v_mov_b32_e32 v5, 0
	s_and_saveexec_b64 s[12:13], s[10:11]
.LBB185_2859:
	v_lshrrev_b32_e32 v5, 24, v2
	s_movk_i32 s10, 0x80
	v_and_or_b32 v5, v5, s10, v3
.LBB185_2860:
	s_or_b64 exec, exec, s[12:13]
.LBB185_2861:
	s_or_b64 exec, exec, s[4:5]
	s_mov_b64 s[4:5], 0
	global_store_byte v[0:1], v5, off
.LBB185_2862:
	s_and_b64 vcc, exec, s[4:5]
	s_cbranch_vccz .LBB185_2872
; %bb.2863:
	v_and_b32_e32 v5, 0x7fffffff, v2
	s_mov_b32 s4, 0x43f00000
	v_cmp_gt_u32_e32 vcc, s4, v5
                                        ; implicit-def: $vgpr3
	s_and_saveexec_b64 s[4:5], vcc
	s_xor_b64 s[4:5], exec, s[4:5]
	s_cbranch_execz .LBB185_2869
; %bb.2864:
	s_mov_b32 s10, 0x3c7fffff
	v_cmp_lt_u32_e32 vcc, s10, v5
                                        ; implicit-def: $vgpr3
	s_and_saveexec_b64 s[10:11], vcc
	s_xor_b64 s[10:11], exec, s[10:11]
; %bb.2865:
	v_bfe_u32 v3, v2, 20, 1
	s_mov_b32 s12, 0x407ffff
	v_add3_u32 v3, v2, v3, s12
	v_lshrrev_b32_e32 v5, 20, v3
	v_and_b32_e32 v3, 0xff00000, v3
	s_mov_b32 s12, 0x7f00000
	v_mov_b32_e32 v6, 0x7e
	v_cmp_ne_u32_e32 vcc, s12, v3
	v_cndmask_b32_e32 v3, v6, v5, vcc
; %bb.2866:
	s_andn2_saveexec_b64 s[10:11], s[10:11]
; %bb.2867:
	s_mov_b32 s12, 0x46800000
	v_add_f32_e64 v3, |v2|, s12
; %bb.2868:
	s_or_b64 exec, exec, s[10:11]
                                        ; implicit-def: $vgpr5
.LBB185_2869:
	s_andn2_saveexec_b64 s[4:5], s[4:5]
; %bb.2870:
	s_mov_b32 s10, 0x7f800000
	v_mov_b32_e32 v3, 0x7e
	v_mov_b32_e32 v6, 0x7f
	v_cmp_lt_u32_e32 vcc, s10, v5
	v_cndmask_b32_e32 v3, v3, v6, vcc
; %bb.2871:
	s_or_b64 exec, exec, s[4:5]
	v_lshrrev_b32_e32 v5, 24, v2
	s_movk_i32 s4, 0x80
	v_and_or_b32 v3, v5, s4, v3
	global_store_byte v[0:1], v3, off
.LBB185_2872:
	s_mov_b64 s[4:5], 0
.LBB185_2873:
	s_andn2_b64 vcc, exec, s[4:5]
	s_cbranch_vccnz .LBB185_2883
; %bb.2874:
	v_and_b32_e32 v5, 0x7fffffff, v2
	s_mov_b32 s4, 0x47800000
	v_cmp_gt_u32_e32 vcc, s4, v5
                                        ; implicit-def: $vgpr3
	s_and_saveexec_b64 s[4:5], vcc
	s_xor_b64 s[4:5], exec, s[4:5]
	s_cbranch_execz .LBB185_2880
; %bb.2875:
	s_mov_b32 s10, 0x387fffff
	v_cmp_lt_u32_e32 vcc, s10, v5
                                        ; implicit-def: $vgpr3
	s_and_saveexec_b64 s[10:11], vcc
	s_xor_b64 s[10:11], exec, s[10:11]
; %bb.2876:
	v_bfe_u32 v3, v2, 21, 1
	s_mov_b32 s12, 0x80fffff
	v_add3_u32 v3, v2, v3, s12
	v_lshrrev_b32_e32 v3, 21, v3
; %bb.2877:
	s_andn2_saveexec_b64 s[10:11], s[10:11]
; %bb.2878:
	s_mov_b32 s12, 0x43000000
	v_add_f32_e64 v3, |v2|, s12
; %bb.2879:
	s_or_b64 exec, exec, s[10:11]
                                        ; implicit-def: $vgpr5
.LBB185_2880:
	s_andn2_saveexec_b64 s[4:5], s[4:5]
; %bb.2881:
	s_mov_b32 s10, 0x7f800000
	v_mov_b32_e32 v3, 0x7c
	v_mov_b32_e32 v6, 0x7f
	v_cmp_lt_u32_e32 vcc, s10, v5
	v_cndmask_b32_e32 v3, v3, v6, vcc
; %bb.2882:
	s_or_b64 exec, exec, s[4:5]
	v_lshrrev_b32_e32 v5, 24, v2
	s_movk_i32 s4, 0x80
	v_and_or_b32 v3, v5, s4, v3
	global_store_byte v[0:1], v3, off
.LBB185_2883:
	s_mov_b64 s[4:5], 0
	s_mov_b64 s[10:11], -1
.LBB185_2884:
	s_andn2_b64 vcc, exec, s[4:5]
	s_mov_b64 s[4:5], 0
	s_cbranch_vccnz .LBB185_2891
; %bb.2885:
	s_cmp_gt_i32 s14, 14
	s_mov_b64 s[12:13], -1
	s_cbranch_scc0 .LBB185_2889
; %bb.2886:
	s_cmp_eq_u32 s14, 15
	s_mov_b64 s[0:1], -1
	s_cbranch_scc0 .LBB185_2888
; %bb.2887:
	v_bfe_u32 v3, v2, 16, 1
	s_movk_i32 s0, 0x7fff
	v_add3_u32 v3, v2, v3, s0
	v_cmp_o_f32_e32 vcc, v2, v2
	v_mov_b32_e32 v5, 0x7fc0
	v_cndmask_b32_sdwa v3, v5, v3, vcc dst_sel:DWORD dst_unused:UNUSED_PAD src0_sel:DWORD src1_sel:WORD_1
	global_store_short v[0:1], v3, off
	s_mov_b64 s[0:1], 0
	s_mov_b64 s[10:11], -1
.LBB185_2888:
	s_mov_b64 s[12:13], 0
.LBB185_2889:
	s_and_b64 vcc, exec, s[12:13]
	s_cbranch_vccz .LBB185_2891
; %bb.2890:
	s_cmp_lg_u32 s14, 11
	s_mov_b64 s[4:5], -1
	s_cselect_b64 s[0:1], -1, 0
.LBB185_2891:
	s_and_b64 vcc, exec, s[0:1]
	s_cbranch_vccnz .LBB185_3071
; %bb.2892:
	s_andn2_b64 vcc, exec, s[4:5]
	s_cbranch_vccnz .LBB185_2894
.LBB185_2893:
	v_cmp_neq_f32_e32 vcc, 0, v2
	v_cndmask_b32_e64 v3, 0, 1, vcc
	s_mov_b64 s[10:11], -1
	global_store_byte v[0:1], v3, off
.LBB185_2894:
	s_mov_b64 s[0:1], 0
	s_branch .LBB185_2896
.LBB185_2895:
	s_mov_b64 s[0:1], -1
	s_mov_b64 s[10:11], 0
.LBB185_2896:
	s_and_b64 vcc, exec, s[0:1]
	s_cbranch_vccz .LBB185_2935
; %bb.2897:
	s_and_b32 s4, 0xffff, s24
	s_cmp_lt_i32 s4, 5
	s_mov_b64 s[0:1], -1
	s_cbranch_scc1 .LBB185_2918
; %bb.2898:
	s_cmp_lt_i32 s4, 8
	s_cbranch_scc1 .LBB185_2908
; %bb.2899:
	s_cmp_lt_i32 s4, 9
	s_cbranch_scc1 .LBB185_2905
; %bb.2900:
	s_cmp_gt_i32 s4, 9
	s_cbranch_scc0 .LBB185_2902
; %bb.2901:
	v_cvt_f64_f32_e32 v[5:6], v2
	v_mov_b32_e32 v7, 0
	v_mov_b32_e32 v8, v7
	s_mov_b64 s[0:1], 0
	global_store_dwordx4 v[0:1], v[5:8], off
.LBB185_2902:
	s_andn2_b64 vcc, exec, s[0:1]
	s_cbranch_vccnz .LBB185_2904
; %bb.2903:
	v_mov_b32_e32 v3, 0
	global_store_dwordx2 v[0:1], v[2:3], off
.LBB185_2904:
	s_mov_b64 s[0:1], 0
.LBB185_2905:
	s_andn2_b64 vcc, exec, s[0:1]
	s_cbranch_vccnz .LBB185_2907
; %bb.2906:
	v_cvt_f16_f32_e32 v3, v2
	global_store_dword v[0:1], v3, off
.LBB185_2907:
	s_mov_b64 s[0:1], 0
.LBB185_2908:
	s_andn2_b64 vcc, exec, s[0:1]
	s_cbranch_vccnz .LBB185_2917
; %bb.2909:
	s_cmp_lt_i32 s4, 6
	s_mov_b64 s[0:1], -1
	s_cbranch_scc1 .LBB185_2915
; %bb.2910:
	s_cmp_gt_i32 s4, 6
	s_cbranch_scc0 .LBB185_2912
; %bb.2911:
	v_cvt_f64_f32_e32 v[5:6], v2
	s_mov_b64 s[0:1], 0
	global_store_dwordx2 v[0:1], v[5:6], off
.LBB185_2912:
	s_andn2_b64 vcc, exec, s[0:1]
	s_cbranch_vccnz .LBB185_2914
; %bb.2913:
	global_store_dword v[0:1], v2, off
.LBB185_2914:
	s_mov_b64 s[0:1], 0
.LBB185_2915:
	s_andn2_b64 vcc, exec, s[0:1]
	s_cbranch_vccnz .LBB185_2917
; %bb.2916:
	v_cvt_f16_f32_e32 v3, v2
	global_store_short v[0:1], v3, off
.LBB185_2917:
	s_mov_b64 s[0:1], 0
.LBB185_2918:
	s_andn2_b64 vcc, exec, s[0:1]
	s_cbranch_vccnz .LBB185_2934
; %bb.2919:
	s_cmp_lt_i32 s4, 2
	s_mov_b64 s[0:1], -1
	s_cbranch_scc1 .LBB185_2929
; %bb.2920:
	s_cmp_lt_i32 s4, 3
	s_cbranch_scc1 .LBB185_2926
; %bb.2921:
	s_cmp_gt_i32 s4, 3
	s_cbranch_scc0 .LBB185_2923
; %bb.2922:
	v_trunc_f32_e32 v3, v2
	s_mov_b32 s0, 0x2f800000
	v_mul_f32_e64 v5, |v3|, s0
	v_floor_f32_e32 v5, v5
	s_mov_b32 s0, 0xcf800000
	v_cvt_u32_f32_e32 v6, v5
	v_fma_f32 v5, v5, s0, |v3|
	v_cvt_u32_f32_e32 v5, v5
	v_ashrrev_i32_e32 v3, 31, v3
	v_xor_b32_e32 v6, v6, v3
	s_mov_b64 s[0:1], 0
	v_xor_b32_e32 v5, v5, v3
	v_sub_co_u32_e32 v5, vcc, v5, v3
	v_subb_co_u32_e32 v6, vcc, v6, v3, vcc
	global_store_dwordx2 v[0:1], v[5:6], off
.LBB185_2923:
	s_andn2_b64 vcc, exec, s[0:1]
	s_cbranch_vccnz .LBB185_2925
; %bb.2924:
	v_cvt_i32_f32_e32 v3, v2
	global_store_dword v[0:1], v3, off
.LBB185_2925:
	s_mov_b64 s[0:1], 0
.LBB185_2926:
	s_andn2_b64 vcc, exec, s[0:1]
	s_cbranch_vccnz .LBB185_2928
; %bb.2927:
	v_cvt_i32_f32_e32 v3, v2
	global_store_short v[0:1], v3, off
.LBB185_2928:
	s_mov_b64 s[0:1], 0
.LBB185_2929:
	s_andn2_b64 vcc, exec, s[0:1]
	s_cbranch_vccnz .LBB185_2934
; %bb.2930:
	s_cmp_gt_i32 s4, 0
	s_mov_b64 s[0:1], -1
	s_cbranch_scc0 .LBB185_2932
; %bb.2931:
	v_cvt_i32_f32_e32 v3, v2
	s_mov_b64 s[0:1], 0
	global_store_byte v[0:1], v3, off
.LBB185_2932:
	s_andn2_b64 vcc, exec, s[0:1]
	s_cbranch_vccnz .LBB185_2934
; %bb.2933:
	v_trunc_f32_e32 v2, v2
	s_mov_b32 s0, 0x2f800000
	v_mul_f32_e64 v3, |v2|, s0
	v_floor_f32_e32 v3, v3
	s_mov_b32 s0, 0xcf800000
	v_fma_f32 v3, v3, s0, |v2|
	v_cvt_u32_f32_e32 v3, v3
	v_ashrrev_i32_e32 v2, 31, v2
	v_xor_b32_e32 v3, v3, v2
	v_sub_u32_e32 v2, v3, v2
	global_store_byte v[0:1], v2, off
.LBB185_2934:
	s_mov_b64 s[10:11], -1
.LBB185_2935:
	s_andn2_b64 vcc, exec, s[10:11]
	s_cbranch_vccnz .LBB185_3012
; %bb.2936:
	v_mov_b32_e32 v0, s2
	v_cmp_nge_f32_e32 vcc, s15, v9
	v_cndmask_b32_e32 v2, v0, v10, vcc
	v_add_u32_e32 v0, s3, v4
	v_ashrrev_i32_e32 v1, 31, v0
	v_mov_b32_e32 v3, s9
	v_add_co_u32_e32 v0, vcc, s8, v0
	s_cmp_lt_i32 s24, 11
	v_addc_co_u32_e32 v1, vcc, v3, v1, vcc
	s_cbranch_scc1 .LBB185_3057
; %bb.2937:
	s_and_b32 s12, 0xffff, s24
	s_mov_b64 s[4:5], -1
	s_mov_b64 s[2:3], 0
	s_cmp_gt_i32 s12, 25
	s_mov_b64 s[0:1], 0
	s_cbranch_scc0 .LBB185_2970
; %bb.2938:
	s_cmp_gt_i32 s12, 28
	s_cbranch_scc0 .LBB185_2954
; %bb.2939:
	s_cmp_gt_i32 s12, 43
	;; [unrolled: 3-line block ×3, first 2 shown]
	s_cbranch_scc0 .LBB185_2944
; %bb.2941:
	s_cmp_eq_u32 s12, 46
	s_mov_b64 s[0:1], -1
	s_cbranch_scc0 .LBB185_2943
; %bb.2942:
	v_bfe_u32 v3, v2, 16, 1
	s_movk_i32 s0, 0x7fff
	v_add3_u32 v3, v2, v3, s0
	v_cmp_o_f32_e32 vcc, v2, v2
	v_mov_b32_e32 v4, 0x7fc0
	v_cndmask_b32_sdwa v3, v4, v3, vcc dst_sel:DWORD dst_unused:UNUSED_PAD src0_sel:DWORD src1_sel:WORD_1
	global_store_dword v[0:1], v3, off
	s_mov_b64 s[0:1], 0
.LBB185_2943:
	s_mov_b64 s[4:5], 0
.LBB185_2944:
	s_and_b64 vcc, exec, s[4:5]
	s_cbranch_vccz .LBB185_2949
; %bb.2945:
	s_cmp_eq_u32 s12, 44
	s_mov_b64 s[0:1], -1
	s_cbranch_scc0 .LBB185_2949
; %bb.2946:
	v_bfe_u32 v3, v2, 23, 8
	s_movk_i32 s0, 0xff
	v_cmp_ne_u32_e32 vcc, s0, v3
	v_mov_b32_e32 v4, 0xff
	s_and_saveexec_b64 s[4:5], vcc
; %bb.2947:
	s_mov_b32 s0, 0x3fffff
	v_and_b32_e32 v5, 0x400000, v2
	v_and_or_b32 v3, v2, s0, v3
	v_cmp_ne_u32_e32 vcc, 0, v5
	v_cmp_ne_u32_e64 s[0:1], 0, v3
	s_and_b64 s[0:1], vcc, s[0:1]
	v_lshrrev_b32_e32 v4, 23, v2
	v_cndmask_b32_e64 v3, 0, 1, s[0:1]
	v_add_u32_e32 v4, v4, v3
; %bb.2948:
	s_or_b64 exec, exec, s[4:5]
	s_mov_b64 s[0:1], 0
	global_store_byte v[0:1], v4, off
.LBB185_2949:
	s_mov_b64 s[4:5], 0
.LBB185_2950:
	s_and_b64 vcc, exec, s[4:5]
	s_cbranch_vccz .LBB185_2953
; %bb.2951:
	s_cmp_eq_u32 s12, 29
	s_mov_b64 s[0:1], -1
	s_cbranch_scc0 .LBB185_2953
; %bb.2952:
	v_trunc_f32_e32 v3, v2
	v_mul_f32_e32 v4, 0x2f800000, v3
	v_floor_f32_e32 v5, v4
	v_fmac_f32_e32 v3, 0xcf800000, v5
	v_cvt_u32_f32_e32 v4, v5
	v_cvt_u32_f32_e32 v3, v3
	s_mov_b64 s[0:1], 0
	global_store_dwordx2 v[0:1], v[3:4], off
.LBB185_2953:
	s_mov_b64 s[4:5], 0
.LBB185_2954:
	s_and_b64 vcc, exec, s[4:5]
	s_cbranch_vccz .LBB185_2969
; %bb.2955:
	s_cmp_lt_i32 s12, 27
	s_mov_b64 s[4:5], -1
	s_cbranch_scc1 .LBB185_2961
; %bb.2956:
	v_cvt_u32_f32_e32 v3, v2
	s_cmp_gt_i32 s12, 27
	s_cbranch_scc0 .LBB185_2958
; %bb.2957:
	global_store_dword v[0:1], v3, off
	s_mov_b64 s[4:5], 0
.LBB185_2958:
	s_andn2_b64 vcc, exec, s[4:5]
	s_cbranch_vccnz .LBB185_2960
; %bb.2959:
	global_store_short v[0:1], v3, off
.LBB185_2960:
	s_mov_b64 s[4:5], 0
.LBB185_2961:
	s_andn2_b64 vcc, exec, s[4:5]
	s_cbranch_vccnz .LBB185_2969
; %bb.2962:
	v_and_b32_e32 v3, 0x7fffffff, v2
	s_mov_b32 s4, 0x43800000
	v_cmp_gt_u32_e32 vcc, s4, v3
	v_mov_b32_e32 v4, 0x80
	s_and_saveexec_b64 s[4:5], vcc
	s_cbranch_execz .LBB185_2968
; %bb.2963:
	s_mov_b32 s8, 0x3bffffff
	v_cmp_lt_u32_e32 vcc, s8, v3
	s_mov_b64 s[8:9], 0
                                        ; implicit-def: $vgpr3
	s_and_saveexec_b64 s[10:11], vcc
	s_xor_b64 s[10:11], exec, s[10:11]
	s_cbranch_execz .LBB185_3074
; %bb.2964:
	v_bfe_u32 v3, v2, 20, 1
	s_mov_b32 s13, 0x487ffff
	v_add3_u32 v3, v2, v3, s13
	s_mov_b64 s[8:9], exec
	v_lshrrev_b32_e32 v3, 20, v3
	s_andn2_saveexec_b64 s[10:11], s[10:11]
	s_cbranch_execnz .LBB185_3075
.LBB185_2965:
	s_or_b64 exec, exec, s[10:11]
	v_mov_b32_e32 v4, 0
	s_and_saveexec_b64 s[10:11], s[8:9]
.LBB185_2966:
	v_lshrrev_b32_e32 v4, 24, v2
	s_movk_i32 s8, 0x80
	v_and_or_b32 v4, v4, s8, v3
.LBB185_2967:
	s_or_b64 exec, exec, s[10:11]
.LBB185_2968:
	s_or_b64 exec, exec, s[4:5]
	global_store_byte v[0:1], v4, off
.LBB185_2969:
	s_mov_b64 s[4:5], 0
.LBB185_2970:
	s_and_b64 vcc, exec, s[4:5]
	s_cbranch_vccz .LBB185_3010
; %bb.2971:
	s_cmp_gt_i32 s12, 22
	s_mov_b64 s[2:3], -1
	s_cbranch_scc0 .LBB185_3003
; %bb.2972:
	s_cmp_lt_i32 s12, 24
	s_cbranch_scc1 .LBB185_2992
; %bb.2973:
	s_cmp_gt_i32 s12, 24
	s_cbranch_scc0 .LBB185_2981
; %bb.2974:
	v_and_b32_e32 v3, 0x7fffffff, v2
	s_mov_b32 s2, 0x47800000
	v_cmp_gt_u32_e32 vcc, s2, v3
	v_mov_b32_e32 v4, 0x80
	s_and_saveexec_b64 s[2:3], vcc
	s_cbranch_execz .LBB185_2980
; %bb.2975:
	s_mov_b32 s4, 0x37ffffff
	v_cmp_lt_u32_e32 vcc, s4, v3
	s_mov_b64 s[4:5], 0
                                        ; implicit-def: $vgpr3
	s_and_saveexec_b64 s[8:9], vcc
	s_xor_b64 s[8:9], exec, s[8:9]
	s_cbranch_execz .LBB185_3077
; %bb.2976:
	v_bfe_u32 v3, v2, 21, 1
	s_mov_b32 s10, 0x88fffff
	v_add3_u32 v3, v2, v3, s10
	s_mov_b64 s[4:5], exec
	v_lshrrev_b32_e32 v3, 21, v3
	s_andn2_saveexec_b64 s[8:9], s[8:9]
	s_cbranch_execnz .LBB185_3078
.LBB185_2977:
	s_or_b64 exec, exec, s[8:9]
	v_mov_b32_e32 v4, 0
	s_and_saveexec_b64 s[8:9], s[4:5]
.LBB185_2978:
	v_lshrrev_b32_e32 v4, 24, v2
	s_movk_i32 s4, 0x80
	v_and_or_b32 v4, v4, s4, v3
.LBB185_2979:
	s_or_b64 exec, exec, s[8:9]
.LBB185_2980:
	s_or_b64 exec, exec, s[2:3]
	s_mov_b64 s[2:3], 0
	global_store_byte v[0:1], v4, off
.LBB185_2981:
	s_and_b64 vcc, exec, s[2:3]
	s_cbranch_vccz .LBB185_2991
; %bb.2982:
	v_and_b32_e32 v4, 0x7fffffff, v2
	s_mov_b32 s2, 0x43f00000
	v_cmp_gt_u32_e32 vcc, s2, v4
                                        ; implicit-def: $vgpr3
	s_and_saveexec_b64 s[2:3], vcc
	s_xor_b64 s[2:3], exec, s[2:3]
	s_cbranch_execz .LBB185_2988
; %bb.2983:
	s_mov_b32 s4, 0x3c7fffff
	v_cmp_lt_u32_e32 vcc, s4, v4
                                        ; implicit-def: $vgpr3
	s_and_saveexec_b64 s[4:5], vcc
	s_xor_b64 s[4:5], exec, s[4:5]
; %bb.2984:
	v_bfe_u32 v3, v2, 20, 1
	s_mov_b32 s8, 0x407ffff
	v_add3_u32 v3, v2, v3, s8
	v_lshrrev_b32_e32 v4, 20, v3
	v_and_b32_e32 v3, 0xff00000, v3
	s_mov_b32 s8, 0x7f00000
	v_mov_b32_e32 v5, 0x7e
	v_cmp_ne_u32_e32 vcc, s8, v3
	v_cndmask_b32_e32 v3, v5, v4, vcc
; %bb.2985:
	s_andn2_saveexec_b64 s[4:5], s[4:5]
; %bb.2986:
	s_mov_b32 s8, 0x46800000
	v_add_f32_e64 v3, |v2|, s8
; %bb.2987:
	s_or_b64 exec, exec, s[4:5]
                                        ; implicit-def: $vgpr4
.LBB185_2988:
	s_andn2_saveexec_b64 s[2:3], s[2:3]
; %bb.2989:
	s_mov_b32 s4, 0x7f800000
	v_mov_b32_e32 v3, 0x7e
	v_mov_b32_e32 v5, 0x7f
	v_cmp_lt_u32_e32 vcc, s4, v4
	v_cndmask_b32_e32 v3, v3, v5, vcc
; %bb.2990:
	s_or_b64 exec, exec, s[2:3]
	v_lshrrev_b32_e32 v4, 24, v2
	s_movk_i32 s2, 0x80
	v_and_or_b32 v3, v4, s2, v3
	global_store_byte v[0:1], v3, off
.LBB185_2991:
	s_mov_b64 s[2:3], 0
.LBB185_2992:
	s_andn2_b64 vcc, exec, s[2:3]
	s_cbranch_vccnz .LBB185_3002
; %bb.2993:
	v_and_b32_e32 v4, 0x7fffffff, v2
	s_mov_b32 s2, 0x47800000
	v_cmp_gt_u32_e32 vcc, s2, v4
                                        ; implicit-def: $vgpr3
	s_and_saveexec_b64 s[2:3], vcc
	s_xor_b64 s[2:3], exec, s[2:3]
	s_cbranch_execz .LBB185_2999
; %bb.2994:
	s_mov_b32 s4, 0x387fffff
	v_cmp_lt_u32_e32 vcc, s4, v4
                                        ; implicit-def: $vgpr3
	s_and_saveexec_b64 s[4:5], vcc
	s_xor_b64 s[4:5], exec, s[4:5]
; %bb.2995:
	v_bfe_u32 v3, v2, 21, 1
	s_mov_b32 s8, 0x80fffff
	v_add3_u32 v3, v2, v3, s8
	v_lshrrev_b32_e32 v3, 21, v3
; %bb.2996:
	s_andn2_saveexec_b64 s[4:5], s[4:5]
; %bb.2997:
	s_mov_b32 s8, 0x43000000
	v_add_f32_e64 v3, |v2|, s8
; %bb.2998:
	s_or_b64 exec, exec, s[4:5]
                                        ; implicit-def: $vgpr4
.LBB185_2999:
	s_andn2_saveexec_b64 s[2:3], s[2:3]
; %bb.3000:
	s_mov_b32 s4, 0x7f800000
	v_mov_b32_e32 v3, 0x7c
	v_mov_b32_e32 v5, 0x7f
	v_cmp_lt_u32_e32 vcc, s4, v4
	v_cndmask_b32_e32 v3, v3, v5, vcc
; %bb.3001:
	s_or_b64 exec, exec, s[2:3]
	v_lshrrev_b32_e32 v4, 24, v2
	s_movk_i32 s2, 0x80
	v_and_or_b32 v3, v4, s2, v3
	global_store_byte v[0:1], v3, off
.LBB185_3002:
	s_mov_b64 s[2:3], 0
.LBB185_3003:
	s_andn2_b64 vcc, exec, s[2:3]
	s_mov_b64 s[2:3], 0
	s_cbranch_vccnz .LBB185_3010
; %bb.3004:
	s_cmp_gt_i32 s12, 14
	s_mov_b64 s[4:5], -1
	s_cbranch_scc0 .LBB185_3008
; %bb.3005:
	s_cmp_eq_u32 s12, 15
	s_mov_b64 s[0:1], -1
	s_cbranch_scc0 .LBB185_3007
; %bb.3006:
	v_bfe_u32 v3, v2, 16, 1
	s_movk_i32 s0, 0x7fff
	v_add3_u32 v3, v2, v3, s0
	v_cmp_o_f32_e32 vcc, v2, v2
	v_mov_b32_e32 v4, 0x7fc0
	v_cndmask_b32_sdwa v3, v4, v3, vcc dst_sel:DWORD dst_unused:UNUSED_PAD src0_sel:DWORD src1_sel:WORD_1
	global_store_short v[0:1], v3, off
	s_mov_b64 s[0:1], 0
.LBB185_3007:
	s_mov_b64 s[4:5], 0
.LBB185_3008:
	s_and_b64 vcc, exec, s[4:5]
	s_cbranch_vccz .LBB185_3010
; %bb.3009:
	s_cmp_lg_u32 s12, 11
	s_mov_b64 s[2:3], -1
	s_cselect_b64 s[0:1], -1, 0
.LBB185_3010:
	s_and_b64 vcc, exec, s[0:1]
	s_cbranch_vccnz .LBB185_3076
.LBB185_3011:
	s_mov_b64 s[0:1], 0
	s_branch .LBB185_3013
.LBB185_3012:
	s_mov_b64 s[0:1], 0
	s_mov_b64 s[2:3], 0
                                        ; implicit-def: $sgpr24
                                        ; implicit-def: $vgpr0_vgpr1
                                        ; implicit-def: $vgpr2
.LBB185_3013:
	s_and_b64 s[4:5], s[2:3], exec
	s_andn2_b64 s[2:3], s[18:19], exec
	s_and_b64 s[8:9], s[20:21], exec
	s_and_b64 s[0:1], s[0:1], exec
	s_or_b64 s[18:19], s[2:3], s[8:9]
.LBB185_3014:
	s_or_b64 exec, exec, s[6:7]
	s_and_saveexec_b64 s[2:3], s[18:19]
	s_cbranch_execz .LBB185_3017
; %bb.3015:
	; divergent unreachable
	s_or_b64 exec, exec, s[2:3]
	s_and_saveexec_b64 s[2:3], s[4:5]
	s_xor_b64 s[2:3], exec, s[2:3]
	s_cbranch_execnz .LBB185_3018
.LBB185_3016:
	s_or_b64 exec, exec, s[2:3]
	s_and_saveexec_b64 s[2:3], s[0:1]
	s_cbranch_execnz .LBB185_3019
	s_branch .LBB185_3056
.LBB185_3017:
	s_or_b64 exec, exec, s[2:3]
	s_and_saveexec_b64 s[2:3], s[4:5]
	s_xor_b64 s[2:3], exec, s[2:3]
	s_cbranch_execz .LBB185_3016
.LBB185_3018:
	s_waitcnt vmcnt(0)
	v_cmp_neq_f32_e32 vcc, 0, v2
	v_cndmask_b32_e64 v3, 0, 1, vcc
	global_store_byte v[0:1], v3, off
	s_or_b64 exec, exec, s[2:3]
	s_and_saveexec_b64 s[2:3], s[0:1]
	s_cbranch_execz .LBB185_3056
.LBB185_3019:
	s_sext_i32_i16 s2, s24
	s_cmp_lt_i32 s2, 5
	s_mov_b64 s[0:1], -1
	s_cbranch_scc1 .LBB185_3040
; %bb.3020:
	s_cmp_lt_i32 s2, 8
	s_cbranch_scc1 .LBB185_3030
; %bb.3021:
	s_cmp_lt_i32 s2, 9
	s_cbranch_scc1 .LBB185_3027
; %bb.3022:
	s_cmp_gt_i32 s2, 9
	s_cbranch_scc0 .LBB185_3024
; %bb.3023:
	s_waitcnt vmcnt(0)
	v_cvt_f64_f32_e32 v[3:4], v2
	v_mov_b32_e32 v5, 0
	v_mov_b32_e32 v6, v5
	s_mov_b64 s[0:1], 0
	global_store_dwordx4 v[0:1], v[3:6], off
.LBB185_3024:
	s_andn2_b64 vcc, exec, s[0:1]
	s_cbranch_vccnz .LBB185_3026
; %bb.3025:
	s_waitcnt vmcnt(0)
	v_mov_b32_e32 v3, 0
	global_store_dwordx2 v[0:1], v[2:3], off
.LBB185_3026:
	s_mov_b64 s[0:1], 0
.LBB185_3027:
	s_andn2_b64 vcc, exec, s[0:1]
	s_cbranch_vccnz .LBB185_3029
; %bb.3028:
	s_waitcnt vmcnt(0)
	v_cvt_f16_f32_e32 v3, v2
	global_store_dword v[0:1], v3, off
.LBB185_3029:
	s_mov_b64 s[0:1], 0
.LBB185_3030:
	s_andn2_b64 vcc, exec, s[0:1]
	s_cbranch_vccnz .LBB185_3039
; %bb.3031:
	s_sext_i32_i16 s2, s24
	s_cmp_lt_i32 s2, 6
	s_mov_b64 s[0:1], -1
	s_cbranch_scc1 .LBB185_3037
; %bb.3032:
	s_cmp_gt_i32 s2, 6
	s_cbranch_scc0 .LBB185_3034
; %bb.3033:
	s_waitcnt vmcnt(0)
	v_cvt_f64_f32_e32 v[3:4], v2
	s_mov_b64 s[0:1], 0
	global_store_dwordx2 v[0:1], v[3:4], off
.LBB185_3034:
	s_andn2_b64 vcc, exec, s[0:1]
	s_cbranch_vccnz .LBB185_3036
; %bb.3035:
	s_waitcnt vmcnt(0)
	global_store_dword v[0:1], v2, off
.LBB185_3036:
	s_mov_b64 s[0:1], 0
.LBB185_3037:
	s_andn2_b64 vcc, exec, s[0:1]
	s_cbranch_vccnz .LBB185_3039
; %bb.3038:
	s_waitcnt vmcnt(0)
	v_cvt_f16_f32_e32 v3, v2
	global_store_short v[0:1], v3, off
.LBB185_3039:
	s_mov_b64 s[0:1], 0
.LBB185_3040:
	s_andn2_b64 vcc, exec, s[0:1]
	s_cbranch_vccnz .LBB185_3056
; %bb.3041:
	s_sext_i32_i16 s2, s24
	s_cmp_lt_i32 s2, 2
	s_mov_b64 s[0:1], -1
	s_cbranch_scc1 .LBB185_3051
; %bb.3042:
	s_cmp_lt_i32 s2, 3
	s_cbranch_scc1 .LBB185_3048
; %bb.3043:
	s_cmp_gt_i32 s2, 3
	s_cbranch_scc0 .LBB185_3045
; %bb.3044:
	s_waitcnt vmcnt(0)
	v_trunc_f32_e32 v3, v2
	s_mov_b32 s0, 0x2f800000
	v_mul_f32_e64 v4, |v3|, s0
	v_floor_f32_e32 v4, v4
	s_mov_b32 s0, 0xcf800000
	v_cvt_u32_f32_e32 v5, v4
	v_fma_f32 v4, v4, s0, |v3|
	v_cvt_u32_f32_e32 v4, v4
	v_ashrrev_i32_e32 v6, 31, v3
	v_xor_b32_e32 v5, v5, v6
	s_mov_b64 s[0:1], 0
	v_xor_b32_e32 v3, v4, v6
	v_sub_co_u32_e32 v3, vcc, v3, v6
	v_subb_co_u32_e32 v4, vcc, v5, v6, vcc
	global_store_dwordx2 v[0:1], v[3:4], off
.LBB185_3045:
	s_andn2_b64 vcc, exec, s[0:1]
	s_cbranch_vccnz .LBB185_3047
; %bb.3046:
	s_waitcnt vmcnt(0)
	v_cvt_i32_f32_e32 v3, v2
	global_store_dword v[0:1], v3, off
.LBB185_3047:
	s_mov_b64 s[0:1], 0
.LBB185_3048:
	s_andn2_b64 vcc, exec, s[0:1]
	s_cbranch_vccnz .LBB185_3050
; %bb.3049:
	s_waitcnt vmcnt(0)
	v_cvt_i32_f32_e32 v3, v2
	global_store_short v[0:1], v3, off
.LBB185_3050:
	s_mov_b64 s[0:1], 0
.LBB185_3051:
	s_andn2_b64 vcc, exec, s[0:1]
	s_cbranch_vccnz .LBB185_3056
; %bb.3052:
	s_sext_i32_i16 s0, s24
	s_cmp_gt_i32 s0, 0
	s_mov_b64 s[0:1], -1
	s_cbranch_scc0 .LBB185_3054
; %bb.3053:
	s_waitcnt vmcnt(0)
	v_cvt_i32_f32_e32 v3, v2
	s_mov_b64 s[0:1], 0
	global_store_byte v[0:1], v3, off
.LBB185_3054:
	s_andn2_b64 vcc, exec, s[0:1]
	s_cbranch_vccnz .LBB185_3056
; %bb.3055:
	s_waitcnt vmcnt(0)
	v_trunc_f32_e32 v2, v2
	s_mov_b32 s0, 0x2f800000
	v_mul_f32_e64 v3, |v2|, s0
	v_floor_f32_e32 v3, v3
	s_mov_b32 s0, 0xcf800000
	v_fma_f32 v3, v3, s0, |v2|
	v_cvt_u32_f32_e32 v3, v3
	v_ashrrev_i32_e32 v2, 31, v2
	v_xor_b32_e32 v3, v3, v2
	v_sub_u32_e32 v2, v3, v2
	global_store_byte v[0:1], v2, off
	s_endpgm
.LBB185_3056:
	s_endpgm
.LBB185_3057:
	s_mov_b64 s[2:3], 0
	s_mov_b64 s[0:1], -1
	s_branch .LBB185_3013
.LBB185_3058:
	s_trap 2
	s_or_b64 s[20:21], s[20:21], exec
	s_cbranch_execz .LBB185_2527
	s_branch .LBB185_2528
.LBB185_3059:
	s_andn2_saveexec_b64 s[22:23], s[22:23]
	s_cbranch_execz .LBB185_2607
.LBB185_3060:
	s_mov_b32 s13, 0x46000000
	v_add_f32_e64 v3, |v2|, s13
	v_and_b32_e32 v3, 0xff, v3
	v_cmp_ne_u32_e32 vcc, 0, v3
	s_andn2_b64 s[16:17], s[16:17], exec
	s_and_b64 s[26:27], vcc, exec
	s_or_b64 s[16:17], s[16:17], s[26:27]
	s_or_b64 exec, exec, s[22:23]
	v_mov_b32_e32 v11, 0
	s_and_saveexec_b64 s[22:23], s[16:17]
	s_cbranch_execnz .LBB185_2608
	s_branch .LBB185_2609
.LBB185_3061:
	s_trap 2
	s_or_b64 s[20:21], s[20:21], exec
	s_cbranch_execz .LBB185_2655
	s_branch .LBB185_2656
.LBB185_3062:
	s_andn2_saveexec_b64 s[16:17], s[16:17]
	s_cbranch_execz .LBB185_2620
.LBB185_3063:
	s_mov_b32 s13, 0x42800000
	v_add_f32_e64 v3, |v2|, s13
	v_and_b32_e32 v3, 0xff, v3
	v_cmp_ne_u32_e32 vcc, 0, v3
	s_andn2_b64 s[10:11], s[10:11], exec
	s_and_b64 s[22:23], vcc, exec
	s_or_b64 s[10:11], s[10:11], s[22:23]
	s_or_b64 exec, exec, s[16:17]
	v_mov_b32_e32 v11, 0
	s_and_saveexec_b64 s[16:17], s[10:11]
	s_cbranch_execnz .LBB185_2621
	s_branch .LBB185_2622
.LBB185_3064:
	s_andn2_saveexec_b64 s[16:17], s[16:17]
	s_cbranch_execz .LBB185_2726
.LBB185_3065:
	s_mov_b32 s22, 0x46000000
	v_add_f32_e64 v3, |v2|, s22
	v_and_b32_e32 v3, 0xff, v3
	v_cmp_ne_u32_e32 vcc, 0, v3
	s_andn2_b64 s[12:13], s[12:13], exec
	s_and_b64 s[22:23], vcc, exec
	s_or_b64 s[12:13], s[12:13], s[22:23]
	s_or_b64 exec, exec, s[16:17]
	v_mov_b32_e32 v5, 0
	s_and_saveexec_b64 s[16:17], s[12:13]
	s_cbranch_execnz .LBB185_2727
	s_branch .LBB185_2728
.LBB185_3066:
	s_trap 2
	s_or_b64 s[20:21], s[20:21], exec
	s_cbranch_execz .LBB185_2774
	s_branch .LBB185_2775
.LBB185_3067:
	s_andn2_saveexec_b64 s[12:13], s[12:13]
	s_cbranch_execz .LBB185_2739
.LBB185_3068:
	s_mov_b32 s16, 0x42800000
	v_add_f32_e64 v3, |v2|, s16
	v_and_b32_e32 v3, 0xff, v3
	v_cmp_ne_u32_e32 vcc, 0, v3
	s_andn2_b64 s[10:11], s[10:11], exec
	s_and_b64 s[16:17], vcc, exec
	s_or_b64 s[10:11], s[10:11], s[16:17]
	s_or_b64 exec, exec, s[12:13]
	v_mov_b32_e32 v5, 0
	s_and_saveexec_b64 s[12:13], s[10:11]
	s_cbranch_execnz .LBB185_2740
	s_branch .LBB185_2741
.LBB185_3069:
	s_andn2_saveexec_b64 s[16:17], s[16:17]
	s_cbranch_execz .LBB185_2845
.LBB185_3070:
	s_mov_b32 s22, 0x46000000
	v_add_f32_e64 v3, |v2|, s22
	v_and_b32_e32 v3, 0xff, v3
	v_cmp_ne_u32_e32 vcc, 0, v3
	s_andn2_b64 s[12:13], s[12:13], exec
	s_and_b64 s[22:23], vcc, exec
	s_or_b64 s[12:13], s[12:13], s[22:23]
	s_or_b64 exec, exec, s[16:17]
	v_mov_b32_e32 v5, 0
	s_and_saveexec_b64 s[16:17], s[12:13]
	s_cbranch_execnz .LBB185_2846
	s_branch .LBB185_2847
.LBB185_3071:
	s_trap 2
	s_or_b64 s[20:21], s[20:21], exec
	s_cbranch_execz .LBB185_2893
	s_branch .LBB185_2894
.LBB185_3072:
	s_andn2_saveexec_b64 s[12:13], s[12:13]
	s_cbranch_execz .LBB185_2858
.LBB185_3073:
	s_mov_b32 s16, 0x42800000
	v_add_f32_e64 v3, |v2|, s16
	v_and_b32_e32 v3, 0xff, v3
	v_cmp_ne_u32_e32 vcc, 0, v3
	s_andn2_b64 s[10:11], s[10:11], exec
	s_and_b64 s[16:17], vcc, exec
	s_or_b64 s[10:11], s[10:11], s[16:17]
	s_or_b64 exec, exec, s[12:13]
	v_mov_b32_e32 v5, 0
	s_and_saveexec_b64 s[12:13], s[10:11]
	s_cbranch_execnz .LBB185_2859
	s_branch .LBB185_2860
.LBB185_3074:
	s_andn2_saveexec_b64 s[10:11], s[10:11]
	s_cbranch_execz .LBB185_2965
.LBB185_3075:
	s_mov_b32 s13, 0x46000000
	v_add_f32_e64 v3, |v2|, s13
	v_and_b32_e32 v3, 0xff, v3
	v_cmp_ne_u32_e32 vcc, 0, v3
	s_andn2_b64 s[8:9], s[8:9], exec
	s_and_b64 s[14:15], vcc, exec
	s_or_b64 s[8:9], s[8:9], s[14:15]
	s_or_b64 exec, exec, s[10:11]
	v_mov_b32_e32 v4, 0
	s_and_saveexec_b64 s[10:11], s[8:9]
	s_cbranch_execnz .LBB185_2966
	s_branch .LBB185_2967
.LBB185_3076:
	s_mov_b64 s[2:3], 0
	s_or_b64 s[20:21], s[20:21], exec
	s_trap 2
	s_branch .LBB185_3011
.LBB185_3077:
	s_andn2_saveexec_b64 s[8:9], s[8:9]
	s_cbranch_execz .LBB185_2977
.LBB185_3078:
	s_mov_b32 s10, 0x42800000
	v_add_f32_e64 v3, |v2|, s10
	v_and_b32_e32 v3, 0xff, v3
	v_cmp_ne_u32_e32 vcc, 0, v3
	s_andn2_b64 s[4:5], s[4:5], exec
	s_and_b64 s[10:11], vcc, exec
	s_or_b64 s[4:5], s[4:5], s[10:11]
	s_or_b64 exec, exec, s[8:9]
	v_mov_b32_e32 v4, 0
	s_and_saveexec_b64 s[8:9], s[4:5]
	s_cbranch_execnz .LBB185_2978
	s_branch .LBB185_2979
	.section	.rodata,"a",@progbits
	.p2align	6, 0x0
	.amdhsa_kernel _ZN2at6native32elementwise_kernel_manual_unrollILi128ELi4EZNS0_15gpu_kernel_implINS0_13BinaryFunctorIfffZNS0_12_GLOBAL__N_121threshold_kernel_implIfEEvRNS_18TensorIteratorBaseET_S8_EUlffE_EEEEvS7_RKS8_EUlibE_EEviT1_
		.amdhsa_group_segment_fixed_size 0
		.amdhsa_private_segment_fixed_size 0
		.amdhsa_kernarg_size 56
		.amdhsa_user_sgpr_count 6
		.amdhsa_user_sgpr_private_segment_buffer 1
		.amdhsa_user_sgpr_dispatch_ptr 0
		.amdhsa_user_sgpr_queue_ptr 0
		.amdhsa_user_sgpr_kernarg_segment_ptr 1
		.amdhsa_user_sgpr_dispatch_id 0
		.amdhsa_user_sgpr_flat_scratch_init 0
		.amdhsa_user_sgpr_private_segment_size 0
		.amdhsa_uses_dynamic_stack 0
		.amdhsa_system_sgpr_private_segment_wavefront_offset 0
		.amdhsa_system_sgpr_workgroup_id_x 1
		.amdhsa_system_sgpr_workgroup_id_y 0
		.amdhsa_system_sgpr_workgroup_id_z 0
		.amdhsa_system_sgpr_workgroup_info 0
		.amdhsa_system_vgpr_workitem_id 0
		.amdhsa_next_free_vgpr 16
		.amdhsa_next_free_sgpr 58
		.amdhsa_reserve_vcc 1
		.amdhsa_reserve_flat_scratch 0
		.amdhsa_float_round_mode_32 0
		.amdhsa_float_round_mode_16_64 0
		.amdhsa_float_denorm_mode_32 3
		.amdhsa_float_denorm_mode_16_64 3
		.amdhsa_dx10_clamp 1
		.amdhsa_ieee_mode 1
		.amdhsa_fp16_overflow 0
		.amdhsa_exception_fp_ieee_invalid_op 0
		.amdhsa_exception_fp_denorm_src 0
		.amdhsa_exception_fp_ieee_div_zero 0
		.amdhsa_exception_fp_ieee_overflow 0
		.amdhsa_exception_fp_ieee_underflow 0
		.amdhsa_exception_fp_ieee_inexact 0
		.amdhsa_exception_int_div_zero 0
	.end_amdhsa_kernel
	.section	.text._ZN2at6native32elementwise_kernel_manual_unrollILi128ELi4EZNS0_15gpu_kernel_implINS0_13BinaryFunctorIfffZNS0_12_GLOBAL__N_121threshold_kernel_implIfEEvRNS_18TensorIteratorBaseET_S8_EUlffE_EEEEvS7_RKS8_EUlibE_EEviT1_,"axG",@progbits,_ZN2at6native32elementwise_kernel_manual_unrollILi128ELi4EZNS0_15gpu_kernel_implINS0_13BinaryFunctorIfffZNS0_12_GLOBAL__N_121threshold_kernel_implIfEEvRNS_18TensorIteratorBaseET_S8_EUlffE_EEEEvS7_RKS8_EUlibE_EEviT1_,comdat
.Lfunc_end185:
	.size	_ZN2at6native32elementwise_kernel_manual_unrollILi128ELi4EZNS0_15gpu_kernel_implINS0_13BinaryFunctorIfffZNS0_12_GLOBAL__N_121threshold_kernel_implIfEEvRNS_18TensorIteratorBaseET_S8_EUlffE_EEEEvS7_RKS8_EUlibE_EEviT1_, .Lfunc_end185-_ZN2at6native32elementwise_kernel_manual_unrollILi128ELi4EZNS0_15gpu_kernel_implINS0_13BinaryFunctorIfffZNS0_12_GLOBAL__N_121threshold_kernel_implIfEEvRNS_18TensorIteratorBaseET_S8_EUlffE_EEEEvS7_RKS8_EUlibE_EEviT1_
                                        ; -- End function
	.set _ZN2at6native32elementwise_kernel_manual_unrollILi128ELi4EZNS0_15gpu_kernel_implINS0_13BinaryFunctorIfffZNS0_12_GLOBAL__N_121threshold_kernel_implIfEEvRNS_18TensorIteratorBaseET_S8_EUlffE_EEEEvS7_RKS8_EUlibE_EEviT1_.num_vgpr, 16
	.set _ZN2at6native32elementwise_kernel_manual_unrollILi128ELi4EZNS0_15gpu_kernel_implINS0_13BinaryFunctorIfffZNS0_12_GLOBAL__N_121threshold_kernel_implIfEEvRNS_18TensorIteratorBaseET_S8_EUlffE_EEEEvS7_RKS8_EUlibE_EEviT1_.num_agpr, 0
	.set _ZN2at6native32elementwise_kernel_manual_unrollILi128ELi4EZNS0_15gpu_kernel_implINS0_13BinaryFunctorIfffZNS0_12_GLOBAL__N_121threshold_kernel_implIfEEvRNS_18TensorIteratorBaseET_S8_EUlffE_EEEEvS7_RKS8_EUlibE_EEviT1_.numbered_sgpr, 58
	.set _ZN2at6native32elementwise_kernel_manual_unrollILi128ELi4EZNS0_15gpu_kernel_implINS0_13BinaryFunctorIfffZNS0_12_GLOBAL__N_121threshold_kernel_implIfEEvRNS_18TensorIteratorBaseET_S8_EUlffE_EEEEvS7_RKS8_EUlibE_EEviT1_.num_named_barrier, 0
	.set _ZN2at6native32elementwise_kernel_manual_unrollILi128ELi4EZNS0_15gpu_kernel_implINS0_13BinaryFunctorIfffZNS0_12_GLOBAL__N_121threshold_kernel_implIfEEvRNS_18TensorIteratorBaseET_S8_EUlffE_EEEEvS7_RKS8_EUlibE_EEviT1_.private_seg_size, 0
	.set _ZN2at6native32elementwise_kernel_manual_unrollILi128ELi4EZNS0_15gpu_kernel_implINS0_13BinaryFunctorIfffZNS0_12_GLOBAL__N_121threshold_kernel_implIfEEvRNS_18TensorIteratorBaseET_S8_EUlffE_EEEEvS7_RKS8_EUlibE_EEviT1_.uses_vcc, 1
	.set _ZN2at6native32elementwise_kernel_manual_unrollILi128ELi4EZNS0_15gpu_kernel_implINS0_13BinaryFunctorIfffZNS0_12_GLOBAL__N_121threshold_kernel_implIfEEvRNS_18TensorIteratorBaseET_S8_EUlffE_EEEEvS7_RKS8_EUlibE_EEviT1_.uses_flat_scratch, 0
	.set _ZN2at6native32elementwise_kernel_manual_unrollILi128ELi4EZNS0_15gpu_kernel_implINS0_13BinaryFunctorIfffZNS0_12_GLOBAL__N_121threshold_kernel_implIfEEvRNS_18TensorIteratorBaseET_S8_EUlffE_EEEEvS7_RKS8_EUlibE_EEviT1_.has_dyn_sized_stack, 0
	.set _ZN2at6native32elementwise_kernel_manual_unrollILi128ELi4EZNS0_15gpu_kernel_implINS0_13BinaryFunctorIfffZNS0_12_GLOBAL__N_121threshold_kernel_implIfEEvRNS_18TensorIteratorBaseET_S8_EUlffE_EEEEvS7_RKS8_EUlibE_EEviT1_.has_recursion, 0
	.set _ZN2at6native32elementwise_kernel_manual_unrollILi128ELi4EZNS0_15gpu_kernel_implINS0_13BinaryFunctorIfffZNS0_12_GLOBAL__N_121threshold_kernel_implIfEEvRNS_18TensorIteratorBaseET_S8_EUlffE_EEEEvS7_RKS8_EUlibE_EEviT1_.has_indirect_call, 0
	.section	.AMDGPU.csdata,"",@progbits
; Kernel info:
; codeLenInByte = 48116
; TotalNumSgprs: 62
; NumVgprs: 16
; ScratchSize: 0
; MemoryBound: 1
; FloatMode: 240
; IeeeMode: 1
; LDSByteSize: 0 bytes/workgroup (compile time only)
; SGPRBlocks: 7
; VGPRBlocks: 3
; NumSGPRsForWavesPerEU: 62
; NumVGPRsForWavesPerEU: 16
; Occupancy: 10
; WaveLimiterHint : 0
; COMPUTE_PGM_RSRC2:SCRATCH_EN: 0
; COMPUTE_PGM_RSRC2:USER_SGPR: 6
; COMPUTE_PGM_RSRC2:TRAP_HANDLER: 0
; COMPUTE_PGM_RSRC2:TGID_X_EN: 1
; COMPUTE_PGM_RSRC2:TGID_Y_EN: 0
; COMPUTE_PGM_RSRC2:TGID_Z_EN: 0
; COMPUTE_PGM_RSRC2:TIDIG_COMP_CNT: 0
	.section	.text._ZN2at6native32elementwise_kernel_manual_unrollILi128ELi4EZNS0_12_GLOBAL__N_142type_specialized_broadcast_kernel_launcherILi0EE5applyINS0_13BinaryFunctorIfffZNS2_21threshold_kernel_implIfEEvRNS_18TensorIteratorBaseET_SA_EUlffE_EESt5arrayIPcLm3EESD_IN3c1010ScalarTypeELm3EE16OffsetCalculatorILi3EjLb0EEEEvlSA_T0_T1_T2_EUlibE_EEviSM_,"axG",@progbits,_ZN2at6native32elementwise_kernel_manual_unrollILi128ELi4EZNS0_12_GLOBAL__N_142type_specialized_broadcast_kernel_launcherILi0EE5applyINS0_13BinaryFunctorIfffZNS2_21threshold_kernel_implIfEEvRNS_18TensorIteratorBaseET_SA_EUlffE_EESt5arrayIPcLm3EESD_IN3c1010ScalarTypeELm3EE16OffsetCalculatorILi3EjLb0EEEEvlSA_T0_T1_T2_EUlibE_EEviSM_,comdat
	.globl	_ZN2at6native32elementwise_kernel_manual_unrollILi128ELi4EZNS0_12_GLOBAL__N_142type_specialized_broadcast_kernel_launcherILi0EE5applyINS0_13BinaryFunctorIfffZNS2_21threshold_kernel_implIfEEvRNS_18TensorIteratorBaseET_SA_EUlffE_EESt5arrayIPcLm3EESD_IN3c1010ScalarTypeELm3EE16OffsetCalculatorILi3EjLb0EEEEvlSA_T0_T1_T2_EUlibE_EEviSM_ ; -- Begin function _ZN2at6native32elementwise_kernel_manual_unrollILi128ELi4EZNS0_12_GLOBAL__N_142type_specialized_broadcast_kernel_launcherILi0EE5applyINS0_13BinaryFunctorIfffZNS2_21threshold_kernel_implIfEEvRNS_18TensorIteratorBaseET_SA_EUlffE_EESt5arrayIPcLm3EESD_IN3c1010ScalarTypeELm3EE16OffsetCalculatorILi3EjLb0EEEEvlSA_T0_T1_T2_EUlibE_EEviSM_
	.p2align	8
	.type	_ZN2at6native32elementwise_kernel_manual_unrollILi128ELi4EZNS0_12_GLOBAL__N_142type_specialized_broadcast_kernel_launcherILi0EE5applyINS0_13BinaryFunctorIfffZNS2_21threshold_kernel_implIfEEvRNS_18TensorIteratorBaseET_SA_EUlffE_EESt5arrayIPcLm3EESD_IN3c1010ScalarTypeELm3EE16OffsetCalculatorILi3EjLb0EEEEvlSA_T0_T1_T2_EUlibE_EEviSM_,@function
_ZN2at6native32elementwise_kernel_manual_unrollILi128ELi4EZNS0_12_GLOBAL__N_142type_specialized_broadcast_kernel_launcherILi0EE5applyINS0_13BinaryFunctorIfffZNS2_21threshold_kernel_implIfEEvRNS_18TensorIteratorBaseET_SA_EUlffE_EESt5arrayIPcLm3EESD_IN3c1010ScalarTypeELm3EE16OffsetCalculatorILi3EjLb0EEEEvlSA_T0_T1_T2_EUlibE_EEviSM_: ; @_ZN2at6native32elementwise_kernel_manual_unrollILi128ELi4EZNS0_12_GLOBAL__N_142type_specialized_broadcast_kernel_launcherILi0EE5applyINS0_13BinaryFunctorIfffZNS2_21threshold_kernel_implIfEEvRNS_18TensorIteratorBaseET_SA_EUlffE_EESt5arrayIPcLm3EESD_IN3c1010ScalarTypeELm3EE16OffsetCalculatorILi3EjLb0EEEEvlSA_T0_T1_T2_EUlibE_EEviSM_
; %bb.0:
	s_load_dword s38, s[4:5], 0x0
	s_load_dword s33, s[4:5], 0x8
	s_add_u32 s16, s4, 8
	s_addc_u32 s17, s5, 0
	v_lshl_or_b32 v11, s6, 9, v0
	v_or_b32_e32 v21, 0x180, v11
	s_waitcnt lgkmcnt(0)
	s_add_i32 s36, s33, -1
	s_cmp_gt_u32 s36, 1
	v_cmp_le_i32_e32 vcc, s38, v21
	s_cselect_b64 s[18:19], -1, 0
	s_and_saveexec_b64 s[0:1], vcc
	s_xor_b64 s[20:21], exec, s[0:1]
	s_cbranch_execz .LBB186_54
; %bb.1:
	s_load_dwordx4 s[12:15], s[16:17], 0x4
	s_load_dwordx2 s[24:25], s[16:17], 0x14
	s_load_dwordx4 s[8:11], s[16:17], 0xc4
	s_load_dwordx2 s[22:23], s[16:17], 0xd4
	s_load_dwordx8 s[0:7], s[16:17], 0x188
	s_cmp_lg_u32 s33, 0
	s_cselect_b64 s[28:29], -1, 0
	s_min_u32 s37, s36, 15
	s_cmp_gt_u32 s33, 1
	s_cselect_b64 s[26:27], -1, 0
	v_cmp_gt_i32_e32 vcc, s38, v11
	s_and_saveexec_b64 s[30:31], vcc
	s_cbranch_execnz .LBB186_5
; %bb.2:
	s_or_b64 exec, exec, s[30:31]
	v_cmp_gt_i32_e32 vcc, s38, v11
	s_and_saveexec_b64 s[30:31], vcc
	s_cbranch_execnz .LBB186_17
.LBB186_3:
	s_or_b64 exec, exec, s[30:31]
	v_cmp_gt_i32_e32 vcc, s38, v11
	s_and_saveexec_b64 s[30:31], vcc
	s_cbranch_execnz .LBB186_29
.LBB186_4:
	s_or_b64 exec, exec, s[30:31]
	v_cmp_gt_i32_e32 vcc, s38, v11
	s_and_saveexec_b64 s[30:31], vcc
	s_cbranch_execnz .LBB186_41
	s_branch .LBB186_53
.LBB186_5:
	s_andn2_b64 vcc, exec, s[18:19]
	s_cbranch_vccnz .LBB186_11
; %bb.6:
	s_andn2_b64 vcc, exec, s[28:29]
	s_cbranch_vccnz .LBB186_12
; %bb.7:
	s_add_i32 s34, s37, 1
	s_and_b32 s39, s34, 30
	s_add_u32 s34, s16, 0xffffffe8
	s_addc_u32 s35, s17, -1
	v_mov_b32_e32 v2, 0
	v_mov_b32_e32 v4, 0
	;; [unrolled: 1-line block ×4, first 2 shown]
.LBB186_8:                              ; =>This Inner Loop Header: Depth=1
	s_load_dwordx4 s[40:43], s[34:35], 0x1c
	s_load_dwordx2 s[48:49], s[34:35], 0x2c
	s_load_dwordx2 s[50:51], s[34:35], 0xec
	s_load_dwordx4 s[44:47], s[34:35], 0xdc
	s_add_u32 s34, s34, 24
	s_waitcnt lgkmcnt(0)
	v_mul_hi_u32 v3, s41, v1
	s_addc_u32 s35, s35, 0
	s_add_i32 s39, s39, -2
	s_cmp_lg_u32 s39, 0
	v_add_u32_e32 v3, v1, v3
	v_lshrrev_b32_e32 v3, s42, v3
	v_mul_lo_u32 v5, v3, s40
	v_mul_hi_u32 v6, s48, v3
	v_sub_u32_e32 v5, v1, v5
	v_add_u32_e32 v1, v3, v6
	v_lshrrev_b32_e32 v1, s49, v1
	v_mul_lo_u32 v8, v1, s43
	v_mul_lo_u32 v6, v5, s44
	;; [unrolled: 1-line block ×4, first 2 shown]
	v_sub_u32_e32 v3, v3, v8
	v_mul_lo_u32 v8, v3, s47
	v_mul_lo_u32 v9, v3, s50
	;; [unrolled: 1-line block ×3, first 2 shown]
	v_add3_u32 v0, v6, v0, v8
	v_add3_u32 v4, v7, v4, v9
	;; [unrolled: 1-line block ×3, first 2 shown]
	s_cbranch_scc1 .LBB186_8
; %bb.9:
	s_bitcmp1_b32 s37, 0
	s_cselect_b64 s[40:41], -1, 0
	s_and_b64 vcc, exec, s[40:41]
	s_cbranch_vccnz .LBB186_13
; %bb.10:
	s_load_dwordx2 s[40:41], s[34:35], 0x1c
	s_load_dword s39, s[34:35], 0x24
	s_load_dwordx2 s[42:43], s[34:35], 0xdc
	s_waitcnt lgkmcnt(0)
	v_mul_hi_u32 v3, s41, v1
	v_add_u32_e32 v3, v1, v3
	v_lshrrev_b32_e32 v3, s39, v3
	v_mul_lo_u32 v3, v3, s40
	s_load_dword s39, s[34:35], 0xe4
	v_sub_u32_e32 v3, v1, v3
	v_mad_u64_u32 v[0:1], s[34:35], v3, s42, v[0:1]
	v_mad_u64_u32 v[4:5], s[34:35], v3, s43, v[4:5]
	s_waitcnt lgkmcnt(0)
	v_mad_u64_u32 v[2:3], s[34:35], v3, s39, v[2:3]
	s_cbranch_execz .LBB186_14
	s_branch .LBB186_16
.LBB186_11:
                                        ; implicit-def: $vgpr0
                                        ; implicit-def: $vgpr4
                                        ; implicit-def: $vgpr2
	s_branch .LBB186_14
.LBB186_12:
	v_mov_b32_e32 v0, 0
	v_mov_b32_e32 v4, 0
	;; [unrolled: 1-line block ×3, first 2 shown]
.LBB186_13:
	s_cbranch_execnz .LBB186_16
.LBB186_14:
	s_waitcnt lgkmcnt(0)
	v_mul_hi_u32 v0, s13, v11
	s_andn2_b64 vcc, exec, s[26:27]
	v_add_u32_e32 v0, v11, v0
	v_lshrrev_b32_e32 v1, s14, v0
	v_mul_lo_u32 v0, v1, s12
	v_sub_u32_e32 v2, v11, v0
	v_mul_lo_u32 v0, v2, s8
	v_mul_lo_u32 v4, v2, s9
	;; [unrolled: 1-line block ×3, first 2 shown]
	s_cbranch_vccnz .LBB186_16
; %bb.15:
	v_mul_hi_u32 v3, s24, v1
	v_add_u32_e32 v3, v1, v3
	v_lshrrev_b32_e32 v3, s25, v3
	v_mul_lo_u32 v3, v3, s15
	v_sub_u32_e32 v3, v1, v3
	v_mad_u64_u32 v[0:1], s[34:35], v3, s11, v[0:1]
	v_mad_u64_u32 v[4:5], s[34:35], v3, s22, v[4:5]
	;; [unrolled: 1-line block ×3, first 2 shown]
.LBB186_16:
	s_waitcnt lgkmcnt(0)
	global_load_ushort v1, v2, s[4:5]
	global_load_dword v3, v4, s[2:3]
	v_mov_b32_e32 v2, s7
	v_add_u32_e32 v11, 0x80, v11
	s_waitcnt vmcnt(1)
	v_lshlrev_b32_e32 v1, 16, v1
	s_waitcnt vmcnt(0)
	v_cmp_nge_f32_e32 vcc, s6, v3
	v_cndmask_b32_e32 v1, v2, v1, vcc
	global_store_dword v0, v1, s[0:1]
	s_or_b64 exec, exec, s[30:31]
	v_cmp_gt_i32_e32 vcc, s38, v11
	s_and_saveexec_b64 s[30:31], vcc
	s_cbranch_execz .LBB186_3
.LBB186_17:
	s_andn2_b64 vcc, exec, s[18:19]
	s_cbranch_vccnz .LBB186_23
; %bb.18:
	s_andn2_b64 vcc, exec, s[28:29]
	s_cbranch_vccnz .LBB186_24
; %bb.19:
	s_add_i32 s34, s37, 1
	s_and_b32 s39, s34, 30
	s_add_u32 s34, s16, 0xffffffe8
	s_addc_u32 s35, s17, -1
	v_mov_b32_e32 v2, 0
	v_mov_b32_e32 v4, 0
	;; [unrolled: 1-line block ×4, first 2 shown]
.LBB186_20:                             ; =>This Inner Loop Header: Depth=1
	s_load_dwordx4 s[40:43], s[34:35], 0x1c
	s_load_dwordx2 s[48:49], s[34:35], 0x2c
	s_load_dwordx2 s[50:51], s[34:35], 0xec
	s_load_dwordx4 s[44:47], s[34:35], 0xdc
	s_add_u32 s34, s34, 24
	s_waitcnt lgkmcnt(0)
	v_mul_hi_u32 v3, s41, v1
	s_addc_u32 s35, s35, 0
	s_add_i32 s39, s39, -2
	s_cmp_eq_u32 s39, 0
	v_add_u32_e32 v3, v1, v3
	v_lshrrev_b32_e32 v3, s42, v3
	v_mul_lo_u32 v5, v3, s40
	v_mul_hi_u32 v6, s48, v3
	v_sub_u32_e32 v5, v1, v5
	v_add_u32_e32 v1, v3, v6
	v_lshrrev_b32_e32 v1, s49, v1
	v_mul_lo_u32 v8, v1, s43
	v_mul_lo_u32 v6, v5, s44
	;; [unrolled: 1-line block ×4, first 2 shown]
	v_sub_u32_e32 v3, v3, v8
	v_mul_lo_u32 v8, v3, s47
	v_mul_lo_u32 v9, v3, s50
	;; [unrolled: 1-line block ×3, first 2 shown]
	v_add3_u32 v0, v6, v0, v8
	v_add3_u32 v4, v7, v4, v9
	;; [unrolled: 1-line block ×3, first 2 shown]
	s_cbranch_scc0 .LBB186_20
; %bb.21:
	s_bitcmp1_b32 s37, 0
	s_cselect_b64 s[40:41], -1, 0
	s_and_b64 vcc, exec, s[40:41]
	s_cbranch_vccnz .LBB186_25
; %bb.22:
	s_load_dwordx2 s[40:41], s[34:35], 0x1c
	s_load_dword s39, s[34:35], 0x24
	s_load_dwordx2 s[42:43], s[34:35], 0xdc
	s_waitcnt lgkmcnt(0)
	v_mul_hi_u32 v3, s41, v1
	v_add_u32_e32 v3, v1, v3
	v_lshrrev_b32_e32 v3, s39, v3
	v_mul_lo_u32 v3, v3, s40
	s_load_dword s39, s[34:35], 0xe4
	v_sub_u32_e32 v3, v1, v3
	v_mad_u64_u32 v[0:1], s[34:35], v3, s42, v[0:1]
	v_mad_u64_u32 v[4:5], s[34:35], v3, s43, v[4:5]
	s_waitcnt lgkmcnt(0)
	v_mad_u64_u32 v[2:3], s[34:35], v3, s39, v[2:3]
	s_branch .LBB186_25
.LBB186_23:
                                        ; implicit-def: $vgpr0
                                        ; implicit-def: $vgpr4
                                        ; implicit-def: $vgpr2
	s_branch .LBB186_26
.LBB186_24:
	v_mov_b32_e32 v0, 0
	v_mov_b32_e32 v4, 0
	;; [unrolled: 1-line block ×3, first 2 shown]
.LBB186_25:
	s_cbranch_execnz .LBB186_28
.LBB186_26:
	s_waitcnt lgkmcnt(0)
	v_mul_hi_u32 v0, s13, v11
	s_andn2_b64 vcc, exec, s[26:27]
	v_add_u32_e32 v0, v11, v0
	v_lshrrev_b32_e32 v1, s14, v0
	v_mul_lo_u32 v0, v1, s12
	v_sub_u32_e32 v2, v11, v0
	v_mul_lo_u32 v0, v2, s8
	v_mul_lo_u32 v4, v2, s9
	;; [unrolled: 1-line block ×3, first 2 shown]
	s_cbranch_vccnz .LBB186_28
; %bb.27:
	v_mul_hi_u32 v3, s24, v1
	v_add_u32_e32 v3, v1, v3
	v_lshrrev_b32_e32 v3, s25, v3
	v_mul_lo_u32 v3, v3, s15
	v_sub_u32_e32 v3, v1, v3
	v_mad_u64_u32 v[0:1], s[34:35], v3, s11, v[0:1]
	v_mad_u64_u32 v[4:5], s[34:35], v3, s22, v[4:5]
	;; [unrolled: 1-line block ×3, first 2 shown]
.LBB186_28:
	s_waitcnt lgkmcnt(0)
	global_load_ushort v1, v2, s[4:5]
	global_load_dword v3, v4, s[2:3]
	v_mov_b32_e32 v2, s7
	v_add_u32_e32 v11, 0x80, v11
	s_waitcnt vmcnt(1)
	v_lshlrev_b32_e32 v1, 16, v1
	s_waitcnt vmcnt(0)
	v_cmp_nge_f32_e32 vcc, s6, v3
	v_cndmask_b32_e32 v1, v2, v1, vcc
	global_store_dword v0, v1, s[0:1]
	s_or_b64 exec, exec, s[30:31]
	v_cmp_gt_i32_e32 vcc, s38, v11
	s_and_saveexec_b64 s[30:31], vcc
	s_cbranch_execz .LBB186_4
.LBB186_29:
	s_andn2_b64 vcc, exec, s[18:19]
	s_cbranch_vccnz .LBB186_35
; %bb.30:
	s_andn2_b64 vcc, exec, s[28:29]
	s_cbranch_vccnz .LBB186_36
; %bb.31:
	s_add_i32 s34, s37, 1
	s_and_b32 s39, s34, 30
	s_add_u32 s34, s16, 0xffffffe8
	s_addc_u32 s35, s17, -1
	v_mov_b32_e32 v2, 0
	v_mov_b32_e32 v4, 0
	;; [unrolled: 1-line block ×4, first 2 shown]
.LBB186_32:                             ; =>This Inner Loop Header: Depth=1
	s_load_dwordx4 s[40:43], s[34:35], 0x1c
	s_load_dwordx2 s[48:49], s[34:35], 0x2c
	s_load_dwordx2 s[50:51], s[34:35], 0xec
	s_load_dwordx4 s[44:47], s[34:35], 0xdc
	s_add_u32 s34, s34, 24
	s_waitcnt lgkmcnt(0)
	v_mul_hi_u32 v3, s41, v1
	s_addc_u32 s35, s35, 0
	s_add_i32 s39, s39, -2
	s_cmp_eq_u32 s39, 0
	v_add_u32_e32 v3, v1, v3
	v_lshrrev_b32_e32 v3, s42, v3
	v_mul_lo_u32 v5, v3, s40
	v_mul_hi_u32 v6, s48, v3
	v_sub_u32_e32 v5, v1, v5
	v_add_u32_e32 v1, v3, v6
	v_lshrrev_b32_e32 v1, s49, v1
	v_mul_lo_u32 v8, v1, s43
	v_mul_lo_u32 v6, v5, s44
	;; [unrolled: 1-line block ×4, first 2 shown]
	v_sub_u32_e32 v3, v3, v8
	v_mul_lo_u32 v8, v3, s47
	v_mul_lo_u32 v9, v3, s50
	;; [unrolled: 1-line block ×3, first 2 shown]
	v_add3_u32 v0, v6, v0, v8
	v_add3_u32 v4, v7, v4, v9
	;; [unrolled: 1-line block ×3, first 2 shown]
	s_cbranch_scc0 .LBB186_32
; %bb.33:
	s_bitcmp1_b32 s37, 0
	s_cselect_b64 s[40:41], -1, 0
	s_and_b64 vcc, exec, s[40:41]
	s_cbranch_vccnz .LBB186_37
; %bb.34:
	s_load_dwordx2 s[40:41], s[34:35], 0x1c
	s_load_dword s39, s[34:35], 0x24
	s_load_dwordx2 s[42:43], s[34:35], 0xdc
	s_waitcnt lgkmcnt(0)
	v_mul_hi_u32 v3, s41, v1
	v_add_u32_e32 v3, v1, v3
	v_lshrrev_b32_e32 v3, s39, v3
	v_mul_lo_u32 v3, v3, s40
	s_load_dword s39, s[34:35], 0xe4
	v_sub_u32_e32 v3, v1, v3
	v_mad_u64_u32 v[0:1], s[34:35], v3, s42, v[0:1]
	v_mad_u64_u32 v[4:5], s[34:35], v3, s43, v[4:5]
	s_waitcnt lgkmcnt(0)
	v_mad_u64_u32 v[2:3], s[34:35], v3, s39, v[2:3]
	s_branch .LBB186_37
.LBB186_35:
                                        ; implicit-def: $vgpr0
                                        ; implicit-def: $vgpr4
                                        ; implicit-def: $vgpr2
	s_branch .LBB186_38
.LBB186_36:
	v_mov_b32_e32 v0, 0
	v_mov_b32_e32 v4, 0
	;; [unrolled: 1-line block ×3, first 2 shown]
.LBB186_37:
	s_cbranch_execnz .LBB186_40
.LBB186_38:
	s_waitcnt lgkmcnt(0)
	v_mul_hi_u32 v0, s13, v11
	s_andn2_b64 vcc, exec, s[26:27]
	v_add_u32_e32 v0, v11, v0
	v_lshrrev_b32_e32 v1, s14, v0
	v_mul_lo_u32 v0, v1, s12
	v_sub_u32_e32 v2, v11, v0
	v_mul_lo_u32 v0, v2, s8
	v_mul_lo_u32 v4, v2, s9
	;; [unrolled: 1-line block ×3, first 2 shown]
	s_cbranch_vccnz .LBB186_40
; %bb.39:
	v_mul_hi_u32 v3, s24, v1
	v_add_u32_e32 v3, v1, v3
	v_lshrrev_b32_e32 v3, s25, v3
	v_mul_lo_u32 v3, v3, s15
	v_sub_u32_e32 v3, v1, v3
	v_mad_u64_u32 v[0:1], s[34:35], v3, s11, v[0:1]
	v_mad_u64_u32 v[4:5], s[34:35], v3, s22, v[4:5]
	;; [unrolled: 1-line block ×3, first 2 shown]
.LBB186_40:
	s_waitcnt lgkmcnt(0)
	global_load_ushort v1, v2, s[4:5]
	global_load_dword v3, v4, s[2:3]
	v_mov_b32_e32 v2, s7
	v_add_u32_e32 v11, 0x80, v11
	s_waitcnt vmcnt(1)
	v_lshlrev_b32_e32 v1, 16, v1
	s_waitcnt vmcnt(0)
	v_cmp_nge_f32_e32 vcc, s6, v3
	v_cndmask_b32_e32 v1, v2, v1, vcc
	global_store_dword v0, v1, s[0:1]
	s_or_b64 exec, exec, s[30:31]
	v_cmp_gt_i32_e32 vcc, s38, v11
	s_and_saveexec_b64 s[30:31], vcc
	s_cbranch_execz .LBB186_53
.LBB186_41:
	s_andn2_b64 vcc, exec, s[18:19]
	s_cbranch_vccnz .LBB186_47
; %bb.42:
	s_andn2_b64 vcc, exec, s[28:29]
	s_cbranch_vccnz .LBB186_48
; %bb.43:
	s_add_i32 s28, s37, 1
	s_and_b32 s34, s28, 30
	s_add_u32 s28, s16, 0xffffffe8
	s_addc_u32 s29, s17, -1
	v_mov_b32_e32 v2, 0
	v_mov_b32_e32 v4, 0
	;; [unrolled: 1-line block ×4, first 2 shown]
.LBB186_44:                             ; =>This Inner Loop Header: Depth=1
	s_load_dwordx4 s[40:43], s[28:29], 0x1c
	s_load_dwordx2 s[38:39], s[28:29], 0x2c
	s_load_dwordx2 s[48:49], s[28:29], 0xec
	s_load_dwordx4 s[44:47], s[28:29], 0xdc
	s_add_u32 s28, s28, 24
	s_waitcnt lgkmcnt(0)
	v_mul_hi_u32 v3, s41, v1
	s_addc_u32 s29, s29, 0
	s_add_i32 s34, s34, -2
	s_cmp_eq_u32 s34, 0
	v_add_u32_e32 v3, v1, v3
	v_lshrrev_b32_e32 v3, s42, v3
	v_mul_lo_u32 v5, v3, s40
	v_mul_hi_u32 v6, s38, v3
	v_sub_u32_e32 v5, v1, v5
	v_add_u32_e32 v1, v3, v6
	v_lshrrev_b32_e32 v1, s39, v1
	v_mul_lo_u32 v8, v1, s43
	v_mul_lo_u32 v6, v5, s44
	;; [unrolled: 1-line block ×4, first 2 shown]
	v_sub_u32_e32 v3, v3, v8
	v_mul_lo_u32 v8, v3, s47
	v_mul_lo_u32 v9, v3, s48
	;; [unrolled: 1-line block ×3, first 2 shown]
	v_add3_u32 v0, v6, v0, v8
	v_add3_u32 v4, v7, v4, v9
	;; [unrolled: 1-line block ×3, first 2 shown]
	s_cbranch_scc0 .LBB186_44
; %bb.45:
	s_bitcmp1_b32 s37, 0
	s_cselect_b64 s[34:35], -1, 0
	s_and_b64 vcc, exec, s[34:35]
	s_cbranch_vccnz .LBB186_49
; %bb.46:
	s_load_dwordx2 s[34:35], s[28:29], 0x1c
	s_load_dword s37, s[28:29], 0x24
	s_load_dwordx2 s[38:39], s[28:29], 0xdc
	s_waitcnt lgkmcnt(0)
	v_mul_hi_u32 v3, s35, v1
	v_add_u32_e32 v3, v1, v3
	v_lshrrev_b32_e32 v3, s37, v3
	v_mul_lo_u32 v3, v3, s34
	s_load_dword s34, s[28:29], 0xe4
	v_sub_u32_e32 v3, v1, v3
	v_mad_u64_u32 v[0:1], s[28:29], v3, s38, v[0:1]
	v_mad_u64_u32 v[4:5], s[28:29], v3, s39, v[4:5]
	s_waitcnt lgkmcnt(0)
	v_mad_u64_u32 v[2:3], s[28:29], v3, s34, v[2:3]
	s_branch .LBB186_49
.LBB186_47:
                                        ; implicit-def: $vgpr0
                                        ; implicit-def: $vgpr4
                                        ; implicit-def: $vgpr2
	s_branch .LBB186_50
.LBB186_48:
	v_mov_b32_e32 v0, 0
	v_mov_b32_e32 v4, 0
	;; [unrolled: 1-line block ×3, first 2 shown]
.LBB186_49:
	s_cbranch_execnz .LBB186_52
.LBB186_50:
	s_waitcnt lgkmcnt(0)
	v_mul_hi_u32 v0, s13, v11
	s_andn2_b64 vcc, exec, s[26:27]
	v_add_u32_e32 v0, v11, v0
	v_lshrrev_b32_e32 v1, s14, v0
	v_mul_lo_u32 v0, v1, s12
	v_sub_u32_e32 v2, v11, v0
	v_mul_lo_u32 v0, v2, s8
	v_mul_lo_u32 v4, v2, s9
	v_mul_lo_u32 v2, v2, s10
	s_cbranch_vccnz .LBB186_52
; %bb.51:
	v_mul_hi_u32 v3, s24, v1
	v_add_u32_e32 v3, v1, v3
	v_lshrrev_b32_e32 v3, s25, v3
	v_mul_lo_u32 v3, v3, s15
	v_sub_u32_e32 v3, v1, v3
	v_mad_u64_u32 v[0:1], s[8:9], v3, s11, v[0:1]
	v_mad_u64_u32 v[4:5], s[8:9], v3, s22, v[4:5]
	;; [unrolled: 1-line block ×3, first 2 shown]
.LBB186_52:
	s_waitcnt lgkmcnt(0)
	global_load_ushort v1, v2, s[4:5]
	global_load_dword v3, v4, s[2:3]
	v_mov_b32_e32 v2, s7
	s_waitcnt vmcnt(1)
	v_lshlrev_b32_e32 v1, 16, v1
	s_waitcnt vmcnt(0)
	v_cmp_nge_f32_e32 vcc, s6, v3
	v_cndmask_b32_e32 v1, v2, v1, vcc
	global_store_dword v0, v1, s[0:1]
.LBB186_53:
	s_or_b64 exec, exec, s[30:31]
                                        ; implicit-def: $vgpr21
                                        ; implicit-def: $vgpr11
.LBB186_54:
	s_waitcnt lgkmcnt(0)
	s_andn2_saveexec_b64 s[0:1], s[20:21]
	s_cbranch_execz .LBB186_61
; %bb.55:
	v_cndmask_b32_e64 v0, 0, 1, s[18:19]
	v_cmp_ne_u32_e64 s[0:1], 1, v0
	s_andn2_b64 vcc, exec, s[18:19]
	s_cbranch_vccnz .LBB186_62
; %bb.56:
	s_cmp_lg_u32 s33, 0
	s_cbranch_scc0 .LBB186_63
; %bb.57:
	s_min_u32 s4, s36, 15
	s_add_i32 s2, s4, 1
	s_and_b32 s5, s2, 30
	s_add_u32 s2, s16, 0xffffffe8
	s_addc_u32 s3, s17, -1
	v_mov_b32_e32 v2, 0
	v_mov_b32_e32 v4, 0
	;; [unrolled: 1-line block ×4, first 2 shown]
.LBB186_58:                             ; =>This Inner Loop Header: Depth=1
	s_load_dwordx4 s[8:11], s[2:3], 0x1c
	s_load_dwordx2 s[6:7], s[2:3], 0x2c
	s_load_dwordx2 s[18:19], s[2:3], 0xec
	s_load_dwordx4 s[12:15], s[2:3], 0xdc
	s_add_u32 s2, s2, 24
	s_waitcnt lgkmcnt(0)
	v_mul_hi_u32 v3, s9, v1
	s_addc_u32 s3, s3, 0
	s_add_i32 s5, s5, -2
	s_cmp_lg_u32 s5, 0
	v_add_u32_e32 v3, v1, v3
	v_lshrrev_b32_e32 v3, s10, v3
	v_mul_lo_u32 v5, v3, s8
	v_mul_hi_u32 v6, s6, v3
	v_sub_u32_e32 v5, v1, v5
	v_add_u32_e32 v1, v3, v6
	v_lshrrev_b32_e32 v1, s7, v1
	v_mul_lo_u32 v8, v1, s11
	v_mul_lo_u32 v6, v5, s12
	;; [unrolled: 1-line block ×4, first 2 shown]
	v_sub_u32_e32 v3, v3, v8
	v_mul_lo_u32 v8, v3, s15
	v_mul_lo_u32 v9, v3, s18
	;; [unrolled: 1-line block ×3, first 2 shown]
	v_add3_u32 v0, v6, v0, v8
	v_add3_u32 v4, v7, v4, v9
	;; [unrolled: 1-line block ×3, first 2 shown]
	s_cbranch_scc1 .LBB186_58
; %bb.59:
	s_bitcmp1_b32 s4, 0
	s_cselect_b64 s[4:5], -1, 0
	s_and_b64 vcc, exec, s[4:5]
	s_cbranch_vccnz .LBB186_64
; %bb.60:
	s_load_dwordx2 s[4:5], s[2:3], 0x1c
	s_load_dword s8, s[2:3], 0x24
	s_load_dwordx2 s[6:7], s[2:3], 0xdc
	s_waitcnt lgkmcnt(0)
	v_mul_hi_u32 v3, s5, v1
	v_add_u32_e32 v3, v1, v3
	v_lshrrev_b32_e32 v3, s8, v3
	v_mul_lo_u32 v3, v3, s4
	s_load_dword s4, s[2:3], 0xe4
	v_sub_u32_e32 v3, v1, v3
	v_mad_u64_u32 v[0:1], s[2:3], v3, s6, v[0:1]
	v_mad_u64_u32 v[4:5], s[2:3], v3, s7, v[4:5]
	s_waitcnt lgkmcnt(0)
	v_mad_u64_u32 v[2:3], s[2:3], v3, s4, v[2:3]
	s_cbranch_execz .LBB186_65
	s_branch .LBB186_67
.LBB186_61:
	s_endpgm
.LBB186_62:
                                        ; implicit-def: $vgpr0
                                        ; implicit-def: $vgpr4
                                        ; implicit-def: $vgpr2
	s_branch .LBB186_65
.LBB186_63:
	v_mov_b32_e32 v0, 0
	v_mov_b32_e32 v4, 0
	;; [unrolled: 1-line block ×3, first 2 shown]
.LBB186_64:
	s_cbranch_execnz .LBB186_67
.LBB186_65:
	s_load_dwordx4 s[4:7], s[16:17], 0x4
	s_load_dwordx4 s[8:11], s[16:17], 0xc4
	s_cmp_lt_u32 s33, 2
	s_waitcnt lgkmcnt(0)
	v_mul_hi_u32 v0, s5, v11
	v_add_u32_e32 v0, v11, v0
	v_lshrrev_b32_e32 v1, s6, v0
	v_mul_lo_u32 v0, v1, s4
	v_sub_u32_e32 v2, v11, v0
	v_mul_lo_u32 v0, v2, s8
	v_mul_lo_u32 v4, v2, s9
	;; [unrolled: 1-line block ×3, first 2 shown]
	s_cbranch_scc1 .LBB186_67
; %bb.66:
	s_load_dwordx4 s[4:7], s[16:17], 0x10
	s_load_dwordx4 s[8:11], s[16:17], 0xd0
	s_waitcnt lgkmcnt(0)
	v_mul_hi_u32 v3, s5, v1
	v_add_u32_e32 v3, v1, v3
	v_lshrrev_b32_e32 v3, s6, v3
	v_mul_lo_u32 v3, v3, s4
	v_sub_u32_e32 v3, v1, v3
	v_mad_u64_u32 v[0:1], s[2:3], v3, s8, v[0:1]
	v_mad_u64_u32 v[4:5], s[2:3], v3, s9, v[4:5]
	;; [unrolled: 1-line block ×3, first 2 shown]
.LBB186_67:
	s_and_b64 vcc, exec, s[0:1]
	v_add_u32_e32 v1, 0x80, v11
	s_cbranch_vccnz .LBB186_73
; %bb.68:
	s_cmp_lg_u32 s33, 0
	s_cbranch_scc0 .LBB186_74
; %bb.69:
	s_min_u32 s4, s36, 15
	s_add_i32 s2, s4, 1
	s_and_b32 s5, s2, 30
	s_add_u32 s2, s16, 0xffffffe8
	s_addc_u32 s3, s17, -1
	v_mov_b32_e32 v9, 0
	v_mov_b32_e32 v7, 0
	;; [unrolled: 1-line block ×4, first 2 shown]
.LBB186_70:                             ; =>This Inner Loop Header: Depth=1
	s_load_dwordx4 s[8:11], s[2:3], 0x1c
	s_load_dwordx2 s[6:7], s[2:3], 0x2c
	s_load_dwordx2 s[18:19], s[2:3], 0xec
	s_load_dwordx4 s[12:15], s[2:3], 0xdc
	s_add_u32 s2, s2, 24
	s_waitcnt lgkmcnt(0)
	v_mul_hi_u32 v6, s9, v3
	s_addc_u32 s3, s3, 0
	s_add_i32 s5, s5, -2
	s_cmp_lg_u32 s5, 0
	v_add_u32_e32 v6, v3, v6
	v_lshrrev_b32_e32 v6, s10, v6
	v_mul_lo_u32 v8, v6, s8
	v_mul_hi_u32 v10, s6, v6
	v_sub_u32_e32 v8, v3, v8
	v_add_u32_e32 v3, v6, v10
	v_lshrrev_b32_e32 v3, s7, v3
	v_mul_lo_u32 v13, v3, s11
	v_mul_lo_u32 v10, v8, s12
	;; [unrolled: 1-line block ×4, first 2 shown]
	v_sub_u32_e32 v6, v6, v13
	v_mul_lo_u32 v13, v6, s15
	v_mul_lo_u32 v14, v6, s18
	;; [unrolled: 1-line block ×3, first 2 shown]
	v_add3_u32 v5, v10, v5, v13
	v_add3_u32 v7, v12, v7, v14
	;; [unrolled: 1-line block ×3, first 2 shown]
	s_cbranch_scc1 .LBB186_70
; %bb.71:
	s_bitcmp1_b32 s4, 0
	s_cselect_b64 s[4:5], -1, 0
	s_and_b64 vcc, exec, s[4:5]
	s_cbranch_vccnz .LBB186_75
; %bb.72:
	s_load_dwordx2 s[4:5], s[2:3], 0x1c
	s_load_dword s8, s[2:3], 0x24
	s_load_dwordx2 s[6:7], s[2:3], 0xdc
	s_waitcnt lgkmcnt(0)
	v_mul_hi_u32 v6, s5, v3
	v_add_u32_e32 v6, v3, v6
	v_lshrrev_b32_e32 v6, s8, v6
	v_mul_lo_u32 v6, v6, s4
	s_load_dword s4, s[2:3], 0xe4
	v_sub_u32_e32 v3, v3, v6
	v_mad_u64_u32 v[5:6], s[2:3], v3, s6, v[5:6]
	v_mad_u64_u32 v[7:8], s[2:3], v3, s7, v[7:8]
	s_waitcnt lgkmcnt(0)
	v_mad_u64_u32 v[9:10], s[2:3], v3, s4, v[9:10]
	s_cbranch_execz .LBB186_76
	s_branch .LBB186_78
.LBB186_73:
                                        ; implicit-def: $vgpr5
                                        ; implicit-def: $vgpr7
                                        ; implicit-def: $vgpr9
	s_branch .LBB186_76
.LBB186_74:
	v_mov_b32_e32 v5, 0
	v_mov_b32_e32 v7, 0
	;; [unrolled: 1-line block ×3, first 2 shown]
.LBB186_75:
	s_cbranch_execnz .LBB186_78
.LBB186_76:
	s_load_dwordx4 s[4:7], s[16:17], 0x4
	s_load_dwordx4 s[8:11], s[16:17], 0xc4
	s_cmp_lt_u32 s33, 2
	s_waitcnt lgkmcnt(0)
	v_mul_hi_u32 v3, s5, v1
	v_add_u32_e32 v3, v1, v3
	v_lshrrev_b32_e32 v3, s6, v3
	v_mul_lo_u32 v5, v3, s4
	v_sub_u32_e32 v1, v1, v5
	v_mul_lo_u32 v5, v1, s8
	v_mul_lo_u32 v7, v1, s9
	;; [unrolled: 1-line block ×3, first 2 shown]
	s_cbranch_scc1 .LBB186_78
; %bb.77:
	s_load_dwordx4 s[4:7], s[16:17], 0x10
	s_load_dwordx4 s[8:11], s[16:17], 0xd0
	s_waitcnt lgkmcnt(0)
	v_mul_hi_u32 v1, s5, v3
	v_add_u32_e32 v1, v3, v1
	v_lshrrev_b32_e32 v1, s6, v1
	v_mul_lo_u32 v1, v1, s4
	v_sub_u32_e32 v1, v3, v1
	v_mad_u64_u32 v[5:6], s[2:3], v1, s8, v[5:6]
	v_mad_u64_u32 v[7:8], s[2:3], v1, s9, v[7:8]
	;; [unrolled: 1-line block ×3, first 2 shown]
.LBB186_78:
	s_and_b64 vcc, exec, s[0:1]
	v_add_u32_e32 v1, 0x100, v11
	s_cbranch_vccnz .LBB186_84
; %bb.79:
	s_cmp_lg_u32 s33, 0
	s_cbranch_scc0 .LBB186_85
; %bb.80:
	s_min_u32 s4, s36, 15
	s_add_i32 s2, s4, 1
	s_and_b32 s5, s2, 30
	s_add_u32 s2, s16, 0xffffffe8
	s_addc_u32 s3, s17, -1
	v_mov_b32_e32 v12, 0
	v_mov_b32_e32 v14, 0
	;; [unrolled: 1-line block ×4, first 2 shown]
.LBB186_81:                             ; =>This Inner Loop Header: Depth=1
	s_load_dwordx4 s[8:11], s[2:3], 0x1c
	s_load_dwordx2 s[6:7], s[2:3], 0x2c
	s_load_dwordx2 s[18:19], s[2:3], 0xec
	s_load_dwordx4 s[12:15], s[2:3], 0xdc
	s_add_u32 s2, s2, 24
	s_waitcnt lgkmcnt(0)
	v_mul_hi_u32 v6, s9, v3
	s_addc_u32 s3, s3, 0
	s_add_i32 s5, s5, -2
	s_cmp_lg_u32 s5, 0
	v_add_u32_e32 v6, v3, v6
	v_lshrrev_b32_e32 v6, s10, v6
	v_mul_lo_u32 v8, v6, s8
	v_mul_hi_u32 v11, s6, v6
	v_sub_u32_e32 v8, v3, v8
	v_add_u32_e32 v3, v6, v11
	v_lshrrev_b32_e32 v3, s7, v3
	v_mul_lo_u32 v15, v3, s11
	v_mul_lo_u32 v11, v8, s12
	v_mul_lo_u32 v13, v8, s13
	v_mul_lo_u32 v8, v8, s14
	v_sub_u32_e32 v6, v6, v15
	v_mul_lo_u32 v15, v6, s15
	v_mul_lo_u32 v16, v6, s18
	;; [unrolled: 1-line block ×3, first 2 shown]
	v_add3_u32 v10, v11, v10, v15
	v_add3_u32 v14, v13, v14, v16
	;; [unrolled: 1-line block ×3, first 2 shown]
	s_cbranch_scc1 .LBB186_81
; %bb.82:
	s_bitcmp1_b32 s4, 0
	s_cselect_b64 s[4:5], -1, 0
	s_and_b64 vcc, exec, s[4:5]
	s_cbranch_vccnz .LBB186_86
; %bb.83:
	s_load_dwordx2 s[4:5], s[2:3], 0x1c
	s_load_dword s8, s[2:3], 0x24
	s_load_dwordx2 s[6:7], s[2:3], 0xdc
	s_waitcnt lgkmcnt(0)
	v_mul_hi_u32 v6, s5, v3
	v_add_u32_e32 v6, v3, v6
	v_lshrrev_b32_e32 v6, s8, v6
	v_mul_lo_u32 v6, v6, s4
	s_load_dword s4, s[2:3], 0xe4
	v_sub_u32_e32 v3, v3, v6
	v_mad_u64_u32 v[10:11], s[2:3], v3, s6, v[10:11]
	v_mad_u64_u32 v[14:15], s[2:3], v3, s7, v[14:15]
	s_waitcnt lgkmcnt(0)
	v_mad_u64_u32 v[12:13], s[2:3], v3, s4, v[12:13]
	s_cbranch_execz .LBB186_87
	s_branch .LBB186_89
.LBB186_84:
                                        ; implicit-def: $vgpr10
                                        ; implicit-def: $vgpr14
                                        ; implicit-def: $vgpr12
	s_branch .LBB186_87
.LBB186_85:
	v_mov_b32_e32 v10, 0
	v_mov_b32_e32 v14, 0
	;; [unrolled: 1-line block ×3, first 2 shown]
.LBB186_86:
	s_cbranch_execnz .LBB186_89
.LBB186_87:
	s_load_dwordx4 s[4:7], s[16:17], 0x4
	s_load_dwordx4 s[8:11], s[16:17], 0xc4
	s_cmp_lt_u32 s33, 2
	s_waitcnt lgkmcnt(0)
	v_mul_hi_u32 v3, s5, v1
	v_add_u32_e32 v3, v1, v3
	v_lshrrev_b32_e32 v3, s6, v3
	v_mul_lo_u32 v6, v3, s4
	v_sub_u32_e32 v1, v1, v6
	v_mul_lo_u32 v10, v1, s8
	v_mul_lo_u32 v14, v1, s9
	;; [unrolled: 1-line block ×3, first 2 shown]
	s_cbranch_scc1 .LBB186_89
; %bb.88:
	s_load_dwordx4 s[4:7], s[16:17], 0x10
	s_load_dwordx4 s[8:11], s[16:17], 0xd0
	s_waitcnt lgkmcnt(0)
	v_mul_hi_u32 v1, s5, v3
	v_add_u32_e32 v1, v3, v1
	v_lshrrev_b32_e32 v1, s6, v1
	v_mul_lo_u32 v1, v1, s4
	v_sub_u32_e32 v1, v3, v1
	v_mad_u64_u32 v[10:11], s[2:3], v1, s8, v[10:11]
	v_mad_u64_u32 v[14:15], s[2:3], v1, s9, v[14:15]
	;; [unrolled: 1-line block ×3, first 2 shown]
.LBB186_89:
	s_and_b64 vcc, exec, s[0:1]
	s_cbranch_vccnz .LBB186_95
; %bb.90:
	s_cmp_lg_u32 s33, 0
	s_cbranch_scc0 .LBB186_96
; %bb.91:
	s_min_u32 s2, s36, 15
	s_add_i32 s0, s2, 1
	s_and_b32 s3, s0, 30
	s_add_u32 s0, s16, 0xffffffe8
	s_addc_u32 s1, s17, -1
	v_mov_b32_e32 v17, 0
	v_mov_b32_e32 v19, 0
	;; [unrolled: 1-line block ×4, first 2 shown]
.LBB186_92:                             ; =>This Inner Loop Header: Depth=1
	s_load_dwordx4 s[4:7], s[0:1], 0x1c
	s_load_dwordx2 s[12:13], s[0:1], 0x2c
	s_load_dwordx2 s[14:15], s[0:1], 0xec
	s_load_dwordx4 s[8:11], s[0:1], 0xdc
	s_add_u32 s0, s0, 24
	s_waitcnt lgkmcnt(0)
	v_mul_hi_u32 v3, s5, v1
	s_addc_u32 s1, s1, 0
	s_add_i32 s3, s3, -2
	s_cmp_lg_u32 s3, 0
	v_add_u32_e32 v3, v1, v3
	v_lshrrev_b32_e32 v3, s6, v3
	v_mul_lo_u32 v6, v3, s4
	v_mul_hi_u32 v8, s12, v3
	v_sub_u32_e32 v6, v1, v6
	v_add_u32_e32 v1, v3, v8
	v_lshrrev_b32_e32 v1, s13, v1
	v_mul_lo_u32 v13, v1, s7
	v_mul_lo_u32 v8, v6, s8
	v_mul_lo_u32 v11, v6, s9
	v_mul_lo_u32 v6, v6, s10
	v_sub_u32_e32 v3, v3, v13
	v_mul_lo_u32 v13, v3, s11
	v_mul_lo_u32 v16, v3, s14
	;; [unrolled: 1-line block ×3, first 2 shown]
	v_add3_u32 v15, v8, v15, v13
	v_add3_u32 v19, v11, v19, v16
	;; [unrolled: 1-line block ×3, first 2 shown]
	s_cbranch_scc1 .LBB186_92
; %bb.93:
	s_bitcmp1_b32 s2, 0
	s_cselect_b64 s[2:3], -1, 0
	s_and_b64 vcc, exec, s[2:3]
	s_cbranch_vccnz .LBB186_97
; %bb.94:
	s_load_dwordx2 s[2:3], s[0:1], 0x1c
	s_load_dword s6, s[0:1], 0x24
	s_load_dwordx2 s[4:5], s[0:1], 0xdc
	s_waitcnt lgkmcnt(0)
	v_mul_hi_u32 v3, s3, v1
	v_add_u32_e32 v3, v1, v3
	v_lshrrev_b32_e32 v3, s6, v3
	v_mul_lo_u32 v3, v3, s2
	s_load_dword s2, s[0:1], 0xe4
	v_sub_u32_e32 v1, v1, v3
	v_mad_u64_u32 v[15:16], s[0:1], v1, s4, v[15:16]
	v_mad_u64_u32 v[19:20], s[0:1], v1, s5, v[19:20]
	s_waitcnt lgkmcnt(0)
	v_mad_u64_u32 v[17:18], s[0:1], v1, s2, v[17:18]
	s_cbranch_execz .LBB186_98
	s_branch .LBB186_100
.LBB186_95:
                                        ; implicit-def: $vgpr15
                                        ; implicit-def: $vgpr19
                                        ; implicit-def: $vgpr17
	s_branch .LBB186_98
.LBB186_96:
	v_mov_b32_e32 v15, 0
	v_mov_b32_e32 v19, 0
	;; [unrolled: 1-line block ×3, first 2 shown]
.LBB186_97:
	s_cbranch_execnz .LBB186_100
.LBB186_98:
	s_load_dwordx4 s[0:3], s[16:17], 0x4
	s_load_dwordx4 s[4:7], s[16:17], 0xc4
	s_cmp_lt_u32 s33, 2
	s_waitcnt lgkmcnt(0)
	v_mul_hi_u32 v1, s1, v21
	v_add_u32_e32 v1, v21, v1
	v_lshrrev_b32_e32 v1, s2, v1
	v_mul_lo_u32 v3, v1, s0
	v_sub_u32_e32 v3, v21, v3
	v_mul_lo_u32 v15, v3, s4
	v_mul_lo_u32 v19, v3, s5
	;; [unrolled: 1-line block ×3, first 2 shown]
	s_cbranch_scc1 .LBB186_100
; %bb.99:
	s_load_dwordx4 s[0:3], s[16:17], 0x10
	s_load_dwordx4 s[4:7], s[16:17], 0xd0
	s_waitcnt lgkmcnt(0)
	v_mul_hi_u32 v3, s1, v1
	v_add_u32_e32 v3, v1, v3
	v_lshrrev_b32_e32 v3, s2, v3
	v_mul_lo_u32 v3, v3, s0
	v_sub_u32_e32 v1, v1, v3
	v_mad_u64_u32 v[15:16], s[0:1], v1, s4, v[15:16]
	v_mad_u64_u32 v[19:20], s[0:1], v1, s5, v[19:20]
	;; [unrolled: 1-line block ×3, first 2 shown]
.LBB186_100:
	s_load_dwordx8 s[0:7], s[16:17], 0x188
	s_waitcnt lgkmcnt(0)
	global_load_ushort v1, v2, s[4:5]
	global_load_ushort v3, v9, s[4:5]
	;; [unrolled: 1-line block ×4, first 2 shown]
	global_load_dword v11, v4, s[2:3]
	global_load_dword v13, v7, s[2:3]
	;; [unrolled: 1-line block ×4, first 2 shown]
	v_mov_b32_e32 v2, s7
	s_waitcnt vmcnt(7)
	v_lshlrev_b32_e32 v1, 16, v1
	s_waitcnt vmcnt(6)
	v_lshlrev_b32_e32 v3, 16, v3
	;; [unrolled: 2-line block ×4, first 2 shown]
	s_waitcnt vmcnt(3)
	v_cmp_nge_f32_e32 vcc, s6, v11
	v_cndmask_b32_e32 v1, v2, v1, vcc
	s_waitcnt vmcnt(2)
	v_cmp_nge_f32_e32 vcc, s6, v13
	v_cndmask_b32_e32 v3, v2, v3, vcc
	s_waitcnt vmcnt(1)
	v_cmp_nge_f32_e32 vcc, s6, v16
	v_cndmask_b32_e32 v4, v2, v4, vcc
	s_waitcnt vmcnt(0)
	v_cmp_nge_f32_e32 vcc, s6, v18
	v_cndmask_b32_e32 v2, v2, v6, vcc
	global_store_dword v0, v1, s[0:1]
	global_store_dword v5, v3, s[0:1]
	;; [unrolled: 1-line block ×4, first 2 shown]
	s_endpgm
	.section	.rodata,"a",@progbits
	.p2align	6, 0x0
	.amdhsa_kernel _ZN2at6native32elementwise_kernel_manual_unrollILi128ELi4EZNS0_12_GLOBAL__N_142type_specialized_broadcast_kernel_launcherILi0EE5applyINS0_13BinaryFunctorIfffZNS2_21threshold_kernel_implIfEEvRNS_18TensorIteratorBaseET_SA_EUlffE_EESt5arrayIPcLm3EESD_IN3c1010ScalarTypeELm3EE16OffsetCalculatorILi3EjLb0EEEEvlSA_T0_T1_T2_EUlibE_EEviSM_
		.amdhsa_group_segment_fixed_size 0
		.amdhsa_private_segment_fixed_size 0
		.amdhsa_kernarg_size 432
		.amdhsa_user_sgpr_count 6
		.amdhsa_user_sgpr_private_segment_buffer 1
		.amdhsa_user_sgpr_dispatch_ptr 0
		.amdhsa_user_sgpr_queue_ptr 0
		.amdhsa_user_sgpr_kernarg_segment_ptr 1
		.amdhsa_user_sgpr_dispatch_id 0
		.amdhsa_user_sgpr_flat_scratch_init 0
		.amdhsa_user_sgpr_private_segment_size 0
		.amdhsa_uses_dynamic_stack 0
		.amdhsa_system_sgpr_private_segment_wavefront_offset 0
		.amdhsa_system_sgpr_workgroup_id_x 1
		.amdhsa_system_sgpr_workgroup_id_y 0
		.amdhsa_system_sgpr_workgroup_id_z 0
		.amdhsa_system_sgpr_workgroup_info 0
		.amdhsa_system_vgpr_workitem_id 0
		.amdhsa_next_free_vgpr 22
		.amdhsa_next_free_sgpr 52
		.amdhsa_reserve_vcc 1
		.amdhsa_reserve_flat_scratch 0
		.amdhsa_float_round_mode_32 0
		.amdhsa_float_round_mode_16_64 0
		.amdhsa_float_denorm_mode_32 3
		.amdhsa_float_denorm_mode_16_64 3
		.amdhsa_dx10_clamp 1
		.amdhsa_ieee_mode 1
		.amdhsa_fp16_overflow 0
		.amdhsa_exception_fp_ieee_invalid_op 0
		.amdhsa_exception_fp_denorm_src 0
		.amdhsa_exception_fp_ieee_div_zero 0
		.amdhsa_exception_fp_ieee_overflow 0
		.amdhsa_exception_fp_ieee_underflow 0
		.amdhsa_exception_fp_ieee_inexact 0
		.amdhsa_exception_int_div_zero 0
	.end_amdhsa_kernel
	.section	.text._ZN2at6native32elementwise_kernel_manual_unrollILi128ELi4EZNS0_12_GLOBAL__N_142type_specialized_broadcast_kernel_launcherILi0EE5applyINS0_13BinaryFunctorIfffZNS2_21threshold_kernel_implIfEEvRNS_18TensorIteratorBaseET_SA_EUlffE_EESt5arrayIPcLm3EESD_IN3c1010ScalarTypeELm3EE16OffsetCalculatorILi3EjLb0EEEEvlSA_T0_T1_T2_EUlibE_EEviSM_,"axG",@progbits,_ZN2at6native32elementwise_kernel_manual_unrollILi128ELi4EZNS0_12_GLOBAL__N_142type_specialized_broadcast_kernel_launcherILi0EE5applyINS0_13BinaryFunctorIfffZNS2_21threshold_kernel_implIfEEvRNS_18TensorIteratorBaseET_SA_EUlffE_EESt5arrayIPcLm3EESD_IN3c1010ScalarTypeELm3EE16OffsetCalculatorILi3EjLb0EEEEvlSA_T0_T1_T2_EUlibE_EEviSM_,comdat
.Lfunc_end186:
	.size	_ZN2at6native32elementwise_kernel_manual_unrollILi128ELi4EZNS0_12_GLOBAL__N_142type_specialized_broadcast_kernel_launcherILi0EE5applyINS0_13BinaryFunctorIfffZNS2_21threshold_kernel_implIfEEvRNS_18TensorIteratorBaseET_SA_EUlffE_EESt5arrayIPcLm3EESD_IN3c1010ScalarTypeELm3EE16OffsetCalculatorILi3EjLb0EEEEvlSA_T0_T1_T2_EUlibE_EEviSM_, .Lfunc_end186-_ZN2at6native32elementwise_kernel_manual_unrollILi128ELi4EZNS0_12_GLOBAL__N_142type_specialized_broadcast_kernel_launcherILi0EE5applyINS0_13BinaryFunctorIfffZNS2_21threshold_kernel_implIfEEvRNS_18TensorIteratorBaseET_SA_EUlffE_EESt5arrayIPcLm3EESD_IN3c1010ScalarTypeELm3EE16OffsetCalculatorILi3EjLb0EEEEvlSA_T0_T1_T2_EUlibE_EEviSM_
                                        ; -- End function
	.set _ZN2at6native32elementwise_kernel_manual_unrollILi128ELi4EZNS0_12_GLOBAL__N_142type_specialized_broadcast_kernel_launcherILi0EE5applyINS0_13BinaryFunctorIfffZNS2_21threshold_kernel_implIfEEvRNS_18TensorIteratorBaseET_SA_EUlffE_EESt5arrayIPcLm3EESD_IN3c1010ScalarTypeELm3EE16OffsetCalculatorILi3EjLb0EEEEvlSA_T0_T1_T2_EUlibE_EEviSM_.num_vgpr, 22
	.set _ZN2at6native32elementwise_kernel_manual_unrollILi128ELi4EZNS0_12_GLOBAL__N_142type_specialized_broadcast_kernel_launcherILi0EE5applyINS0_13BinaryFunctorIfffZNS2_21threshold_kernel_implIfEEvRNS_18TensorIteratorBaseET_SA_EUlffE_EESt5arrayIPcLm3EESD_IN3c1010ScalarTypeELm3EE16OffsetCalculatorILi3EjLb0EEEEvlSA_T0_T1_T2_EUlibE_EEviSM_.num_agpr, 0
	.set _ZN2at6native32elementwise_kernel_manual_unrollILi128ELi4EZNS0_12_GLOBAL__N_142type_specialized_broadcast_kernel_launcherILi0EE5applyINS0_13BinaryFunctorIfffZNS2_21threshold_kernel_implIfEEvRNS_18TensorIteratorBaseET_SA_EUlffE_EESt5arrayIPcLm3EESD_IN3c1010ScalarTypeELm3EE16OffsetCalculatorILi3EjLb0EEEEvlSA_T0_T1_T2_EUlibE_EEviSM_.numbered_sgpr, 52
	.set _ZN2at6native32elementwise_kernel_manual_unrollILi128ELi4EZNS0_12_GLOBAL__N_142type_specialized_broadcast_kernel_launcherILi0EE5applyINS0_13BinaryFunctorIfffZNS2_21threshold_kernel_implIfEEvRNS_18TensorIteratorBaseET_SA_EUlffE_EESt5arrayIPcLm3EESD_IN3c1010ScalarTypeELm3EE16OffsetCalculatorILi3EjLb0EEEEvlSA_T0_T1_T2_EUlibE_EEviSM_.num_named_barrier, 0
	.set _ZN2at6native32elementwise_kernel_manual_unrollILi128ELi4EZNS0_12_GLOBAL__N_142type_specialized_broadcast_kernel_launcherILi0EE5applyINS0_13BinaryFunctorIfffZNS2_21threshold_kernel_implIfEEvRNS_18TensorIteratorBaseET_SA_EUlffE_EESt5arrayIPcLm3EESD_IN3c1010ScalarTypeELm3EE16OffsetCalculatorILi3EjLb0EEEEvlSA_T0_T1_T2_EUlibE_EEviSM_.private_seg_size, 0
	.set _ZN2at6native32elementwise_kernel_manual_unrollILi128ELi4EZNS0_12_GLOBAL__N_142type_specialized_broadcast_kernel_launcherILi0EE5applyINS0_13BinaryFunctorIfffZNS2_21threshold_kernel_implIfEEvRNS_18TensorIteratorBaseET_SA_EUlffE_EESt5arrayIPcLm3EESD_IN3c1010ScalarTypeELm3EE16OffsetCalculatorILi3EjLb0EEEEvlSA_T0_T1_T2_EUlibE_EEviSM_.uses_vcc, 1
	.set _ZN2at6native32elementwise_kernel_manual_unrollILi128ELi4EZNS0_12_GLOBAL__N_142type_specialized_broadcast_kernel_launcherILi0EE5applyINS0_13BinaryFunctorIfffZNS2_21threshold_kernel_implIfEEvRNS_18TensorIteratorBaseET_SA_EUlffE_EESt5arrayIPcLm3EESD_IN3c1010ScalarTypeELm3EE16OffsetCalculatorILi3EjLb0EEEEvlSA_T0_T1_T2_EUlibE_EEviSM_.uses_flat_scratch, 0
	.set _ZN2at6native32elementwise_kernel_manual_unrollILi128ELi4EZNS0_12_GLOBAL__N_142type_specialized_broadcast_kernel_launcherILi0EE5applyINS0_13BinaryFunctorIfffZNS2_21threshold_kernel_implIfEEvRNS_18TensorIteratorBaseET_SA_EUlffE_EESt5arrayIPcLm3EESD_IN3c1010ScalarTypeELm3EE16OffsetCalculatorILi3EjLb0EEEEvlSA_T0_T1_T2_EUlibE_EEviSM_.has_dyn_sized_stack, 0
	.set _ZN2at6native32elementwise_kernel_manual_unrollILi128ELi4EZNS0_12_GLOBAL__N_142type_specialized_broadcast_kernel_launcherILi0EE5applyINS0_13BinaryFunctorIfffZNS2_21threshold_kernel_implIfEEvRNS_18TensorIteratorBaseET_SA_EUlffE_EESt5arrayIPcLm3EESD_IN3c1010ScalarTypeELm3EE16OffsetCalculatorILi3EjLb0EEEEvlSA_T0_T1_T2_EUlibE_EEviSM_.has_recursion, 0
	.set _ZN2at6native32elementwise_kernel_manual_unrollILi128ELi4EZNS0_12_GLOBAL__N_142type_specialized_broadcast_kernel_launcherILi0EE5applyINS0_13BinaryFunctorIfffZNS2_21threshold_kernel_implIfEEvRNS_18TensorIteratorBaseET_SA_EUlffE_EESt5arrayIPcLm3EESD_IN3c1010ScalarTypeELm3EE16OffsetCalculatorILi3EjLb0EEEEvlSA_T0_T1_T2_EUlibE_EEviSM_.has_indirect_call, 0
	.section	.AMDGPU.csdata,"",@progbits
; Kernel info:
; codeLenInByte = 4776
; TotalNumSgprs: 56
; NumVgprs: 22
; ScratchSize: 0
; MemoryBound: 0
; FloatMode: 240
; IeeeMode: 1
; LDSByteSize: 0 bytes/workgroup (compile time only)
; SGPRBlocks: 6
; VGPRBlocks: 5
; NumSGPRsForWavesPerEU: 56
; NumVGPRsForWavesPerEU: 22
; Occupancy: 10
; WaveLimiterHint : 1
; COMPUTE_PGM_RSRC2:SCRATCH_EN: 0
; COMPUTE_PGM_RSRC2:USER_SGPR: 6
; COMPUTE_PGM_RSRC2:TRAP_HANDLER: 0
; COMPUTE_PGM_RSRC2:TGID_X_EN: 1
; COMPUTE_PGM_RSRC2:TGID_Y_EN: 0
; COMPUTE_PGM_RSRC2:TGID_Z_EN: 0
; COMPUTE_PGM_RSRC2:TIDIG_COMP_CNT: 0
	.section	.text._ZN2at6native32elementwise_kernel_manual_unrollILi128ELi4EZNS0_12_GLOBAL__N_142type_specialized_broadcast_kernel_launcherILi1EE5applyINS0_13BinaryFunctorIfffZNS2_21threshold_kernel_implIfEEvRNS_18TensorIteratorBaseET_SA_EUlffE_EESt5arrayIPcLm3EESD_IN3c1010ScalarTypeELm3EE16OffsetCalculatorILi3EjLb0EEEEvlSA_T0_T1_T2_EUlibE_EEviSM_,"axG",@progbits,_ZN2at6native32elementwise_kernel_manual_unrollILi128ELi4EZNS0_12_GLOBAL__N_142type_specialized_broadcast_kernel_launcherILi1EE5applyINS0_13BinaryFunctorIfffZNS2_21threshold_kernel_implIfEEvRNS_18TensorIteratorBaseET_SA_EUlffE_EESt5arrayIPcLm3EESD_IN3c1010ScalarTypeELm3EE16OffsetCalculatorILi3EjLb0EEEEvlSA_T0_T1_T2_EUlibE_EEviSM_,comdat
	.globl	_ZN2at6native32elementwise_kernel_manual_unrollILi128ELi4EZNS0_12_GLOBAL__N_142type_specialized_broadcast_kernel_launcherILi1EE5applyINS0_13BinaryFunctorIfffZNS2_21threshold_kernel_implIfEEvRNS_18TensorIteratorBaseET_SA_EUlffE_EESt5arrayIPcLm3EESD_IN3c1010ScalarTypeELm3EE16OffsetCalculatorILi3EjLb0EEEEvlSA_T0_T1_T2_EUlibE_EEviSM_ ; -- Begin function _ZN2at6native32elementwise_kernel_manual_unrollILi128ELi4EZNS0_12_GLOBAL__N_142type_specialized_broadcast_kernel_launcherILi1EE5applyINS0_13BinaryFunctorIfffZNS2_21threshold_kernel_implIfEEvRNS_18TensorIteratorBaseET_SA_EUlffE_EESt5arrayIPcLm3EESD_IN3c1010ScalarTypeELm3EE16OffsetCalculatorILi3EjLb0EEEEvlSA_T0_T1_T2_EUlibE_EEviSM_
	.p2align	8
	.type	_ZN2at6native32elementwise_kernel_manual_unrollILi128ELi4EZNS0_12_GLOBAL__N_142type_specialized_broadcast_kernel_launcherILi1EE5applyINS0_13BinaryFunctorIfffZNS2_21threshold_kernel_implIfEEvRNS_18TensorIteratorBaseET_SA_EUlffE_EESt5arrayIPcLm3EESD_IN3c1010ScalarTypeELm3EE16OffsetCalculatorILi3EjLb0EEEEvlSA_T0_T1_T2_EUlibE_EEviSM_,@function
_ZN2at6native32elementwise_kernel_manual_unrollILi128ELi4EZNS0_12_GLOBAL__N_142type_specialized_broadcast_kernel_launcherILi1EE5applyINS0_13BinaryFunctorIfffZNS2_21threshold_kernel_implIfEEvRNS_18TensorIteratorBaseET_SA_EUlffE_EESt5arrayIPcLm3EESD_IN3c1010ScalarTypeELm3EE16OffsetCalculatorILi3EjLb0EEEEvlSA_T0_T1_T2_EUlibE_EEviSM_: ; @_ZN2at6native32elementwise_kernel_manual_unrollILi128ELi4EZNS0_12_GLOBAL__N_142type_specialized_broadcast_kernel_launcherILi1EE5applyINS0_13BinaryFunctorIfffZNS2_21threshold_kernel_implIfEEvRNS_18TensorIteratorBaseET_SA_EUlffE_EESt5arrayIPcLm3EESD_IN3c1010ScalarTypeELm3EE16OffsetCalculatorILi3EjLb0EEEEvlSA_T0_T1_T2_EUlibE_EEviSM_
; %bb.0:
	s_load_dword s38, s[4:5], 0x0
	s_load_dword s33, s[4:5], 0x8
	s_add_u32 s16, s4, 8
	s_addc_u32 s17, s5, 0
	v_lshl_or_b32 v11, s6, 9, v0
	v_or_b32_e32 v21, 0x180, v11
	s_waitcnt lgkmcnt(0)
	s_add_i32 s36, s33, -1
	s_cmp_gt_u32 s36, 1
	v_cmp_le_i32_e32 vcc, s38, v21
	s_cselect_b64 s[18:19], -1, 0
	s_and_saveexec_b64 s[0:1], vcc
	s_xor_b64 s[20:21], exec, s[0:1]
	s_cbranch_execz .LBB187_54
; %bb.1:
	s_load_dwordx4 s[12:15], s[16:17], 0x4
	s_load_dwordx2 s[24:25], s[16:17], 0x14
	s_load_dwordx4 s[8:11], s[16:17], 0xc4
	s_load_dwordx2 s[22:23], s[16:17], 0xd4
	s_load_dwordx8 s[0:7], s[16:17], 0x188
	s_cmp_lg_u32 s33, 0
	s_cselect_b64 s[28:29], -1, 0
	s_min_u32 s37, s36, 15
	s_cmp_gt_u32 s33, 1
	s_cselect_b64 s[26:27], -1, 0
	v_cmp_gt_i32_e32 vcc, s38, v11
	s_and_saveexec_b64 s[30:31], vcc
	s_cbranch_execnz .LBB187_5
; %bb.2:
	s_or_b64 exec, exec, s[30:31]
	v_cmp_gt_i32_e32 vcc, s38, v11
	s_and_saveexec_b64 s[30:31], vcc
	s_cbranch_execnz .LBB187_17
.LBB187_3:
	s_or_b64 exec, exec, s[30:31]
	v_cmp_gt_i32_e32 vcc, s38, v11
	s_and_saveexec_b64 s[30:31], vcc
	s_cbranch_execnz .LBB187_29
.LBB187_4:
	s_or_b64 exec, exec, s[30:31]
	v_cmp_gt_i32_e32 vcc, s38, v11
	s_and_saveexec_b64 s[30:31], vcc
	s_cbranch_execnz .LBB187_41
	s_branch .LBB187_53
.LBB187_5:
	s_andn2_b64 vcc, exec, s[18:19]
	s_cbranch_vccnz .LBB187_11
; %bb.6:
	s_andn2_b64 vcc, exec, s[28:29]
	s_cbranch_vccnz .LBB187_12
; %bb.7:
	s_add_i32 s34, s37, 1
	s_and_b32 s39, s34, 30
	s_add_u32 s34, s16, 0xffffffe8
	s_addc_u32 s35, s17, -1
	v_mov_b32_e32 v2, 0
	v_mov_b32_e32 v4, 0
	;; [unrolled: 1-line block ×4, first 2 shown]
.LBB187_8:                              ; =>This Inner Loop Header: Depth=1
	s_load_dwordx4 s[40:43], s[34:35], 0x1c
	s_load_dwordx2 s[48:49], s[34:35], 0x2c
	s_load_dwordx2 s[50:51], s[34:35], 0xec
	s_load_dwordx4 s[44:47], s[34:35], 0xdc
	s_add_u32 s34, s34, 24
	s_waitcnt lgkmcnt(0)
	v_mul_hi_u32 v3, s41, v1
	s_addc_u32 s35, s35, 0
	s_add_i32 s39, s39, -2
	s_cmp_lg_u32 s39, 0
	v_add_u32_e32 v3, v1, v3
	v_lshrrev_b32_e32 v3, s42, v3
	v_mul_lo_u32 v5, v3, s40
	v_mul_hi_u32 v6, s48, v3
	v_sub_u32_e32 v5, v1, v5
	v_add_u32_e32 v1, v3, v6
	v_lshrrev_b32_e32 v1, s49, v1
	v_mul_lo_u32 v8, v1, s43
	v_mul_lo_u32 v6, v5, s44
	;; [unrolled: 1-line block ×4, first 2 shown]
	v_sub_u32_e32 v3, v3, v8
	v_mul_lo_u32 v8, v3, s47
	v_mul_lo_u32 v9, v3, s50
	;; [unrolled: 1-line block ×3, first 2 shown]
	v_add3_u32 v0, v6, v0, v8
	v_add3_u32 v4, v7, v4, v9
	;; [unrolled: 1-line block ×3, first 2 shown]
	s_cbranch_scc1 .LBB187_8
; %bb.9:
	s_bitcmp1_b32 s37, 0
	s_cselect_b64 s[40:41], -1, 0
	s_and_b64 vcc, exec, s[40:41]
	s_cbranch_vccnz .LBB187_13
; %bb.10:
	s_load_dwordx2 s[40:41], s[34:35], 0x1c
	s_load_dword s39, s[34:35], 0x24
	s_load_dwordx2 s[42:43], s[34:35], 0xdc
	s_waitcnt lgkmcnt(0)
	v_mul_hi_u32 v3, s41, v1
	v_add_u32_e32 v3, v1, v3
	v_lshrrev_b32_e32 v3, s39, v3
	v_mul_lo_u32 v3, v3, s40
	s_load_dword s39, s[34:35], 0xe4
	v_sub_u32_e32 v3, v1, v3
	v_mad_u64_u32 v[0:1], s[34:35], v3, s42, v[0:1]
	v_mad_u64_u32 v[4:5], s[34:35], v3, s43, v[4:5]
	s_waitcnt lgkmcnt(0)
	v_mad_u64_u32 v[2:3], s[34:35], v3, s39, v[2:3]
	s_cbranch_execz .LBB187_14
	s_branch .LBB187_16
.LBB187_11:
                                        ; implicit-def: $vgpr0
                                        ; implicit-def: $vgpr4
                                        ; implicit-def: $vgpr2
	s_branch .LBB187_14
.LBB187_12:
	v_mov_b32_e32 v0, 0
	v_mov_b32_e32 v4, 0
	;; [unrolled: 1-line block ×3, first 2 shown]
.LBB187_13:
	s_cbranch_execnz .LBB187_16
.LBB187_14:
	s_waitcnt lgkmcnt(0)
	v_mul_hi_u32 v0, s13, v11
	s_andn2_b64 vcc, exec, s[26:27]
	v_add_u32_e32 v0, v11, v0
	v_lshrrev_b32_e32 v1, s14, v0
	v_mul_lo_u32 v0, v1, s12
	v_sub_u32_e32 v2, v11, v0
	v_mul_lo_u32 v0, v2, s8
	v_mul_lo_u32 v4, v2, s9
	;; [unrolled: 1-line block ×3, first 2 shown]
	s_cbranch_vccnz .LBB187_16
; %bb.15:
	v_mul_hi_u32 v3, s24, v1
	v_add_u32_e32 v3, v1, v3
	v_lshrrev_b32_e32 v3, s25, v3
	v_mul_lo_u32 v3, v3, s15
	v_sub_u32_e32 v3, v1, v3
	v_mad_u64_u32 v[0:1], s[34:35], v3, s11, v[0:1]
	v_mad_u64_u32 v[4:5], s[34:35], v3, s22, v[4:5]
	;; [unrolled: 1-line block ×3, first 2 shown]
.LBB187_16:
	s_waitcnt lgkmcnt(0)
	global_load_ushort v1, v4, s[2:3]
	global_load_dword v3, v2, s[4:5]
	v_mov_b32_e32 v2, s7
	v_add_u32_e32 v11, 0x80, v11
	s_waitcnt vmcnt(1)
	v_lshlrev_b32_e32 v1, 16, v1
	v_cmp_nge_f32_e32 vcc, s6, v1
	s_waitcnt vmcnt(0)
	v_cndmask_b32_e32 v1, v2, v3, vcc
	global_store_dword v0, v1, s[0:1]
	s_or_b64 exec, exec, s[30:31]
	v_cmp_gt_i32_e32 vcc, s38, v11
	s_and_saveexec_b64 s[30:31], vcc
	s_cbranch_execz .LBB187_3
.LBB187_17:
	s_andn2_b64 vcc, exec, s[18:19]
	s_cbranch_vccnz .LBB187_23
; %bb.18:
	s_andn2_b64 vcc, exec, s[28:29]
	s_cbranch_vccnz .LBB187_24
; %bb.19:
	s_add_i32 s34, s37, 1
	s_and_b32 s39, s34, 30
	s_add_u32 s34, s16, 0xffffffe8
	s_addc_u32 s35, s17, -1
	v_mov_b32_e32 v2, 0
	v_mov_b32_e32 v4, 0
	;; [unrolled: 1-line block ×4, first 2 shown]
.LBB187_20:                             ; =>This Inner Loop Header: Depth=1
	s_load_dwordx4 s[40:43], s[34:35], 0x1c
	s_load_dwordx2 s[48:49], s[34:35], 0x2c
	s_load_dwordx2 s[50:51], s[34:35], 0xec
	s_load_dwordx4 s[44:47], s[34:35], 0xdc
	s_add_u32 s34, s34, 24
	s_waitcnt lgkmcnt(0)
	v_mul_hi_u32 v3, s41, v1
	s_addc_u32 s35, s35, 0
	s_add_i32 s39, s39, -2
	s_cmp_eq_u32 s39, 0
	v_add_u32_e32 v3, v1, v3
	v_lshrrev_b32_e32 v3, s42, v3
	v_mul_lo_u32 v5, v3, s40
	v_mul_hi_u32 v6, s48, v3
	v_sub_u32_e32 v5, v1, v5
	v_add_u32_e32 v1, v3, v6
	v_lshrrev_b32_e32 v1, s49, v1
	v_mul_lo_u32 v8, v1, s43
	v_mul_lo_u32 v6, v5, s44
	;; [unrolled: 1-line block ×4, first 2 shown]
	v_sub_u32_e32 v3, v3, v8
	v_mul_lo_u32 v8, v3, s47
	v_mul_lo_u32 v9, v3, s50
	v_mul_lo_u32 v3, v3, s51
	v_add3_u32 v0, v6, v0, v8
	v_add3_u32 v4, v7, v4, v9
	v_add3_u32 v2, v5, v2, v3
	s_cbranch_scc0 .LBB187_20
; %bb.21:
	s_bitcmp1_b32 s37, 0
	s_cselect_b64 s[40:41], -1, 0
	s_and_b64 vcc, exec, s[40:41]
	s_cbranch_vccnz .LBB187_25
; %bb.22:
	s_load_dwordx2 s[40:41], s[34:35], 0x1c
	s_load_dword s39, s[34:35], 0x24
	s_load_dwordx2 s[42:43], s[34:35], 0xdc
	s_waitcnt lgkmcnt(0)
	v_mul_hi_u32 v3, s41, v1
	v_add_u32_e32 v3, v1, v3
	v_lshrrev_b32_e32 v3, s39, v3
	v_mul_lo_u32 v3, v3, s40
	s_load_dword s39, s[34:35], 0xe4
	v_sub_u32_e32 v3, v1, v3
	v_mad_u64_u32 v[0:1], s[34:35], v3, s42, v[0:1]
	v_mad_u64_u32 v[4:5], s[34:35], v3, s43, v[4:5]
	s_waitcnt lgkmcnt(0)
	v_mad_u64_u32 v[2:3], s[34:35], v3, s39, v[2:3]
	s_branch .LBB187_25
.LBB187_23:
                                        ; implicit-def: $vgpr0
                                        ; implicit-def: $vgpr4
                                        ; implicit-def: $vgpr2
	s_branch .LBB187_26
.LBB187_24:
	v_mov_b32_e32 v0, 0
	v_mov_b32_e32 v4, 0
	;; [unrolled: 1-line block ×3, first 2 shown]
.LBB187_25:
	s_cbranch_execnz .LBB187_28
.LBB187_26:
	s_waitcnt lgkmcnt(0)
	v_mul_hi_u32 v0, s13, v11
	s_andn2_b64 vcc, exec, s[26:27]
	v_add_u32_e32 v0, v11, v0
	v_lshrrev_b32_e32 v1, s14, v0
	v_mul_lo_u32 v0, v1, s12
	v_sub_u32_e32 v2, v11, v0
	v_mul_lo_u32 v0, v2, s8
	v_mul_lo_u32 v4, v2, s9
	;; [unrolled: 1-line block ×3, first 2 shown]
	s_cbranch_vccnz .LBB187_28
; %bb.27:
	v_mul_hi_u32 v3, s24, v1
	v_add_u32_e32 v3, v1, v3
	v_lshrrev_b32_e32 v3, s25, v3
	v_mul_lo_u32 v3, v3, s15
	v_sub_u32_e32 v3, v1, v3
	v_mad_u64_u32 v[0:1], s[34:35], v3, s11, v[0:1]
	v_mad_u64_u32 v[4:5], s[34:35], v3, s22, v[4:5]
	;; [unrolled: 1-line block ×3, first 2 shown]
.LBB187_28:
	s_waitcnt lgkmcnt(0)
	global_load_ushort v1, v4, s[2:3]
	global_load_dword v3, v2, s[4:5]
	v_mov_b32_e32 v2, s7
	v_add_u32_e32 v11, 0x80, v11
	s_waitcnt vmcnt(1)
	v_lshlrev_b32_e32 v1, 16, v1
	v_cmp_nge_f32_e32 vcc, s6, v1
	s_waitcnt vmcnt(0)
	v_cndmask_b32_e32 v1, v2, v3, vcc
	global_store_dword v0, v1, s[0:1]
	s_or_b64 exec, exec, s[30:31]
	v_cmp_gt_i32_e32 vcc, s38, v11
	s_and_saveexec_b64 s[30:31], vcc
	s_cbranch_execz .LBB187_4
.LBB187_29:
	s_andn2_b64 vcc, exec, s[18:19]
	s_cbranch_vccnz .LBB187_35
; %bb.30:
	s_andn2_b64 vcc, exec, s[28:29]
	s_cbranch_vccnz .LBB187_36
; %bb.31:
	s_add_i32 s34, s37, 1
	s_and_b32 s39, s34, 30
	s_add_u32 s34, s16, 0xffffffe8
	s_addc_u32 s35, s17, -1
	v_mov_b32_e32 v2, 0
	v_mov_b32_e32 v4, 0
	;; [unrolled: 1-line block ×4, first 2 shown]
.LBB187_32:                             ; =>This Inner Loop Header: Depth=1
	s_load_dwordx4 s[40:43], s[34:35], 0x1c
	s_load_dwordx2 s[48:49], s[34:35], 0x2c
	s_load_dwordx2 s[50:51], s[34:35], 0xec
	s_load_dwordx4 s[44:47], s[34:35], 0xdc
	s_add_u32 s34, s34, 24
	s_waitcnt lgkmcnt(0)
	v_mul_hi_u32 v3, s41, v1
	s_addc_u32 s35, s35, 0
	s_add_i32 s39, s39, -2
	s_cmp_eq_u32 s39, 0
	v_add_u32_e32 v3, v1, v3
	v_lshrrev_b32_e32 v3, s42, v3
	v_mul_lo_u32 v5, v3, s40
	v_mul_hi_u32 v6, s48, v3
	v_sub_u32_e32 v5, v1, v5
	v_add_u32_e32 v1, v3, v6
	v_lshrrev_b32_e32 v1, s49, v1
	v_mul_lo_u32 v8, v1, s43
	v_mul_lo_u32 v6, v5, s44
	;; [unrolled: 1-line block ×4, first 2 shown]
	v_sub_u32_e32 v3, v3, v8
	v_mul_lo_u32 v8, v3, s47
	v_mul_lo_u32 v9, v3, s50
	;; [unrolled: 1-line block ×3, first 2 shown]
	v_add3_u32 v0, v6, v0, v8
	v_add3_u32 v4, v7, v4, v9
	;; [unrolled: 1-line block ×3, first 2 shown]
	s_cbranch_scc0 .LBB187_32
; %bb.33:
	s_bitcmp1_b32 s37, 0
	s_cselect_b64 s[40:41], -1, 0
	s_and_b64 vcc, exec, s[40:41]
	s_cbranch_vccnz .LBB187_37
; %bb.34:
	s_load_dwordx2 s[40:41], s[34:35], 0x1c
	s_load_dword s39, s[34:35], 0x24
	s_load_dwordx2 s[42:43], s[34:35], 0xdc
	s_waitcnt lgkmcnt(0)
	v_mul_hi_u32 v3, s41, v1
	v_add_u32_e32 v3, v1, v3
	v_lshrrev_b32_e32 v3, s39, v3
	v_mul_lo_u32 v3, v3, s40
	s_load_dword s39, s[34:35], 0xe4
	v_sub_u32_e32 v3, v1, v3
	v_mad_u64_u32 v[0:1], s[34:35], v3, s42, v[0:1]
	v_mad_u64_u32 v[4:5], s[34:35], v3, s43, v[4:5]
	s_waitcnt lgkmcnt(0)
	v_mad_u64_u32 v[2:3], s[34:35], v3, s39, v[2:3]
	s_branch .LBB187_37
.LBB187_35:
                                        ; implicit-def: $vgpr0
                                        ; implicit-def: $vgpr4
                                        ; implicit-def: $vgpr2
	s_branch .LBB187_38
.LBB187_36:
	v_mov_b32_e32 v0, 0
	v_mov_b32_e32 v4, 0
	v_mov_b32_e32 v2, 0
.LBB187_37:
	s_cbranch_execnz .LBB187_40
.LBB187_38:
	s_waitcnt lgkmcnt(0)
	v_mul_hi_u32 v0, s13, v11
	s_andn2_b64 vcc, exec, s[26:27]
	v_add_u32_e32 v0, v11, v0
	v_lshrrev_b32_e32 v1, s14, v0
	v_mul_lo_u32 v0, v1, s12
	v_sub_u32_e32 v2, v11, v0
	v_mul_lo_u32 v0, v2, s8
	v_mul_lo_u32 v4, v2, s9
	;; [unrolled: 1-line block ×3, first 2 shown]
	s_cbranch_vccnz .LBB187_40
; %bb.39:
	v_mul_hi_u32 v3, s24, v1
	v_add_u32_e32 v3, v1, v3
	v_lshrrev_b32_e32 v3, s25, v3
	v_mul_lo_u32 v3, v3, s15
	v_sub_u32_e32 v3, v1, v3
	v_mad_u64_u32 v[0:1], s[34:35], v3, s11, v[0:1]
	v_mad_u64_u32 v[4:5], s[34:35], v3, s22, v[4:5]
	;; [unrolled: 1-line block ×3, first 2 shown]
.LBB187_40:
	s_waitcnt lgkmcnt(0)
	global_load_ushort v1, v4, s[2:3]
	global_load_dword v3, v2, s[4:5]
	v_mov_b32_e32 v2, s7
	v_add_u32_e32 v11, 0x80, v11
	s_waitcnt vmcnt(1)
	v_lshlrev_b32_e32 v1, 16, v1
	v_cmp_nge_f32_e32 vcc, s6, v1
	s_waitcnt vmcnt(0)
	v_cndmask_b32_e32 v1, v2, v3, vcc
	global_store_dword v0, v1, s[0:1]
	s_or_b64 exec, exec, s[30:31]
	v_cmp_gt_i32_e32 vcc, s38, v11
	s_and_saveexec_b64 s[30:31], vcc
	s_cbranch_execz .LBB187_53
.LBB187_41:
	s_andn2_b64 vcc, exec, s[18:19]
	s_cbranch_vccnz .LBB187_47
; %bb.42:
	s_andn2_b64 vcc, exec, s[28:29]
	s_cbranch_vccnz .LBB187_48
; %bb.43:
	s_add_i32 s28, s37, 1
	s_and_b32 s34, s28, 30
	s_add_u32 s28, s16, 0xffffffe8
	s_addc_u32 s29, s17, -1
	v_mov_b32_e32 v2, 0
	v_mov_b32_e32 v4, 0
	;; [unrolled: 1-line block ×4, first 2 shown]
.LBB187_44:                             ; =>This Inner Loop Header: Depth=1
	s_load_dwordx4 s[40:43], s[28:29], 0x1c
	s_load_dwordx2 s[38:39], s[28:29], 0x2c
	s_load_dwordx2 s[48:49], s[28:29], 0xec
	s_load_dwordx4 s[44:47], s[28:29], 0xdc
	s_add_u32 s28, s28, 24
	s_waitcnt lgkmcnt(0)
	v_mul_hi_u32 v3, s41, v1
	s_addc_u32 s29, s29, 0
	s_add_i32 s34, s34, -2
	s_cmp_eq_u32 s34, 0
	v_add_u32_e32 v3, v1, v3
	v_lshrrev_b32_e32 v3, s42, v3
	v_mul_lo_u32 v5, v3, s40
	v_mul_hi_u32 v6, s38, v3
	v_sub_u32_e32 v5, v1, v5
	v_add_u32_e32 v1, v3, v6
	v_lshrrev_b32_e32 v1, s39, v1
	v_mul_lo_u32 v8, v1, s43
	v_mul_lo_u32 v6, v5, s44
	;; [unrolled: 1-line block ×4, first 2 shown]
	v_sub_u32_e32 v3, v3, v8
	v_mul_lo_u32 v8, v3, s47
	v_mul_lo_u32 v9, v3, s48
	;; [unrolled: 1-line block ×3, first 2 shown]
	v_add3_u32 v0, v6, v0, v8
	v_add3_u32 v4, v7, v4, v9
	;; [unrolled: 1-line block ×3, first 2 shown]
	s_cbranch_scc0 .LBB187_44
; %bb.45:
	s_bitcmp1_b32 s37, 0
	s_cselect_b64 s[34:35], -1, 0
	s_and_b64 vcc, exec, s[34:35]
	s_cbranch_vccnz .LBB187_49
; %bb.46:
	s_load_dwordx2 s[34:35], s[28:29], 0x1c
	s_load_dword s37, s[28:29], 0x24
	s_load_dwordx2 s[38:39], s[28:29], 0xdc
	s_waitcnt lgkmcnt(0)
	v_mul_hi_u32 v3, s35, v1
	v_add_u32_e32 v3, v1, v3
	v_lshrrev_b32_e32 v3, s37, v3
	v_mul_lo_u32 v3, v3, s34
	s_load_dword s34, s[28:29], 0xe4
	v_sub_u32_e32 v3, v1, v3
	v_mad_u64_u32 v[0:1], s[28:29], v3, s38, v[0:1]
	v_mad_u64_u32 v[4:5], s[28:29], v3, s39, v[4:5]
	s_waitcnt lgkmcnt(0)
	v_mad_u64_u32 v[2:3], s[28:29], v3, s34, v[2:3]
	s_branch .LBB187_49
.LBB187_47:
                                        ; implicit-def: $vgpr0
                                        ; implicit-def: $vgpr4
                                        ; implicit-def: $vgpr2
	s_branch .LBB187_50
.LBB187_48:
	v_mov_b32_e32 v0, 0
	v_mov_b32_e32 v4, 0
	v_mov_b32_e32 v2, 0
.LBB187_49:
	s_cbranch_execnz .LBB187_52
.LBB187_50:
	s_waitcnt lgkmcnt(0)
	v_mul_hi_u32 v0, s13, v11
	s_andn2_b64 vcc, exec, s[26:27]
	v_add_u32_e32 v0, v11, v0
	v_lshrrev_b32_e32 v1, s14, v0
	v_mul_lo_u32 v0, v1, s12
	v_sub_u32_e32 v2, v11, v0
	v_mul_lo_u32 v0, v2, s8
	v_mul_lo_u32 v4, v2, s9
	;; [unrolled: 1-line block ×3, first 2 shown]
	s_cbranch_vccnz .LBB187_52
; %bb.51:
	v_mul_hi_u32 v3, s24, v1
	v_add_u32_e32 v3, v1, v3
	v_lshrrev_b32_e32 v3, s25, v3
	v_mul_lo_u32 v3, v3, s15
	v_sub_u32_e32 v3, v1, v3
	v_mad_u64_u32 v[0:1], s[8:9], v3, s11, v[0:1]
	v_mad_u64_u32 v[4:5], s[8:9], v3, s22, v[4:5]
	;; [unrolled: 1-line block ×3, first 2 shown]
.LBB187_52:
	s_waitcnt lgkmcnt(0)
	global_load_ushort v1, v4, s[2:3]
	global_load_dword v3, v2, s[4:5]
	v_mov_b32_e32 v2, s7
	s_waitcnt vmcnt(1)
	v_lshlrev_b32_e32 v1, 16, v1
	v_cmp_nge_f32_e32 vcc, s6, v1
	s_waitcnt vmcnt(0)
	v_cndmask_b32_e32 v1, v2, v3, vcc
	global_store_dword v0, v1, s[0:1]
.LBB187_53:
	s_or_b64 exec, exec, s[30:31]
                                        ; implicit-def: $vgpr21
                                        ; implicit-def: $vgpr11
.LBB187_54:
	s_waitcnt lgkmcnt(0)
	s_andn2_saveexec_b64 s[0:1], s[20:21]
	s_cbranch_execz .LBB187_61
; %bb.55:
	v_cndmask_b32_e64 v0, 0, 1, s[18:19]
	v_cmp_ne_u32_e64 s[0:1], 1, v0
	s_andn2_b64 vcc, exec, s[18:19]
	s_cbranch_vccnz .LBB187_62
; %bb.56:
	s_cmp_lg_u32 s33, 0
	s_cbranch_scc0 .LBB187_63
; %bb.57:
	s_min_u32 s4, s36, 15
	s_add_i32 s2, s4, 1
	s_and_b32 s5, s2, 30
	s_add_u32 s2, s16, 0xffffffe8
	s_addc_u32 s3, s17, -1
	v_mov_b32_e32 v2, 0
	v_mov_b32_e32 v4, 0
	;; [unrolled: 1-line block ×4, first 2 shown]
.LBB187_58:                             ; =>This Inner Loop Header: Depth=1
	s_load_dwordx4 s[8:11], s[2:3], 0x1c
	s_load_dwordx2 s[6:7], s[2:3], 0x2c
	s_load_dwordx2 s[18:19], s[2:3], 0xec
	s_load_dwordx4 s[12:15], s[2:3], 0xdc
	s_add_u32 s2, s2, 24
	s_waitcnt lgkmcnt(0)
	v_mul_hi_u32 v3, s9, v1
	s_addc_u32 s3, s3, 0
	s_add_i32 s5, s5, -2
	s_cmp_lg_u32 s5, 0
	v_add_u32_e32 v3, v1, v3
	v_lshrrev_b32_e32 v3, s10, v3
	v_mul_lo_u32 v5, v3, s8
	v_mul_hi_u32 v6, s6, v3
	v_sub_u32_e32 v5, v1, v5
	v_add_u32_e32 v1, v3, v6
	v_lshrrev_b32_e32 v1, s7, v1
	v_mul_lo_u32 v8, v1, s11
	v_mul_lo_u32 v6, v5, s12
	;; [unrolled: 1-line block ×4, first 2 shown]
	v_sub_u32_e32 v3, v3, v8
	v_mul_lo_u32 v8, v3, s15
	v_mul_lo_u32 v9, v3, s18
	;; [unrolled: 1-line block ×3, first 2 shown]
	v_add3_u32 v0, v6, v0, v8
	v_add3_u32 v4, v7, v4, v9
	;; [unrolled: 1-line block ×3, first 2 shown]
	s_cbranch_scc1 .LBB187_58
; %bb.59:
	s_bitcmp1_b32 s4, 0
	s_cselect_b64 s[4:5], -1, 0
	s_and_b64 vcc, exec, s[4:5]
	s_cbranch_vccnz .LBB187_64
; %bb.60:
	s_load_dwordx2 s[4:5], s[2:3], 0x1c
	s_load_dword s8, s[2:3], 0x24
	s_load_dwordx2 s[6:7], s[2:3], 0xdc
	s_waitcnt lgkmcnt(0)
	v_mul_hi_u32 v3, s5, v1
	v_add_u32_e32 v3, v1, v3
	v_lshrrev_b32_e32 v3, s8, v3
	v_mul_lo_u32 v3, v3, s4
	s_load_dword s4, s[2:3], 0xe4
	v_sub_u32_e32 v3, v1, v3
	v_mad_u64_u32 v[0:1], s[2:3], v3, s6, v[0:1]
	v_mad_u64_u32 v[4:5], s[2:3], v3, s7, v[4:5]
	s_waitcnt lgkmcnt(0)
	v_mad_u64_u32 v[2:3], s[2:3], v3, s4, v[2:3]
	s_cbranch_execz .LBB187_65
	s_branch .LBB187_67
.LBB187_61:
	s_endpgm
.LBB187_62:
                                        ; implicit-def: $vgpr0
                                        ; implicit-def: $vgpr4
                                        ; implicit-def: $vgpr2
	s_branch .LBB187_65
.LBB187_63:
	v_mov_b32_e32 v0, 0
	v_mov_b32_e32 v4, 0
	v_mov_b32_e32 v2, 0
.LBB187_64:
	s_cbranch_execnz .LBB187_67
.LBB187_65:
	s_load_dwordx4 s[4:7], s[16:17], 0x4
	s_load_dwordx4 s[8:11], s[16:17], 0xc4
	s_cmp_lt_u32 s33, 2
	s_waitcnt lgkmcnt(0)
	v_mul_hi_u32 v0, s5, v11
	v_add_u32_e32 v0, v11, v0
	v_lshrrev_b32_e32 v1, s6, v0
	v_mul_lo_u32 v0, v1, s4
	v_sub_u32_e32 v2, v11, v0
	v_mul_lo_u32 v0, v2, s8
	v_mul_lo_u32 v4, v2, s9
	;; [unrolled: 1-line block ×3, first 2 shown]
	s_cbranch_scc1 .LBB187_67
; %bb.66:
	s_load_dwordx4 s[4:7], s[16:17], 0x10
	s_load_dwordx4 s[8:11], s[16:17], 0xd0
	s_waitcnt lgkmcnt(0)
	v_mul_hi_u32 v3, s5, v1
	v_add_u32_e32 v3, v1, v3
	v_lshrrev_b32_e32 v3, s6, v3
	v_mul_lo_u32 v3, v3, s4
	v_sub_u32_e32 v3, v1, v3
	v_mad_u64_u32 v[0:1], s[2:3], v3, s8, v[0:1]
	v_mad_u64_u32 v[4:5], s[2:3], v3, s9, v[4:5]
	;; [unrolled: 1-line block ×3, first 2 shown]
.LBB187_67:
	s_and_b64 vcc, exec, s[0:1]
	v_add_u32_e32 v1, 0x80, v11
	s_cbranch_vccnz .LBB187_73
; %bb.68:
	s_cmp_lg_u32 s33, 0
	s_cbranch_scc0 .LBB187_74
; %bb.69:
	s_min_u32 s4, s36, 15
	s_add_i32 s2, s4, 1
	s_and_b32 s5, s2, 30
	s_add_u32 s2, s16, 0xffffffe8
	s_addc_u32 s3, s17, -1
	v_mov_b32_e32 v9, 0
	v_mov_b32_e32 v7, 0
	;; [unrolled: 1-line block ×4, first 2 shown]
.LBB187_70:                             ; =>This Inner Loop Header: Depth=1
	s_load_dwordx4 s[8:11], s[2:3], 0x1c
	s_load_dwordx2 s[6:7], s[2:3], 0x2c
	s_load_dwordx2 s[18:19], s[2:3], 0xec
	s_load_dwordx4 s[12:15], s[2:3], 0xdc
	s_add_u32 s2, s2, 24
	s_waitcnt lgkmcnt(0)
	v_mul_hi_u32 v6, s9, v3
	s_addc_u32 s3, s3, 0
	s_add_i32 s5, s5, -2
	s_cmp_lg_u32 s5, 0
	v_add_u32_e32 v6, v3, v6
	v_lshrrev_b32_e32 v6, s10, v6
	v_mul_lo_u32 v8, v6, s8
	v_mul_hi_u32 v10, s6, v6
	v_sub_u32_e32 v8, v3, v8
	v_add_u32_e32 v3, v6, v10
	v_lshrrev_b32_e32 v3, s7, v3
	v_mul_lo_u32 v13, v3, s11
	v_mul_lo_u32 v10, v8, s12
	v_mul_lo_u32 v12, v8, s13
	v_mul_lo_u32 v8, v8, s14
	v_sub_u32_e32 v6, v6, v13
	v_mul_lo_u32 v13, v6, s15
	v_mul_lo_u32 v14, v6, s18
	;; [unrolled: 1-line block ×3, first 2 shown]
	v_add3_u32 v5, v10, v5, v13
	v_add3_u32 v7, v12, v7, v14
	;; [unrolled: 1-line block ×3, first 2 shown]
	s_cbranch_scc1 .LBB187_70
; %bb.71:
	s_bitcmp1_b32 s4, 0
	s_cselect_b64 s[4:5], -1, 0
	s_and_b64 vcc, exec, s[4:5]
	s_cbranch_vccnz .LBB187_75
; %bb.72:
	s_load_dwordx2 s[4:5], s[2:3], 0x1c
	s_load_dword s8, s[2:3], 0x24
	s_load_dwordx2 s[6:7], s[2:3], 0xdc
	s_waitcnt lgkmcnt(0)
	v_mul_hi_u32 v6, s5, v3
	v_add_u32_e32 v6, v3, v6
	v_lshrrev_b32_e32 v6, s8, v6
	v_mul_lo_u32 v6, v6, s4
	s_load_dword s4, s[2:3], 0xe4
	v_sub_u32_e32 v3, v3, v6
	v_mad_u64_u32 v[5:6], s[2:3], v3, s6, v[5:6]
	v_mad_u64_u32 v[7:8], s[2:3], v3, s7, v[7:8]
	s_waitcnt lgkmcnt(0)
	v_mad_u64_u32 v[9:10], s[2:3], v3, s4, v[9:10]
	s_cbranch_execz .LBB187_76
	s_branch .LBB187_78
.LBB187_73:
                                        ; implicit-def: $vgpr5
                                        ; implicit-def: $vgpr7
                                        ; implicit-def: $vgpr9
	s_branch .LBB187_76
.LBB187_74:
	v_mov_b32_e32 v5, 0
	v_mov_b32_e32 v7, 0
	;; [unrolled: 1-line block ×3, first 2 shown]
.LBB187_75:
	s_cbranch_execnz .LBB187_78
.LBB187_76:
	s_load_dwordx4 s[4:7], s[16:17], 0x4
	s_load_dwordx4 s[8:11], s[16:17], 0xc4
	s_cmp_lt_u32 s33, 2
	s_waitcnt lgkmcnt(0)
	v_mul_hi_u32 v3, s5, v1
	v_add_u32_e32 v3, v1, v3
	v_lshrrev_b32_e32 v3, s6, v3
	v_mul_lo_u32 v5, v3, s4
	v_sub_u32_e32 v1, v1, v5
	v_mul_lo_u32 v5, v1, s8
	v_mul_lo_u32 v7, v1, s9
	;; [unrolled: 1-line block ×3, first 2 shown]
	s_cbranch_scc1 .LBB187_78
; %bb.77:
	s_load_dwordx4 s[4:7], s[16:17], 0x10
	s_load_dwordx4 s[8:11], s[16:17], 0xd0
	s_waitcnt lgkmcnt(0)
	v_mul_hi_u32 v1, s5, v3
	v_add_u32_e32 v1, v3, v1
	v_lshrrev_b32_e32 v1, s6, v1
	v_mul_lo_u32 v1, v1, s4
	v_sub_u32_e32 v1, v3, v1
	v_mad_u64_u32 v[5:6], s[2:3], v1, s8, v[5:6]
	v_mad_u64_u32 v[7:8], s[2:3], v1, s9, v[7:8]
	;; [unrolled: 1-line block ×3, first 2 shown]
.LBB187_78:
	s_and_b64 vcc, exec, s[0:1]
	v_add_u32_e32 v1, 0x100, v11
	s_cbranch_vccnz .LBB187_84
; %bb.79:
	s_cmp_lg_u32 s33, 0
	s_cbranch_scc0 .LBB187_85
; %bb.80:
	s_min_u32 s4, s36, 15
	s_add_i32 s2, s4, 1
	s_and_b32 s5, s2, 30
	s_add_u32 s2, s16, 0xffffffe8
	s_addc_u32 s3, s17, -1
	v_mov_b32_e32 v12, 0
	v_mov_b32_e32 v14, 0
	;; [unrolled: 1-line block ×4, first 2 shown]
.LBB187_81:                             ; =>This Inner Loop Header: Depth=1
	s_load_dwordx4 s[8:11], s[2:3], 0x1c
	s_load_dwordx2 s[6:7], s[2:3], 0x2c
	s_load_dwordx2 s[18:19], s[2:3], 0xec
	s_load_dwordx4 s[12:15], s[2:3], 0xdc
	s_add_u32 s2, s2, 24
	s_waitcnt lgkmcnt(0)
	v_mul_hi_u32 v6, s9, v3
	s_addc_u32 s3, s3, 0
	s_add_i32 s5, s5, -2
	s_cmp_lg_u32 s5, 0
	v_add_u32_e32 v6, v3, v6
	v_lshrrev_b32_e32 v6, s10, v6
	v_mul_lo_u32 v8, v6, s8
	v_mul_hi_u32 v11, s6, v6
	v_sub_u32_e32 v8, v3, v8
	v_add_u32_e32 v3, v6, v11
	v_lshrrev_b32_e32 v3, s7, v3
	v_mul_lo_u32 v15, v3, s11
	v_mul_lo_u32 v11, v8, s12
	v_mul_lo_u32 v13, v8, s13
	v_mul_lo_u32 v8, v8, s14
	v_sub_u32_e32 v6, v6, v15
	v_mul_lo_u32 v15, v6, s15
	v_mul_lo_u32 v16, v6, s18
	;; [unrolled: 1-line block ×3, first 2 shown]
	v_add3_u32 v10, v11, v10, v15
	v_add3_u32 v14, v13, v14, v16
	;; [unrolled: 1-line block ×3, first 2 shown]
	s_cbranch_scc1 .LBB187_81
; %bb.82:
	s_bitcmp1_b32 s4, 0
	s_cselect_b64 s[4:5], -1, 0
	s_and_b64 vcc, exec, s[4:5]
	s_cbranch_vccnz .LBB187_86
; %bb.83:
	s_load_dwordx2 s[4:5], s[2:3], 0x1c
	s_load_dword s8, s[2:3], 0x24
	s_load_dwordx2 s[6:7], s[2:3], 0xdc
	s_waitcnt lgkmcnt(0)
	v_mul_hi_u32 v6, s5, v3
	v_add_u32_e32 v6, v3, v6
	v_lshrrev_b32_e32 v6, s8, v6
	v_mul_lo_u32 v6, v6, s4
	s_load_dword s4, s[2:3], 0xe4
	v_sub_u32_e32 v3, v3, v6
	v_mad_u64_u32 v[10:11], s[2:3], v3, s6, v[10:11]
	v_mad_u64_u32 v[14:15], s[2:3], v3, s7, v[14:15]
	s_waitcnt lgkmcnt(0)
	v_mad_u64_u32 v[12:13], s[2:3], v3, s4, v[12:13]
	s_cbranch_execz .LBB187_87
	s_branch .LBB187_89
.LBB187_84:
                                        ; implicit-def: $vgpr10
                                        ; implicit-def: $vgpr14
                                        ; implicit-def: $vgpr12
	s_branch .LBB187_87
.LBB187_85:
	v_mov_b32_e32 v10, 0
	v_mov_b32_e32 v14, 0
	;; [unrolled: 1-line block ×3, first 2 shown]
.LBB187_86:
	s_cbranch_execnz .LBB187_89
.LBB187_87:
	s_load_dwordx4 s[4:7], s[16:17], 0x4
	s_load_dwordx4 s[8:11], s[16:17], 0xc4
	s_cmp_lt_u32 s33, 2
	s_waitcnt lgkmcnt(0)
	v_mul_hi_u32 v3, s5, v1
	v_add_u32_e32 v3, v1, v3
	v_lshrrev_b32_e32 v3, s6, v3
	v_mul_lo_u32 v6, v3, s4
	v_sub_u32_e32 v1, v1, v6
	v_mul_lo_u32 v10, v1, s8
	v_mul_lo_u32 v14, v1, s9
	;; [unrolled: 1-line block ×3, first 2 shown]
	s_cbranch_scc1 .LBB187_89
; %bb.88:
	s_load_dwordx4 s[4:7], s[16:17], 0x10
	s_load_dwordx4 s[8:11], s[16:17], 0xd0
	s_waitcnt lgkmcnt(0)
	v_mul_hi_u32 v1, s5, v3
	v_add_u32_e32 v1, v3, v1
	v_lshrrev_b32_e32 v1, s6, v1
	v_mul_lo_u32 v1, v1, s4
	v_sub_u32_e32 v1, v3, v1
	v_mad_u64_u32 v[10:11], s[2:3], v1, s8, v[10:11]
	v_mad_u64_u32 v[14:15], s[2:3], v1, s9, v[14:15]
	;; [unrolled: 1-line block ×3, first 2 shown]
.LBB187_89:
	s_and_b64 vcc, exec, s[0:1]
	s_cbranch_vccnz .LBB187_95
; %bb.90:
	s_cmp_lg_u32 s33, 0
	s_cbranch_scc0 .LBB187_96
; %bb.91:
	s_min_u32 s2, s36, 15
	s_add_i32 s0, s2, 1
	s_and_b32 s3, s0, 30
	s_add_u32 s0, s16, 0xffffffe8
	s_addc_u32 s1, s17, -1
	v_mov_b32_e32 v17, 0
	v_mov_b32_e32 v19, 0
	;; [unrolled: 1-line block ×4, first 2 shown]
.LBB187_92:                             ; =>This Inner Loop Header: Depth=1
	s_load_dwordx4 s[4:7], s[0:1], 0x1c
	s_load_dwordx2 s[12:13], s[0:1], 0x2c
	s_load_dwordx2 s[14:15], s[0:1], 0xec
	s_load_dwordx4 s[8:11], s[0:1], 0xdc
	s_add_u32 s0, s0, 24
	s_waitcnt lgkmcnt(0)
	v_mul_hi_u32 v3, s5, v1
	s_addc_u32 s1, s1, 0
	s_add_i32 s3, s3, -2
	s_cmp_lg_u32 s3, 0
	v_add_u32_e32 v3, v1, v3
	v_lshrrev_b32_e32 v3, s6, v3
	v_mul_lo_u32 v6, v3, s4
	v_mul_hi_u32 v8, s12, v3
	v_sub_u32_e32 v6, v1, v6
	v_add_u32_e32 v1, v3, v8
	v_lshrrev_b32_e32 v1, s13, v1
	v_mul_lo_u32 v13, v1, s7
	v_mul_lo_u32 v8, v6, s8
	;; [unrolled: 1-line block ×4, first 2 shown]
	v_sub_u32_e32 v3, v3, v13
	v_mul_lo_u32 v13, v3, s11
	v_mul_lo_u32 v16, v3, s14
	;; [unrolled: 1-line block ×3, first 2 shown]
	v_add3_u32 v15, v8, v15, v13
	v_add3_u32 v19, v11, v19, v16
	;; [unrolled: 1-line block ×3, first 2 shown]
	s_cbranch_scc1 .LBB187_92
; %bb.93:
	s_bitcmp1_b32 s2, 0
	s_cselect_b64 s[2:3], -1, 0
	s_and_b64 vcc, exec, s[2:3]
	s_cbranch_vccnz .LBB187_97
; %bb.94:
	s_load_dwordx2 s[2:3], s[0:1], 0x1c
	s_load_dword s6, s[0:1], 0x24
	s_load_dwordx2 s[4:5], s[0:1], 0xdc
	s_waitcnt lgkmcnt(0)
	v_mul_hi_u32 v3, s3, v1
	v_add_u32_e32 v3, v1, v3
	v_lshrrev_b32_e32 v3, s6, v3
	v_mul_lo_u32 v3, v3, s2
	s_load_dword s2, s[0:1], 0xe4
	v_sub_u32_e32 v1, v1, v3
	v_mad_u64_u32 v[15:16], s[0:1], v1, s4, v[15:16]
	v_mad_u64_u32 v[19:20], s[0:1], v1, s5, v[19:20]
	s_waitcnt lgkmcnt(0)
	v_mad_u64_u32 v[17:18], s[0:1], v1, s2, v[17:18]
	s_cbranch_execz .LBB187_98
	s_branch .LBB187_100
.LBB187_95:
                                        ; implicit-def: $vgpr15
                                        ; implicit-def: $vgpr19
                                        ; implicit-def: $vgpr17
	s_branch .LBB187_98
.LBB187_96:
	v_mov_b32_e32 v15, 0
	v_mov_b32_e32 v19, 0
	;; [unrolled: 1-line block ×3, first 2 shown]
.LBB187_97:
	s_cbranch_execnz .LBB187_100
.LBB187_98:
	s_load_dwordx4 s[0:3], s[16:17], 0x4
	s_load_dwordx4 s[4:7], s[16:17], 0xc4
	s_cmp_lt_u32 s33, 2
	s_waitcnt lgkmcnt(0)
	v_mul_hi_u32 v1, s1, v21
	v_add_u32_e32 v1, v21, v1
	v_lshrrev_b32_e32 v1, s2, v1
	v_mul_lo_u32 v3, v1, s0
	v_sub_u32_e32 v3, v21, v3
	v_mul_lo_u32 v15, v3, s4
	v_mul_lo_u32 v19, v3, s5
	;; [unrolled: 1-line block ×3, first 2 shown]
	s_cbranch_scc1 .LBB187_100
; %bb.99:
	s_load_dwordx4 s[0:3], s[16:17], 0x10
	s_load_dwordx4 s[4:7], s[16:17], 0xd0
	s_waitcnt lgkmcnt(0)
	v_mul_hi_u32 v3, s1, v1
	v_add_u32_e32 v3, v1, v3
	v_lshrrev_b32_e32 v3, s2, v3
	v_mul_lo_u32 v3, v3, s0
	v_sub_u32_e32 v1, v1, v3
	v_mad_u64_u32 v[15:16], s[0:1], v1, s4, v[15:16]
	v_mad_u64_u32 v[19:20], s[0:1], v1, s5, v[19:20]
	;; [unrolled: 1-line block ×3, first 2 shown]
.LBB187_100:
	s_load_dwordx8 s[0:7], s[16:17], 0x188
	s_waitcnt lgkmcnt(0)
	global_load_ushort v1, v4, s[2:3]
	global_load_ushort v3, v7, s[2:3]
	;; [unrolled: 1-line block ×4, first 2 shown]
	global_load_dword v11, v2, s[4:5]
	global_load_dword v13, v9, s[4:5]
	;; [unrolled: 1-line block ×4, first 2 shown]
	v_mov_b32_e32 v2, s7
	s_waitcnt vmcnt(7)
	v_lshlrev_b32_e32 v1, 16, v1
	s_waitcnt vmcnt(6)
	v_lshlrev_b32_e32 v3, 16, v3
	v_cmp_nge_f32_e32 vcc, s6, v1
	s_waitcnt vmcnt(5)
	v_lshlrev_b32_e32 v4, 16, v6
	s_waitcnt vmcnt(3)
	v_cndmask_b32_e32 v1, v2, v11, vcc
	v_cmp_nge_f32_e32 vcc, s6, v3
	v_lshlrev_b32_e32 v6, 16, v8
	s_waitcnt vmcnt(2)
	v_cndmask_b32_e32 v3, v2, v13, vcc
	v_cmp_nge_f32_e32 vcc, s6, v4
	s_waitcnt vmcnt(1)
	v_cndmask_b32_e32 v4, v2, v16, vcc
	v_cmp_nge_f32_e32 vcc, s6, v6
	s_waitcnt vmcnt(0)
	v_cndmask_b32_e32 v2, v2, v18, vcc
	global_store_dword v0, v1, s[0:1]
	global_store_dword v5, v3, s[0:1]
	;; [unrolled: 1-line block ×4, first 2 shown]
	s_endpgm
	.section	.rodata,"a",@progbits
	.p2align	6, 0x0
	.amdhsa_kernel _ZN2at6native32elementwise_kernel_manual_unrollILi128ELi4EZNS0_12_GLOBAL__N_142type_specialized_broadcast_kernel_launcherILi1EE5applyINS0_13BinaryFunctorIfffZNS2_21threshold_kernel_implIfEEvRNS_18TensorIteratorBaseET_SA_EUlffE_EESt5arrayIPcLm3EESD_IN3c1010ScalarTypeELm3EE16OffsetCalculatorILi3EjLb0EEEEvlSA_T0_T1_T2_EUlibE_EEviSM_
		.amdhsa_group_segment_fixed_size 0
		.amdhsa_private_segment_fixed_size 0
		.amdhsa_kernarg_size 432
		.amdhsa_user_sgpr_count 6
		.amdhsa_user_sgpr_private_segment_buffer 1
		.amdhsa_user_sgpr_dispatch_ptr 0
		.amdhsa_user_sgpr_queue_ptr 0
		.amdhsa_user_sgpr_kernarg_segment_ptr 1
		.amdhsa_user_sgpr_dispatch_id 0
		.amdhsa_user_sgpr_flat_scratch_init 0
		.amdhsa_user_sgpr_private_segment_size 0
		.amdhsa_uses_dynamic_stack 0
		.amdhsa_system_sgpr_private_segment_wavefront_offset 0
		.amdhsa_system_sgpr_workgroup_id_x 1
		.amdhsa_system_sgpr_workgroup_id_y 0
		.amdhsa_system_sgpr_workgroup_id_z 0
		.amdhsa_system_sgpr_workgroup_info 0
		.amdhsa_system_vgpr_workitem_id 0
		.amdhsa_next_free_vgpr 22
		.amdhsa_next_free_sgpr 52
		.amdhsa_reserve_vcc 1
		.amdhsa_reserve_flat_scratch 0
		.amdhsa_float_round_mode_32 0
		.amdhsa_float_round_mode_16_64 0
		.amdhsa_float_denorm_mode_32 3
		.amdhsa_float_denorm_mode_16_64 3
		.amdhsa_dx10_clamp 1
		.amdhsa_ieee_mode 1
		.amdhsa_fp16_overflow 0
		.amdhsa_exception_fp_ieee_invalid_op 0
		.amdhsa_exception_fp_denorm_src 0
		.amdhsa_exception_fp_ieee_div_zero 0
		.amdhsa_exception_fp_ieee_overflow 0
		.amdhsa_exception_fp_ieee_underflow 0
		.amdhsa_exception_fp_ieee_inexact 0
		.amdhsa_exception_int_div_zero 0
	.end_amdhsa_kernel
	.section	.text._ZN2at6native32elementwise_kernel_manual_unrollILi128ELi4EZNS0_12_GLOBAL__N_142type_specialized_broadcast_kernel_launcherILi1EE5applyINS0_13BinaryFunctorIfffZNS2_21threshold_kernel_implIfEEvRNS_18TensorIteratorBaseET_SA_EUlffE_EESt5arrayIPcLm3EESD_IN3c1010ScalarTypeELm3EE16OffsetCalculatorILi3EjLb0EEEEvlSA_T0_T1_T2_EUlibE_EEviSM_,"axG",@progbits,_ZN2at6native32elementwise_kernel_manual_unrollILi128ELi4EZNS0_12_GLOBAL__N_142type_specialized_broadcast_kernel_launcherILi1EE5applyINS0_13BinaryFunctorIfffZNS2_21threshold_kernel_implIfEEvRNS_18TensorIteratorBaseET_SA_EUlffE_EESt5arrayIPcLm3EESD_IN3c1010ScalarTypeELm3EE16OffsetCalculatorILi3EjLb0EEEEvlSA_T0_T1_T2_EUlibE_EEviSM_,comdat
.Lfunc_end187:
	.size	_ZN2at6native32elementwise_kernel_manual_unrollILi128ELi4EZNS0_12_GLOBAL__N_142type_specialized_broadcast_kernel_launcherILi1EE5applyINS0_13BinaryFunctorIfffZNS2_21threshold_kernel_implIfEEvRNS_18TensorIteratorBaseET_SA_EUlffE_EESt5arrayIPcLm3EESD_IN3c1010ScalarTypeELm3EE16OffsetCalculatorILi3EjLb0EEEEvlSA_T0_T1_T2_EUlibE_EEviSM_, .Lfunc_end187-_ZN2at6native32elementwise_kernel_manual_unrollILi128ELi4EZNS0_12_GLOBAL__N_142type_specialized_broadcast_kernel_launcherILi1EE5applyINS0_13BinaryFunctorIfffZNS2_21threshold_kernel_implIfEEvRNS_18TensorIteratorBaseET_SA_EUlffE_EESt5arrayIPcLm3EESD_IN3c1010ScalarTypeELm3EE16OffsetCalculatorILi3EjLb0EEEEvlSA_T0_T1_T2_EUlibE_EEviSM_
                                        ; -- End function
	.set _ZN2at6native32elementwise_kernel_manual_unrollILi128ELi4EZNS0_12_GLOBAL__N_142type_specialized_broadcast_kernel_launcherILi1EE5applyINS0_13BinaryFunctorIfffZNS2_21threshold_kernel_implIfEEvRNS_18TensorIteratorBaseET_SA_EUlffE_EESt5arrayIPcLm3EESD_IN3c1010ScalarTypeELm3EE16OffsetCalculatorILi3EjLb0EEEEvlSA_T0_T1_T2_EUlibE_EEviSM_.num_vgpr, 22
	.set _ZN2at6native32elementwise_kernel_manual_unrollILi128ELi4EZNS0_12_GLOBAL__N_142type_specialized_broadcast_kernel_launcherILi1EE5applyINS0_13BinaryFunctorIfffZNS2_21threshold_kernel_implIfEEvRNS_18TensorIteratorBaseET_SA_EUlffE_EESt5arrayIPcLm3EESD_IN3c1010ScalarTypeELm3EE16OffsetCalculatorILi3EjLb0EEEEvlSA_T0_T1_T2_EUlibE_EEviSM_.num_agpr, 0
	.set _ZN2at6native32elementwise_kernel_manual_unrollILi128ELi4EZNS0_12_GLOBAL__N_142type_specialized_broadcast_kernel_launcherILi1EE5applyINS0_13BinaryFunctorIfffZNS2_21threshold_kernel_implIfEEvRNS_18TensorIteratorBaseET_SA_EUlffE_EESt5arrayIPcLm3EESD_IN3c1010ScalarTypeELm3EE16OffsetCalculatorILi3EjLb0EEEEvlSA_T0_T1_T2_EUlibE_EEviSM_.numbered_sgpr, 52
	.set _ZN2at6native32elementwise_kernel_manual_unrollILi128ELi4EZNS0_12_GLOBAL__N_142type_specialized_broadcast_kernel_launcherILi1EE5applyINS0_13BinaryFunctorIfffZNS2_21threshold_kernel_implIfEEvRNS_18TensorIteratorBaseET_SA_EUlffE_EESt5arrayIPcLm3EESD_IN3c1010ScalarTypeELm3EE16OffsetCalculatorILi3EjLb0EEEEvlSA_T0_T1_T2_EUlibE_EEviSM_.num_named_barrier, 0
	.set _ZN2at6native32elementwise_kernel_manual_unrollILi128ELi4EZNS0_12_GLOBAL__N_142type_specialized_broadcast_kernel_launcherILi1EE5applyINS0_13BinaryFunctorIfffZNS2_21threshold_kernel_implIfEEvRNS_18TensorIteratorBaseET_SA_EUlffE_EESt5arrayIPcLm3EESD_IN3c1010ScalarTypeELm3EE16OffsetCalculatorILi3EjLb0EEEEvlSA_T0_T1_T2_EUlibE_EEviSM_.private_seg_size, 0
	.set _ZN2at6native32elementwise_kernel_manual_unrollILi128ELi4EZNS0_12_GLOBAL__N_142type_specialized_broadcast_kernel_launcherILi1EE5applyINS0_13BinaryFunctorIfffZNS2_21threshold_kernel_implIfEEvRNS_18TensorIteratorBaseET_SA_EUlffE_EESt5arrayIPcLm3EESD_IN3c1010ScalarTypeELm3EE16OffsetCalculatorILi3EjLb0EEEEvlSA_T0_T1_T2_EUlibE_EEviSM_.uses_vcc, 1
	.set _ZN2at6native32elementwise_kernel_manual_unrollILi128ELi4EZNS0_12_GLOBAL__N_142type_specialized_broadcast_kernel_launcherILi1EE5applyINS0_13BinaryFunctorIfffZNS2_21threshold_kernel_implIfEEvRNS_18TensorIteratorBaseET_SA_EUlffE_EESt5arrayIPcLm3EESD_IN3c1010ScalarTypeELm3EE16OffsetCalculatorILi3EjLb0EEEEvlSA_T0_T1_T2_EUlibE_EEviSM_.uses_flat_scratch, 0
	.set _ZN2at6native32elementwise_kernel_manual_unrollILi128ELi4EZNS0_12_GLOBAL__N_142type_specialized_broadcast_kernel_launcherILi1EE5applyINS0_13BinaryFunctorIfffZNS2_21threshold_kernel_implIfEEvRNS_18TensorIteratorBaseET_SA_EUlffE_EESt5arrayIPcLm3EESD_IN3c1010ScalarTypeELm3EE16OffsetCalculatorILi3EjLb0EEEEvlSA_T0_T1_T2_EUlibE_EEviSM_.has_dyn_sized_stack, 0
	.set _ZN2at6native32elementwise_kernel_manual_unrollILi128ELi4EZNS0_12_GLOBAL__N_142type_specialized_broadcast_kernel_launcherILi1EE5applyINS0_13BinaryFunctorIfffZNS2_21threshold_kernel_implIfEEvRNS_18TensorIteratorBaseET_SA_EUlffE_EESt5arrayIPcLm3EESD_IN3c1010ScalarTypeELm3EE16OffsetCalculatorILi3EjLb0EEEEvlSA_T0_T1_T2_EUlibE_EEviSM_.has_recursion, 0
	.set _ZN2at6native32elementwise_kernel_manual_unrollILi128ELi4EZNS0_12_GLOBAL__N_142type_specialized_broadcast_kernel_launcherILi1EE5applyINS0_13BinaryFunctorIfffZNS2_21threshold_kernel_implIfEEvRNS_18TensorIteratorBaseET_SA_EUlffE_EESt5arrayIPcLm3EESD_IN3c1010ScalarTypeELm3EE16OffsetCalculatorILi3EjLb0EEEEvlSA_T0_T1_T2_EUlibE_EEviSM_.has_indirect_call, 0
	.section	.AMDGPU.csdata,"",@progbits
; Kernel info:
; codeLenInByte = 4772
; TotalNumSgprs: 56
; NumVgprs: 22
; ScratchSize: 0
; MemoryBound: 0
; FloatMode: 240
; IeeeMode: 1
; LDSByteSize: 0 bytes/workgroup (compile time only)
; SGPRBlocks: 6
; VGPRBlocks: 5
; NumSGPRsForWavesPerEU: 56
; NumVGPRsForWavesPerEU: 22
; Occupancy: 10
; WaveLimiterHint : 1
; COMPUTE_PGM_RSRC2:SCRATCH_EN: 0
; COMPUTE_PGM_RSRC2:USER_SGPR: 6
; COMPUTE_PGM_RSRC2:TRAP_HANDLER: 0
; COMPUTE_PGM_RSRC2:TGID_X_EN: 1
; COMPUTE_PGM_RSRC2:TGID_Y_EN: 0
; COMPUTE_PGM_RSRC2:TGID_Z_EN: 0
; COMPUTE_PGM_RSRC2:TIDIG_COMP_CNT: 0
	.section	.text._ZN2at6native32elementwise_kernel_manual_unrollILi128ELi4EZNS0_12_GLOBAL__N_142type_specialized_broadcast_kernel_launcherILi2EE5applyINS0_13BinaryFunctorIfffZNS2_21threshold_kernel_implIfEEvRNS_18TensorIteratorBaseET_SA_EUlffE_EESt5arrayIPcLm3EESD_IN3c1010ScalarTypeELm3EE16OffsetCalculatorILi3EjLb0EEEEvlSA_T0_T1_T2_EUlibE_EEviSM_,"axG",@progbits,_ZN2at6native32elementwise_kernel_manual_unrollILi128ELi4EZNS0_12_GLOBAL__N_142type_specialized_broadcast_kernel_launcherILi2EE5applyINS0_13BinaryFunctorIfffZNS2_21threshold_kernel_implIfEEvRNS_18TensorIteratorBaseET_SA_EUlffE_EESt5arrayIPcLm3EESD_IN3c1010ScalarTypeELm3EE16OffsetCalculatorILi3EjLb0EEEEvlSA_T0_T1_T2_EUlibE_EEviSM_,comdat
	.globl	_ZN2at6native32elementwise_kernel_manual_unrollILi128ELi4EZNS0_12_GLOBAL__N_142type_specialized_broadcast_kernel_launcherILi2EE5applyINS0_13BinaryFunctorIfffZNS2_21threshold_kernel_implIfEEvRNS_18TensorIteratorBaseET_SA_EUlffE_EESt5arrayIPcLm3EESD_IN3c1010ScalarTypeELm3EE16OffsetCalculatorILi3EjLb0EEEEvlSA_T0_T1_T2_EUlibE_EEviSM_ ; -- Begin function _ZN2at6native32elementwise_kernel_manual_unrollILi128ELi4EZNS0_12_GLOBAL__N_142type_specialized_broadcast_kernel_launcherILi2EE5applyINS0_13BinaryFunctorIfffZNS2_21threshold_kernel_implIfEEvRNS_18TensorIteratorBaseET_SA_EUlffE_EESt5arrayIPcLm3EESD_IN3c1010ScalarTypeELm3EE16OffsetCalculatorILi3EjLb0EEEEvlSA_T0_T1_T2_EUlibE_EEviSM_
	.p2align	8
	.type	_ZN2at6native32elementwise_kernel_manual_unrollILi128ELi4EZNS0_12_GLOBAL__N_142type_specialized_broadcast_kernel_launcherILi2EE5applyINS0_13BinaryFunctorIfffZNS2_21threshold_kernel_implIfEEvRNS_18TensorIteratorBaseET_SA_EUlffE_EESt5arrayIPcLm3EESD_IN3c1010ScalarTypeELm3EE16OffsetCalculatorILi3EjLb0EEEEvlSA_T0_T1_T2_EUlibE_EEviSM_,@function
_ZN2at6native32elementwise_kernel_manual_unrollILi128ELi4EZNS0_12_GLOBAL__N_142type_specialized_broadcast_kernel_launcherILi2EE5applyINS0_13BinaryFunctorIfffZNS2_21threshold_kernel_implIfEEvRNS_18TensorIteratorBaseET_SA_EUlffE_EESt5arrayIPcLm3EESD_IN3c1010ScalarTypeELm3EE16OffsetCalculatorILi3EjLb0EEEEvlSA_T0_T1_T2_EUlibE_EEviSM_: ; @_ZN2at6native32elementwise_kernel_manual_unrollILi128ELi4EZNS0_12_GLOBAL__N_142type_specialized_broadcast_kernel_launcherILi2EE5applyINS0_13BinaryFunctorIfffZNS2_21threshold_kernel_implIfEEvRNS_18TensorIteratorBaseET_SA_EUlffE_EESt5arrayIPcLm3EESD_IN3c1010ScalarTypeELm3EE16OffsetCalculatorILi3EjLb0EEEEvlSA_T0_T1_T2_EUlibE_EEviSM_
; %bb.0:
	s_load_dword s38, s[4:5], 0x0
	s_load_dword s33, s[4:5], 0x8
	s_add_u32 s16, s4, 8
	s_addc_u32 s17, s5, 0
	v_lshl_or_b32 v11, s6, 9, v0
	v_or_b32_e32 v21, 0x180, v11
	s_waitcnt lgkmcnt(0)
	s_add_i32 s36, s33, -1
	s_cmp_gt_u32 s36, 1
	v_cmp_le_i32_e32 vcc, s38, v21
	s_cselect_b64 s[18:19], -1, 0
	s_and_saveexec_b64 s[0:1], vcc
	s_xor_b64 s[20:21], exec, s[0:1]
	s_cbranch_execz .LBB188_54
; %bb.1:
	s_load_dwordx4 s[12:15], s[16:17], 0x4
	s_load_dwordx2 s[24:25], s[16:17], 0x14
	s_load_dwordx4 s[8:11], s[16:17], 0xc4
	s_load_dwordx2 s[22:23], s[16:17], 0xd4
	s_load_dwordx8 s[0:7], s[16:17], 0x188
	s_cmp_lg_u32 s33, 0
	s_cselect_b64 s[28:29], -1, 0
	s_min_u32 s37, s36, 15
	s_cmp_gt_u32 s33, 1
	s_cselect_b64 s[26:27], -1, 0
	v_cmp_gt_i32_e32 vcc, s38, v11
	s_and_saveexec_b64 s[30:31], vcc
	s_cbranch_execnz .LBB188_5
; %bb.2:
	s_or_b64 exec, exec, s[30:31]
	v_cmp_gt_i32_e32 vcc, s38, v11
	s_and_saveexec_b64 s[30:31], vcc
	s_cbranch_execnz .LBB188_17
.LBB188_3:
	s_or_b64 exec, exec, s[30:31]
	v_cmp_gt_i32_e32 vcc, s38, v11
	s_and_saveexec_b64 s[30:31], vcc
	s_cbranch_execnz .LBB188_29
.LBB188_4:
	s_or_b64 exec, exec, s[30:31]
	v_cmp_gt_i32_e32 vcc, s38, v11
	s_and_saveexec_b64 s[30:31], vcc
	s_cbranch_execnz .LBB188_41
	s_branch .LBB188_53
.LBB188_5:
	s_andn2_b64 vcc, exec, s[18:19]
	s_cbranch_vccnz .LBB188_11
; %bb.6:
	s_andn2_b64 vcc, exec, s[28:29]
	s_cbranch_vccnz .LBB188_12
; %bb.7:
	s_add_i32 s34, s37, 1
	s_and_b32 s39, s34, 30
	s_add_u32 s34, s16, 0xffffffe8
	s_addc_u32 s35, s17, -1
	v_mov_b32_e32 v2, 0
	v_mov_b32_e32 v4, 0
	;; [unrolled: 1-line block ×4, first 2 shown]
.LBB188_8:                              ; =>This Inner Loop Header: Depth=1
	s_load_dwordx4 s[40:43], s[34:35], 0x1c
	s_load_dwordx2 s[48:49], s[34:35], 0x2c
	s_load_dwordx2 s[50:51], s[34:35], 0xec
	s_load_dwordx4 s[44:47], s[34:35], 0xdc
	s_add_u32 s34, s34, 24
	s_waitcnt lgkmcnt(0)
	v_mul_hi_u32 v3, s41, v1
	s_addc_u32 s35, s35, 0
	s_add_i32 s39, s39, -2
	s_cmp_lg_u32 s39, 0
	v_add_u32_e32 v3, v1, v3
	v_lshrrev_b32_e32 v3, s42, v3
	v_mul_lo_u32 v5, v3, s40
	v_mul_hi_u32 v6, s48, v3
	v_sub_u32_e32 v5, v1, v5
	v_add_u32_e32 v1, v3, v6
	v_lshrrev_b32_e32 v1, s49, v1
	v_mul_lo_u32 v8, v1, s43
	v_mul_lo_u32 v6, v5, s44
	;; [unrolled: 1-line block ×4, first 2 shown]
	v_sub_u32_e32 v3, v3, v8
	v_mul_lo_u32 v8, v3, s47
	v_mul_lo_u32 v9, v3, s50
	;; [unrolled: 1-line block ×3, first 2 shown]
	v_add3_u32 v0, v6, v0, v8
	v_add3_u32 v4, v7, v4, v9
	;; [unrolled: 1-line block ×3, first 2 shown]
	s_cbranch_scc1 .LBB188_8
; %bb.9:
	s_bitcmp1_b32 s37, 0
	s_cselect_b64 s[40:41], -1, 0
	s_and_b64 vcc, exec, s[40:41]
	s_cbranch_vccnz .LBB188_13
; %bb.10:
	s_load_dwordx2 s[40:41], s[34:35], 0x1c
	s_load_dword s39, s[34:35], 0x24
	s_load_dwordx2 s[42:43], s[34:35], 0xdc
	s_waitcnt lgkmcnt(0)
	v_mul_hi_u32 v3, s41, v1
	v_add_u32_e32 v3, v1, v3
	v_lshrrev_b32_e32 v3, s39, v3
	v_mul_lo_u32 v3, v3, s40
	s_load_dword s39, s[34:35], 0xe4
	v_sub_u32_e32 v3, v1, v3
	v_mad_u64_u32 v[0:1], s[34:35], v3, s42, v[0:1]
	v_mad_u64_u32 v[4:5], s[34:35], v3, s43, v[4:5]
	s_waitcnt lgkmcnt(0)
	v_mad_u64_u32 v[2:3], s[34:35], v3, s39, v[2:3]
	s_cbranch_execz .LBB188_14
	s_branch .LBB188_16
.LBB188_11:
                                        ; implicit-def: $vgpr0
                                        ; implicit-def: $vgpr4
                                        ; implicit-def: $vgpr2
	s_branch .LBB188_14
.LBB188_12:
	v_mov_b32_e32 v0, 0
	v_mov_b32_e32 v4, 0
	;; [unrolled: 1-line block ×3, first 2 shown]
.LBB188_13:
	s_cbranch_execnz .LBB188_16
.LBB188_14:
	s_waitcnt lgkmcnt(0)
	v_mul_hi_u32 v0, s13, v11
	s_andn2_b64 vcc, exec, s[26:27]
	v_add_u32_e32 v0, v11, v0
	v_lshrrev_b32_e32 v1, s14, v0
	v_mul_lo_u32 v0, v1, s12
	v_sub_u32_e32 v2, v11, v0
	v_mul_lo_u32 v0, v2, s8
	v_mul_lo_u32 v4, v2, s9
	;; [unrolled: 1-line block ×3, first 2 shown]
	s_cbranch_vccnz .LBB188_16
; %bb.15:
	v_mul_hi_u32 v3, s24, v1
	v_add_u32_e32 v3, v1, v3
	v_lshrrev_b32_e32 v3, s25, v3
	v_mul_lo_u32 v3, v3, s15
	v_sub_u32_e32 v3, v1, v3
	v_mad_u64_u32 v[0:1], s[34:35], v3, s11, v[0:1]
	v_mad_u64_u32 v[4:5], s[34:35], v3, s22, v[4:5]
	;; [unrolled: 1-line block ×3, first 2 shown]
.LBB188_16:
	s_waitcnt lgkmcnt(0)
	global_load_ushort v1, v4, s[2:3]
	global_load_dword v3, v2, s[4:5]
	v_mov_b32_e32 v2, s7
	s_movk_i32 s34, 0x7fff
	v_mov_b32_e32 v4, 0x7fc0
	v_add_u32_e32 v11, 0x80, v11
	s_waitcnt vmcnt(1)
	v_lshlrev_b32_e32 v1, 16, v1
	v_cmp_nge_f32_e32 vcc, s6, v1
	s_waitcnt vmcnt(0)
	v_cndmask_b32_e32 v1, v2, v3, vcc
	v_bfe_u32 v2, v1, 16, 1
	v_cmp_o_f32_e32 vcc, v1, v1
	v_add3_u32 v1, v1, v2, s34
	v_cndmask_b32_sdwa v1, v4, v1, vcc dst_sel:DWORD dst_unused:UNUSED_PAD src0_sel:DWORD src1_sel:WORD_1
	global_store_short v0, v1, s[0:1]
	s_or_b64 exec, exec, s[30:31]
	v_cmp_gt_i32_e32 vcc, s38, v11
	s_and_saveexec_b64 s[30:31], vcc
	s_cbranch_execz .LBB188_3
.LBB188_17:
	s_andn2_b64 vcc, exec, s[18:19]
	s_cbranch_vccnz .LBB188_23
; %bb.18:
	s_andn2_b64 vcc, exec, s[28:29]
	s_cbranch_vccnz .LBB188_24
; %bb.19:
	s_add_i32 s34, s37, 1
	s_and_b32 s39, s34, 30
	s_add_u32 s34, s16, 0xffffffe8
	s_addc_u32 s35, s17, -1
	v_mov_b32_e32 v2, 0
	v_mov_b32_e32 v4, 0
	;; [unrolled: 1-line block ×4, first 2 shown]
.LBB188_20:                             ; =>This Inner Loop Header: Depth=1
	s_load_dwordx4 s[40:43], s[34:35], 0x1c
	s_load_dwordx2 s[48:49], s[34:35], 0x2c
	s_load_dwordx2 s[50:51], s[34:35], 0xec
	s_load_dwordx4 s[44:47], s[34:35], 0xdc
	s_add_u32 s34, s34, 24
	s_waitcnt lgkmcnt(0)
	v_mul_hi_u32 v3, s41, v1
	s_addc_u32 s35, s35, 0
	s_add_i32 s39, s39, -2
	s_cmp_eq_u32 s39, 0
	v_add_u32_e32 v3, v1, v3
	v_lshrrev_b32_e32 v3, s42, v3
	v_mul_lo_u32 v5, v3, s40
	v_mul_hi_u32 v6, s48, v3
	v_sub_u32_e32 v5, v1, v5
	v_add_u32_e32 v1, v3, v6
	v_lshrrev_b32_e32 v1, s49, v1
	v_mul_lo_u32 v8, v1, s43
	v_mul_lo_u32 v6, v5, s44
	;; [unrolled: 1-line block ×4, first 2 shown]
	v_sub_u32_e32 v3, v3, v8
	v_mul_lo_u32 v8, v3, s47
	v_mul_lo_u32 v9, v3, s50
	;; [unrolled: 1-line block ×3, first 2 shown]
	v_add3_u32 v0, v6, v0, v8
	v_add3_u32 v4, v7, v4, v9
	;; [unrolled: 1-line block ×3, first 2 shown]
	s_cbranch_scc0 .LBB188_20
; %bb.21:
	s_bitcmp1_b32 s37, 0
	s_cselect_b64 s[40:41], -1, 0
	s_and_b64 vcc, exec, s[40:41]
	s_cbranch_vccnz .LBB188_25
; %bb.22:
	s_load_dwordx2 s[40:41], s[34:35], 0x1c
	s_load_dword s39, s[34:35], 0x24
	s_load_dwordx2 s[42:43], s[34:35], 0xdc
	s_waitcnt lgkmcnt(0)
	v_mul_hi_u32 v3, s41, v1
	v_add_u32_e32 v3, v1, v3
	v_lshrrev_b32_e32 v3, s39, v3
	v_mul_lo_u32 v3, v3, s40
	s_load_dword s39, s[34:35], 0xe4
	v_sub_u32_e32 v3, v1, v3
	v_mad_u64_u32 v[0:1], s[34:35], v3, s42, v[0:1]
	v_mad_u64_u32 v[4:5], s[34:35], v3, s43, v[4:5]
	s_waitcnt lgkmcnt(0)
	v_mad_u64_u32 v[2:3], s[34:35], v3, s39, v[2:3]
	s_branch .LBB188_25
.LBB188_23:
                                        ; implicit-def: $vgpr0
                                        ; implicit-def: $vgpr4
                                        ; implicit-def: $vgpr2
	s_branch .LBB188_26
.LBB188_24:
	v_mov_b32_e32 v0, 0
	v_mov_b32_e32 v4, 0
	;; [unrolled: 1-line block ×3, first 2 shown]
.LBB188_25:
	s_cbranch_execnz .LBB188_28
.LBB188_26:
	s_waitcnt lgkmcnt(0)
	v_mul_hi_u32 v0, s13, v11
	s_andn2_b64 vcc, exec, s[26:27]
	v_add_u32_e32 v0, v11, v0
	v_lshrrev_b32_e32 v1, s14, v0
	v_mul_lo_u32 v0, v1, s12
	v_sub_u32_e32 v2, v11, v0
	v_mul_lo_u32 v0, v2, s8
	v_mul_lo_u32 v4, v2, s9
	v_mul_lo_u32 v2, v2, s10
	s_cbranch_vccnz .LBB188_28
; %bb.27:
	v_mul_hi_u32 v3, s24, v1
	v_add_u32_e32 v3, v1, v3
	v_lshrrev_b32_e32 v3, s25, v3
	v_mul_lo_u32 v3, v3, s15
	v_sub_u32_e32 v3, v1, v3
	v_mad_u64_u32 v[0:1], s[34:35], v3, s11, v[0:1]
	v_mad_u64_u32 v[4:5], s[34:35], v3, s22, v[4:5]
	;; [unrolled: 1-line block ×3, first 2 shown]
.LBB188_28:
	s_waitcnt lgkmcnt(0)
	global_load_ushort v1, v4, s[2:3]
	global_load_dword v3, v2, s[4:5]
	v_mov_b32_e32 v2, s7
	s_movk_i32 s34, 0x7fff
	v_mov_b32_e32 v4, 0x7fc0
	v_add_u32_e32 v11, 0x80, v11
	s_waitcnt vmcnt(1)
	v_lshlrev_b32_e32 v1, 16, v1
	v_cmp_nge_f32_e32 vcc, s6, v1
	s_waitcnt vmcnt(0)
	v_cndmask_b32_e32 v1, v2, v3, vcc
	v_bfe_u32 v2, v1, 16, 1
	v_cmp_o_f32_e32 vcc, v1, v1
	v_add3_u32 v1, v1, v2, s34
	v_cndmask_b32_sdwa v1, v4, v1, vcc dst_sel:DWORD dst_unused:UNUSED_PAD src0_sel:DWORD src1_sel:WORD_1
	global_store_short v0, v1, s[0:1]
	s_or_b64 exec, exec, s[30:31]
	v_cmp_gt_i32_e32 vcc, s38, v11
	s_and_saveexec_b64 s[30:31], vcc
	s_cbranch_execz .LBB188_4
.LBB188_29:
	s_andn2_b64 vcc, exec, s[18:19]
	s_cbranch_vccnz .LBB188_35
; %bb.30:
	s_andn2_b64 vcc, exec, s[28:29]
	s_cbranch_vccnz .LBB188_36
; %bb.31:
	s_add_i32 s34, s37, 1
	s_and_b32 s39, s34, 30
	s_add_u32 s34, s16, 0xffffffe8
	s_addc_u32 s35, s17, -1
	v_mov_b32_e32 v2, 0
	v_mov_b32_e32 v4, 0
	;; [unrolled: 1-line block ×4, first 2 shown]
.LBB188_32:                             ; =>This Inner Loop Header: Depth=1
	s_load_dwordx4 s[40:43], s[34:35], 0x1c
	s_load_dwordx2 s[48:49], s[34:35], 0x2c
	s_load_dwordx2 s[50:51], s[34:35], 0xec
	s_load_dwordx4 s[44:47], s[34:35], 0xdc
	s_add_u32 s34, s34, 24
	s_waitcnt lgkmcnt(0)
	v_mul_hi_u32 v3, s41, v1
	s_addc_u32 s35, s35, 0
	s_add_i32 s39, s39, -2
	s_cmp_eq_u32 s39, 0
	v_add_u32_e32 v3, v1, v3
	v_lshrrev_b32_e32 v3, s42, v3
	v_mul_lo_u32 v5, v3, s40
	v_mul_hi_u32 v6, s48, v3
	v_sub_u32_e32 v5, v1, v5
	v_add_u32_e32 v1, v3, v6
	v_lshrrev_b32_e32 v1, s49, v1
	v_mul_lo_u32 v8, v1, s43
	v_mul_lo_u32 v6, v5, s44
	;; [unrolled: 1-line block ×4, first 2 shown]
	v_sub_u32_e32 v3, v3, v8
	v_mul_lo_u32 v8, v3, s47
	v_mul_lo_u32 v9, v3, s50
	;; [unrolled: 1-line block ×3, first 2 shown]
	v_add3_u32 v0, v6, v0, v8
	v_add3_u32 v4, v7, v4, v9
	;; [unrolled: 1-line block ×3, first 2 shown]
	s_cbranch_scc0 .LBB188_32
; %bb.33:
	s_bitcmp1_b32 s37, 0
	s_cselect_b64 s[40:41], -1, 0
	s_and_b64 vcc, exec, s[40:41]
	s_cbranch_vccnz .LBB188_37
; %bb.34:
	s_load_dwordx2 s[40:41], s[34:35], 0x1c
	s_load_dword s39, s[34:35], 0x24
	s_load_dwordx2 s[42:43], s[34:35], 0xdc
	s_waitcnt lgkmcnt(0)
	v_mul_hi_u32 v3, s41, v1
	v_add_u32_e32 v3, v1, v3
	v_lshrrev_b32_e32 v3, s39, v3
	v_mul_lo_u32 v3, v3, s40
	s_load_dword s39, s[34:35], 0xe4
	v_sub_u32_e32 v3, v1, v3
	v_mad_u64_u32 v[0:1], s[34:35], v3, s42, v[0:1]
	v_mad_u64_u32 v[4:5], s[34:35], v3, s43, v[4:5]
	s_waitcnt lgkmcnt(0)
	v_mad_u64_u32 v[2:3], s[34:35], v3, s39, v[2:3]
	s_branch .LBB188_37
.LBB188_35:
                                        ; implicit-def: $vgpr0
                                        ; implicit-def: $vgpr4
                                        ; implicit-def: $vgpr2
	s_branch .LBB188_38
.LBB188_36:
	v_mov_b32_e32 v0, 0
	v_mov_b32_e32 v4, 0
	v_mov_b32_e32 v2, 0
.LBB188_37:
	s_cbranch_execnz .LBB188_40
.LBB188_38:
	s_waitcnt lgkmcnt(0)
	v_mul_hi_u32 v0, s13, v11
	s_andn2_b64 vcc, exec, s[26:27]
	v_add_u32_e32 v0, v11, v0
	v_lshrrev_b32_e32 v1, s14, v0
	v_mul_lo_u32 v0, v1, s12
	v_sub_u32_e32 v2, v11, v0
	v_mul_lo_u32 v0, v2, s8
	v_mul_lo_u32 v4, v2, s9
	;; [unrolled: 1-line block ×3, first 2 shown]
	s_cbranch_vccnz .LBB188_40
; %bb.39:
	v_mul_hi_u32 v3, s24, v1
	v_add_u32_e32 v3, v1, v3
	v_lshrrev_b32_e32 v3, s25, v3
	v_mul_lo_u32 v3, v3, s15
	v_sub_u32_e32 v3, v1, v3
	v_mad_u64_u32 v[0:1], s[34:35], v3, s11, v[0:1]
	v_mad_u64_u32 v[4:5], s[34:35], v3, s22, v[4:5]
	;; [unrolled: 1-line block ×3, first 2 shown]
.LBB188_40:
	s_waitcnt lgkmcnt(0)
	global_load_ushort v1, v4, s[2:3]
	global_load_dword v3, v2, s[4:5]
	v_mov_b32_e32 v2, s7
	s_movk_i32 s34, 0x7fff
	v_mov_b32_e32 v4, 0x7fc0
	v_add_u32_e32 v11, 0x80, v11
	s_waitcnt vmcnt(1)
	v_lshlrev_b32_e32 v1, 16, v1
	v_cmp_nge_f32_e32 vcc, s6, v1
	s_waitcnt vmcnt(0)
	v_cndmask_b32_e32 v1, v2, v3, vcc
	v_bfe_u32 v2, v1, 16, 1
	v_cmp_o_f32_e32 vcc, v1, v1
	v_add3_u32 v1, v1, v2, s34
	v_cndmask_b32_sdwa v1, v4, v1, vcc dst_sel:DWORD dst_unused:UNUSED_PAD src0_sel:DWORD src1_sel:WORD_1
	global_store_short v0, v1, s[0:1]
	s_or_b64 exec, exec, s[30:31]
	v_cmp_gt_i32_e32 vcc, s38, v11
	s_and_saveexec_b64 s[30:31], vcc
	s_cbranch_execz .LBB188_53
.LBB188_41:
	s_andn2_b64 vcc, exec, s[18:19]
	s_cbranch_vccnz .LBB188_47
; %bb.42:
	s_andn2_b64 vcc, exec, s[28:29]
	s_cbranch_vccnz .LBB188_48
; %bb.43:
	s_add_i32 s28, s37, 1
	s_and_b32 s34, s28, 30
	s_add_u32 s28, s16, 0xffffffe8
	s_addc_u32 s29, s17, -1
	v_mov_b32_e32 v4, 0
	v_mov_b32_e32 v2, 0
	v_mov_b32_e32 v0, 0
	v_mov_b32_e32 v1, v11
.LBB188_44:                             ; =>This Inner Loop Header: Depth=1
	s_load_dwordx4 s[40:43], s[28:29], 0x1c
	s_load_dwordx2 s[38:39], s[28:29], 0x2c
	s_load_dwordx2 s[48:49], s[28:29], 0xec
	s_load_dwordx4 s[44:47], s[28:29], 0xdc
	s_add_u32 s28, s28, 24
	s_waitcnt lgkmcnt(0)
	v_mul_hi_u32 v3, s41, v1
	s_addc_u32 s29, s29, 0
	s_add_i32 s34, s34, -2
	s_cmp_eq_u32 s34, 0
	v_add_u32_e32 v3, v1, v3
	v_lshrrev_b32_e32 v3, s42, v3
	v_mul_lo_u32 v5, v3, s40
	v_mul_hi_u32 v6, s38, v3
	v_sub_u32_e32 v5, v1, v5
	v_add_u32_e32 v1, v3, v6
	v_lshrrev_b32_e32 v1, s39, v1
	v_mul_lo_u32 v8, v1, s43
	v_mul_lo_u32 v6, v5, s44
	;; [unrolled: 1-line block ×4, first 2 shown]
	v_sub_u32_e32 v3, v3, v8
	v_mul_lo_u32 v8, v3, s47
	v_mul_lo_u32 v9, v3, s48
	;; [unrolled: 1-line block ×3, first 2 shown]
	v_add3_u32 v0, v6, v0, v8
	v_add3_u32 v2, v7, v2, v9
	;; [unrolled: 1-line block ×3, first 2 shown]
	s_cbranch_scc0 .LBB188_44
; %bb.45:
	s_bitcmp1_b32 s37, 0
	s_cselect_b64 s[34:35], -1, 0
	s_and_b64 vcc, exec, s[34:35]
	s_cbranch_vccnz .LBB188_49
; %bb.46:
	s_load_dwordx2 s[34:35], s[28:29], 0x1c
	s_load_dword s37, s[28:29], 0x24
	s_load_dwordx2 s[38:39], s[28:29], 0xdc
	s_waitcnt lgkmcnt(0)
	v_mul_hi_u32 v3, s35, v1
	v_add_u32_e32 v3, v1, v3
	v_lshrrev_b32_e32 v3, s37, v3
	v_mul_lo_u32 v3, v3, s34
	s_load_dword s34, s[28:29], 0xe4
	v_sub_u32_e32 v5, v1, v3
	v_mad_u64_u32 v[0:1], s[28:29], v5, s38, v[0:1]
	v_mad_u64_u32 v[2:3], s[28:29], v5, s39, v[2:3]
	s_waitcnt lgkmcnt(0)
	v_mad_u64_u32 v[4:5], s[28:29], v5, s34, v[4:5]
	s_branch .LBB188_49
.LBB188_47:
                                        ; implicit-def: $vgpr0
                                        ; implicit-def: $vgpr2
                                        ; implicit-def: $vgpr4
	s_branch .LBB188_50
.LBB188_48:
	v_mov_b32_e32 v0, 0
	v_mov_b32_e32 v2, 0
	;; [unrolled: 1-line block ×3, first 2 shown]
.LBB188_49:
	s_cbranch_execnz .LBB188_52
.LBB188_50:
	s_waitcnt lgkmcnt(0)
	v_mul_hi_u32 v0, s13, v11
	s_andn2_b64 vcc, exec, s[26:27]
	v_add_u32_e32 v0, v11, v0
	v_lshrrev_b32_e32 v1, s14, v0
	v_mul_lo_u32 v0, v1, s12
	v_sub_u32_e32 v3, v11, v0
	v_mul_lo_u32 v0, v3, s8
	v_mul_lo_u32 v2, v3, s9
	;; [unrolled: 1-line block ×3, first 2 shown]
	s_cbranch_vccnz .LBB188_52
; %bb.51:
	v_mul_hi_u32 v3, s24, v1
	v_add_u32_e32 v3, v1, v3
	v_lshrrev_b32_e32 v3, s25, v3
	v_mul_lo_u32 v3, v3, s15
	v_sub_u32_e32 v5, v1, v3
	v_mad_u64_u32 v[0:1], s[8:9], v5, s11, v[0:1]
	v_mad_u64_u32 v[2:3], s[8:9], v5, s22, v[2:3]
	;; [unrolled: 1-line block ×3, first 2 shown]
.LBB188_52:
	s_waitcnt lgkmcnt(0)
	global_load_ushort v1, v2, s[2:3]
	global_load_dword v3, v4, s[4:5]
	v_mov_b32_e32 v2, s7
	s_movk_i32 s2, 0x7fff
	v_mov_b32_e32 v4, 0x7fc0
	s_waitcnt vmcnt(1)
	v_lshlrev_b32_e32 v1, 16, v1
	v_cmp_nge_f32_e32 vcc, s6, v1
	s_waitcnt vmcnt(0)
	v_cndmask_b32_e32 v1, v2, v3, vcc
	v_bfe_u32 v2, v1, 16, 1
	v_cmp_o_f32_e32 vcc, v1, v1
	v_add3_u32 v1, v1, v2, s2
	v_cndmask_b32_sdwa v1, v4, v1, vcc dst_sel:DWORD dst_unused:UNUSED_PAD src0_sel:DWORD src1_sel:WORD_1
	global_store_short v0, v1, s[0:1]
.LBB188_53:
	s_or_b64 exec, exec, s[30:31]
                                        ; implicit-def: $vgpr21
                                        ; implicit-def: $vgpr11
.LBB188_54:
	s_waitcnt lgkmcnt(0)
	s_andn2_saveexec_b64 s[0:1], s[20:21]
	s_cbranch_execz .LBB188_61
; %bb.55:
	v_cndmask_b32_e64 v0, 0, 1, s[18:19]
	v_cmp_ne_u32_e64 s[0:1], 1, v0
	s_andn2_b64 vcc, exec, s[18:19]
	s_cbranch_vccnz .LBB188_62
; %bb.56:
	s_cmp_lg_u32 s33, 0
	s_cbranch_scc0 .LBB188_63
; %bb.57:
	s_min_u32 s4, s36, 15
	s_add_i32 s2, s4, 1
	s_and_b32 s5, s2, 30
	s_add_u32 s2, s16, 0xffffffe8
	s_addc_u32 s3, s17, -1
	v_mov_b32_e32 v2, 0
	v_mov_b32_e32 v4, 0
	v_mov_b32_e32 v0, 0
	v_mov_b32_e32 v1, v11
.LBB188_58:                             ; =>This Inner Loop Header: Depth=1
	s_load_dwordx4 s[8:11], s[2:3], 0x1c
	s_load_dwordx2 s[6:7], s[2:3], 0x2c
	s_load_dwordx2 s[18:19], s[2:3], 0xec
	s_load_dwordx4 s[12:15], s[2:3], 0xdc
	s_add_u32 s2, s2, 24
	s_waitcnt lgkmcnt(0)
	v_mul_hi_u32 v3, s9, v1
	s_addc_u32 s3, s3, 0
	s_add_i32 s5, s5, -2
	s_cmp_lg_u32 s5, 0
	v_add_u32_e32 v3, v1, v3
	v_lshrrev_b32_e32 v3, s10, v3
	v_mul_lo_u32 v5, v3, s8
	v_mul_hi_u32 v6, s6, v3
	v_sub_u32_e32 v5, v1, v5
	v_add_u32_e32 v1, v3, v6
	v_lshrrev_b32_e32 v1, s7, v1
	v_mul_lo_u32 v8, v1, s11
	v_mul_lo_u32 v6, v5, s12
	;; [unrolled: 1-line block ×4, first 2 shown]
	v_sub_u32_e32 v3, v3, v8
	v_mul_lo_u32 v8, v3, s15
	v_mul_lo_u32 v9, v3, s18
	;; [unrolled: 1-line block ×3, first 2 shown]
	v_add3_u32 v0, v6, v0, v8
	v_add3_u32 v4, v7, v4, v9
	;; [unrolled: 1-line block ×3, first 2 shown]
	s_cbranch_scc1 .LBB188_58
; %bb.59:
	s_bitcmp1_b32 s4, 0
	s_cselect_b64 s[4:5], -1, 0
	s_and_b64 vcc, exec, s[4:5]
	s_cbranch_vccnz .LBB188_64
; %bb.60:
	s_load_dwordx2 s[4:5], s[2:3], 0x1c
	s_load_dword s8, s[2:3], 0x24
	s_load_dwordx2 s[6:7], s[2:3], 0xdc
	s_waitcnt lgkmcnt(0)
	v_mul_hi_u32 v3, s5, v1
	v_add_u32_e32 v3, v1, v3
	v_lshrrev_b32_e32 v3, s8, v3
	v_mul_lo_u32 v3, v3, s4
	s_load_dword s4, s[2:3], 0xe4
	v_sub_u32_e32 v3, v1, v3
	v_mad_u64_u32 v[0:1], s[2:3], v3, s6, v[0:1]
	v_mad_u64_u32 v[4:5], s[2:3], v3, s7, v[4:5]
	s_waitcnt lgkmcnt(0)
	v_mad_u64_u32 v[2:3], s[2:3], v3, s4, v[2:3]
	s_cbranch_execz .LBB188_65
	s_branch .LBB188_67
.LBB188_61:
	s_endpgm
.LBB188_62:
                                        ; implicit-def: $vgpr0
                                        ; implicit-def: $vgpr4
                                        ; implicit-def: $vgpr2
	s_branch .LBB188_65
.LBB188_63:
	v_mov_b32_e32 v0, 0
	v_mov_b32_e32 v4, 0
	;; [unrolled: 1-line block ×3, first 2 shown]
.LBB188_64:
	s_cbranch_execnz .LBB188_67
.LBB188_65:
	s_load_dwordx4 s[4:7], s[16:17], 0x4
	s_load_dwordx4 s[8:11], s[16:17], 0xc4
	s_cmp_lt_u32 s33, 2
	s_waitcnt lgkmcnt(0)
	v_mul_hi_u32 v0, s5, v11
	v_add_u32_e32 v0, v11, v0
	v_lshrrev_b32_e32 v1, s6, v0
	v_mul_lo_u32 v0, v1, s4
	v_sub_u32_e32 v2, v11, v0
	v_mul_lo_u32 v0, v2, s8
	v_mul_lo_u32 v4, v2, s9
	;; [unrolled: 1-line block ×3, first 2 shown]
	s_cbranch_scc1 .LBB188_67
; %bb.66:
	s_load_dwordx4 s[4:7], s[16:17], 0x10
	s_load_dwordx4 s[8:11], s[16:17], 0xd0
	s_waitcnt lgkmcnt(0)
	v_mul_hi_u32 v3, s5, v1
	v_add_u32_e32 v3, v1, v3
	v_lshrrev_b32_e32 v3, s6, v3
	v_mul_lo_u32 v3, v3, s4
	v_sub_u32_e32 v3, v1, v3
	v_mad_u64_u32 v[0:1], s[2:3], v3, s8, v[0:1]
	v_mad_u64_u32 v[4:5], s[2:3], v3, s9, v[4:5]
	;; [unrolled: 1-line block ×3, first 2 shown]
.LBB188_67:
	s_and_b64 vcc, exec, s[0:1]
	v_add_u32_e32 v1, 0x80, v11
	s_cbranch_vccnz .LBB188_73
; %bb.68:
	s_cmp_lg_u32 s33, 0
	s_cbranch_scc0 .LBB188_74
; %bb.69:
	s_min_u32 s4, s36, 15
	s_add_i32 s2, s4, 1
	s_and_b32 s5, s2, 30
	s_add_u32 s2, s16, 0xffffffe8
	s_addc_u32 s3, s17, -1
	v_mov_b32_e32 v7, 0
	v_mov_b32_e32 v9, 0
	;; [unrolled: 1-line block ×4, first 2 shown]
.LBB188_70:                             ; =>This Inner Loop Header: Depth=1
	s_load_dwordx4 s[8:11], s[2:3], 0x1c
	s_load_dwordx2 s[6:7], s[2:3], 0x2c
	s_load_dwordx2 s[18:19], s[2:3], 0xec
	s_load_dwordx4 s[12:15], s[2:3], 0xdc
	s_add_u32 s2, s2, 24
	s_waitcnt lgkmcnt(0)
	v_mul_hi_u32 v6, s9, v3
	s_addc_u32 s3, s3, 0
	s_add_i32 s5, s5, -2
	s_cmp_lg_u32 s5, 0
	v_add_u32_e32 v6, v3, v6
	v_lshrrev_b32_e32 v6, s10, v6
	v_mul_lo_u32 v8, v6, s8
	v_mul_hi_u32 v10, s6, v6
	v_sub_u32_e32 v8, v3, v8
	v_add_u32_e32 v3, v6, v10
	v_lshrrev_b32_e32 v3, s7, v3
	v_mul_lo_u32 v13, v3, s11
	v_mul_lo_u32 v10, v8, s12
	;; [unrolled: 1-line block ×4, first 2 shown]
	v_sub_u32_e32 v6, v6, v13
	v_mul_lo_u32 v13, v6, s15
	v_mul_lo_u32 v14, v6, s18
	;; [unrolled: 1-line block ×3, first 2 shown]
	v_add3_u32 v5, v10, v5, v13
	v_add3_u32 v9, v12, v9, v14
	;; [unrolled: 1-line block ×3, first 2 shown]
	s_cbranch_scc1 .LBB188_70
; %bb.71:
	s_bitcmp1_b32 s4, 0
	s_cselect_b64 s[4:5], -1, 0
	s_and_b64 vcc, exec, s[4:5]
	s_cbranch_vccnz .LBB188_75
; %bb.72:
	s_load_dwordx2 s[4:5], s[2:3], 0x1c
	s_load_dword s8, s[2:3], 0x24
	s_load_dwordx2 s[6:7], s[2:3], 0xdc
	s_waitcnt lgkmcnt(0)
	v_mul_hi_u32 v6, s5, v3
	v_add_u32_e32 v6, v3, v6
	v_lshrrev_b32_e32 v6, s8, v6
	v_mul_lo_u32 v6, v6, s4
	s_load_dword s4, s[2:3], 0xe4
	v_sub_u32_e32 v3, v3, v6
	v_mad_u64_u32 v[5:6], s[2:3], v3, s6, v[5:6]
	v_mad_u64_u32 v[9:10], s[2:3], v3, s7, v[9:10]
	s_waitcnt lgkmcnt(0)
	v_mad_u64_u32 v[7:8], s[2:3], v3, s4, v[7:8]
	s_cbranch_execz .LBB188_76
	s_branch .LBB188_78
.LBB188_73:
                                        ; implicit-def: $vgpr5
                                        ; implicit-def: $vgpr9
                                        ; implicit-def: $vgpr7
	s_branch .LBB188_76
.LBB188_74:
	v_mov_b32_e32 v5, 0
	v_mov_b32_e32 v9, 0
	;; [unrolled: 1-line block ×3, first 2 shown]
.LBB188_75:
	s_cbranch_execnz .LBB188_78
.LBB188_76:
	s_load_dwordx4 s[4:7], s[16:17], 0x4
	s_load_dwordx4 s[8:11], s[16:17], 0xc4
	s_cmp_lt_u32 s33, 2
	s_waitcnt lgkmcnt(0)
	v_mul_hi_u32 v3, s5, v1
	v_add_u32_e32 v3, v1, v3
	v_lshrrev_b32_e32 v3, s6, v3
	v_mul_lo_u32 v5, v3, s4
	v_sub_u32_e32 v1, v1, v5
	v_mul_lo_u32 v5, v1, s8
	v_mul_lo_u32 v9, v1, s9
	;; [unrolled: 1-line block ×3, first 2 shown]
	s_cbranch_scc1 .LBB188_78
; %bb.77:
	s_load_dwordx4 s[4:7], s[16:17], 0x10
	s_load_dwordx4 s[8:11], s[16:17], 0xd0
	s_waitcnt lgkmcnt(0)
	v_mul_hi_u32 v1, s5, v3
	v_add_u32_e32 v1, v3, v1
	v_lshrrev_b32_e32 v1, s6, v1
	v_mul_lo_u32 v1, v1, s4
	v_sub_u32_e32 v1, v3, v1
	v_mad_u64_u32 v[5:6], s[2:3], v1, s8, v[5:6]
	v_mad_u64_u32 v[9:10], s[2:3], v1, s9, v[9:10]
	;; [unrolled: 1-line block ×3, first 2 shown]
.LBB188_78:
	s_and_b64 vcc, exec, s[0:1]
	v_add_u32_e32 v1, 0x100, v11
	s_cbranch_vccnz .LBB188_84
; %bb.79:
	s_cmp_lg_u32 s33, 0
	s_cbranch_scc0 .LBB188_85
; %bb.80:
	s_min_u32 s4, s36, 15
	s_add_i32 s2, s4, 1
	s_and_b32 s5, s2, 30
	s_add_u32 s2, s16, 0xffffffe8
	s_addc_u32 s3, s17, -1
	v_mov_b32_e32 v14, 0
	v_mov_b32_e32 v12, 0
	;; [unrolled: 1-line block ×4, first 2 shown]
.LBB188_81:                             ; =>This Inner Loop Header: Depth=1
	s_load_dwordx4 s[8:11], s[2:3], 0x1c
	s_load_dwordx2 s[6:7], s[2:3], 0x2c
	s_load_dwordx2 s[18:19], s[2:3], 0xec
	s_load_dwordx4 s[12:15], s[2:3], 0xdc
	s_add_u32 s2, s2, 24
	s_waitcnt lgkmcnt(0)
	v_mul_hi_u32 v6, s9, v3
	s_addc_u32 s3, s3, 0
	s_add_i32 s5, s5, -2
	s_cmp_lg_u32 s5, 0
	v_add_u32_e32 v6, v3, v6
	v_lshrrev_b32_e32 v6, s10, v6
	v_mul_lo_u32 v8, v6, s8
	v_mul_hi_u32 v11, s6, v6
	v_sub_u32_e32 v8, v3, v8
	v_add_u32_e32 v3, v6, v11
	v_lshrrev_b32_e32 v3, s7, v3
	v_mul_lo_u32 v15, v3, s11
	v_mul_lo_u32 v11, v8, s12
	;; [unrolled: 1-line block ×4, first 2 shown]
	v_sub_u32_e32 v6, v6, v15
	v_mul_lo_u32 v15, v6, s15
	v_mul_lo_u32 v16, v6, s18
	;; [unrolled: 1-line block ×3, first 2 shown]
	v_add3_u32 v10, v11, v10, v15
	v_add3_u32 v12, v13, v12, v16
	;; [unrolled: 1-line block ×3, first 2 shown]
	s_cbranch_scc1 .LBB188_81
; %bb.82:
	s_bitcmp1_b32 s4, 0
	s_cselect_b64 s[4:5], -1, 0
	s_and_b64 vcc, exec, s[4:5]
	s_cbranch_vccnz .LBB188_86
; %bb.83:
	s_load_dwordx2 s[4:5], s[2:3], 0x1c
	s_load_dword s8, s[2:3], 0x24
	s_load_dwordx2 s[6:7], s[2:3], 0xdc
	s_waitcnt lgkmcnt(0)
	v_mul_hi_u32 v6, s5, v3
	v_add_u32_e32 v6, v3, v6
	v_lshrrev_b32_e32 v6, s8, v6
	v_mul_lo_u32 v6, v6, s4
	s_load_dword s4, s[2:3], 0xe4
	v_sub_u32_e32 v3, v3, v6
	v_mad_u64_u32 v[10:11], s[2:3], v3, s6, v[10:11]
	v_mad_u64_u32 v[12:13], s[2:3], v3, s7, v[12:13]
	s_waitcnt lgkmcnt(0)
	v_mad_u64_u32 v[14:15], s[2:3], v3, s4, v[14:15]
	s_cbranch_execz .LBB188_87
	s_branch .LBB188_89
.LBB188_84:
                                        ; implicit-def: $vgpr10
                                        ; implicit-def: $vgpr12
                                        ; implicit-def: $vgpr14
	s_branch .LBB188_87
.LBB188_85:
	v_mov_b32_e32 v10, 0
	v_mov_b32_e32 v12, 0
	;; [unrolled: 1-line block ×3, first 2 shown]
.LBB188_86:
	s_cbranch_execnz .LBB188_89
.LBB188_87:
	s_load_dwordx4 s[4:7], s[16:17], 0x4
	s_load_dwordx4 s[8:11], s[16:17], 0xc4
	s_cmp_lt_u32 s33, 2
	s_waitcnt lgkmcnt(0)
	v_mul_hi_u32 v3, s5, v1
	v_add_u32_e32 v3, v1, v3
	v_lshrrev_b32_e32 v3, s6, v3
	v_mul_lo_u32 v6, v3, s4
	v_sub_u32_e32 v1, v1, v6
	v_mul_lo_u32 v10, v1, s8
	v_mul_lo_u32 v12, v1, s9
	;; [unrolled: 1-line block ×3, first 2 shown]
	s_cbranch_scc1 .LBB188_89
; %bb.88:
	s_load_dwordx4 s[4:7], s[16:17], 0x10
	s_load_dwordx4 s[8:11], s[16:17], 0xd0
	s_waitcnt lgkmcnt(0)
	v_mul_hi_u32 v1, s5, v3
	v_add_u32_e32 v1, v3, v1
	v_lshrrev_b32_e32 v1, s6, v1
	v_mul_lo_u32 v1, v1, s4
	v_sub_u32_e32 v1, v3, v1
	v_mad_u64_u32 v[10:11], s[2:3], v1, s8, v[10:11]
	v_mad_u64_u32 v[12:13], s[2:3], v1, s9, v[12:13]
	;; [unrolled: 1-line block ×3, first 2 shown]
.LBB188_89:
	s_and_b64 vcc, exec, s[0:1]
	s_cbranch_vccnz .LBB188_95
; %bb.90:
	s_cmp_lg_u32 s33, 0
	s_cbranch_scc0 .LBB188_96
; %bb.91:
	s_min_u32 s2, s36, 15
	s_add_i32 s0, s2, 1
	s_and_b32 s3, s0, 30
	s_add_u32 s0, s16, 0xffffffe8
	s_addc_u32 s1, s17, -1
	v_mov_b32_e32 v19, 0
	v_mov_b32_e32 v17, 0
	;; [unrolled: 1-line block ×4, first 2 shown]
.LBB188_92:                             ; =>This Inner Loop Header: Depth=1
	s_load_dwordx4 s[4:7], s[0:1], 0x1c
	s_load_dwordx2 s[12:13], s[0:1], 0x2c
	s_load_dwordx2 s[14:15], s[0:1], 0xec
	s_load_dwordx4 s[8:11], s[0:1], 0xdc
	s_add_u32 s0, s0, 24
	s_waitcnt lgkmcnt(0)
	v_mul_hi_u32 v3, s5, v1
	s_addc_u32 s1, s1, 0
	s_add_i32 s3, s3, -2
	s_cmp_lg_u32 s3, 0
	v_add_u32_e32 v3, v1, v3
	v_lshrrev_b32_e32 v3, s6, v3
	v_mul_lo_u32 v6, v3, s4
	v_mul_hi_u32 v8, s12, v3
	v_sub_u32_e32 v6, v1, v6
	v_add_u32_e32 v1, v3, v8
	v_lshrrev_b32_e32 v1, s13, v1
	v_mul_lo_u32 v13, v1, s7
	v_mul_lo_u32 v8, v6, s8
	v_mul_lo_u32 v11, v6, s9
	v_mul_lo_u32 v6, v6, s10
	v_sub_u32_e32 v3, v3, v13
	v_mul_lo_u32 v13, v3, s11
	v_mul_lo_u32 v16, v3, s14
	;; [unrolled: 1-line block ×3, first 2 shown]
	v_add3_u32 v15, v8, v15, v13
	v_add3_u32 v17, v11, v17, v16
	;; [unrolled: 1-line block ×3, first 2 shown]
	s_cbranch_scc1 .LBB188_92
; %bb.93:
	s_bitcmp1_b32 s2, 0
	s_cselect_b64 s[2:3], -1, 0
	s_and_b64 vcc, exec, s[2:3]
	s_cbranch_vccnz .LBB188_97
; %bb.94:
	s_load_dwordx2 s[2:3], s[0:1], 0x1c
	s_load_dword s6, s[0:1], 0x24
	s_load_dwordx2 s[4:5], s[0:1], 0xdc
	s_waitcnt lgkmcnt(0)
	v_mul_hi_u32 v3, s3, v1
	v_add_u32_e32 v3, v1, v3
	v_lshrrev_b32_e32 v3, s6, v3
	v_mul_lo_u32 v3, v3, s2
	s_load_dword s2, s[0:1], 0xe4
	v_sub_u32_e32 v1, v1, v3
	v_mad_u64_u32 v[15:16], s[0:1], v1, s4, v[15:16]
	v_mad_u64_u32 v[17:18], s[0:1], v1, s5, v[17:18]
	s_waitcnt lgkmcnt(0)
	v_mad_u64_u32 v[19:20], s[0:1], v1, s2, v[19:20]
	s_cbranch_execz .LBB188_98
	s_branch .LBB188_100
.LBB188_95:
                                        ; implicit-def: $vgpr15
                                        ; implicit-def: $vgpr17
                                        ; implicit-def: $vgpr19
	s_branch .LBB188_98
.LBB188_96:
	v_mov_b32_e32 v15, 0
	v_mov_b32_e32 v17, 0
	;; [unrolled: 1-line block ×3, first 2 shown]
.LBB188_97:
	s_cbranch_execnz .LBB188_100
.LBB188_98:
	s_load_dwordx4 s[0:3], s[16:17], 0x4
	s_load_dwordx4 s[4:7], s[16:17], 0xc4
	s_cmp_lt_u32 s33, 2
	s_waitcnt lgkmcnt(0)
	v_mul_hi_u32 v1, s1, v21
	v_add_u32_e32 v1, v21, v1
	v_lshrrev_b32_e32 v1, s2, v1
	v_mul_lo_u32 v3, v1, s0
	v_sub_u32_e32 v3, v21, v3
	v_mul_lo_u32 v15, v3, s4
	v_mul_lo_u32 v17, v3, s5
	;; [unrolled: 1-line block ×3, first 2 shown]
	s_cbranch_scc1 .LBB188_100
; %bb.99:
	s_load_dwordx4 s[0:3], s[16:17], 0x10
	s_load_dwordx4 s[4:7], s[16:17], 0xd0
	s_waitcnt lgkmcnt(0)
	v_mul_hi_u32 v3, s1, v1
	v_add_u32_e32 v3, v1, v3
	v_lshrrev_b32_e32 v3, s2, v3
	v_mul_lo_u32 v3, v3, s0
	v_sub_u32_e32 v1, v1, v3
	v_mad_u64_u32 v[15:16], s[0:1], v1, s4, v[15:16]
	v_mad_u64_u32 v[17:18], s[0:1], v1, s5, v[17:18]
	;; [unrolled: 1-line block ×3, first 2 shown]
.LBB188_100:
	s_load_dwordx8 s[8:15], s[16:17], 0x188
	s_movk_i32 s6, 0x7fff
	s_waitcnt lgkmcnt(0)
	global_load_ushort v1, v4, s[10:11]
	global_load_ushort v3, v9, s[10:11]
	;; [unrolled: 1-line block ×4, first 2 shown]
	global_load_dword v11, v2, s[12:13]
	global_load_dword v13, v7, s[12:13]
	global_load_dword v16, v14, s[12:13]
	global_load_dword v18, v19, s[12:13]
	v_mov_b32_e32 v4, s15
	v_mov_b32_e32 v2, 0x7fc0
	s_waitcnt vmcnt(7)
	v_lshlrev_b32_e32 v1, 16, v1
	s_waitcnt vmcnt(6)
	v_lshlrev_b32_e32 v3, 16, v3
	v_cmp_nge_f32_e32 vcc, s14, v1
	s_waitcnt vmcnt(5)
	v_lshlrev_b32_e32 v6, 16, v6
	s_waitcnt vmcnt(3)
	v_cndmask_b32_e32 v1, v4, v11, vcc
	v_cmp_nge_f32_e32 vcc, s14, v3
	v_lshlrev_b32_e32 v7, 16, v8
	s_waitcnt vmcnt(2)
	v_cndmask_b32_e32 v3, v4, v13, vcc
	v_cmp_nge_f32_e32 vcc, s14, v6
	s_waitcnt vmcnt(1)
	v_cndmask_b32_e32 v6, v4, v16, vcc
	v_cmp_nge_f32_e32 vcc, s14, v7
	v_bfe_u32 v7, v1, 16, 1
	s_waitcnt vmcnt(0)
	v_cndmask_b32_e32 v4, v4, v18, vcc
	v_cmp_o_f32_e32 vcc, v1, v1
	v_bfe_u32 v8, v3, 16, 1
	v_cmp_o_f32_e64 s[0:1], v3, v3
	v_add3_u32 v1, v1, v7, s6
	v_bfe_u32 v9, v6, 16, 1
	v_cmp_o_f32_e64 s[2:3], v6, v6
	v_add3_u32 v3, v3, v8, s6
	v_cndmask_b32_sdwa v1, v2, v1, vcc dst_sel:DWORD dst_unused:UNUSED_PAD src0_sel:DWORD src1_sel:WORD_1
	s_mov_b64 vcc, s[0:1]
	v_bfe_u32 v11, v4, 16, 1
	v_cmp_o_f32_e64 s[4:5], v4, v4
	v_add3_u32 v6, v6, v9, s6
	global_store_short v0, v1, s[8:9]
	v_cndmask_b32_sdwa v0, v2, v3, vcc dst_sel:DWORD dst_unused:UNUSED_PAD src0_sel:DWORD src1_sel:WORD_1
	s_mov_b64 vcc, s[2:3]
	v_add3_u32 v4, v4, v11, s6
	global_store_short v5, v0, s[8:9]
	v_cndmask_b32_sdwa v0, v2, v6, vcc dst_sel:DWORD dst_unused:UNUSED_PAD src0_sel:DWORD src1_sel:WORD_1
	s_mov_b64 vcc, s[4:5]
	global_store_short v10, v0, s[8:9]
	v_cndmask_b32_sdwa v0, v2, v4, vcc dst_sel:DWORD dst_unused:UNUSED_PAD src0_sel:DWORD src1_sel:WORD_1
	global_store_short v15, v0, s[8:9]
	s_endpgm
	.section	.rodata,"a",@progbits
	.p2align	6, 0x0
	.amdhsa_kernel _ZN2at6native32elementwise_kernel_manual_unrollILi128ELi4EZNS0_12_GLOBAL__N_142type_specialized_broadcast_kernel_launcherILi2EE5applyINS0_13BinaryFunctorIfffZNS2_21threshold_kernel_implIfEEvRNS_18TensorIteratorBaseET_SA_EUlffE_EESt5arrayIPcLm3EESD_IN3c1010ScalarTypeELm3EE16OffsetCalculatorILi3EjLb0EEEEvlSA_T0_T1_T2_EUlibE_EEviSM_
		.amdhsa_group_segment_fixed_size 0
		.amdhsa_private_segment_fixed_size 0
		.amdhsa_kernarg_size 432
		.amdhsa_user_sgpr_count 6
		.amdhsa_user_sgpr_private_segment_buffer 1
		.amdhsa_user_sgpr_dispatch_ptr 0
		.amdhsa_user_sgpr_queue_ptr 0
		.amdhsa_user_sgpr_kernarg_segment_ptr 1
		.amdhsa_user_sgpr_dispatch_id 0
		.amdhsa_user_sgpr_flat_scratch_init 0
		.amdhsa_user_sgpr_private_segment_size 0
		.amdhsa_uses_dynamic_stack 0
		.amdhsa_system_sgpr_private_segment_wavefront_offset 0
		.amdhsa_system_sgpr_workgroup_id_x 1
		.amdhsa_system_sgpr_workgroup_id_y 0
		.amdhsa_system_sgpr_workgroup_id_z 0
		.amdhsa_system_sgpr_workgroup_info 0
		.amdhsa_system_vgpr_workitem_id 0
		.amdhsa_next_free_vgpr 22
		.amdhsa_next_free_sgpr 52
		.amdhsa_reserve_vcc 1
		.amdhsa_reserve_flat_scratch 0
		.amdhsa_float_round_mode_32 0
		.amdhsa_float_round_mode_16_64 0
		.amdhsa_float_denorm_mode_32 3
		.amdhsa_float_denorm_mode_16_64 3
		.amdhsa_dx10_clamp 1
		.amdhsa_ieee_mode 1
		.amdhsa_fp16_overflow 0
		.amdhsa_exception_fp_ieee_invalid_op 0
		.amdhsa_exception_fp_denorm_src 0
		.amdhsa_exception_fp_ieee_div_zero 0
		.amdhsa_exception_fp_ieee_overflow 0
		.amdhsa_exception_fp_ieee_underflow 0
		.amdhsa_exception_fp_ieee_inexact 0
		.amdhsa_exception_int_div_zero 0
	.end_amdhsa_kernel
	.section	.text._ZN2at6native32elementwise_kernel_manual_unrollILi128ELi4EZNS0_12_GLOBAL__N_142type_specialized_broadcast_kernel_launcherILi2EE5applyINS0_13BinaryFunctorIfffZNS2_21threshold_kernel_implIfEEvRNS_18TensorIteratorBaseET_SA_EUlffE_EESt5arrayIPcLm3EESD_IN3c1010ScalarTypeELm3EE16OffsetCalculatorILi3EjLb0EEEEvlSA_T0_T1_T2_EUlibE_EEviSM_,"axG",@progbits,_ZN2at6native32elementwise_kernel_manual_unrollILi128ELi4EZNS0_12_GLOBAL__N_142type_specialized_broadcast_kernel_launcherILi2EE5applyINS0_13BinaryFunctorIfffZNS2_21threshold_kernel_implIfEEvRNS_18TensorIteratorBaseET_SA_EUlffE_EESt5arrayIPcLm3EESD_IN3c1010ScalarTypeELm3EE16OffsetCalculatorILi3EjLb0EEEEvlSA_T0_T1_T2_EUlibE_EEviSM_,comdat
.Lfunc_end188:
	.size	_ZN2at6native32elementwise_kernel_manual_unrollILi128ELi4EZNS0_12_GLOBAL__N_142type_specialized_broadcast_kernel_launcherILi2EE5applyINS0_13BinaryFunctorIfffZNS2_21threshold_kernel_implIfEEvRNS_18TensorIteratorBaseET_SA_EUlffE_EESt5arrayIPcLm3EESD_IN3c1010ScalarTypeELm3EE16OffsetCalculatorILi3EjLb0EEEEvlSA_T0_T1_T2_EUlibE_EEviSM_, .Lfunc_end188-_ZN2at6native32elementwise_kernel_manual_unrollILi128ELi4EZNS0_12_GLOBAL__N_142type_specialized_broadcast_kernel_launcherILi2EE5applyINS0_13BinaryFunctorIfffZNS2_21threshold_kernel_implIfEEvRNS_18TensorIteratorBaseET_SA_EUlffE_EESt5arrayIPcLm3EESD_IN3c1010ScalarTypeELm3EE16OffsetCalculatorILi3EjLb0EEEEvlSA_T0_T1_T2_EUlibE_EEviSM_
                                        ; -- End function
	.set _ZN2at6native32elementwise_kernel_manual_unrollILi128ELi4EZNS0_12_GLOBAL__N_142type_specialized_broadcast_kernel_launcherILi2EE5applyINS0_13BinaryFunctorIfffZNS2_21threshold_kernel_implIfEEvRNS_18TensorIteratorBaseET_SA_EUlffE_EESt5arrayIPcLm3EESD_IN3c1010ScalarTypeELm3EE16OffsetCalculatorILi3EjLb0EEEEvlSA_T0_T1_T2_EUlibE_EEviSM_.num_vgpr, 22
	.set _ZN2at6native32elementwise_kernel_manual_unrollILi128ELi4EZNS0_12_GLOBAL__N_142type_specialized_broadcast_kernel_launcherILi2EE5applyINS0_13BinaryFunctorIfffZNS2_21threshold_kernel_implIfEEvRNS_18TensorIteratorBaseET_SA_EUlffE_EESt5arrayIPcLm3EESD_IN3c1010ScalarTypeELm3EE16OffsetCalculatorILi3EjLb0EEEEvlSA_T0_T1_T2_EUlibE_EEviSM_.num_agpr, 0
	.set _ZN2at6native32elementwise_kernel_manual_unrollILi128ELi4EZNS0_12_GLOBAL__N_142type_specialized_broadcast_kernel_launcherILi2EE5applyINS0_13BinaryFunctorIfffZNS2_21threshold_kernel_implIfEEvRNS_18TensorIteratorBaseET_SA_EUlffE_EESt5arrayIPcLm3EESD_IN3c1010ScalarTypeELm3EE16OffsetCalculatorILi3EjLb0EEEEvlSA_T0_T1_T2_EUlibE_EEviSM_.numbered_sgpr, 52
	.set _ZN2at6native32elementwise_kernel_manual_unrollILi128ELi4EZNS0_12_GLOBAL__N_142type_specialized_broadcast_kernel_launcherILi2EE5applyINS0_13BinaryFunctorIfffZNS2_21threshold_kernel_implIfEEvRNS_18TensorIteratorBaseET_SA_EUlffE_EESt5arrayIPcLm3EESD_IN3c1010ScalarTypeELm3EE16OffsetCalculatorILi3EjLb0EEEEvlSA_T0_T1_T2_EUlibE_EEviSM_.num_named_barrier, 0
	.set _ZN2at6native32elementwise_kernel_manual_unrollILi128ELi4EZNS0_12_GLOBAL__N_142type_specialized_broadcast_kernel_launcherILi2EE5applyINS0_13BinaryFunctorIfffZNS2_21threshold_kernel_implIfEEvRNS_18TensorIteratorBaseET_SA_EUlffE_EESt5arrayIPcLm3EESD_IN3c1010ScalarTypeELm3EE16OffsetCalculatorILi3EjLb0EEEEvlSA_T0_T1_T2_EUlibE_EEviSM_.private_seg_size, 0
	.set _ZN2at6native32elementwise_kernel_manual_unrollILi128ELi4EZNS0_12_GLOBAL__N_142type_specialized_broadcast_kernel_launcherILi2EE5applyINS0_13BinaryFunctorIfffZNS2_21threshold_kernel_implIfEEvRNS_18TensorIteratorBaseET_SA_EUlffE_EESt5arrayIPcLm3EESD_IN3c1010ScalarTypeELm3EE16OffsetCalculatorILi3EjLb0EEEEvlSA_T0_T1_T2_EUlibE_EEviSM_.uses_vcc, 1
	.set _ZN2at6native32elementwise_kernel_manual_unrollILi128ELi4EZNS0_12_GLOBAL__N_142type_specialized_broadcast_kernel_launcherILi2EE5applyINS0_13BinaryFunctorIfffZNS2_21threshold_kernel_implIfEEvRNS_18TensorIteratorBaseET_SA_EUlffE_EESt5arrayIPcLm3EESD_IN3c1010ScalarTypeELm3EE16OffsetCalculatorILi3EjLb0EEEEvlSA_T0_T1_T2_EUlibE_EEviSM_.uses_flat_scratch, 0
	.set _ZN2at6native32elementwise_kernel_manual_unrollILi128ELi4EZNS0_12_GLOBAL__N_142type_specialized_broadcast_kernel_launcherILi2EE5applyINS0_13BinaryFunctorIfffZNS2_21threshold_kernel_implIfEEvRNS_18TensorIteratorBaseET_SA_EUlffE_EESt5arrayIPcLm3EESD_IN3c1010ScalarTypeELm3EE16OffsetCalculatorILi3EjLb0EEEEvlSA_T0_T1_T2_EUlibE_EEviSM_.has_dyn_sized_stack, 0
	.set _ZN2at6native32elementwise_kernel_manual_unrollILi128ELi4EZNS0_12_GLOBAL__N_142type_specialized_broadcast_kernel_launcherILi2EE5applyINS0_13BinaryFunctorIfffZNS2_21threshold_kernel_implIfEEvRNS_18TensorIteratorBaseET_SA_EUlffE_EESt5arrayIPcLm3EESD_IN3c1010ScalarTypeELm3EE16OffsetCalculatorILi3EjLb0EEEEvlSA_T0_T1_T2_EUlibE_EEviSM_.has_recursion, 0
	.set _ZN2at6native32elementwise_kernel_manual_unrollILi128ELi4EZNS0_12_GLOBAL__N_142type_specialized_broadcast_kernel_launcherILi2EE5applyINS0_13BinaryFunctorIfffZNS2_21threshold_kernel_implIfEEvRNS_18TensorIteratorBaseET_SA_EUlffE_EESt5arrayIPcLm3EESD_IN3c1010ScalarTypeELm3EE16OffsetCalculatorILi3EjLb0EEEEvlSA_T0_T1_T2_EUlibE_EEviSM_.has_indirect_call, 0
	.section	.AMDGPU.csdata,"",@progbits
; Kernel info:
; codeLenInByte = 5080
; TotalNumSgprs: 56
; NumVgprs: 22
; ScratchSize: 0
; MemoryBound: 0
; FloatMode: 240
; IeeeMode: 1
; LDSByteSize: 0 bytes/workgroup (compile time only)
; SGPRBlocks: 6
; VGPRBlocks: 5
; NumSGPRsForWavesPerEU: 56
; NumVGPRsForWavesPerEU: 22
; Occupancy: 10
; WaveLimiterHint : 1
; COMPUTE_PGM_RSRC2:SCRATCH_EN: 0
; COMPUTE_PGM_RSRC2:USER_SGPR: 6
; COMPUTE_PGM_RSRC2:TRAP_HANDLER: 0
; COMPUTE_PGM_RSRC2:TGID_X_EN: 1
; COMPUTE_PGM_RSRC2:TGID_Y_EN: 0
; COMPUTE_PGM_RSRC2:TGID_Z_EN: 0
; COMPUTE_PGM_RSRC2:TIDIG_COMP_CNT: 0
	.section	.text._ZN2at6native32elementwise_kernel_manual_unrollILi128ELi4EZNS0_12_GLOBAL__N_142type_specialized_broadcast_kernel_launcherILi3EE5applyINS0_13BinaryFunctorIfffZNS2_21threshold_kernel_implIfEEvRNS_18TensorIteratorBaseET_SA_EUlffE_EESt5arrayIPcLm3EESD_IN3c1010ScalarTypeELm3EE16OffsetCalculatorILi3EjLb0EEEEvlSA_T0_T1_T2_EUlibE_EEviSM_,"axG",@progbits,_ZN2at6native32elementwise_kernel_manual_unrollILi128ELi4EZNS0_12_GLOBAL__N_142type_specialized_broadcast_kernel_launcherILi3EE5applyINS0_13BinaryFunctorIfffZNS2_21threshold_kernel_implIfEEvRNS_18TensorIteratorBaseET_SA_EUlffE_EESt5arrayIPcLm3EESD_IN3c1010ScalarTypeELm3EE16OffsetCalculatorILi3EjLb0EEEEvlSA_T0_T1_T2_EUlibE_EEviSM_,comdat
	.globl	_ZN2at6native32elementwise_kernel_manual_unrollILi128ELi4EZNS0_12_GLOBAL__N_142type_specialized_broadcast_kernel_launcherILi3EE5applyINS0_13BinaryFunctorIfffZNS2_21threshold_kernel_implIfEEvRNS_18TensorIteratorBaseET_SA_EUlffE_EESt5arrayIPcLm3EESD_IN3c1010ScalarTypeELm3EE16OffsetCalculatorILi3EjLb0EEEEvlSA_T0_T1_T2_EUlibE_EEviSM_ ; -- Begin function _ZN2at6native32elementwise_kernel_manual_unrollILi128ELi4EZNS0_12_GLOBAL__N_142type_specialized_broadcast_kernel_launcherILi3EE5applyINS0_13BinaryFunctorIfffZNS2_21threshold_kernel_implIfEEvRNS_18TensorIteratorBaseET_SA_EUlffE_EESt5arrayIPcLm3EESD_IN3c1010ScalarTypeELm3EE16OffsetCalculatorILi3EjLb0EEEEvlSA_T0_T1_T2_EUlibE_EEviSM_
	.p2align	8
	.type	_ZN2at6native32elementwise_kernel_manual_unrollILi128ELi4EZNS0_12_GLOBAL__N_142type_specialized_broadcast_kernel_launcherILi3EE5applyINS0_13BinaryFunctorIfffZNS2_21threshold_kernel_implIfEEvRNS_18TensorIteratorBaseET_SA_EUlffE_EESt5arrayIPcLm3EESD_IN3c1010ScalarTypeELm3EE16OffsetCalculatorILi3EjLb0EEEEvlSA_T0_T1_T2_EUlibE_EEviSM_,@function
_ZN2at6native32elementwise_kernel_manual_unrollILi128ELi4EZNS0_12_GLOBAL__N_142type_specialized_broadcast_kernel_launcherILi3EE5applyINS0_13BinaryFunctorIfffZNS2_21threshold_kernel_implIfEEvRNS_18TensorIteratorBaseET_SA_EUlffE_EESt5arrayIPcLm3EESD_IN3c1010ScalarTypeELm3EE16OffsetCalculatorILi3EjLb0EEEEvlSA_T0_T1_T2_EUlibE_EEviSM_: ; @_ZN2at6native32elementwise_kernel_manual_unrollILi128ELi4EZNS0_12_GLOBAL__N_142type_specialized_broadcast_kernel_launcherILi3EE5applyINS0_13BinaryFunctorIfffZNS2_21threshold_kernel_implIfEEvRNS_18TensorIteratorBaseET_SA_EUlffE_EESt5arrayIPcLm3EESD_IN3c1010ScalarTypeELm3EE16OffsetCalculatorILi3EjLb0EEEEvlSA_T0_T1_T2_EUlibE_EEviSM_
; %bb.0:
	s_load_dword s38, s[4:5], 0x0
	s_load_dword s33, s[4:5], 0x8
	s_add_u32 s16, s4, 8
	s_addc_u32 s17, s5, 0
	v_lshl_or_b32 v11, s6, 9, v0
	v_or_b32_e32 v21, 0x180, v11
	s_waitcnt lgkmcnt(0)
	s_add_i32 s36, s33, -1
	s_cmp_gt_u32 s36, 1
	v_cmp_le_i32_e32 vcc, s38, v21
	s_cselect_b64 s[18:19], -1, 0
	s_and_saveexec_b64 s[0:1], vcc
	s_xor_b64 s[20:21], exec, s[0:1]
	s_cbranch_execz .LBB189_54
; %bb.1:
	s_load_dwordx4 s[12:15], s[16:17], 0x4
	s_load_dwordx2 s[24:25], s[16:17], 0x14
	s_load_dwordx4 s[8:11], s[16:17], 0xc4
	s_load_dwordx2 s[22:23], s[16:17], 0xd4
	s_load_dwordx8 s[0:7], s[16:17], 0x188
	s_cmp_lg_u32 s33, 0
	s_cselect_b64 s[28:29], -1, 0
	s_min_u32 s37, s36, 15
	s_cmp_gt_u32 s33, 1
	s_cselect_b64 s[26:27], -1, 0
	v_cmp_gt_i32_e32 vcc, s38, v11
	s_and_saveexec_b64 s[30:31], vcc
	s_cbranch_execnz .LBB189_5
; %bb.2:
	s_or_b64 exec, exec, s[30:31]
	v_cmp_gt_i32_e32 vcc, s38, v11
	s_and_saveexec_b64 s[30:31], vcc
	s_cbranch_execnz .LBB189_17
.LBB189_3:
	s_or_b64 exec, exec, s[30:31]
	v_cmp_gt_i32_e32 vcc, s38, v11
	s_and_saveexec_b64 s[30:31], vcc
	s_cbranch_execnz .LBB189_29
.LBB189_4:
	s_or_b64 exec, exec, s[30:31]
	v_cmp_gt_i32_e32 vcc, s38, v11
	s_and_saveexec_b64 s[30:31], vcc
	s_cbranch_execnz .LBB189_41
	s_branch .LBB189_53
.LBB189_5:
	s_andn2_b64 vcc, exec, s[18:19]
	s_cbranch_vccnz .LBB189_11
; %bb.6:
	s_andn2_b64 vcc, exec, s[28:29]
	s_cbranch_vccnz .LBB189_12
; %bb.7:
	s_add_i32 s34, s37, 1
	s_and_b32 s39, s34, 30
	s_add_u32 s34, s16, 0xffffffe8
	s_addc_u32 s35, s17, -1
	v_mov_b32_e32 v2, 0
	v_mov_b32_e32 v4, 0
	;; [unrolled: 1-line block ×4, first 2 shown]
.LBB189_8:                              ; =>This Inner Loop Header: Depth=1
	s_load_dwordx4 s[40:43], s[34:35], 0x1c
	s_load_dwordx2 s[48:49], s[34:35], 0x2c
	s_load_dwordx2 s[50:51], s[34:35], 0xec
	s_load_dwordx4 s[44:47], s[34:35], 0xdc
	s_add_u32 s34, s34, 24
	s_waitcnt lgkmcnt(0)
	v_mul_hi_u32 v3, s41, v1
	s_addc_u32 s35, s35, 0
	s_add_i32 s39, s39, -2
	s_cmp_lg_u32 s39, 0
	v_add_u32_e32 v3, v1, v3
	v_lshrrev_b32_e32 v3, s42, v3
	v_mul_lo_u32 v5, v3, s40
	v_mul_hi_u32 v6, s48, v3
	v_sub_u32_e32 v5, v1, v5
	v_add_u32_e32 v1, v3, v6
	v_lshrrev_b32_e32 v1, s49, v1
	v_mul_lo_u32 v8, v1, s43
	v_mul_lo_u32 v6, v5, s44
	;; [unrolled: 1-line block ×4, first 2 shown]
	v_sub_u32_e32 v3, v3, v8
	v_mul_lo_u32 v8, v3, s47
	v_mul_lo_u32 v9, v3, s50
	;; [unrolled: 1-line block ×3, first 2 shown]
	v_add3_u32 v0, v6, v0, v8
	v_add3_u32 v4, v7, v4, v9
	v_add3_u32 v2, v5, v2, v3
	s_cbranch_scc1 .LBB189_8
; %bb.9:
	s_bitcmp1_b32 s37, 0
	s_cselect_b64 s[40:41], -1, 0
	s_and_b64 vcc, exec, s[40:41]
	s_cbranch_vccnz .LBB189_13
; %bb.10:
	s_load_dwordx2 s[40:41], s[34:35], 0x1c
	s_load_dword s39, s[34:35], 0x24
	s_load_dwordx2 s[42:43], s[34:35], 0xdc
	s_waitcnt lgkmcnt(0)
	v_mul_hi_u32 v3, s41, v1
	v_add_u32_e32 v3, v1, v3
	v_lshrrev_b32_e32 v3, s39, v3
	v_mul_lo_u32 v3, v3, s40
	s_load_dword s39, s[34:35], 0xe4
	v_sub_u32_e32 v3, v1, v3
	v_mad_u64_u32 v[0:1], s[34:35], v3, s42, v[0:1]
	v_mad_u64_u32 v[4:5], s[34:35], v3, s43, v[4:5]
	s_waitcnt lgkmcnt(0)
	v_mad_u64_u32 v[2:3], s[34:35], v3, s39, v[2:3]
	s_cbranch_execz .LBB189_14
	s_branch .LBB189_16
.LBB189_11:
                                        ; implicit-def: $vgpr0
                                        ; implicit-def: $vgpr4
                                        ; implicit-def: $vgpr2
	s_branch .LBB189_14
.LBB189_12:
	v_mov_b32_e32 v0, 0
	v_mov_b32_e32 v4, 0
	;; [unrolled: 1-line block ×3, first 2 shown]
.LBB189_13:
	s_cbranch_execnz .LBB189_16
.LBB189_14:
	s_waitcnt lgkmcnt(0)
	v_mul_hi_u32 v0, s13, v11
	s_andn2_b64 vcc, exec, s[26:27]
	v_add_u32_e32 v0, v11, v0
	v_lshrrev_b32_e32 v1, s14, v0
	v_mul_lo_u32 v0, v1, s12
	v_sub_u32_e32 v2, v11, v0
	v_mul_lo_u32 v0, v2, s8
	v_mul_lo_u32 v4, v2, s9
	;; [unrolled: 1-line block ×3, first 2 shown]
	s_cbranch_vccnz .LBB189_16
; %bb.15:
	v_mul_hi_u32 v3, s24, v1
	v_add_u32_e32 v3, v1, v3
	v_lshrrev_b32_e32 v3, s25, v3
	v_mul_lo_u32 v3, v3, s15
	v_sub_u32_e32 v3, v1, v3
	v_mad_u64_u32 v[0:1], s[34:35], v3, s11, v[0:1]
	v_mad_u64_u32 v[4:5], s[34:35], v3, s22, v[4:5]
	;; [unrolled: 1-line block ×3, first 2 shown]
.LBB189_16:
	s_waitcnt lgkmcnt(0)
	global_load_ushort v1, v2, s[4:5]
	global_load_dword v3, v4, s[2:3]
	v_mov_b32_e32 v2, s7
	v_add_u32_e32 v11, 0x80, v11
	s_waitcnt vmcnt(1)
	v_cvt_f32_f16_e32 v1, v1
	s_waitcnt vmcnt(0)
	v_cmp_nge_f32_e32 vcc, s6, v3
	v_cndmask_b32_e32 v1, v2, v1, vcc
	global_store_dword v0, v1, s[0:1]
	s_or_b64 exec, exec, s[30:31]
	v_cmp_gt_i32_e32 vcc, s38, v11
	s_and_saveexec_b64 s[30:31], vcc
	s_cbranch_execz .LBB189_3
.LBB189_17:
	s_andn2_b64 vcc, exec, s[18:19]
	s_cbranch_vccnz .LBB189_23
; %bb.18:
	s_andn2_b64 vcc, exec, s[28:29]
	s_cbranch_vccnz .LBB189_24
; %bb.19:
	s_add_i32 s34, s37, 1
	s_and_b32 s39, s34, 30
	s_add_u32 s34, s16, 0xffffffe8
	s_addc_u32 s35, s17, -1
	v_mov_b32_e32 v2, 0
	v_mov_b32_e32 v4, 0
	;; [unrolled: 1-line block ×4, first 2 shown]
.LBB189_20:                             ; =>This Inner Loop Header: Depth=1
	s_load_dwordx4 s[40:43], s[34:35], 0x1c
	s_load_dwordx2 s[48:49], s[34:35], 0x2c
	s_load_dwordx2 s[50:51], s[34:35], 0xec
	s_load_dwordx4 s[44:47], s[34:35], 0xdc
	s_add_u32 s34, s34, 24
	s_waitcnt lgkmcnt(0)
	v_mul_hi_u32 v3, s41, v1
	s_addc_u32 s35, s35, 0
	s_add_i32 s39, s39, -2
	s_cmp_eq_u32 s39, 0
	v_add_u32_e32 v3, v1, v3
	v_lshrrev_b32_e32 v3, s42, v3
	v_mul_lo_u32 v5, v3, s40
	v_mul_hi_u32 v6, s48, v3
	v_sub_u32_e32 v5, v1, v5
	v_add_u32_e32 v1, v3, v6
	v_lshrrev_b32_e32 v1, s49, v1
	v_mul_lo_u32 v8, v1, s43
	v_mul_lo_u32 v6, v5, s44
	;; [unrolled: 1-line block ×4, first 2 shown]
	v_sub_u32_e32 v3, v3, v8
	v_mul_lo_u32 v8, v3, s47
	v_mul_lo_u32 v9, v3, s50
	;; [unrolled: 1-line block ×3, first 2 shown]
	v_add3_u32 v0, v6, v0, v8
	v_add3_u32 v4, v7, v4, v9
	;; [unrolled: 1-line block ×3, first 2 shown]
	s_cbranch_scc0 .LBB189_20
; %bb.21:
	s_bitcmp1_b32 s37, 0
	s_cselect_b64 s[40:41], -1, 0
	s_and_b64 vcc, exec, s[40:41]
	s_cbranch_vccnz .LBB189_25
; %bb.22:
	s_load_dwordx2 s[40:41], s[34:35], 0x1c
	s_load_dword s39, s[34:35], 0x24
	s_load_dwordx2 s[42:43], s[34:35], 0xdc
	s_waitcnt lgkmcnt(0)
	v_mul_hi_u32 v3, s41, v1
	v_add_u32_e32 v3, v1, v3
	v_lshrrev_b32_e32 v3, s39, v3
	v_mul_lo_u32 v3, v3, s40
	s_load_dword s39, s[34:35], 0xe4
	v_sub_u32_e32 v3, v1, v3
	v_mad_u64_u32 v[0:1], s[34:35], v3, s42, v[0:1]
	v_mad_u64_u32 v[4:5], s[34:35], v3, s43, v[4:5]
	s_waitcnt lgkmcnt(0)
	v_mad_u64_u32 v[2:3], s[34:35], v3, s39, v[2:3]
	s_branch .LBB189_25
.LBB189_23:
                                        ; implicit-def: $vgpr0
                                        ; implicit-def: $vgpr4
                                        ; implicit-def: $vgpr2
	s_branch .LBB189_26
.LBB189_24:
	v_mov_b32_e32 v0, 0
	v_mov_b32_e32 v4, 0
	v_mov_b32_e32 v2, 0
.LBB189_25:
	s_cbranch_execnz .LBB189_28
.LBB189_26:
	s_waitcnt lgkmcnt(0)
	v_mul_hi_u32 v0, s13, v11
	s_andn2_b64 vcc, exec, s[26:27]
	v_add_u32_e32 v0, v11, v0
	v_lshrrev_b32_e32 v1, s14, v0
	v_mul_lo_u32 v0, v1, s12
	v_sub_u32_e32 v2, v11, v0
	v_mul_lo_u32 v0, v2, s8
	v_mul_lo_u32 v4, v2, s9
	;; [unrolled: 1-line block ×3, first 2 shown]
	s_cbranch_vccnz .LBB189_28
; %bb.27:
	v_mul_hi_u32 v3, s24, v1
	v_add_u32_e32 v3, v1, v3
	v_lshrrev_b32_e32 v3, s25, v3
	v_mul_lo_u32 v3, v3, s15
	v_sub_u32_e32 v3, v1, v3
	v_mad_u64_u32 v[0:1], s[34:35], v3, s11, v[0:1]
	v_mad_u64_u32 v[4:5], s[34:35], v3, s22, v[4:5]
	;; [unrolled: 1-line block ×3, first 2 shown]
.LBB189_28:
	s_waitcnt lgkmcnt(0)
	global_load_ushort v1, v2, s[4:5]
	global_load_dword v3, v4, s[2:3]
	v_mov_b32_e32 v2, s7
	v_add_u32_e32 v11, 0x80, v11
	s_waitcnt vmcnt(1)
	v_cvt_f32_f16_e32 v1, v1
	s_waitcnt vmcnt(0)
	v_cmp_nge_f32_e32 vcc, s6, v3
	v_cndmask_b32_e32 v1, v2, v1, vcc
	global_store_dword v0, v1, s[0:1]
	s_or_b64 exec, exec, s[30:31]
	v_cmp_gt_i32_e32 vcc, s38, v11
	s_and_saveexec_b64 s[30:31], vcc
	s_cbranch_execz .LBB189_4
.LBB189_29:
	s_andn2_b64 vcc, exec, s[18:19]
	s_cbranch_vccnz .LBB189_35
; %bb.30:
	s_andn2_b64 vcc, exec, s[28:29]
	s_cbranch_vccnz .LBB189_36
; %bb.31:
	s_add_i32 s34, s37, 1
	s_and_b32 s39, s34, 30
	s_add_u32 s34, s16, 0xffffffe8
	s_addc_u32 s35, s17, -1
	v_mov_b32_e32 v2, 0
	v_mov_b32_e32 v4, 0
	;; [unrolled: 1-line block ×4, first 2 shown]
.LBB189_32:                             ; =>This Inner Loop Header: Depth=1
	s_load_dwordx4 s[40:43], s[34:35], 0x1c
	s_load_dwordx2 s[48:49], s[34:35], 0x2c
	s_load_dwordx2 s[50:51], s[34:35], 0xec
	s_load_dwordx4 s[44:47], s[34:35], 0xdc
	s_add_u32 s34, s34, 24
	s_waitcnt lgkmcnt(0)
	v_mul_hi_u32 v3, s41, v1
	s_addc_u32 s35, s35, 0
	s_add_i32 s39, s39, -2
	s_cmp_eq_u32 s39, 0
	v_add_u32_e32 v3, v1, v3
	v_lshrrev_b32_e32 v3, s42, v3
	v_mul_lo_u32 v5, v3, s40
	v_mul_hi_u32 v6, s48, v3
	v_sub_u32_e32 v5, v1, v5
	v_add_u32_e32 v1, v3, v6
	v_lshrrev_b32_e32 v1, s49, v1
	v_mul_lo_u32 v8, v1, s43
	v_mul_lo_u32 v6, v5, s44
	;; [unrolled: 1-line block ×4, first 2 shown]
	v_sub_u32_e32 v3, v3, v8
	v_mul_lo_u32 v8, v3, s47
	v_mul_lo_u32 v9, v3, s50
	;; [unrolled: 1-line block ×3, first 2 shown]
	v_add3_u32 v0, v6, v0, v8
	v_add3_u32 v4, v7, v4, v9
	;; [unrolled: 1-line block ×3, first 2 shown]
	s_cbranch_scc0 .LBB189_32
; %bb.33:
	s_bitcmp1_b32 s37, 0
	s_cselect_b64 s[40:41], -1, 0
	s_and_b64 vcc, exec, s[40:41]
	s_cbranch_vccnz .LBB189_37
; %bb.34:
	s_load_dwordx2 s[40:41], s[34:35], 0x1c
	s_load_dword s39, s[34:35], 0x24
	s_load_dwordx2 s[42:43], s[34:35], 0xdc
	s_waitcnt lgkmcnt(0)
	v_mul_hi_u32 v3, s41, v1
	v_add_u32_e32 v3, v1, v3
	v_lshrrev_b32_e32 v3, s39, v3
	v_mul_lo_u32 v3, v3, s40
	s_load_dword s39, s[34:35], 0xe4
	v_sub_u32_e32 v3, v1, v3
	v_mad_u64_u32 v[0:1], s[34:35], v3, s42, v[0:1]
	v_mad_u64_u32 v[4:5], s[34:35], v3, s43, v[4:5]
	s_waitcnt lgkmcnt(0)
	v_mad_u64_u32 v[2:3], s[34:35], v3, s39, v[2:3]
	s_branch .LBB189_37
.LBB189_35:
                                        ; implicit-def: $vgpr0
                                        ; implicit-def: $vgpr4
                                        ; implicit-def: $vgpr2
	s_branch .LBB189_38
.LBB189_36:
	v_mov_b32_e32 v0, 0
	v_mov_b32_e32 v4, 0
	;; [unrolled: 1-line block ×3, first 2 shown]
.LBB189_37:
	s_cbranch_execnz .LBB189_40
.LBB189_38:
	s_waitcnt lgkmcnt(0)
	v_mul_hi_u32 v0, s13, v11
	s_andn2_b64 vcc, exec, s[26:27]
	v_add_u32_e32 v0, v11, v0
	v_lshrrev_b32_e32 v1, s14, v0
	v_mul_lo_u32 v0, v1, s12
	v_sub_u32_e32 v2, v11, v0
	v_mul_lo_u32 v0, v2, s8
	v_mul_lo_u32 v4, v2, s9
	;; [unrolled: 1-line block ×3, first 2 shown]
	s_cbranch_vccnz .LBB189_40
; %bb.39:
	v_mul_hi_u32 v3, s24, v1
	v_add_u32_e32 v3, v1, v3
	v_lshrrev_b32_e32 v3, s25, v3
	v_mul_lo_u32 v3, v3, s15
	v_sub_u32_e32 v3, v1, v3
	v_mad_u64_u32 v[0:1], s[34:35], v3, s11, v[0:1]
	v_mad_u64_u32 v[4:5], s[34:35], v3, s22, v[4:5]
	;; [unrolled: 1-line block ×3, first 2 shown]
.LBB189_40:
	s_waitcnt lgkmcnt(0)
	global_load_ushort v1, v2, s[4:5]
	global_load_dword v3, v4, s[2:3]
	v_mov_b32_e32 v2, s7
	v_add_u32_e32 v11, 0x80, v11
	s_waitcnt vmcnt(1)
	v_cvt_f32_f16_e32 v1, v1
	s_waitcnt vmcnt(0)
	v_cmp_nge_f32_e32 vcc, s6, v3
	v_cndmask_b32_e32 v1, v2, v1, vcc
	global_store_dword v0, v1, s[0:1]
	s_or_b64 exec, exec, s[30:31]
	v_cmp_gt_i32_e32 vcc, s38, v11
	s_and_saveexec_b64 s[30:31], vcc
	s_cbranch_execz .LBB189_53
.LBB189_41:
	s_andn2_b64 vcc, exec, s[18:19]
	s_cbranch_vccnz .LBB189_47
; %bb.42:
	s_andn2_b64 vcc, exec, s[28:29]
	s_cbranch_vccnz .LBB189_48
; %bb.43:
	s_add_i32 s28, s37, 1
	s_and_b32 s34, s28, 30
	s_add_u32 s28, s16, 0xffffffe8
	s_addc_u32 s29, s17, -1
	v_mov_b32_e32 v2, 0
	v_mov_b32_e32 v4, 0
	;; [unrolled: 1-line block ×4, first 2 shown]
.LBB189_44:                             ; =>This Inner Loop Header: Depth=1
	s_load_dwordx4 s[40:43], s[28:29], 0x1c
	s_load_dwordx2 s[38:39], s[28:29], 0x2c
	s_load_dwordx2 s[48:49], s[28:29], 0xec
	s_load_dwordx4 s[44:47], s[28:29], 0xdc
	s_add_u32 s28, s28, 24
	s_waitcnt lgkmcnt(0)
	v_mul_hi_u32 v3, s41, v1
	s_addc_u32 s29, s29, 0
	s_add_i32 s34, s34, -2
	s_cmp_eq_u32 s34, 0
	v_add_u32_e32 v3, v1, v3
	v_lshrrev_b32_e32 v3, s42, v3
	v_mul_lo_u32 v5, v3, s40
	v_mul_hi_u32 v6, s38, v3
	v_sub_u32_e32 v5, v1, v5
	v_add_u32_e32 v1, v3, v6
	v_lshrrev_b32_e32 v1, s39, v1
	v_mul_lo_u32 v8, v1, s43
	v_mul_lo_u32 v6, v5, s44
	;; [unrolled: 1-line block ×4, first 2 shown]
	v_sub_u32_e32 v3, v3, v8
	v_mul_lo_u32 v8, v3, s47
	v_mul_lo_u32 v9, v3, s48
	;; [unrolled: 1-line block ×3, first 2 shown]
	v_add3_u32 v0, v6, v0, v8
	v_add3_u32 v4, v7, v4, v9
	;; [unrolled: 1-line block ×3, first 2 shown]
	s_cbranch_scc0 .LBB189_44
; %bb.45:
	s_bitcmp1_b32 s37, 0
	s_cselect_b64 s[34:35], -1, 0
	s_and_b64 vcc, exec, s[34:35]
	s_cbranch_vccnz .LBB189_49
; %bb.46:
	s_load_dwordx2 s[34:35], s[28:29], 0x1c
	s_load_dword s37, s[28:29], 0x24
	s_load_dwordx2 s[38:39], s[28:29], 0xdc
	s_waitcnt lgkmcnt(0)
	v_mul_hi_u32 v3, s35, v1
	v_add_u32_e32 v3, v1, v3
	v_lshrrev_b32_e32 v3, s37, v3
	v_mul_lo_u32 v3, v3, s34
	s_load_dword s34, s[28:29], 0xe4
	v_sub_u32_e32 v3, v1, v3
	v_mad_u64_u32 v[0:1], s[28:29], v3, s38, v[0:1]
	v_mad_u64_u32 v[4:5], s[28:29], v3, s39, v[4:5]
	s_waitcnt lgkmcnt(0)
	v_mad_u64_u32 v[2:3], s[28:29], v3, s34, v[2:3]
	s_branch .LBB189_49
.LBB189_47:
                                        ; implicit-def: $vgpr0
                                        ; implicit-def: $vgpr4
                                        ; implicit-def: $vgpr2
	s_branch .LBB189_50
.LBB189_48:
	v_mov_b32_e32 v0, 0
	v_mov_b32_e32 v4, 0
	;; [unrolled: 1-line block ×3, first 2 shown]
.LBB189_49:
	s_cbranch_execnz .LBB189_52
.LBB189_50:
	s_waitcnt lgkmcnt(0)
	v_mul_hi_u32 v0, s13, v11
	s_andn2_b64 vcc, exec, s[26:27]
	v_add_u32_e32 v0, v11, v0
	v_lshrrev_b32_e32 v1, s14, v0
	v_mul_lo_u32 v0, v1, s12
	v_sub_u32_e32 v2, v11, v0
	v_mul_lo_u32 v0, v2, s8
	v_mul_lo_u32 v4, v2, s9
	;; [unrolled: 1-line block ×3, first 2 shown]
	s_cbranch_vccnz .LBB189_52
; %bb.51:
	v_mul_hi_u32 v3, s24, v1
	v_add_u32_e32 v3, v1, v3
	v_lshrrev_b32_e32 v3, s25, v3
	v_mul_lo_u32 v3, v3, s15
	v_sub_u32_e32 v3, v1, v3
	v_mad_u64_u32 v[0:1], s[8:9], v3, s11, v[0:1]
	v_mad_u64_u32 v[4:5], s[8:9], v3, s22, v[4:5]
	;; [unrolled: 1-line block ×3, first 2 shown]
.LBB189_52:
	s_waitcnt lgkmcnt(0)
	global_load_ushort v1, v2, s[4:5]
	global_load_dword v3, v4, s[2:3]
	v_mov_b32_e32 v2, s7
	s_waitcnt vmcnt(1)
	v_cvt_f32_f16_e32 v1, v1
	s_waitcnt vmcnt(0)
	v_cmp_nge_f32_e32 vcc, s6, v3
	v_cndmask_b32_e32 v1, v2, v1, vcc
	global_store_dword v0, v1, s[0:1]
.LBB189_53:
	s_or_b64 exec, exec, s[30:31]
                                        ; implicit-def: $vgpr21
                                        ; implicit-def: $vgpr11
.LBB189_54:
	s_waitcnt lgkmcnt(0)
	s_andn2_saveexec_b64 s[0:1], s[20:21]
	s_cbranch_execz .LBB189_61
; %bb.55:
	v_cndmask_b32_e64 v0, 0, 1, s[18:19]
	v_cmp_ne_u32_e64 s[0:1], 1, v0
	s_andn2_b64 vcc, exec, s[18:19]
	s_cbranch_vccnz .LBB189_62
; %bb.56:
	s_cmp_lg_u32 s33, 0
	s_cbranch_scc0 .LBB189_63
; %bb.57:
	s_min_u32 s4, s36, 15
	s_add_i32 s2, s4, 1
	s_and_b32 s5, s2, 30
	s_add_u32 s2, s16, 0xffffffe8
	s_addc_u32 s3, s17, -1
	v_mov_b32_e32 v2, 0
	v_mov_b32_e32 v4, 0
	;; [unrolled: 1-line block ×4, first 2 shown]
.LBB189_58:                             ; =>This Inner Loop Header: Depth=1
	s_load_dwordx4 s[8:11], s[2:3], 0x1c
	s_load_dwordx2 s[6:7], s[2:3], 0x2c
	s_load_dwordx2 s[18:19], s[2:3], 0xec
	s_load_dwordx4 s[12:15], s[2:3], 0xdc
	s_add_u32 s2, s2, 24
	s_waitcnt lgkmcnt(0)
	v_mul_hi_u32 v3, s9, v1
	s_addc_u32 s3, s3, 0
	s_add_i32 s5, s5, -2
	s_cmp_lg_u32 s5, 0
	v_add_u32_e32 v3, v1, v3
	v_lshrrev_b32_e32 v3, s10, v3
	v_mul_lo_u32 v5, v3, s8
	v_mul_hi_u32 v6, s6, v3
	v_sub_u32_e32 v5, v1, v5
	v_add_u32_e32 v1, v3, v6
	v_lshrrev_b32_e32 v1, s7, v1
	v_mul_lo_u32 v8, v1, s11
	v_mul_lo_u32 v6, v5, s12
	;; [unrolled: 1-line block ×4, first 2 shown]
	v_sub_u32_e32 v3, v3, v8
	v_mul_lo_u32 v8, v3, s15
	v_mul_lo_u32 v9, v3, s18
	;; [unrolled: 1-line block ×3, first 2 shown]
	v_add3_u32 v0, v6, v0, v8
	v_add3_u32 v4, v7, v4, v9
	;; [unrolled: 1-line block ×3, first 2 shown]
	s_cbranch_scc1 .LBB189_58
; %bb.59:
	s_bitcmp1_b32 s4, 0
	s_cselect_b64 s[4:5], -1, 0
	s_and_b64 vcc, exec, s[4:5]
	s_cbranch_vccnz .LBB189_64
; %bb.60:
	s_load_dwordx2 s[4:5], s[2:3], 0x1c
	s_load_dword s8, s[2:3], 0x24
	s_load_dwordx2 s[6:7], s[2:3], 0xdc
	s_waitcnt lgkmcnt(0)
	v_mul_hi_u32 v3, s5, v1
	v_add_u32_e32 v3, v1, v3
	v_lshrrev_b32_e32 v3, s8, v3
	v_mul_lo_u32 v3, v3, s4
	s_load_dword s4, s[2:3], 0xe4
	v_sub_u32_e32 v3, v1, v3
	v_mad_u64_u32 v[0:1], s[2:3], v3, s6, v[0:1]
	v_mad_u64_u32 v[4:5], s[2:3], v3, s7, v[4:5]
	s_waitcnt lgkmcnt(0)
	v_mad_u64_u32 v[2:3], s[2:3], v3, s4, v[2:3]
	s_cbranch_execz .LBB189_65
	s_branch .LBB189_67
.LBB189_61:
	s_endpgm
.LBB189_62:
                                        ; implicit-def: $vgpr0
                                        ; implicit-def: $vgpr4
                                        ; implicit-def: $vgpr2
	s_branch .LBB189_65
.LBB189_63:
	v_mov_b32_e32 v0, 0
	v_mov_b32_e32 v4, 0
	;; [unrolled: 1-line block ×3, first 2 shown]
.LBB189_64:
	s_cbranch_execnz .LBB189_67
.LBB189_65:
	s_load_dwordx4 s[4:7], s[16:17], 0x4
	s_load_dwordx4 s[8:11], s[16:17], 0xc4
	s_cmp_lt_u32 s33, 2
	s_waitcnt lgkmcnt(0)
	v_mul_hi_u32 v0, s5, v11
	v_add_u32_e32 v0, v11, v0
	v_lshrrev_b32_e32 v1, s6, v0
	v_mul_lo_u32 v0, v1, s4
	v_sub_u32_e32 v2, v11, v0
	v_mul_lo_u32 v0, v2, s8
	v_mul_lo_u32 v4, v2, s9
	;; [unrolled: 1-line block ×3, first 2 shown]
	s_cbranch_scc1 .LBB189_67
; %bb.66:
	s_load_dwordx4 s[4:7], s[16:17], 0x10
	s_load_dwordx4 s[8:11], s[16:17], 0xd0
	s_waitcnt lgkmcnt(0)
	v_mul_hi_u32 v3, s5, v1
	v_add_u32_e32 v3, v1, v3
	v_lshrrev_b32_e32 v3, s6, v3
	v_mul_lo_u32 v3, v3, s4
	v_sub_u32_e32 v3, v1, v3
	v_mad_u64_u32 v[0:1], s[2:3], v3, s8, v[0:1]
	v_mad_u64_u32 v[4:5], s[2:3], v3, s9, v[4:5]
	;; [unrolled: 1-line block ×3, first 2 shown]
.LBB189_67:
	s_and_b64 vcc, exec, s[0:1]
	v_add_u32_e32 v1, 0x80, v11
	s_cbranch_vccnz .LBB189_73
; %bb.68:
	s_cmp_lg_u32 s33, 0
	s_cbranch_scc0 .LBB189_74
; %bb.69:
	s_min_u32 s4, s36, 15
	s_add_i32 s2, s4, 1
	s_and_b32 s5, s2, 30
	s_add_u32 s2, s16, 0xffffffe8
	s_addc_u32 s3, s17, -1
	v_mov_b32_e32 v7, 0
	v_mov_b32_e32 v9, 0
	;; [unrolled: 1-line block ×4, first 2 shown]
.LBB189_70:                             ; =>This Inner Loop Header: Depth=1
	s_load_dwordx4 s[8:11], s[2:3], 0x1c
	s_load_dwordx2 s[6:7], s[2:3], 0x2c
	s_load_dwordx2 s[18:19], s[2:3], 0xec
	s_load_dwordx4 s[12:15], s[2:3], 0xdc
	s_add_u32 s2, s2, 24
	s_waitcnt lgkmcnt(0)
	v_mul_hi_u32 v6, s9, v3
	s_addc_u32 s3, s3, 0
	s_add_i32 s5, s5, -2
	s_cmp_lg_u32 s5, 0
	v_add_u32_e32 v6, v3, v6
	v_lshrrev_b32_e32 v6, s10, v6
	v_mul_lo_u32 v8, v6, s8
	v_mul_hi_u32 v10, s6, v6
	v_sub_u32_e32 v8, v3, v8
	v_add_u32_e32 v3, v6, v10
	v_lshrrev_b32_e32 v3, s7, v3
	v_mul_lo_u32 v13, v3, s11
	v_mul_lo_u32 v10, v8, s12
	v_mul_lo_u32 v12, v8, s13
	v_mul_lo_u32 v8, v8, s14
	v_sub_u32_e32 v6, v6, v13
	v_mul_lo_u32 v13, v6, s15
	v_mul_lo_u32 v14, v6, s18
	;; [unrolled: 1-line block ×3, first 2 shown]
	v_add3_u32 v5, v10, v5, v13
	v_add3_u32 v9, v12, v9, v14
	v_add3_u32 v7, v8, v7, v6
	s_cbranch_scc1 .LBB189_70
; %bb.71:
	s_bitcmp1_b32 s4, 0
	s_cselect_b64 s[4:5], -1, 0
	s_and_b64 vcc, exec, s[4:5]
	s_cbranch_vccnz .LBB189_75
; %bb.72:
	s_load_dwordx2 s[4:5], s[2:3], 0x1c
	s_load_dword s8, s[2:3], 0x24
	s_load_dwordx2 s[6:7], s[2:3], 0xdc
	s_waitcnt lgkmcnt(0)
	v_mul_hi_u32 v6, s5, v3
	v_add_u32_e32 v6, v3, v6
	v_lshrrev_b32_e32 v6, s8, v6
	v_mul_lo_u32 v6, v6, s4
	s_load_dword s4, s[2:3], 0xe4
	v_sub_u32_e32 v3, v3, v6
	v_mad_u64_u32 v[5:6], s[2:3], v3, s6, v[5:6]
	v_mad_u64_u32 v[9:10], s[2:3], v3, s7, v[9:10]
	s_waitcnt lgkmcnt(0)
	v_mad_u64_u32 v[7:8], s[2:3], v3, s4, v[7:8]
	s_cbranch_execz .LBB189_76
	s_branch .LBB189_78
.LBB189_73:
                                        ; implicit-def: $vgpr5
                                        ; implicit-def: $vgpr9
                                        ; implicit-def: $vgpr7
	s_branch .LBB189_76
.LBB189_74:
	v_mov_b32_e32 v5, 0
	v_mov_b32_e32 v9, 0
	;; [unrolled: 1-line block ×3, first 2 shown]
.LBB189_75:
	s_cbranch_execnz .LBB189_78
.LBB189_76:
	s_load_dwordx4 s[4:7], s[16:17], 0x4
	s_load_dwordx4 s[8:11], s[16:17], 0xc4
	s_cmp_lt_u32 s33, 2
	s_waitcnt lgkmcnt(0)
	v_mul_hi_u32 v3, s5, v1
	v_add_u32_e32 v3, v1, v3
	v_lshrrev_b32_e32 v3, s6, v3
	v_mul_lo_u32 v5, v3, s4
	v_sub_u32_e32 v1, v1, v5
	v_mul_lo_u32 v5, v1, s8
	v_mul_lo_u32 v9, v1, s9
	;; [unrolled: 1-line block ×3, first 2 shown]
	s_cbranch_scc1 .LBB189_78
; %bb.77:
	s_load_dwordx4 s[4:7], s[16:17], 0x10
	s_load_dwordx4 s[8:11], s[16:17], 0xd0
	s_waitcnt lgkmcnt(0)
	v_mul_hi_u32 v1, s5, v3
	v_add_u32_e32 v1, v3, v1
	v_lshrrev_b32_e32 v1, s6, v1
	v_mul_lo_u32 v1, v1, s4
	v_sub_u32_e32 v1, v3, v1
	v_mad_u64_u32 v[5:6], s[2:3], v1, s8, v[5:6]
	v_mad_u64_u32 v[9:10], s[2:3], v1, s9, v[9:10]
	;; [unrolled: 1-line block ×3, first 2 shown]
.LBB189_78:
	s_and_b64 vcc, exec, s[0:1]
	v_add_u32_e32 v1, 0x100, v11
	s_cbranch_vccnz .LBB189_84
; %bb.79:
	s_cmp_lg_u32 s33, 0
	s_cbranch_scc0 .LBB189_85
; %bb.80:
	s_min_u32 s4, s36, 15
	s_add_i32 s2, s4, 1
	s_and_b32 s5, s2, 30
	s_add_u32 s2, s16, 0xffffffe8
	s_addc_u32 s3, s17, -1
	v_mov_b32_e32 v14, 0
	v_mov_b32_e32 v12, 0
	;; [unrolled: 1-line block ×4, first 2 shown]
.LBB189_81:                             ; =>This Inner Loop Header: Depth=1
	s_load_dwordx4 s[8:11], s[2:3], 0x1c
	s_load_dwordx2 s[6:7], s[2:3], 0x2c
	s_load_dwordx2 s[18:19], s[2:3], 0xec
	s_load_dwordx4 s[12:15], s[2:3], 0xdc
	s_add_u32 s2, s2, 24
	s_waitcnt lgkmcnt(0)
	v_mul_hi_u32 v6, s9, v3
	s_addc_u32 s3, s3, 0
	s_add_i32 s5, s5, -2
	s_cmp_lg_u32 s5, 0
	v_add_u32_e32 v6, v3, v6
	v_lshrrev_b32_e32 v6, s10, v6
	v_mul_lo_u32 v8, v6, s8
	v_mul_hi_u32 v11, s6, v6
	v_sub_u32_e32 v8, v3, v8
	v_add_u32_e32 v3, v6, v11
	v_lshrrev_b32_e32 v3, s7, v3
	v_mul_lo_u32 v15, v3, s11
	v_mul_lo_u32 v11, v8, s12
	v_mul_lo_u32 v13, v8, s13
	v_mul_lo_u32 v8, v8, s14
	v_sub_u32_e32 v6, v6, v15
	v_mul_lo_u32 v15, v6, s15
	v_mul_lo_u32 v16, v6, s18
	;; [unrolled: 1-line block ×3, first 2 shown]
	v_add3_u32 v10, v11, v10, v15
	v_add3_u32 v12, v13, v12, v16
	;; [unrolled: 1-line block ×3, first 2 shown]
	s_cbranch_scc1 .LBB189_81
; %bb.82:
	s_bitcmp1_b32 s4, 0
	s_cselect_b64 s[4:5], -1, 0
	s_and_b64 vcc, exec, s[4:5]
	s_cbranch_vccnz .LBB189_86
; %bb.83:
	s_load_dwordx2 s[4:5], s[2:3], 0x1c
	s_load_dword s8, s[2:3], 0x24
	s_load_dwordx2 s[6:7], s[2:3], 0xdc
	s_waitcnt lgkmcnt(0)
	v_mul_hi_u32 v6, s5, v3
	v_add_u32_e32 v6, v3, v6
	v_lshrrev_b32_e32 v6, s8, v6
	v_mul_lo_u32 v6, v6, s4
	s_load_dword s4, s[2:3], 0xe4
	v_sub_u32_e32 v3, v3, v6
	v_mad_u64_u32 v[10:11], s[2:3], v3, s6, v[10:11]
	v_mad_u64_u32 v[12:13], s[2:3], v3, s7, v[12:13]
	s_waitcnt lgkmcnt(0)
	v_mad_u64_u32 v[14:15], s[2:3], v3, s4, v[14:15]
	s_cbranch_execz .LBB189_87
	s_branch .LBB189_89
.LBB189_84:
                                        ; implicit-def: $vgpr10
                                        ; implicit-def: $vgpr12
                                        ; implicit-def: $vgpr14
	s_branch .LBB189_87
.LBB189_85:
	v_mov_b32_e32 v10, 0
	v_mov_b32_e32 v12, 0
	;; [unrolled: 1-line block ×3, first 2 shown]
.LBB189_86:
	s_cbranch_execnz .LBB189_89
.LBB189_87:
	s_load_dwordx4 s[4:7], s[16:17], 0x4
	s_load_dwordx4 s[8:11], s[16:17], 0xc4
	s_cmp_lt_u32 s33, 2
	s_waitcnt lgkmcnt(0)
	v_mul_hi_u32 v3, s5, v1
	v_add_u32_e32 v3, v1, v3
	v_lshrrev_b32_e32 v3, s6, v3
	v_mul_lo_u32 v6, v3, s4
	v_sub_u32_e32 v1, v1, v6
	v_mul_lo_u32 v10, v1, s8
	v_mul_lo_u32 v12, v1, s9
	;; [unrolled: 1-line block ×3, first 2 shown]
	s_cbranch_scc1 .LBB189_89
; %bb.88:
	s_load_dwordx4 s[4:7], s[16:17], 0x10
	s_load_dwordx4 s[8:11], s[16:17], 0xd0
	s_waitcnt lgkmcnt(0)
	v_mul_hi_u32 v1, s5, v3
	v_add_u32_e32 v1, v3, v1
	v_lshrrev_b32_e32 v1, s6, v1
	v_mul_lo_u32 v1, v1, s4
	v_sub_u32_e32 v1, v3, v1
	v_mad_u64_u32 v[10:11], s[2:3], v1, s8, v[10:11]
	v_mad_u64_u32 v[12:13], s[2:3], v1, s9, v[12:13]
	;; [unrolled: 1-line block ×3, first 2 shown]
.LBB189_89:
	s_and_b64 vcc, exec, s[0:1]
	s_cbranch_vccnz .LBB189_95
; %bb.90:
	s_cmp_lg_u32 s33, 0
	s_cbranch_scc0 .LBB189_96
; %bb.91:
	s_min_u32 s2, s36, 15
	s_add_i32 s0, s2, 1
	s_and_b32 s3, s0, 30
	s_add_u32 s0, s16, 0xffffffe8
	s_addc_u32 s1, s17, -1
	v_mov_b32_e32 v17, 0
	v_mov_b32_e32 v19, 0
	;; [unrolled: 1-line block ×4, first 2 shown]
.LBB189_92:                             ; =>This Inner Loop Header: Depth=1
	s_load_dwordx4 s[4:7], s[0:1], 0x1c
	s_load_dwordx2 s[12:13], s[0:1], 0x2c
	s_load_dwordx2 s[14:15], s[0:1], 0xec
	s_load_dwordx4 s[8:11], s[0:1], 0xdc
	s_add_u32 s0, s0, 24
	s_waitcnt lgkmcnt(0)
	v_mul_hi_u32 v3, s5, v1
	s_addc_u32 s1, s1, 0
	s_add_i32 s3, s3, -2
	s_cmp_lg_u32 s3, 0
	v_add_u32_e32 v3, v1, v3
	v_lshrrev_b32_e32 v3, s6, v3
	v_mul_lo_u32 v6, v3, s4
	v_mul_hi_u32 v8, s12, v3
	v_sub_u32_e32 v6, v1, v6
	v_add_u32_e32 v1, v3, v8
	v_lshrrev_b32_e32 v1, s13, v1
	v_mul_lo_u32 v13, v1, s7
	v_mul_lo_u32 v8, v6, s8
	v_mul_lo_u32 v11, v6, s9
	v_mul_lo_u32 v6, v6, s10
	v_sub_u32_e32 v3, v3, v13
	v_mul_lo_u32 v13, v3, s11
	v_mul_lo_u32 v16, v3, s14
	;; [unrolled: 1-line block ×3, first 2 shown]
	v_add3_u32 v15, v8, v15, v13
	v_add3_u32 v19, v11, v19, v16
	v_add3_u32 v17, v6, v17, v3
	s_cbranch_scc1 .LBB189_92
; %bb.93:
	s_bitcmp1_b32 s2, 0
	s_cselect_b64 s[2:3], -1, 0
	s_and_b64 vcc, exec, s[2:3]
	s_cbranch_vccnz .LBB189_97
; %bb.94:
	s_load_dwordx2 s[2:3], s[0:1], 0x1c
	s_load_dword s6, s[0:1], 0x24
	s_load_dwordx2 s[4:5], s[0:1], 0xdc
	s_waitcnt lgkmcnt(0)
	v_mul_hi_u32 v3, s3, v1
	v_add_u32_e32 v3, v1, v3
	v_lshrrev_b32_e32 v3, s6, v3
	v_mul_lo_u32 v3, v3, s2
	s_load_dword s2, s[0:1], 0xe4
	v_sub_u32_e32 v1, v1, v3
	v_mad_u64_u32 v[15:16], s[0:1], v1, s4, v[15:16]
	v_mad_u64_u32 v[19:20], s[0:1], v1, s5, v[19:20]
	s_waitcnt lgkmcnt(0)
	v_mad_u64_u32 v[17:18], s[0:1], v1, s2, v[17:18]
	s_cbranch_execz .LBB189_98
	s_branch .LBB189_100
.LBB189_95:
                                        ; implicit-def: $vgpr15
                                        ; implicit-def: $vgpr19
                                        ; implicit-def: $vgpr17
	s_branch .LBB189_98
.LBB189_96:
	v_mov_b32_e32 v15, 0
	v_mov_b32_e32 v19, 0
	;; [unrolled: 1-line block ×3, first 2 shown]
.LBB189_97:
	s_cbranch_execnz .LBB189_100
.LBB189_98:
	s_load_dwordx4 s[0:3], s[16:17], 0x4
	s_load_dwordx4 s[4:7], s[16:17], 0xc4
	s_cmp_lt_u32 s33, 2
	s_waitcnt lgkmcnt(0)
	v_mul_hi_u32 v1, s1, v21
	v_add_u32_e32 v1, v21, v1
	v_lshrrev_b32_e32 v1, s2, v1
	v_mul_lo_u32 v3, v1, s0
	v_sub_u32_e32 v3, v21, v3
	v_mul_lo_u32 v15, v3, s4
	v_mul_lo_u32 v19, v3, s5
	;; [unrolled: 1-line block ×3, first 2 shown]
	s_cbranch_scc1 .LBB189_100
; %bb.99:
	s_load_dwordx4 s[0:3], s[16:17], 0x10
	s_load_dwordx4 s[4:7], s[16:17], 0xd0
	s_waitcnt lgkmcnt(0)
	v_mul_hi_u32 v3, s1, v1
	v_add_u32_e32 v3, v1, v3
	v_lshrrev_b32_e32 v3, s2, v3
	v_mul_lo_u32 v3, v3, s0
	v_sub_u32_e32 v1, v1, v3
	v_mad_u64_u32 v[15:16], s[0:1], v1, s4, v[15:16]
	v_mad_u64_u32 v[19:20], s[0:1], v1, s5, v[19:20]
	;; [unrolled: 1-line block ×3, first 2 shown]
.LBB189_100:
	s_load_dwordx8 s[0:7], s[16:17], 0x188
	s_waitcnt lgkmcnt(0)
	global_load_ushort v1, v2, s[4:5]
	global_load_ushort v3, v7, s[4:5]
	;; [unrolled: 1-line block ×4, first 2 shown]
	global_load_dword v11, v4, s[2:3]
	global_load_dword v13, v9, s[2:3]
	;; [unrolled: 1-line block ×4, first 2 shown]
	v_mov_b32_e32 v2, s7
	s_waitcnt vmcnt(7)
	v_cvt_f32_f16_e32 v1, v1
	s_waitcnt vmcnt(6)
	v_cvt_f32_f16_e32 v3, v3
	;; [unrolled: 2-line block ×4, first 2 shown]
	s_waitcnt vmcnt(3)
	v_cmp_nge_f32_e32 vcc, s6, v11
	v_cndmask_b32_e32 v1, v2, v1, vcc
	s_waitcnt vmcnt(2)
	v_cmp_nge_f32_e32 vcc, s6, v13
	v_cndmask_b32_e32 v3, v2, v3, vcc
	;; [unrolled: 3-line block ×4, first 2 shown]
	global_store_dword v0, v1, s[0:1]
	global_store_dword v5, v3, s[0:1]
	;; [unrolled: 1-line block ×4, first 2 shown]
	s_endpgm
	.section	.rodata,"a",@progbits
	.p2align	6, 0x0
	.amdhsa_kernel _ZN2at6native32elementwise_kernel_manual_unrollILi128ELi4EZNS0_12_GLOBAL__N_142type_specialized_broadcast_kernel_launcherILi3EE5applyINS0_13BinaryFunctorIfffZNS2_21threshold_kernel_implIfEEvRNS_18TensorIteratorBaseET_SA_EUlffE_EESt5arrayIPcLm3EESD_IN3c1010ScalarTypeELm3EE16OffsetCalculatorILi3EjLb0EEEEvlSA_T0_T1_T2_EUlibE_EEviSM_
		.amdhsa_group_segment_fixed_size 0
		.amdhsa_private_segment_fixed_size 0
		.amdhsa_kernarg_size 432
		.amdhsa_user_sgpr_count 6
		.amdhsa_user_sgpr_private_segment_buffer 1
		.amdhsa_user_sgpr_dispatch_ptr 0
		.amdhsa_user_sgpr_queue_ptr 0
		.amdhsa_user_sgpr_kernarg_segment_ptr 1
		.amdhsa_user_sgpr_dispatch_id 0
		.amdhsa_user_sgpr_flat_scratch_init 0
		.amdhsa_user_sgpr_private_segment_size 0
		.amdhsa_uses_dynamic_stack 0
		.amdhsa_system_sgpr_private_segment_wavefront_offset 0
		.amdhsa_system_sgpr_workgroup_id_x 1
		.amdhsa_system_sgpr_workgroup_id_y 0
		.amdhsa_system_sgpr_workgroup_id_z 0
		.amdhsa_system_sgpr_workgroup_info 0
		.amdhsa_system_vgpr_workitem_id 0
		.amdhsa_next_free_vgpr 22
		.amdhsa_next_free_sgpr 52
		.amdhsa_reserve_vcc 1
		.amdhsa_reserve_flat_scratch 0
		.amdhsa_float_round_mode_32 0
		.amdhsa_float_round_mode_16_64 0
		.amdhsa_float_denorm_mode_32 3
		.amdhsa_float_denorm_mode_16_64 3
		.amdhsa_dx10_clamp 1
		.amdhsa_ieee_mode 1
		.amdhsa_fp16_overflow 0
		.amdhsa_exception_fp_ieee_invalid_op 0
		.amdhsa_exception_fp_denorm_src 0
		.amdhsa_exception_fp_ieee_div_zero 0
		.amdhsa_exception_fp_ieee_overflow 0
		.amdhsa_exception_fp_ieee_underflow 0
		.amdhsa_exception_fp_ieee_inexact 0
		.amdhsa_exception_int_div_zero 0
	.end_amdhsa_kernel
	.section	.text._ZN2at6native32elementwise_kernel_manual_unrollILi128ELi4EZNS0_12_GLOBAL__N_142type_specialized_broadcast_kernel_launcherILi3EE5applyINS0_13BinaryFunctorIfffZNS2_21threshold_kernel_implIfEEvRNS_18TensorIteratorBaseET_SA_EUlffE_EESt5arrayIPcLm3EESD_IN3c1010ScalarTypeELm3EE16OffsetCalculatorILi3EjLb0EEEEvlSA_T0_T1_T2_EUlibE_EEviSM_,"axG",@progbits,_ZN2at6native32elementwise_kernel_manual_unrollILi128ELi4EZNS0_12_GLOBAL__N_142type_specialized_broadcast_kernel_launcherILi3EE5applyINS0_13BinaryFunctorIfffZNS2_21threshold_kernel_implIfEEvRNS_18TensorIteratorBaseET_SA_EUlffE_EESt5arrayIPcLm3EESD_IN3c1010ScalarTypeELm3EE16OffsetCalculatorILi3EjLb0EEEEvlSA_T0_T1_T2_EUlibE_EEviSM_,comdat
.Lfunc_end189:
	.size	_ZN2at6native32elementwise_kernel_manual_unrollILi128ELi4EZNS0_12_GLOBAL__N_142type_specialized_broadcast_kernel_launcherILi3EE5applyINS0_13BinaryFunctorIfffZNS2_21threshold_kernel_implIfEEvRNS_18TensorIteratorBaseET_SA_EUlffE_EESt5arrayIPcLm3EESD_IN3c1010ScalarTypeELm3EE16OffsetCalculatorILi3EjLb0EEEEvlSA_T0_T1_T2_EUlibE_EEviSM_, .Lfunc_end189-_ZN2at6native32elementwise_kernel_manual_unrollILi128ELi4EZNS0_12_GLOBAL__N_142type_specialized_broadcast_kernel_launcherILi3EE5applyINS0_13BinaryFunctorIfffZNS2_21threshold_kernel_implIfEEvRNS_18TensorIteratorBaseET_SA_EUlffE_EESt5arrayIPcLm3EESD_IN3c1010ScalarTypeELm3EE16OffsetCalculatorILi3EjLb0EEEEvlSA_T0_T1_T2_EUlibE_EEviSM_
                                        ; -- End function
	.set _ZN2at6native32elementwise_kernel_manual_unrollILi128ELi4EZNS0_12_GLOBAL__N_142type_specialized_broadcast_kernel_launcherILi3EE5applyINS0_13BinaryFunctorIfffZNS2_21threshold_kernel_implIfEEvRNS_18TensorIteratorBaseET_SA_EUlffE_EESt5arrayIPcLm3EESD_IN3c1010ScalarTypeELm3EE16OffsetCalculatorILi3EjLb0EEEEvlSA_T0_T1_T2_EUlibE_EEviSM_.num_vgpr, 22
	.set _ZN2at6native32elementwise_kernel_manual_unrollILi128ELi4EZNS0_12_GLOBAL__N_142type_specialized_broadcast_kernel_launcherILi3EE5applyINS0_13BinaryFunctorIfffZNS2_21threshold_kernel_implIfEEvRNS_18TensorIteratorBaseET_SA_EUlffE_EESt5arrayIPcLm3EESD_IN3c1010ScalarTypeELm3EE16OffsetCalculatorILi3EjLb0EEEEvlSA_T0_T1_T2_EUlibE_EEviSM_.num_agpr, 0
	.set _ZN2at6native32elementwise_kernel_manual_unrollILi128ELi4EZNS0_12_GLOBAL__N_142type_specialized_broadcast_kernel_launcherILi3EE5applyINS0_13BinaryFunctorIfffZNS2_21threshold_kernel_implIfEEvRNS_18TensorIteratorBaseET_SA_EUlffE_EESt5arrayIPcLm3EESD_IN3c1010ScalarTypeELm3EE16OffsetCalculatorILi3EjLb0EEEEvlSA_T0_T1_T2_EUlibE_EEviSM_.numbered_sgpr, 52
	.set _ZN2at6native32elementwise_kernel_manual_unrollILi128ELi4EZNS0_12_GLOBAL__N_142type_specialized_broadcast_kernel_launcherILi3EE5applyINS0_13BinaryFunctorIfffZNS2_21threshold_kernel_implIfEEvRNS_18TensorIteratorBaseET_SA_EUlffE_EESt5arrayIPcLm3EESD_IN3c1010ScalarTypeELm3EE16OffsetCalculatorILi3EjLb0EEEEvlSA_T0_T1_T2_EUlibE_EEviSM_.num_named_barrier, 0
	.set _ZN2at6native32elementwise_kernel_manual_unrollILi128ELi4EZNS0_12_GLOBAL__N_142type_specialized_broadcast_kernel_launcherILi3EE5applyINS0_13BinaryFunctorIfffZNS2_21threshold_kernel_implIfEEvRNS_18TensorIteratorBaseET_SA_EUlffE_EESt5arrayIPcLm3EESD_IN3c1010ScalarTypeELm3EE16OffsetCalculatorILi3EjLb0EEEEvlSA_T0_T1_T2_EUlibE_EEviSM_.private_seg_size, 0
	.set _ZN2at6native32elementwise_kernel_manual_unrollILi128ELi4EZNS0_12_GLOBAL__N_142type_specialized_broadcast_kernel_launcherILi3EE5applyINS0_13BinaryFunctorIfffZNS2_21threshold_kernel_implIfEEvRNS_18TensorIteratorBaseET_SA_EUlffE_EESt5arrayIPcLm3EESD_IN3c1010ScalarTypeELm3EE16OffsetCalculatorILi3EjLb0EEEEvlSA_T0_T1_T2_EUlibE_EEviSM_.uses_vcc, 1
	.set _ZN2at6native32elementwise_kernel_manual_unrollILi128ELi4EZNS0_12_GLOBAL__N_142type_specialized_broadcast_kernel_launcherILi3EE5applyINS0_13BinaryFunctorIfffZNS2_21threshold_kernel_implIfEEvRNS_18TensorIteratorBaseET_SA_EUlffE_EESt5arrayIPcLm3EESD_IN3c1010ScalarTypeELm3EE16OffsetCalculatorILi3EjLb0EEEEvlSA_T0_T1_T2_EUlibE_EEviSM_.uses_flat_scratch, 0
	.set _ZN2at6native32elementwise_kernel_manual_unrollILi128ELi4EZNS0_12_GLOBAL__N_142type_specialized_broadcast_kernel_launcherILi3EE5applyINS0_13BinaryFunctorIfffZNS2_21threshold_kernel_implIfEEvRNS_18TensorIteratorBaseET_SA_EUlffE_EESt5arrayIPcLm3EESD_IN3c1010ScalarTypeELm3EE16OffsetCalculatorILi3EjLb0EEEEvlSA_T0_T1_T2_EUlibE_EEviSM_.has_dyn_sized_stack, 0
	.set _ZN2at6native32elementwise_kernel_manual_unrollILi128ELi4EZNS0_12_GLOBAL__N_142type_specialized_broadcast_kernel_launcherILi3EE5applyINS0_13BinaryFunctorIfffZNS2_21threshold_kernel_implIfEEvRNS_18TensorIteratorBaseET_SA_EUlffE_EESt5arrayIPcLm3EESD_IN3c1010ScalarTypeELm3EE16OffsetCalculatorILi3EjLb0EEEEvlSA_T0_T1_T2_EUlibE_EEviSM_.has_recursion, 0
	.set _ZN2at6native32elementwise_kernel_manual_unrollILi128ELi4EZNS0_12_GLOBAL__N_142type_specialized_broadcast_kernel_launcherILi3EE5applyINS0_13BinaryFunctorIfffZNS2_21threshold_kernel_implIfEEvRNS_18TensorIteratorBaseET_SA_EUlffE_EESt5arrayIPcLm3EESD_IN3c1010ScalarTypeELm3EE16OffsetCalculatorILi3EjLb0EEEEvlSA_T0_T1_T2_EUlibE_EEviSM_.has_indirect_call, 0
	.section	.AMDGPU.csdata,"",@progbits
; Kernel info:
; codeLenInByte = 4776
; TotalNumSgprs: 56
; NumVgprs: 22
; ScratchSize: 0
; MemoryBound: 0
; FloatMode: 240
; IeeeMode: 1
; LDSByteSize: 0 bytes/workgroup (compile time only)
; SGPRBlocks: 6
; VGPRBlocks: 5
; NumSGPRsForWavesPerEU: 56
; NumVGPRsForWavesPerEU: 22
; Occupancy: 10
; WaveLimiterHint : 1
; COMPUTE_PGM_RSRC2:SCRATCH_EN: 0
; COMPUTE_PGM_RSRC2:USER_SGPR: 6
; COMPUTE_PGM_RSRC2:TRAP_HANDLER: 0
; COMPUTE_PGM_RSRC2:TGID_X_EN: 1
; COMPUTE_PGM_RSRC2:TGID_Y_EN: 0
; COMPUTE_PGM_RSRC2:TGID_Z_EN: 0
; COMPUTE_PGM_RSRC2:TIDIG_COMP_CNT: 0
	.section	.text._ZN2at6native32elementwise_kernel_manual_unrollILi128ELi4EZNS0_12_GLOBAL__N_142type_specialized_broadcast_kernel_launcherILi4EE5applyINS0_13BinaryFunctorIfffZNS2_21threshold_kernel_implIfEEvRNS_18TensorIteratorBaseET_SA_EUlffE_EESt5arrayIPcLm3EESD_IN3c1010ScalarTypeELm3EE16OffsetCalculatorILi3EjLb0EEEEvlSA_T0_T1_T2_EUlibE_EEviSM_,"axG",@progbits,_ZN2at6native32elementwise_kernel_manual_unrollILi128ELi4EZNS0_12_GLOBAL__N_142type_specialized_broadcast_kernel_launcherILi4EE5applyINS0_13BinaryFunctorIfffZNS2_21threshold_kernel_implIfEEvRNS_18TensorIteratorBaseET_SA_EUlffE_EESt5arrayIPcLm3EESD_IN3c1010ScalarTypeELm3EE16OffsetCalculatorILi3EjLb0EEEEvlSA_T0_T1_T2_EUlibE_EEviSM_,comdat
	.globl	_ZN2at6native32elementwise_kernel_manual_unrollILi128ELi4EZNS0_12_GLOBAL__N_142type_specialized_broadcast_kernel_launcherILi4EE5applyINS0_13BinaryFunctorIfffZNS2_21threshold_kernel_implIfEEvRNS_18TensorIteratorBaseET_SA_EUlffE_EESt5arrayIPcLm3EESD_IN3c1010ScalarTypeELm3EE16OffsetCalculatorILi3EjLb0EEEEvlSA_T0_T1_T2_EUlibE_EEviSM_ ; -- Begin function _ZN2at6native32elementwise_kernel_manual_unrollILi128ELi4EZNS0_12_GLOBAL__N_142type_specialized_broadcast_kernel_launcherILi4EE5applyINS0_13BinaryFunctorIfffZNS2_21threshold_kernel_implIfEEvRNS_18TensorIteratorBaseET_SA_EUlffE_EESt5arrayIPcLm3EESD_IN3c1010ScalarTypeELm3EE16OffsetCalculatorILi3EjLb0EEEEvlSA_T0_T1_T2_EUlibE_EEviSM_
	.p2align	8
	.type	_ZN2at6native32elementwise_kernel_manual_unrollILi128ELi4EZNS0_12_GLOBAL__N_142type_specialized_broadcast_kernel_launcherILi4EE5applyINS0_13BinaryFunctorIfffZNS2_21threshold_kernel_implIfEEvRNS_18TensorIteratorBaseET_SA_EUlffE_EESt5arrayIPcLm3EESD_IN3c1010ScalarTypeELm3EE16OffsetCalculatorILi3EjLb0EEEEvlSA_T0_T1_T2_EUlibE_EEviSM_,@function
_ZN2at6native32elementwise_kernel_manual_unrollILi128ELi4EZNS0_12_GLOBAL__N_142type_specialized_broadcast_kernel_launcherILi4EE5applyINS0_13BinaryFunctorIfffZNS2_21threshold_kernel_implIfEEvRNS_18TensorIteratorBaseET_SA_EUlffE_EESt5arrayIPcLm3EESD_IN3c1010ScalarTypeELm3EE16OffsetCalculatorILi3EjLb0EEEEvlSA_T0_T1_T2_EUlibE_EEviSM_: ; @_ZN2at6native32elementwise_kernel_manual_unrollILi128ELi4EZNS0_12_GLOBAL__N_142type_specialized_broadcast_kernel_launcherILi4EE5applyINS0_13BinaryFunctorIfffZNS2_21threshold_kernel_implIfEEvRNS_18TensorIteratorBaseET_SA_EUlffE_EESt5arrayIPcLm3EESD_IN3c1010ScalarTypeELm3EE16OffsetCalculatorILi3EjLb0EEEEvlSA_T0_T1_T2_EUlibE_EEviSM_
; %bb.0:
	s_load_dword s38, s[4:5], 0x0
	s_load_dword s33, s[4:5], 0x8
	s_add_u32 s16, s4, 8
	s_addc_u32 s17, s5, 0
	v_lshl_or_b32 v11, s6, 9, v0
	v_or_b32_e32 v21, 0x180, v11
	s_waitcnt lgkmcnt(0)
	s_add_i32 s36, s33, -1
	s_cmp_gt_u32 s36, 1
	v_cmp_le_i32_e32 vcc, s38, v21
	s_cselect_b64 s[18:19], -1, 0
	s_and_saveexec_b64 s[0:1], vcc
	s_xor_b64 s[20:21], exec, s[0:1]
	s_cbranch_execz .LBB190_54
; %bb.1:
	s_load_dwordx4 s[12:15], s[16:17], 0x4
	s_load_dwordx2 s[24:25], s[16:17], 0x14
	s_load_dwordx4 s[8:11], s[16:17], 0xc4
	s_load_dwordx2 s[22:23], s[16:17], 0xd4
	s_load_dwordx8 s[0:7], s[16:17], 0x188
	s_cmp_lg_u32 s33, 0
	s_cselect_b64 s[28:29], -1, 0
	s_min_u32 s37, s36, 15
	s_cmp_gt_u32 s33, 1
	s_cselect_b64 s[26:27], -1, 0
	v_cmp_gt_i32_e32 vcc, s38, v11
	s_and_saveexec_b64 s[30:31], vcc
	s_cbranch_execnz .LBB190_5
; %bb.2:
	s_or_b64 exec, exec, s[30:31]
	v_cmp_gt_i32_e32 vcc, s38, v11
	s_and_saveexec_b64 s[30:31], vcc
	s_cbranch_execnz .LBB190_17
.LBB190_3:
	s_or_b64 exec, exec, s[30:31]
	v_cmp_gt_i32_e32 vcc, s38, v11
	s_and_saveexec_b64 s[30:31], vcc
	s_cbranch_execnz .LBB190_29
.LBB190_4:
	s_or_b64 exec, exec, s[30:31]
	v_cmp_gt_i32_e32 vcc, s38, v11
	s_and_saveexec_b64 s[30:31], vcc
	s_cbranch_execnz .LBB190_41
	s_branch .LBB190_53
.LBB190_5:
	s_andn2_b64 vcc, exec, s[18:19]
	s_cbranch_vccnz .LBB190_11
; %bb.6:
	s_andn2_b64 vcc, exec, s[28:29]
	s_cbranch_vccnz .LBB190_12
; %bb.7:
	s_add_i32 s34, s37, 1
	s_and_b32 s39, s34, 30
	s_add_u32 s34, s16, 0xffffffe8
	s_addc_u32 s35, s17, -1
	v_mov_b32_e32 v2, 0
	v_mov_b32_e32 v4, 0
	;; [unrolled: 1-line block ×4, first 2 shown]
.LBB190_8:                              ; =>This Inner Loop Header: Depth=1
	s_load_dwordx4 s[40:43], s[34:35], 0x1c
	s_load_dwordx2 s[48:49], s[34:35], 0x2c
	s_load_dwordx2 s[50:51], s[34:35], 0xec
	s_load_dwordx4 s[44:47], s[34:35], 0xdc
	s_add_u32 s34, s34, 24
	s_waitcnt lgkmcnt(0)
	v_mul_hi_u32 v3, s41, v1
	s_addc_u32 s35, s35, 0
	s_add_i32 s39, s39, -2
	s_cmp_lg_u32 s39, 0
	v_add_u32_e32 v3, v1, v3
	v_lshrrev_b32_e32 v3, s42, v3
	v_mul_lo_u32 v5, v3, s40
	v_mul_hi_u32 v6, s48, v3
	v_sub_u32_e32 v5, v1, v5
	v_add_u32_e32 v1, v3, v6
	v_lshrrev_b32_e32 v1, s49, v1
	v_mul_lo_u32 v8, v1, s43
	v_mul_lo_u32 v6, v5, s44
	v_mul_lo_u32 v7, v5, s45
	v_mul_lo_u32 v5, v5, s46
	v_sub_u32_e32 v3, v3, v8
	v_mul_lo_u32 v8, v3, s47
	v_mul_lo_u32 v9, v3, s50
	;; [unrolled: 1-line block ×3, first 2 shown]
	v_add3_u32 v0, v6, v0, v8
	v_add3_u32 v4, v7, v4, v9
	v_add3_u32 v2, v5, v2, v3
	s_cbranch_scc1 .LBB190_8
; %bb.9:
	s_bitcmp1_b32 s37, 0
	s_cselect_b64 s[40:41], -1, 0
	s_and_b64 vcc, exec, s[40:41]
	s_cbranch_vccnz .LBB190_13
; %bb.10:
	s_load_dwordx2 s[40:41], s[34:35], 0x1c
	s_load_dword s39, s[34:35], 0x24
	s_load_dwordx2 s[42:43], s[34:35], 0xdc
	s_waitcnt lgkmcnt(0)
	v_mul_hi_u32 v3, s41, v1
	v_add_u32_e32 v3, v1, v3
	v_lshrrev_b32_e32 v3, s39, v3
	v_mul_lo_u32 v3, v3, s40
	s_load_dword s39, s[34:35], 0xe4
	v_sub_u32_e32 v3, v1, v3
	v_mad_u64_u32 v[0:1], s[34:35], v3, s42, v[0:1]
	v_mad_u64_u32 v[4:5], s[34:35], v3, s43, v[4:5]
	s_waitcnt lgkmcnt(0)
	v_mad_u64_u32 v[2:3], s[34:35], v3, s39, v[2:3]
	s_cbranch_execz .LBB190_14
	s_branch .LBB190_16
.LBB190_11:
                                        ; implicit-def: $vgpr0
                                        ; implicit-def: $vgpr4
                                        ; implicit-def: $vgpr2
	s_branch .LBB190_14
.LBB190_12:
	v_mov_b32_e32 v0, 0
	v_mov_b32_e32 v4, 0
	;; [unrolled: 1-line block ×3, first 2 shown]
.LBB190_13:
	s_cbranch_execnz .LBB190_16
.LBB190_14:
	s_waitcnt lgkmcnt(0)
	v_mul_hi_u32 v0, s13, v11
	s_andn2_b64 vcc, exec, s[26:27]
	v_add_u32_e32 v0, v11, v0
	v_lshrrev_b32_e32 v1, s14, v0
	v_mul_lo_u32 v0, v1, s12
	v_sub_u32_e32 v2, v11, v0
	v_mul_lo_u32 v0, v2, s8
	v_mul_lo_u32 v4, v2, s9
	;; [unrolled: 1-line block ×3, first 2 shown]
	s_cbranch_vccnz .LBB190_16
; %bb.15:
	v_mul_hi_u32 v3, s24, v1
	v_add_u32_e32 v3, v1, v3
	v_lshrrev_b32_e32 v3, s25, v3
	v_mul_lo_u32 v3, v3, s15
	v_sub_u32_e32 v3, v1, v3
	v_mad_u64_u32 v[0:1], s[34:35], v3, s11, v[0:1]
	v_mad_u64_u32 v[4:5], s[34:35], v3, s22, v[4:5]
	v_mad_u64_u32 v[2:3], s[34:35], v3, s23, v[2:3]
.LBB190_16:
	s_waitcnt lgkmcnt(0)
	global_load_ushort v1, v4, s[2:3]
	global_load_dword v3, v2, s[4:5]
	v_mov_b32_e32 v2, s7
	v_add_u32_e32 v11, 0x80, v11
	s_waitcnt vmcnt(1)
	v_cvt_f32_f16_e32 v1, v1
	v_cmp_nge_f32_e32 vcc, s6, v1
	s_waitcnt vmcnt(0)
	v_cndmask_b32_e32 v1, v2, v3, vcc
	global_store_dword v0, v1, s[0:1]
	s_or_b64 exec, exec, s[30:31]
	v_cmp_gt_i32_e32 vcc, s38, v11
	s_and_saveexec_b64 s[30:31], vcc
	s_cbranch_execz .LBB190_3
.LBB190_17:
	s_andn2_b64 vcc, exec, s[18:19]
	s_cbranch_vccnz .LBB190_23
; %bb.18:
	s_andn2_b64 vcc, exec, s[28:29]
	s_cbranch_vccnz .LBB190_24
; %bb.19:
	s_add_i32 s34, s37, 1
	s_and_b32 s39, s34, 30
	s_add_u32 s34, s16, 0xffffffe8
	s_addc_u32 s35, s17, -1
	v_mov_b32_e32 v2, 0
	v_mov_b32_e32 v4, 0
	v_mov_b32_e32 v0, 0
	v_mov_b32_e32 v1, v11
.LBB190_20:                             ; =>This Inner Loop Header: Depth=1
	s_load_dwordx4 s[40:43], s[34:35], 0x1c
	s_load_dwordx2 s[48:49], s[34:35], 0x2c
	s_load_dwordx2 s[50:51], s[34:35], 0xec
	s_load_dwordx4 s[44:47], s[34:35], 0xdc
	s_add_u32 s34, s34, 24
	s_waitcnt lgkmcnt(0)
	v_mul_hi_u32 v3, s41, v1
	s_addc_u32 s35, s35, 0
	s_add_i32 s39, s39, -2
	s_cmp_eq_u32 s39, 0
	v_add_u32_e32 v3, v1, v3
	v_lshrrev_b32_e32 v3, s42, v3
	v_mul_lo_u32 v5, v3, s40
	v_mul_hi_u32 v6, s48, v3
	v_sub_u32_e32 v5, v1, v5
	v_add_u32_e32 v1, v3, v6
	v_lshrrev_b32_e32 v1, s49, v1
	v_mul_lo_u32 v8, v1, s43
	v_mul_lo_u32 v6, v5, s44
	;; [unrolled: 1-line block ×4, first 2 shown]
	v_sub_u32_e32 v3, v3, v8
	v_mul_lo_u32 v8, v3, s47
	v_mul_lo_u32 v9, v3, s50
	;; [unrolled: 1-line block ×3, first 2 shown]
	v_add3_u32 v0, v6, v0, v8
	v_add3_u32 v4, v7, v4, v9
	;; [unrolled: 1-line block ×3, first 2 shown]
	s_cbranch_scc0 .LBB190_20
; %bb.21:
	s_bitcmp1_b32 s37, 0
	s_cselect_b64 s[40:41], -1, 0
	s_and_b64 vcc, exec, s[40:41]
	s_cbranch_vccnz .LBB190_25
; %bb.22:
	s_load_dwordx2 s[40:41], s[34:35], 0x1c
	s_load_dword s39, s[34:35], 0x24
	s_load_dwordx2 s[42:43], s[34:35], 0xdc
	s_waitcnt lgkmcnt(0)
	v_mul_hi_u32 v3, s41, v1
	v_add_u32_e32 v3, v1, v3
	v_lshrrev_b32_e32 v3, s39, v3
	v_mul_lo_u32 v3, v3, s40
	s_load_dword s39, s[34:35], 0xe4
	v_sub_u32_e32 v3, v1, v3
	v_mad_u64_u32 v[0:1], s[34:35], v3, s42, v[0:1]
	v_mad_u64_u32 v[4:5], s[34:35], v3, s43, v[4:5]
	s_waitcnt lgkmcnt(0)
	v_mad_u64_u32 v[2:3], s[34:35], v3, s39, v[2:3]
	s_branch .LBB190_25
.LBB190_23:
                                        ; implicit-def: $vgpr0
                                        ; implicit-def: $vgpr4
                                        ; implicit-def: $vgpr2
	s_branch .LBB190_26
.LBB190_24:
	v_mov_b32_e32 v0, 0
	v_mov_b32_e32 v4, 0
	;; [unrolled: 1-line block ×3, first 2 shown]
.LBB190_25:
	s_cbranch_execnz .LBB190_28
.LBB190_26:
	s_waitcnt lgkmcnt(0)
	v_mul_hi_u32 v0, s13, v11
	s_andn2_b64 vcc, exec, s[26:27]
	v_add_u32_e32 v0, v11, v0
	v_lshrrev_b32_e32 v1, s14, v0
	v_mul_lo_u32 v0, v1, s12
	v_sub_u32_e32 v2, v11, v0
	v_mul_lo_u32 v0, v2, s8
	v_mul_lo_u32 v4, v2, s9
	;; [unrolled: 1-line block ×3, first 2 shown]
	s_cbranch_vccnz .LBB190_28
; %bb.27:
	v_mul_hi_u32 v3, s24, v1
	v_add_u32_e32 v3, v1, v3
	v_lshrrev_b32_e32 v3, s25, v3
	v_mul_lo_u32 v3, v3, s15
	v_sub_u32_e32 v3, v1, v3
	v_mad_u64_u32 v[0:1], s[34:35], v3, s11, v[0:1]
	v_mad_u64_u32 v[4:5], s[34:35], v3, s22, v[4:5]
	v_mad_u64_u32 v[2:3], s[34:35], v3, s23, v[2:3]
.LBB190_28:
	s_waitcnt lgkmcnt(0)
	global_load_ushort v1, v4, s[2:3]
	global_load_dword v3, v2, s[4:5]
	v_mov_b32_e32 v2, s7
	v_add_u32_e32 v11, 0x80, v11
	s_waitcnt vmcnt(1)
	v_cvt_f32_f16_e32 v1, v1
	v_cmp_nge_f32_e32 vcc, s6, v1
	s_waitcnt vmcnt(0)
	v_cndmask_b32_e32 v1, v2, v3, vcc
	global_store_dword v0, v1, s[0:1]
	s_or_b64 exec, exec, s[30:31]
	v_cmp_gt_i32_e32 vcc, s38, v11
	s_and_saveexec_b64 s[30:31], vcc
	s_cbranch_execz .LBB190_4
.LBB190_29:
	s_andn2_b64 vcc, exec, s[18:19]
	s_cbranch_vccnz .LBB190_35
; %bb.30:
	s_andn2_b64 vcc, exec, s[28:29]
	s_cbranch_vccnz .LBB190_36
; %bb.31:
	s_add_i32 s34, s37, 1
	s_and_b32 s39, s34, 30
	s_add_u32 s34, s16, 0xffffffe8
	s_addc_u32 s35, s17, -1
	v_mov_b32_e32 v2, 0
	v_mov_b32_e32 v4, 0
	;; [unrolled: 1-line block ×4, first 2 shown]
.LBB190_32:                             ; =>This Inner Loop Header: Depth=1
	s_load_dwordx4 s[40:43], s[34:35], 0x1c
	s_load_dwordx2 s[48:49], s[34:35], 0x2c
	s_load_dwordx2 s[50:51], s[34:35], 0xec
	s_load_dwordx4 s[44:47], s[34:35], 0xdc
	s_add_u32 s34, s34, 24
	s_waitcnt lgkmcnt(0)
	v_mul_hi_u32 v3, s41, v1
	s_addc_u32 s35, s35, 0
	s_add_i32 s39, s39, -2
	s_cmp_eq_u32 s39, 0
	v_add_u32_e32 v3, v1, v3
	v_lshrrev_b32_e32 v3, s42, v3
	v_mul_lo_u32 v5, v3, s40
	v_mul_hi_u32 v6, s48, v3
	v_sub_u32_e32 v5, v1, v5
	v_add_u32_e32 v1, v3, v6
	v_lshrrev_b32_e32 v1, s49, v1
	v_mul_lo_u32 v8, v1, s43
	v_mul_lo_u32 v6, v5, s44
	;; [unrolled: 1-line block ×4, first 2 shown]
	v_sub_u32_e32 v3, v3, v8
	v_mul_lo_u32 v8, v3, s47
	v_mul_lo_u32 v9, v3, s50
	;; [unrolled: 1-line block ×3, first 2 shown]
	v_add3_u32 v0, v6, v0, v8
	v_add3_u32 v4, v7, v4, v9
	;; [unrolled: 1-line block ×3, first 2 shown]
	s_cbranch_scc0 .LBB190_32
; %bb.33:
	s_bitcmp1_b32 s37, 0
	s_cselect_b64 s[40:41], -1, 0
	s_and_b64 vcc, exec, s[40:41]
	s_cbranch_vccnz .LBB190_37
; %bb.34:
	s_load_dwordx2 s[40:41], s[34:35], 0x1c
	s_load_dword s39, s[34:35], 0x24
	s_load_dwordx2 s[42:43], s[34:35], 0xdc
	s_waitcnt lgkmcnt(0)
	v_mul_hi_u32 v3, s41, v1
	v_add_u32_e32 v3, v1, v3
	v_lshrrev_b32_e32 v3, s39, v3
	v_mul_lo_u32 v3, v3, s40
	s_load_dword s39, s[34:35], 0xe4
	v_sub_u32_e32 v3, v1, v3
	v_mad_u64_u32 v[0:1], s[34:35], v3, s42, v[0:1]
	v_mad_u64_u32 v[4:5], s[34:35], v3, s43, v[4:5]
	s_waitcnt lgkmcnt(0)
	v_mad_u64_u32 v[2:3], s[34:35], v3, s39, v[2:3]
	s_branch .LBB190_37
.LBB190_35:
                                        ; implicit-def: $vgpr0
                                        ; implicit-def: $vgpr4
                                        ; implicit-def: $vgpr2
	s_branch .LBB190_38
.LBB190_36:
	v_mov_b32_e32 v0, 0
	v_mov_b32_e32 v4, 0
	;; [unrolled: 1-line block ×3, first 2 shown]
.LBB190_37:
	s_cbranch_execnz .LBB190_40
.LBB190_38:
	s_waitcnt lgkmcnt(0)
	v_mul_hi_u32 v0, s13, v11
	s_andn2_b64 vcc, exec, s[26:27]
	v_add_u32_e32 v0, v11, v0
	v_lshrrev_b32_e32 v1, s14, v0
	v_mul_lo_u32 v0, v1, s12
	v_sub_u32_e32 v2, v11, v0
	v_mul_lo_u32 v0, v2, s8
	v_mul_lo_u32 v4, v2, s9
	;; [unrolled: 1-line block ×3, first 2 shown]
	s_cbranch_vccnz .LBB190_40
; %bb.39:
	v_mul_hi_u32 v3, s24, v1
	v_add_u32_e32 v3, v1, v3
	v_lshrrev_b32_e32 v3, s25, v3
	v_mul_lo_u32 v3, v3, s15
	v_sub_u32_e32 v3, v1, v3
	v_mad_u64_u32 v[0:1], s[34:35], v3, s11, v[0:1]
	v_mad_u64_u32 v[4:5], s[34:35], v3, s22, v[4:5]
	;; [unrolled: 1-line block ×3, first 2 shown]
.LBB190_40:
	s_waitcnt lgkmcnt(0)
	global_load_ushort v1, v4, s[2:3]
	global_load_dword v3, v2, s[4:5]
	v_mov_b32_e32 v2, s7
	v_add_u32_e32 v11, 0x80, v11
	s_waitcnt vmcnt(1)
	v_cvt_f32_f16_e32 v1, v1
	v_cmp_nge_f32_e32 vcc, s6, v1
	s_waitcnt vmcnt(0)
	v_cndmask_b32_e32 v1, v2, v3, vcc
	global_store_dword v0, v1, s[0:1]
	s_or_b64 exec, exec, s[30:31]
	v_cmp_gt_i32_e32 vcc, s38, v11
	s_and_saveexec_b64 s[30:31], vcc
	s_cbranch_execz .LBB190_53
.LBB190_41:
	s_andn2_b64 vcc, exec, s[18:19]
	s_cbranch_vccnz .LBB190_47
; %bb.42:
	s_andn2_b64 vcc, exec, s[28:29]
	s_cbranch_vccnz .LBB190_48
; %bb.43:
	s_add_i32 s28, s37, 1
	s_and_b32 s34, s28, 30
	s_add_u32 s28, s16, 0xffffffe8
	s_addc_u32 s29, s17, -1
	v_mov_b32_e32 v2, 0
	v_mov_b32_e32 v4, 0
	;; [unrolled: 1-line block ×4, first 2 shown]
.LBB190_44:                             ; =>This Inner Loop Header: Depth=1
	s_load_dwordx4 s[40:43], s[28:29], 0x1c
	s_load_dwordx2 s[38:39], s[28:29], 0x2c
	s_load_dwordx2 s[48:49], s[28:29], 0xec
	s_load_dwordx4 s[44:47], s[28:29], 0xdc
	s_add_u32 s28, s28, 24
	s_waitcnt lgkmcnt(0)
	v_mul_hi_u32 v3, s41, v1
	s_addc_u32 s29, s29, 0
	s_add_i32 s34, s34, -2
	s_cmp_eq_u32 s34, 0
	v_add_u32_e32 v3, v1, v3
	v_lshrrev_b32_e32 v3, s42, v3
	v_mul_lo_u32 v5, v3, s40
	v_mul_hi_u32 v6, s38, v3
	v_sub_u32_e32 v5, v1, v5
	v_add_u32_e32 v1, v3, v6
	v_lshrrev_b32_e32 v1, s39, v1
	v_mul_lo_u32 v8, v1, s43
	v_mul_lo_u32 v6, v5, s44
	;; [unrolled: 1-line block ×4, first 2 shown]
	v_sub_u32_e32 v3, v3, v8
	v_mul_lo_u32 v8, v3, s47
	v_mul_lo_u32 v9, v3, s48
	;; [unrolled: 1-line block ×3, first 2 shown]
	v_add3_u32 v0, v6, v0, v8
	v_add3_u32 v4, v7, v4, v9
	;; [unrolled: 1-line block ×3, first 2 shown]
	s_cbranch_scc0 .LBB190_44
; %bb.45:
	s_bitcmp1_b32 s37, 0
	s_cselect_b64 s[34:35], -1, 0
	s_and_b64 vcc, exec, s[34:35]
	s_cbranch_vccnz .LBB190_49
; %bb.46:
	s_load_dwordx2 s[34:35], s[28:29], 0x1c
	s_load_dword s37, s[28:29], 0x24
	s_load_dwordx2 s[38:39], s[28:29], 0xdc
	s_waitcnt lgkmcnt(0)
	v_mul_hi_u32 v3, s35, v1
	v_add_u32_e32 v3, v1, v3
	v_lshrrev_b32_e32 v3, s37, v3
	v_mul_lo_u32 v3, v3, s34
	s_load_dword s34, s[28:29], 0xe4
	v_sub_u32_e32 v3, v1, v3
	v_mad_u64_u32 v[0:1], s[28:29], v3, s38, v[0:1]
	v_mad_u64_u32 v[4:5], s[28:29], v3, s39, v[4:5]
	s_waitcnt lgkmcnt(0)
	v_mad_u64_u32 v[2:3], s[28:29], v3, s34, v[2:3]
	s_branch .LBB190_49
.LBB190_47:
                                        ; implicit-def: $vgpr0
                                        ; implicit-def: $vgpr4
                                        ; implicit-def: $vgpr2
	s_branch .LBB190_50
.LBB190_48:
	v_mov_b32_e32 v0, 0
	v_mov_b32_e32 v4, 0
	;; [unrolled: 1-line block ×3, first 2 shown]
.LBB190_49:
	s_cbranch_execnz .LBB190_52
.LBB190_50:
	s_waitcnt lgkmcnt(0)
	v_mul_hi_u32 v0, s13, v11
	s_andn2_b64 vcc, exec, s[26:27]
	v_add_u32_e32 v0, v11, v0
	v_lshrrev_b32_e32 v1, s14, v0
	v_mul_lo_u32 v0, v1, s12
	v_sub_u32_e32 v2, v11, v0
	v_mul_lo_u32 v0, v2, s8
	v_mul_lo_u32 v4, v2, s9
	;; [unrolled: 1-line block ×3, first 2 shown]
	s_cbranch_vccnz .LBB190_52
; %bb.51:
	v_mul_hi_u32 v3, s24, v1
	v_add_u32_e32 v3, v1, v3
	v_lshrrev_b32_e32 v3, s25, v3
	v_mul_lo_u32 v3, v3, s15
	v_sub_u32_e32 v3, v1, v3
	v_mad_u64_u32 v[0:1], s[8:9], v3, s11, v[0:1]
	v_mad_u64_u32 v[4:5], s[8:9], v3, s22, v[4:5]
	;; [unrolled: 1-line block ×3, first 2 shown]
.LBB190_52:
	s_waitcnt lgkmcnt(0)
	global_load_ushort v1, v4, s[2:3]
	global_load_dword v3, v2, s[4:5]
	v_mov_b32_e32 v2, s7
	s_waitcnt vmcnt(1)
	v_cvt_f32_f16_e32 v1, v1
	v_cmp_nge_f32_e32 vcc, s6, v1
	s_waitcnt vmcnt(0)
	v_cndmask_b32_e32 v1, v2, v3, vcc
	global_store_dword v0, v1, s[0:1]
.LBB190_53:
	s_or_b64 exec, exec, s[30:31]
                                        ; implicit-def: $vgpr21
                                        ; implicit-def: $vgpr11
.LBB190_54:
	s_waitcnt lgkmcnt(0)
	s_andn2_saveexec_b64 s[0:1], s[20:21]
	s_cbranch_execz .LBB190_61
; %bb.55:
	v_cndmask_b32_e64 v0, 0, 1, s[18:19]
	v_cmp_ne_u32_e64 s[0:1], 1, v0
	s_andn2_b64 vcc, exec, s[18:19]
	s_cbranch_vccnz .LBB190_62
; %bb.56:
	s_cmp_lg_u32 s33, 0
	s_cbranch_scc0 .LBB190_63
; %bb.57:
	s_min_u32 s4, s36, 15
	s_add_i32 s2, s4, 1
	s_and_b32 s5, s2, 30
	s_add_u32 s2, s16, 0xffffffe8
	s_addc_u32 s3, s17, -1
	v_mov_b32_e32 v2, 0
	v_mov_b32_e32 v4, 0
	;; [unrolled: 1-line block ×4, first 2 shown]
.LBB190_58:                             ; =>This Inner Loop Header: Depth=1
	s_load_dwordx4 s[8:11], s[2:3], 0x1c
	s_load_dwordx2 s[6:7], s[2:3], 0x2c
	s_load_dwordx2 s[18:19], s[2:3], 0xec
	s_load_dwordx4 s[12:15], s[2:3], 0xdc
	s_add_u32 s2, s2, 24
	s_waitcnt lgkmcnt(0)
	v_mul_hi_u32 v3, s9, v1
	s_addc_u32 s3, s3, 0
	s_add_i32 s5, s5, -2
	s_cmp_lg_u32 s5, 0
	v_add_u32_e32 v3, v1, v3
	v_lshrrev_b32_e32 v3, s10, v3
	v_mul_lo_u32 v5, v3, s8
	v_mul_hi_u32 v6, s6, v3
	v_sub_u32_e32 v5, v1, v5
	v_add_u32_e32 v1, v3, v6
	v_lshrrev_b32_e32 v1, s7, v1
	v_mul_lo_u32 v8, v1, s11
	v_mul_lo_u32 v6, v5, s12
	;; [unrolled: 1-line block ×4, first 2 shown]
	v_sub_u32_e32 v3, v3, v8
	v_mul_lo_u32 v8, v3, s15
	v_mul_lo_u32 v9, v3, s18
	;; [unrolled: 1-line block ×3, first 2 shown]
	v_add3_u32 v0, v6, v0, v8
	v_add3_u32 v4, v7, v4, v9
	;; [unrolled: 1-line block ×3, first 2 shown]
	s_cbranch_scc1 .LBB190_58
; %bb.59:
	s_bitcmp1_b32 s4, 0
	s_cselect_b64 s[4:5], -1, 0
	s_and_b64 vcc, exec, s[4:5]
	s_cbranch_vccnz .LBB190_64
; %bb.60:
	s_load_dwordx2 s[4:5], s[2:3], 0x1c
	s_load_dword s8, s[2:3], 0x24
	s_load_dwordx2 s[6:7], s[2:3], 0xdc
	s_waitcnt lgkmcnt(0)
	v_mul_hi_u32 v3, s5, v1
	v_add_u32_e32 v3, v1, v3
	v_lshrrev_b32_e32 v3, s8, v3
	v_mul_lo_u32 v3, v3, s4
	s_load_dword s4, s[2:3], 0xe4
	v_sub_u32_e32 v3, v1, v3
	v_mad_u64_u32 v[0:1], s[2:3], v3, s6, v[0:1]
	v_mad_u64_u32 v[4:5], s[2:3], v3, s7, v[4:5]
	s_waitcnt lgkmcnt(0)
	v_mad_u64_u32 v[2:3], s[2:3], v3, s4, v[2:3]
	s_cbranch_execz .LBB190_65
	s_branch .LBB190_67
.LBB190_61:
	s_endpgm
.LBB190_62:
                                        ; implicit-def: $vgpr0
                                        ; implicit-def: $vgpr4
                                        ; implicit-def: $vgpr2
	s_branch .LBB190_65
.LBB190_63:
	v_mov_b32_e32 v0, 0
	v_mov_b32_e32 v4, 0
	;; [unrolled: 1-line block ×3, first 2 shown]
.LBB190_64:
	s_cbranch_execnz .LBB190_67
.LBB190_65:
	s_load_dwordx4 s[4:7], s[16:17], 0x4
	s_load_dwordx4 s[8:11], s[16:17], 0xc4
	s_cmp_lt_u32 s33, 2
	s_waitcnt lgkmcnt(0)
	v_mul_hi_u32 v0, s5, v11
	v_add_u32_e32 v0, v11, v0
	v_lshrrev_b32_e32 v1, s6, v0
	v_mul_lo_u32 v0, v1, s4
	v_sub_u32_e32 v2, v11, v0
	v_mul_lo_u32 v0, v2, s8
	v_mul_lo_u32 v4, v2, s9
	;; [unrolled: 1-line block ×3, first 2 shown]
	s_cbranch_scc1 .LBB190_67
; %bb.66:
	s_load_dwordx4 s[4:7], s[16:17], 0x10
	s_load_dwordx4 s[8:11], s[16:17], 0xd0
	s_waitcnt lgkmcnt(0)
	v_mul_hi_u32 v3, s5, v1
	v_add_u32_e32 v3, v1, v3
	v_lshrrev_b32_e32 v3, s6, v3
	v_mul_lo_u32 v3, v3, s4
	v_sub_u32_e32 v3, v1, v3
	v_mad_u64_u32 v[0:1], s[2:3], v3, s8, v[0:1]
	v_mad_u64_u32 v[4:5], s[2:3], v3, s9, v[4:5]
	;; [unrolled: 1-line block ×3, first 2 shown]
.LBB190_67:
	s_and_b64 vcc, exec, s[0:1]
	v_add_u32_e32 v1, 0x80, v11
	s_cbranch_vccnz .LBB190_73
; %bb.68:
	s_cmp_lg_u32 s33, 0
	s_cbranch_scc0 .LBB190_74
; %bb.69:
	s_min_u32 s4, s36, 15
	s_add_i32 s2, s4, 1
	s_and_b32 s5, s2, 30
	s_add_u32 s2, s16, 0xffffffe8
	s_addc_u32 s3, s17, -1
	v_mov_b32_e32 v7, 0
	v_mov_b32_e32 v9, 0
	;; [unrolled: 1-line block ×4, first 2 shown]
.LBB190_70:                             ; =>This Inner Loop Header: Depth=1
	s_load_dwordx4 s[8:11], s[2:3], 0x1c
	s_load_dwordx2 s[6:7], s[2:3], 0x2c
	s_load_dwordx2 s[18:19], s[2:3], 0xec
	s_load_dwordx4 s[12:15], s[2:3], 0xdc
	s_add_u32 s2, s2, 24
	s_waitcnt lgkmcnt(0)
	v_mul_hi_u32 v6, s9, v3
	s_addc_u32 s3, s3, 0
	s_add_i32 s5, s5, -2
	s_cmp_lg_u32 s5, 0
	v_add_u32_e32 v6, v3, v6
	v_lshrrev_b32_e32 v6, s10, v6
	v_mul_lo_u32 v8, v6, s8
	v_mul_hi_u32 v10, s6, v6
	v_sub_u32_e32 v8, v3, v8
	v_add_u32_e32 v3, v6, v10
	v_lshrrev_b32_e32 v3, s7, v3
	v_mul_lo_u32 v13, v3, s11
	v_mul_lo_u32 v10, v8, s12
	;; [unrolled: 1-line block ×4, first 2 shown]
	v_sub_u32_e32 v6, v6, v13
	v_mul_lo_u32 v13, v6, s15
	v_mul_lo_u32 v14, v6, s18
	;; [unrolled: 1-line block ×3, first 2 shown]
	v_add3_u32 v5, v10, v5, v13
	v_add3_u32 v9, v12, v9, v14
	;; [unrolled: 1-line block ×3, first 2 shown]
	s_cbranch_scc1 .LBB190_70
; %bb.71:
	s_bitcmp1_b32 s4, 0
	s_cselect_b64 s[4:5], -1, 0
	s_and_b64 vcc, exec, s[4:5]
	s_cbranch_vccnz .LBB190_75
; %bb.72:
	s_load_dwordx2 s[4:5], s[2:3], 0x1c
	s_load_dword s8, s[2:3], 0x24
	s_load_dwordx2 s[6:7], s[2:3], 0xdc
	s_waitcnt lgkmcnt(0)
	v_mul_hi_u32 v6, s5, v3
	v_add_u32_e32 v6, v3, v6
	v_lshrrev_b32_e32 v6, s8, v6
	v_mul_lo_u32 v6, v6, s4
	s_load_dword s4, s[2:3], 0xe4
	v_sub_u32_e32 v3, v3, v6
	v_mad_u64_u32 v[5:6], s[2:3], v3, s6, v[5:6]
	v_mad_u64_u32 v[9:10], s[2:3], v3, s7, v[9:10]
	s_waitcnt lgkmcnt(0)
	v_mad_u64_u32 v[7:8], s[2:3], v3, s4, v[7:8]
	s_cbranch_execz .LBB190_76
	s_branch .LBB190_78
.LBB190_73:
                                        ; implicit-def: $vgpr5
                                        ; implicit-def: $vgpr9
                                        ; implicit-def: $vgpr7
	s_branch .LBB190_76
.LBB190_74:
	v_mov_b32_e32 v5, 0
	v_mov_b32_e32 v9, 0
	;; [unrolled: 1-line block ×3, first 2 shown]
.LBB190_75:
	s_cbranch_execnz .LBB190_78
.LBB190_76:
	s_load_dwordx4 s[4:7], s[16:17], 0x4
	s_load_dwordx4 s[8:11], s[16:17], 0xc4
	s_cmp_lt_u32 s33, 2
	s_waitcnt lgkmcnt(0)
	v_mul_hi_u32 v3, s5, v1
	v_add_u32_e32 v3, v1, v3
	v_lshrrev_b32_e32 v3, s6, v3
	v_mul_lo_u32 v5, v3, s4
	v_sub_u32_e32 v1, v1, v5
	v_mul_lo_u32 v5, v1, s8
	v_mul_lo_u32 v9, v1, s9
	;; [unrolled: 1-line block ×3, first 2 shown]
	s_cbranch_scc1 .LBB190_78
; %bb.77:
	s_load_dwordx4 s[4:7], s[16:17], 0x10
	s_load_dwordx4 s[8:11], s[16:17], 0xd0
	s_waitcnt lgkmcnt(0)
	v_mul_hi_u32 v1, s5, v3
	v_add_u32_e32 v1, v3, v1
	v_lshrrev_b32_e32 v1, s6, v1
	v_mul_lo_u32 v1, v1, s4
	v_sub_u32_e32 v1, v3, v1
	v_mad_u64_u32 v[5:6], s[2:3], v1, s8, v[5:6]
	v_mad_u64_u32 v[9:10], s[2:3], v1, s9, v[9:10]
	;; [unrolled: 1-line block ×3, first 2 shown]
.LBB190_78:
	s_and_b64 vcc, exec, s[0:1]
	v_add_u32_e32 v1, 0x100, v11
	s_cbranch_vccnz .LBB190_84
; %bb.79:
	s_cmp_lg_u32 s33, 0
	s_cbranch_scc0 .LBB190_85
; %bb.80:
	s_min_u32 s4, s36, 15
	s_add_i32 s2, s4, 1
	s_and_b32 s5, s2, 30
	s_add_u32 s2, s16, 0xffffffe8
	s_addc_u32 s3, s17, -1
	v_mov_b32_e32 v14, 0
	v_mov_b32_e32 v12, 0
	;; [unrolled: 1-line block ×4, first 2 shown]
.LBB190_81:                             ; =>This Inner Loop Header: Depth=1
	s_load_dwordx4 s[8:11], s[2:3], 0x1c
	s_load_dwordx2 s[6:7], s[2:3], 0x2c
	s_load_dwordx2 s[18:19], s[2:3], 0xec
	s_load_dwordx4 s[12:15], s[2:3], 0xdc
	s_add_u32 s2, s2, 24
	s_waitcnt lgkmcnt(0)
	v_mul_hi_u32 v6, s9, v3
	s_addc_u32 s3, s3, 0
	s_add_i32 s5, s5, -2
	s_cmp_lg_u32 s5, 0
	v_add_u32_e32 v6, v3, v6
	v_lshrrev_b32_e32 v6, s10, v6
	v_mul_lo_u32 v8, v6, s8
	v_mul_hi_u32 v11, s6, v6
	v_sub_u32_e32 v8, v3, v8
	v_add_u32_e32 v3, v6, v11
	v_lshrrev_b32_e32 v3, s7, v3
	v_mul_lo_u32 v15, v3, s11
	v_mul_lo_u32 v11, v8, s12
	v_mul_lo_u32 v13, v8, s13
	v_mul_lo_u32 v8, v8, s14
	v_sub_u32_e32 v6, v6, v15
	v_mul_lo_u32 v15, v6, s15
	v_mul_lo_u32 v16, v6, s18
	;; [unrolled: 1-line block ×3, first 2 shown]
	v_add3_u32 v10, v11, v10, v15
	v_add3_u32 v12, v13, v12, v16
	;; [unrolled: 1-line block ×3, first 2 shown]
	s_cbranch_scc1 .LBB190_81
; %bb.82:
	s_bitcmp1_b32 s4, 0
	s_cselect_b64 s[4:5], -1, 0
	s_and_b64 vcc, exec, s[4:5]
	s_cbranch_vccnz .LBB190_86
; %bb.83:
	s_load_dwordx2 s[4:5], s[2:3], 0x1c
	s_load_dword s8, s[2:3], 0x24
	s_load_dwordx2 s[6:7], s[2:3], 0xdc
	s_waitcnt lgkmcnt(0)
	v_mul_hi_u32 v6, s5, v3
	v_add_u32_e32 v6, v3, v6
	v_lshrrev_b32_e32 v6, s8, v6
	v_mul_lo_u32 v6, v6, s4
	s_load_dword s4, s[2:3], 0xe4
	v_sub_u32_e32 v3, v3, v6
	v_mad_u64_u32 v[10:11], s[2:3], v3, s6, v[10:11]
	v_mad_u64_u32 v[12:13], s[2:3], v3, s7, v[12:13]
	s_waitcnt lgkmcnt(0)
	v_mad_u64_u32 v[14:15], s[2:3], v3, s4, v[14:15]
	s_cbranch_execz .LBB190_87
	s_branch .LBB190_89
.LBB190_84:
                                        ; implicit-def: $vgpr10
                                        ; implicit-def: $vgpr12
                                        ; implicit-def: $vgpr14
	s_branch .LBB190_87
.LBB190_85:
	v_mov_b32_e32 v10, 0
	v_mov_b32_e32 v12, 0
	;; [unrolled: 1-line block ×3, first 2 shown]
.LBB190_86:
	s_cbranch_execnz .LBB190_89
.LBB190_87:
	s_load_dwordx4 s[4:7], s[16:17], 0x4
	s_load_dwordx4 s[8:11], s[16:17], 0xc4
	s_cmp_lt_u32 s33, 2
	s_waitcnt lgkmcnt(0)
	v_mul_hi_u32 v3, s5, v1
	v_add_u32_e32 v3, v1, v3
	v_lshrrev_b32_e32 v3, s6, v3
	v_mul_lo_u32 v6, v3, s4
	v_sub_u32_e32 v1, v1, v6
	v_mul_lo_u32 v10, v1, s8
	v_mul_lo_u32 v12, v1, s9
	;; [unrolled: 1-line block ×3, first 2 shown]
	s_cbranch_scc1 .LBB190_89
; %bb.88:
	s_load_dwordx4 s[4:7], s[16:17], 0x10
	s_load_dwordx4 s[8:11], s[16:17], 0xd0
	s_waitcnt lgkmcnt(0)
	v_mul_hi_u32 v1, s5, v3
	v_add_u32_e32 v1, v3, v1
	v_lshrrev_b32_e32 v1, s6, v1
	v_mul_lo_u32 v1, v1, s4
	v_sub_u32_e32 v1, v3, v1
	v_mad_u64_u32 v[10:11], s[2:3], v1, s8, v[10:11]
	v_mad_u64_u32 v[12:13], s[2:3], v1, s9, v[12:13]
	;; [unrolled: 1-line block ×3, first 2 shown]
.LBB190_89:
	s_and_b64 vcc, exec, s[0:1]
	s_cbranch_vccnz .LBB190_95
; %bb.90:
	s_cmp_lg_u32 s33, 0
	s_cbranch_scc0 .LBB190_96
; %bb.91:
	s_min_u32 s2, s36, 15
	s_add_i32 s0, s2, 1
	s_and_b32 s3, s0, 30
	s_add_u32 s0, s16, 0xffffffe8
	s_addc_u32 s1, s17, -1
	v_mov_b32_e32 v17, 0
	v_mov_b32_e32 v19, 0
	;; [unrolled: 1-line block ×4, first 2 shown]
.LBB190_92:                             ; =>This Inner Loop Header: Depth=1
	s_load_dwordx4 s[4:7], s[0:1], 0x1c
	s_load_dwordx2 s[12:13], s[0:1], 0x2c
	s_load_dwordx2 s[14:15], s[0:1], 0xec
	s_load_dwordx4 s[8:11], s[0:1], 0xdc
	s_add_u32 s0, s0, 24
	s_waitcnt lgkmcnt(0)
	v_mul_hi_u32 v3, s5, v1
	s_addc_u32 s1, s1, 0
	s_add_i32 s3, s3, -2
	s_cmp_lg_u32 s3, 0
	v_add_u32_e32 v3, v1, v3
	v_lshrrev_b32_e32 v3, s6, v3
	v_mul_lo_u32 v6, v3, s4
	v_mul_hi_u32 v8, s12, v3
	v_sub_u32_e32 v6, v1, v6
	v_add_u32_e32 v1, v3, v8
	v_lshrrev_b32_e32 v1, s13, v1
	v_mul_lo_u32 v13, v1, s7
	v_mul_lo_u32 v8, v6, s8
	;; [unrolled: 1-line block ×4, first 2 shown]
	v_sub_u32_e32 v3, v3, v13
	v_mul_lo_u32 v13, v3, s11
	v_mul_lo_u32 v16, v3, s14
	;; [unrolled: 1-line block ×3, first 2 shown]
	v_add3_u32 v15, v8, v15, v13
	v_add3_u32 v19, v11, v19, v16
	;; [unrolled: 1-line block ×3, first 2 shown]
	s_cbranch_scc1 .LBB190_92
; %bb.93:
	s_bitcmp1_b32 s2, 0
	s_cselect_b64 s[2:3], -1, 0
	s_and_b64 vcc, exec, s[2:3]
	s_cbranch_vccnz .LBB190_97
; %bb.94:
	s_load_dwordx2 s[2:3], s[0:1], 0x1c
	s_load_dword s6, s[0:1], 0x24
	s_load_dwordx2 s[4:5], s[0:1], 0xdc
	s_waitcnt lgkmcnt(0)
	v_mul_hi_u32 v3, s3, v1
	v_add_u32_e32 v3, v1, v3
	v_lshrrev_b32_e32 v3, s6, v3
	v_mul_lo_u32 v3, v3, s2
	s_load_dword s2, s[0:1], 0xe4
	v_sub_u32_e32 v1, v1, v3
	v_mad_u64_u32 v[15:16], s[0:1], v1, s4, v[15:16]
	v_mad_u64_u32 v[19:20], s[0:1], v1, s5, v[19:20]
	s_waitcnt lgkmcnt(0)
	v_mad_u64_u32 v[17:18], s[0:1], v1, s2, v[17:18]
	s_cbranch_execz .LBB190_98
	s_branch .LBB190_100
.LBB190_95:
                                        ; implicit-def: $vgpr15
                                        ; implicit-def: $vgpr19
                                        ; implicit-def: $vgpr17
	s_branch .LBB190_98
.LBB190_96:
	v_mov_b32_e32 v15, 0
	v_mov_b32_e32 v19, 0
	;; [unrolled: 1-line block ×3, first 2 shown]
.LBB190_97:
	s_cbranch_execnz .LBB190_100
.LBB190_98:
	s_load_dwordx4 s[0:3], s[16:17], 0x4
	s_load_dwordx4 s[4:7], s[16:17], 0xc4
	s_cmp_lt_u32 s33, 2
	s_waitcnt lgkmcnt(0)
	v_mul_hi_u32 v1, s1, v21
	v_add_u32_e32 v1, v21, v1
	v_lshrrev_b32_e32 v1, s2, v1
	v_mul_lo_u32 v3, v1, s0
	v_sub_u32_e32 v3, v21, v3
	v_mul_lo_u32 v15, v3, s4
	v_mul_lo_u32 v19, v3, s5
	;; [unrolled: 1-line block ×3, first 2 shown]
	s_cbranch_scc1 .LBB190_100
; %bb.99:
	s_load_dwordx4 s[0:3], s[16:17], 0x10
	s_load_dwordx4 s[4:7], s[16:17], 0xd0
	s_waitcnt lgkmcnt(0)
	v_mul_hi_u32 v3, s1, v1
	v_add_u32_e32 v3, v1, v3
	v_lshrrev_b32_e32 v3, s2, v3
	v_mul_lo_u32 v3, v3, s0
	v_sub_u32_e32 v1, v1, v3
	v_mad_u64_u32 v[15:16], s[0:1], v1, s4, v[15:16]
	v_mad_u64_u32 v[19:20], s[0:1], v1, s5, v[19:20]
	;; [unrolled: 1-line block ×3, first 2 shown]
.LBB190_100:
	s_load_dwordx8 s[0:7], s[16:17], 0x188
	s_waitcnt lgkmcnt(0)
	global_load_ushort v1, v4, s[2:3]
	global_load_ushort v3, v9, s[2:3]
	;; [unrolled: 1-line block ×4, first 2 shown]
	global_load_dword v11, v2, s[4:5]
	global_load_dword v13, v7, s[4:5]
	;; [unrolled: 1-line block ×4, first 2 shown]
	v_mov_b32_e32 v2, s7
	s_waitcnt vmcnt(7)
	v_cvt_f32_f16_e32 v1, v1
	s_waitcnt vmcnt(6)
	v_cvt_f32_f16_e32 v3, v3
	;; [unrolled: 2-line block ×4, first 2 shown]
	v_cmp_nge_f32_e32 vcc, s6, v1
	s_waitcnt vmcnt(3)
	v_cndmask_b32_e32 v1, v2, v11, vcc
	v_cmp_nge_f32_e32 vcc, s6, v3
	s_waitcnt vmcnt(2)
	v_cndmask_b32_e32 v3, v2, v13, vcc
	;; [unrolled: 3-line block ×4, first 2 shown]
	global_store_dword v0, v1, s[0:1]
	global_store_dword v5, v3, s[0:1]
	;; [unrolled: 1-line block ×4, first 2 shown]
	s_endpgm
	.section	.rodata,"a",@progbits
	.p2align	6, 0x0
	.amdhsa_kernel _ZN2at6native32elementwise_kernel_manual_unrollILi128ELi4EZNS0_12_GLOBAL__N_142type_specialized_broadcast_kernel_launcherILi4EE5applyINS0_13BinaryFunctorIfffZNS2_21threshold_kernel_implIfEEvRNS_18TensorIteratorBaseET_SA_EUlffE_EESt5arrayIPcLm3EESD_IN3c1010ScalarTypeELm3EE16OffsetCalculatorILi3EjLb0EEEEvlSA_T0_T1_T2_EUlibE_EEviSM_
		.amdhsa_group_segment_fixed_size 0
		.amdhsa_private_segment_fixed_size 0
		.amdhsa_kernarg_size 432
		.amdhsa_user_sgpr_count 6
		.amdhsa_user_sgpr_private_segment_buffer 1
		.amdhsa_user_sgpr_dispatch_ptr 0
		.amdhsa_user_sgpr_queue_ptr 0
		.amdhsa_user_sgpr_kernarg_segment_ptr 1
		.amdhsa_user_sgpr_dispatch_id 0
		.amdhsa_user_sgpr_flat_scratch_init 0
		.amdhsa_user_sgpr_private_segment_size 0
		.amdhsa_uses_dynamic_stack 0
		.amdhsa_system_sgpr_private_segment_wavefront_offset 0
		.amdhsa_system_sgpr_workgroup_id_x 1
		.amdhsa_system_sgpr_workgroup_id_y 0
		.amdhsa_system_sgpr_workgroup_id_z 0
		.amdhsa_system_sgpr_workgroup_info 0
		.amdhsa_system_vgpr_workitem_id 0
		.amdhsa_next_free_vgpr 22
		.amdhsa_next_free_sgpr 52
		.amdhsa_reserve_vcc 1
		.amdhsa_reserve_flat_scratch 0
		.amdhsa_float_round_mode_32 0
		.amdhsa_float_round_mode_16_64 0
		.amdhsa_float_denorm_mode_32 3
		.amdhsa_float_denorm_mode_16_64 3
		.amdhsa_dx10_clamp 1
		.amdhsa_ieee_mode 1
		.amdhsa_fp16_overflow 0
		.amdhsa_exception_fp_ieee_invalid_op 0
		.amdhsa_exception_fp_denorm_src 0
		.amdhsa_exception_fp_ieee_div_zero 0
		.amdhsa_exception_fp_ieee_overflow 0
		.amdhsa_exception_fp_ieee_underflow 0
		.amdhsa_exception_fp_ieee_inexact 0
		.amdhsa_exception_int_div_zero 0
	.end_amdhsa_kernel
	.section	.text._ZN2at6native32elementwise_kernel_manual_unrollILi128ELi4EZNS0_12_GLOBAL__N_142type_specialized_broadcast_kernel_launcherILi4EE5applyINS0_13BinaryFunctorIfffZNS2_21threshold_kernel_implIfEEvRNS_18TensorIteratorBaseET_SA_EUlffE_EESt5arrayIPcLm3EESD_IN3c1010ScalarTypeELm3EE16OffsetCalculatorILi3EjLb0EEEEvlSA_T0_T1_T2_EUlibE_EEviSM_,"axG",@progbits,_ZN2at6native32elementwise_kernel_manual_unrollILi128ELi4EZNS0_12_GLOBAL__N_142type_specialized_broadcast_kernel_launcherILi4EE5applyINS0_13BinaryFunctorIfffZNS2_21threshold_kernel_implIfEEvRNS_18TensorIteratorBaseET_SA_EUlffE_EESt5arrayIPcLm3EESD_IN3c1010ScalarTypeELm3EE16OffsetCalculatorILi3EjLb0EEEEvlSA_T0_T1_T2_EUlibE_EEviSM_,comdat
.Lfunc_end190:
	.size	_ZN2at6native32elementwise_kernel_manual_unrollILi128ELi4EZNS0_12_GLOBAL__N_142type_specialized_broadcast_kernel_launcherILi4EE5applyINS0_13BinaryFunctorIfffZNS2_21threshold_kernel_implIfEEvRNS_18TensorIteratorBaseET_SA_EUlffE_EESt5arrayIPcLm3EESD_IN3c1010ScalarTypeELm3EE16OffsetCalculatorILi3EjLb0EEEEvlSA_T0_T1_T2_EUlibE_EEviSM_, .Lfunc_end190-_ZN2at6native32elementwise_kernel_manual_unrollILi128ELi4EZNS0_12_GLOBAL__N_142type_specialized_broadcast_kernel_launcherILi4EE5applyINS0_13BinaryFunctorIfffZNS2_21threshold_kernel_implIfEEvRNS_18TensorIteratorBaseET_SA_EUlffE_EESt5arrayIPcLm3EESD_IN3c1010ScalarTypeELm3EE16OffsetCalculatorILi3EjLb0EEEEvlSA_T0_T1_T2_EUlibE_EEviSM_
                                        ; -- End function
	.set _ZN2at6native32elementwise_kernel_manual_unrollILi128ELi4EZNS0_12_GLOBAL__N_142type_specialized_broadcast_kernel_launcherILi4EE5applyINS0_13BinaryFunctorIfffZNS2_21threshold_kernel_implIfEEvRNS_18TensorIteratorBaseET_SA_EUlffE_EESt5arrayIPcLm3EESD_IN3c1010ScalarTypeELm3EE16OffsetCalculatorILi3EjLb0EEEEvlSA_T0_T1_T2_EUlibE_EEviSM_.num_vgpr, 22
	.set _ZN2at6native32elementwise_kernel_manual_unrollILi128ELi4EZNS0_12_GLOBAL__N_142type_specialized_broadcast_kernel_launcherILi4EE5applyINS0_13BinaryFunctorIfffZNS2_21threshold_kernel_implIfEEvRNS_18TensorIteratorBaseET_SA_EUlffE_EESt5arrayIPcLm3EESD_IN3c1010ScalarTypeELm3EE16OffsetCalculatorILi3EjLb0EEEEvlSA_T0_T1_T2_EUlibE_EEviSM_.num_agpr, 0
	.set _ZN2at6native32elementwise_kernel_manual_unrollILi128ELi4EZNS0_12_GLOBAL__N_142type_specialized_broadcast_kernel_launcherILi4EE5applyINS0_13BinaryFunctorIfffZNS2_21threshold_kernel_implIfEEvRNS_18TensorIteratorBaseET_SA_EUlffE_EESt5arrayIPcLm3EESD_IN3c1010ScalarTypeELm3EE16OffsetCalculatorILi3EjLb0EEEEvlSA_T0_T1_T2_EUlibE_EEviSM_.numbered_sgpr, 52
	.set _ZN2at6native32elementwise_kernel_manual_unrollILi128ELi4EZNS0_12_GLOBAL__N_142type_specialized_broadcast_kernel_launcherILi4EE5applyINS0_13BinaryFunctorIfffZNS2_21threshold_kernel_implIfEEvRNS_18TensorIteratorBaseET_SA_EUlffE_EESt5arrayIPcLm3EESD_IN3c1010ScalarTypeELm3EE16OffsetCalculatorILi3EjLb0EEEEvlSA_T0_T1_T2_EUlibE_EEviSM_.num_named_barrier, 0
	.set _ZN2at6native32elementwise_kernel_manual_unrollILi128ELi4EZNS0_12_GLOBAL__N_142type_specialized_broadcast_kernel_launcherILi4EE5applyINS0_13BinaryFunctorIfffZNS2_21threshold_kernel_implIfEEvRNS_18TensorIteratorBaseET_SA_EUlffE_EESt5arrayIPcLm3EESD_IN3c1010ScalarTypeELm3EE16OffsetCalculatorILi3EjLb0EEEEvlSA_T0_T1_T2_EUlibE_EEviSM_.private_seg_size, 0
	.set _ZN2at6native32elementwise_kernel_manual_unrollILi128ELi4EZNS0_12_GLOBAL__N_142type_specialized_broadcast_kernel_launcherILi4EE5applyINS0_13BinaryFunctorIfffZNS2_21threshold_kernel_implIfEEvRNS_18TensorIteratorBaseET_SA_EUlffE_EESt5arrayIPcLm3EESD_IN3c1010ScalarTypeELm3EE16OffsetCalculatorILi3EjLb0EEEEvlSA_T0_T1_T2_EUlibE_EEviSM_.uses_vcc, 1
	.set _ZN2at6native32elementwise_kernel_manual_unrollILi128ELi4EZNS0_12_GLOBAL__N_142type_specialized_broadcast_kernel_launcherILi4EE5applyINS0_13BinaryFunctorIfffZNS2_21threshold_kernel_implIfEEvRNS_18TensorIteratorBaseET_SA_EUlffE_EESt5arrayIPcLm3EESD_IN3c1010ScalarTypeELm3EE16OffsetCalculatorILi3EjLb0EEEEvlSA_T0_T1_T2_EUlibE_EEviSM_.uses_flat_scratch, 0
	.set _ZN2at6native32elementwise_kernel_manual_unrollILi128ELi4EZNS0_12_GLOBAL__N_142type_specialized_broadcast_kernel_launcherILi4EE5applyINS0_13BinaryFunctorIfffZNS2_21threshold_kernel_implIfEEvRNS_18TensorIteratorBaseET_SA_EUlffE_EESt5arrayIPcLm3EESD_IN3c1010ScalarTypeELm3EE16OffsetCalculatorILi3EjLb0EEEEvlSA_T0_T1_T2_EUlibE_EEviSM_.has_dyn_sized_stack, 0
	.set _ZN2at6native32elementwise_kernel_manual_unrollILi128ELi4EZNS0_12_GLOBAL__N_142type_specialized_broadcast_kernel_launcherILi4EE5applyINS0_13BinaryFunctorIfffZNS2_21threshold_kernel_implIfEEvRNS_18TensorIteratorBaseET_SA_EUlffE_EESt5arrayIPcLm3EESD_IN3c1010ScalarTypeELm3EE16OffsetCalculatorILi3EjLb0EEEEvlSA_T0_T1_T2_EUlibE_EEviSM_.has_recursion, 0
	.set _ZN2at6native32elementwise_kernel_manual_unrollILi128ELi4EZNS0_12_GLOBAL__N_142type_specialized_broadcast_kernel_launcherILi4EE5applyINS0_13BinaryFunctorIfffZNS2_21threshold_kernel_implIfEEvRNS_18TensorIteratorBaseET_SA_EUlffE_EESt5arrayIPcLm3EESD_IN3c1010ScalarTypeELm3EE16OffsetCalculatorILi3EjLb0EEEEvlSA_T0_T1_T2_EUlibE_EEviSM_.has_indirect_call, 0
	.section	.AMDGPU.csdata,"",@progbits
; Kernel info:
; codeLenInByte = 4776
; TotalNumSgprs: 56
; NumVgprs: 22
; ScratchSize: 0
; MemoryBound: 0
; FloatMode: 240
; IeeeMode: 1
; LDSByteSize: 0 bytes/workgroup (compile time only)
; SGPRBlocks: 6
; VGPRBlocks: 5
; NumSGPRsForWavesPerEU: 56
; NumVGPRsForWavesPerEU: 22
; Occupancy: 10
; WaveLimiterHint : 1
; COMPUTE_PGM_RSRC2:SCRATCH_EN: 0
; COMPUTE_PGM_RSRC2:USER_SGPR: 6
; COMPUTE_PGM_RSRC2:TRAP_HANDLER: 0
; COMPUTE_PGM_RSRC2:TGID_X_EN: 1
; COMPUTE_PGM_RSRC2:TGID_Y_EN: 0
; COMPUTE_PGM_RSRC2:TGID_Z_EN: 0
; COMPUTE_PGM_RSRC2:TIDIG_COMP_CNT: 0
	.section	.text._ZN2at6native32elementwise_kernel_manual_unrollILi128ELi4EZNS0_12_GLOBAL__N_142type_specialized_broadcast_kernel_launcherILi5EE5applyINS0_13BinaryFunctorIfffZNS2_21threshold_kernel_implIfEEvRNS_18TensorIteratorBaseET_SA_EUlffE_EESt5arrayIPcLm3EESD_IN3c1010ScalarTypeELm3EE16OffsetCalculatorILi3EjLb0EEEEvlSA_T0_T1_T2_EUlibE_EEviSM_,"axG",@progbits,_ZN2at6native32elementwise_kernel_manual_unrollILi128ELi4EZNS0_12_GLOBAL__N_142type_specialized_broadcast_kernel_launcherILi5EE5applyINS0_13BinaryFunctorIfffZNS2_21threshold_kernel_implIfEEvRNS_18TensorIteratorBaseET_SA_EUlffE_EESt5arrayIPcLm3EESD_IN3c1010ScalarTypeELm3EE16OffsetCalculatorILi3EjLb0EEEEvlSA_T0_T1_T2_EUlibE_EEviSM_,comdat
	.globl	_ZN2at6native32elementwise_kernel_manual_unrollILi128ELi4EZNS0_12_GLOBAL__N_142type_specialized_broadcast_kernel_launcherILi5EE5applyINS0_13BinaryFunctorIfffZNS2_21threshold_kernel_implIfEEvRNS_18TensorIteratorBaseET_SA_EUlffE_EESt5arrayIPcLm3EESD_IN3c1010ScalarTypeELm3EE16OffsetCalculatorILi3EjLb0EEEEvlSA_T0_T1_T2_EUlibE_EEviSM_ ; -- Begin function _ZN2at6native32elementwise_kernel_manual_unrollILi128ELi4EZNS0_12_GLOBAL__N_142type_specialized_broadcast_kernel_launcherILi5EE5applyINS0_13BinaryFunctorIfffZNS2_21threshold_kernel_implIfEEvRNS_18TensorIteratorBaseET_SA_EUlffE_EESt5arrayIPcLm3EESD_IN3c1010ScalarTypeELm3EE16OffsetCalculatorILi3EjLb0EEEEvlSA_T0_T1_T2_EUlibE_EEviSM_
	.p2align	8
	.type	_ZN2at6native32elementwise_kernel_manual_unrollILi128ELi4EZNS0_12_GLOBAL__N_142type_specialized_broadcast_kernel_launcherILi5EE5applyINS0_13BinaryFunctorIfffZNS2_21threshold_kernel_implIfEEvRNS_18TensorIteratorBaseET_SA_EUlffE_EESt5arrayIPcLm3EESD_IN3c1010ScalarTypeELm3EE16OffsetCalculatorILi3EjLb0EEEEvlSA_T0_T1_T2_EUlibE_EEviSM_,@function
_ZN2at6native32elementwise_kernel_manual_unrollILi128ELi4EZNS0_12_GLOBAL__N_142type_specialized_broadcast_kernel_launcherILi5EE5applyINS0_13BinaryFunctorIfffZNS2_21threshold_kernel_implIfEEvRNS_18TensorIteratorBaseET_SA_EUlffE_EESt5arrayIPcLm3EESD_IN3c1010ScalarTypeELm3EE16OffsetCalculatorILi3EjLb0EEEEvlSA_T0_T1_T2_EUlibE_EEviSM_: ; @_ZN2at6native32elementwise_kernel_manual_unrollILi128ELi4EZNS0_12_GLOBAL__N_142type_specialized_broadcast_kernel_launcherILi5EE5applyINS0_13BinaryFunctorIfffZNS2_21threshold_kernel_implIfEEvRNS_18TensorIteratorBaseET_SA_EUlffE_EESt5arrayIPcLm3EESD_IN3c1010ScalarTypeELm3EE16OffsetCalculatorILi3EjLb0EEEEvlSA_T0_T1_T2_EUlibE_EEviSM_
; %bb.0:
	s_load_dword s38, s[4:5], 0x0
	s_load_dword s33, s[4:5], 0x8
	s_add_u32 s16, s4, 8
	s_addc_u32 s17, s5, 0
	v_lshl_or_b32 v11, s6, 9, v0
	v_or_b32_e32 v21, 0x180, v11
	s_waitcnt lgkmcnt(0)
	s_add_i32 s36, s33, -1
	s_cmp_gt_u32 s36, 1
	v_cmp_le_i32_e32 vcc, s38, v21
	s_cselect_b64 s[18:19], -1, 0
	s_and_saveexec_b64 s[0:1], vcc
	s_xor_b64 s[20:21], exec, s[0:1]
	s_cbranch_execz .LBB191_54
; %bb.1:
	s_load_dwordx4 s[12:15], s[16:17], 0x4
	s_load_dwordx2 s[24:25], s[16:17], 0x14
	s_load_dwordx4 s[8:11], s[16:17], 0xc4
	s_load_dwordx2 s[22:23], s[16:17], 0xd4
	s_load_dwordx8 s[0:7], s[16:17], 0x188
	s_cmp_lg_u32 s33, 0
	s_cselect_b64 s[28:29], -1, 0
	s_min_u32 s37, s36, 15
	s_cmp_gt_u32 s33, 1
	s_cselect_b64 s[26:27], -1, 0
	v_cmp_gt_i32_e32 vcc, s38, v11
	s_and_saveexec_b64 s[30:31], vcc
	s_cbranch_execnz .LBB191_5
; %bb.2:
	s_or_b64 exec, exec, s[30:31]
	v_cmp_gt_i32_e32 vcc, s38, v11
	s_and_saveexec_b64 s[30:31], vcc
	s_cbranch_execnz .LBB191_17
.LBB191_3:
	s_or_b64 exec, exec, s[30:31]
	v_cmp_gt_i32_e32 vcc, s38, v11
	s_and_saveexec_b64 s[30:31], vcc
	s_cbranch_execnz .LBB191_29
.LBB191_4:
	s_or_b64 exec, exec, s[30:31]
	v_cmp_gt_i32_e32 vcc, s38, v11
	s_and_saveexec_b64 s[30:31], vcc
	s_cbranch_execnz .LBB191_41
	s_branch .LBB191_53
.LBB191_5:
	s_andn2_b64 vcc, exec, s[18:19]
	s_cbranch_vccnz .LBB191_11
; %bb.6:
	s_andn2_b64 vcc, exec, s[28:29]
	s_cbranch_vccnz .LBB191_12
; %bb.7:
	s_add_i32 s34, s37, 1
	s_and_b32 s39, s34, 30
	s_add_u32 s34, s16, 0xffffffe8
	s_addc_u32 s35, s17, -1
	v_mov_b32_e32 v2, 0
	v_mov_b32_e32 v4, 0
	;; [unrolled: 1-line block ×4, first 2 shown]
.LBB191_8:                              ; =>This Inner Loop Header: Depth=1
	s_load_dwordx4 s[40:43], s[34:35], 0x1c
	s_load_dwordx2 s[48:49], s[34:35], 0x2c
	s_load_dwordx2 s[50:51], s[34:35], 0xec
	s_load_dwordx4 s[44:47], s[34:35], 0xdc
	s_add_u32 s34, s34, 24
	s_waitcnt lgkmcnt(0)
	v_mul_hi_u32 v3, s41, v1
	s_addc_u32 s35, s35, 0
	s_add_i32 s39, s39, -2
	s_cmp_lg_u32 s39, 0
	v_add_u32_e32 v3, v1, v3
	v_lshrrev_b32_e32 v3, s42, v3
	v_mul_lo_u32 v5, v3, s40
	v_mul_hi_u32 v6, s48, v3
	v_sub_u32_e32 v5, v1, v5
	v_add_u32_e32 v1, v3, v6
	v_lshrrev_b32_e32 v1, s49, v1
	v_mul_lo_u32 v8, v1, s43
	v_mul_lo_u32 v6, v5, s44
	;; [unrolled: 1-line block ×4, first 2 shown]
	v_sub_u32_e32 v3, v3, v8
	v_mul_lo_u32 v8, v3, s47
	v_mul_lo_u32 v9, v3, s50
	;; [unrolled: 1-line block ×3, first 2 shown]
	v_add3_u32 v0, v6, v0, v8
	v_add3_u32 v4, v7, v4, v9
	v_add3_u32 v2, v5, v2, v3
	s_cbranch_scc1 .LBB191_8
; %bb.9:
	s_bitcmp1_b32 s37, 0
	s_cselect_b64 s[40:41], -1, 0
	s_and_b64 vcc, exec, s[40:41]
	s_cbranch_vccnz .LBB191_13
; %bb.10:
	s_load_dwordx2 s[40:41], s[34:35], 0x1c
	s_load_dword s39, s[34:35], 0x24
	s_load_dwordx2 s[42:43], s[34:35], 0xdc
	s_waitcnt lgkmcnt(0)
	v_mul_hi_u32 v3, s41, v1
	v_add_u32_e32 v3, v1, v3
	v_lshrrev_b32_e32 v3, s39, v3
	v_mul_lo_u32 v3, v3, s40
	s_load_dword s39, s[34:35], 0xe4
	v_sub_u32_e32 v3, v1, v3
	v_mad_u64_u32 v[0:1], s[34:35], v3, s42, v[0:1]
	v_mad_u64_u32 v[4:5], s[34:35], v3, s43, v[4:5]
	s_waitcnt lgkmcnt(0)
	v_mad_u64_u32 v[2:3], s[34:35], v3, s39, v[2:3]
	s_cbranch_execz .LBB191_14
	s_branch .LBB191_16
.LBB191_11:
                                        ; implicit-def: $vgpr0
                                        ; implicit-def: $vgpr4
                                        ; implicit-def: $vgpr2
	s_branch .LBB191_14
.LBB191_12:
	v_mov_b32_e32 v0, 0
	v_mov_b32_e32 v4, 0
	;; [unrolled: 1-line block ×3, first 2 shown]
.LBB191_13:
	s_cbranch_execnz .LBB191_16
.LBB191_14:
	s_waitcnt lgkmcnt(0)
	v_mul_hi_u32 v0, s13, v11
	s_andn2_b64 vcc, exec, s[26:27]
	v_add_u32_e32 v0, v11, v0
	v_lshrrev_b32_e32 v1, s14, v0
	v_mul_lo_u32 v0, v1, s12
	v_sub_u32_e32 v2, v11, v0
	v_mul_lo_u32 v0, v2, s8
	v_mul_lo_u32 v4, v2, s9
	;; [unrolled: 1-line block ×3, first 2 shown]
	s_cbranch_vccnz .LBB191_16
; %bb.15:
	v_mul_hi_u32 v3, s24, v1
	v_add_u32_e32 v3, v1, v3
	v_lshrrev_b32_e32 v3, s25, v3
	v_mul_lo_u32 v3, v3, s15
	v_sub_u32_e32 v3, v1, v3
	v_mad_u64_u32 v[0:1], s[34:35], v3, s11, v[0:1]
	v_mad_u64_u32 v[4:5], s[34:35], v3, s22, v[4:5]
	;; [unrolled: 1-line block ×3, first 2 shown]
.LBB191_16:
	s_waitcnt lgkmcnt(0)
	global_load_ushort v1, v4, s[2:3]
	global_load_dword v3, v2, s[4:5]
	v_mov_b32_e32 v2, s7
	v_add_u32_e32 v11, 0x80, v11
	s_waitcnt vmcnt(1)
	v_cvt_f32_f16_e32 v1, v1
	v_cmp_nge_f32_e32 vcc, s6, v1
	s_waitcnt vmcnt(0)
	v_cndmask_b32_e32 v1, v2, v3, vcc
	v_cvt_f16_f32_e32 v1, v1
	global_store_short v0, v1, s[0:1]
	s_or_b64 exec, exec, s[30:31]
	v_cmp_gt_i32_e32 vcc, s38, v11
	s_and_saveexec_b64 s[30:31], vcc
	s_cbranch_execz .LBB191_3
.LBB191_17:
	s_andn2_b64 vcc, exec, s[18:19]
	s_cbranch_vccnz .LBB191_23
; %bb.18:
	s_andn2_b64 vcc, exec, s[28:29]
	s_cbranch_vccnz .LBB191_24
; %bb.19:
	s_add_i32 s34, s37, 1
	s_and_b32 s39, s34, 30
	s_add_u32 s34, s16, 0xffffffe8
	s_addc_u32 s35, s17, -1
	v_mov_b32_e32 v2, 0
	v_mov_b32_e32 v4, 0
	v_mov_b32_e32 v0, 0
	v_mov_b32_e32 v1, v11
.LBB191_20:                             ; =>This Inner Loop Header: Depth=1
	s_load_dwordx4 s[40:43], s[34:35], 0x1c
	s_load_dwordx2 s[48:49], s[34:35], 0x2c
	s_load_dwordx2 s[50:51], s[34:35], 0xec
	s_load_dwordx4 s[44:47], s[34:35], 0xdc
	s_add_u32 s34, s34, 24
	s_waitcnt lgkmcnt(0)
	v_mul_hi_u32 v3, s41, v1
	s_addc_u32 s35, s35, 0
	s_add_i32 s39, s39, -2
	s_cmp_eq_u32 s39, 0
	v_add_u32_e32 v3, v1, v3
	v_lshrrev_b32_e32 v3, s42, v3
	v_mul_lo_u32 v5, v3, s40
	v_mul_hi_u32 v6, s48, v3
	v_sub_u32_e32 v5, v1, v5
	v_add_u32_e32 v1, v3, v6
	v_lshrrev_b32_e32 v1, s49, v1
	v_mul_lo_u32 v8, v1, s43
	v_mul_lo_u32 v6, v5, s44
	v_mul_lo_u32 v7, v5, s45
	v_mul_lo_u32 v5, v5, s46
	v_sub_u32_e32 v3, v3, v8
	v_mul_lo_u32 v8, v3, s47
	v_mul_lo_u32 v9, v3, s50
	;; [unrolled: 1-line block ×3, first 2 shown]
	v_add3_u32 v0, v6, v0, v8
	v_add3_u32 v4, v7, v4, v9
	;; [unrolled: 1-line block ×3, first 2 shown]
	s_cbranch_scc0 .LBB191_20
; %bb.21:
	s_bitcmp1_b32 s37, 0
	s_cselect_b64 s[40:41], -1, 0
	s_and_b64 vcc, exec, s[40:41]
	s_cbranch_vccnz .LBB191_25
; %bb.22:
	s_load_dwordx2 s[40:41], s[34:35], 0x1c
	s_load_dword s39, s[34:35], 0x24
	s_load_dwordx2 s[42:43], s[34:35], 0xdc
	s_waitcnt lgkmcnt(0)
	v_mul_hi_u32 v3, s41, v1
	v_add_u32_e32 v3, v1, v3
	v_lshrrev_b32_e32 v3, s39, v3
	v_mul_lo_u32 v3, v3, s40
	s_load_dword s39, s[34:35], 0xe4
	v_sub_u32_e32 v3, v1, v3
	v_mad_u64_u32 v[0:1], s[34:35], v3, s42, v[0:1]
	v_mad_u64_u32 v[4:5], s[34:35], v3, s43, v[4:5]
	s_waitcnt lgkmcnt(0)
	v_mad_u64_u32 v[2:3], s[34:35], v3, s39, v[2:3]
	s_branch .LBB191_25
.LBB191_23:
                                        ; implicit-def: $vgpr0
                                        ; implicit-def: $vgpr4
                                        ; implicit-def: $vgpr2
	s_branch .LBB191_26
.LBB191_24:
	v_mov_b32_e32 v0, 0
	v_mov_b32_e32 v4, 0
	;; [unrolled: 1-line block ×3, first 2 shown]
.LBB191_25:
	s_cbranch_execnz .LBB191_28
.LBB191_26:
	s_waitcnt lgkmcnt(0)
	v_mul_hi_u32 v0, s13, v11
	s_andn2_b64 vcc, exec, s[26:27]
	v_add_u32_e32 v0, v11, v0
	v_lshrrev_b32_e32 v1, s14, v0
	v_mul_lo_u32 v0, v1, s12
	v_sub_u32_e32 v2, v11, v0
	v_mul_lo_u32 v0, v2, s8
	v_mul_lo_u32 v4, v2, s9
	v_mul_lo_u32 v2, v2, s10
	s_cbranch_vccnz .LBB191_28
; %bb.27:
	v_mul_hi_u32 v3, s24, v1
	v_add_u32_e32 v3, v1, v3
	v_lshrrev_b32_e32 v3, s25, v3
	v_mul_lo_u32 v3, v3, s15
	v_sub_u32_e32 v3, v1, v3
	v_mad_u64_u32 v[0:1], s[34:35], v3, s11, v[0:1]
	v_mad_u64_u32 v[4:5], s[34:35], v3, s22, v[4:5]
	;; [unrolled: 1-line block ×3, first 2 shown]
.LBB191_28:
	s_waitcnt lgkmcnt(0)
	global_load_ushort v1, v4, s[2:3]
	global_load_dword v3, v2, s[4:5]
	v_mov_b32_e32 v2, s7
	v_add_u32_e32 v11, 0x80, v11
	s_waitcnt vmcnt(1)
	v_cvt_f32_f16_e32 v1, v1
	v_cmp_nge_f32_e32 vcc, s6, v1
	s_waitcnt vmcnt(0)
	v_cndmask_b32_e32 v1, v2, v3, vcc
	v_cvt_f16_f32_e32 v1, v1
	global_store_short v0, v1, s[0:1]
	s_or_b64 exec, exec, s[30:31]
	v_cmp_gt_i32_e32 vcc, s38, v11
	s_and_saveexec_b64 s[30:31], vcc
	s_cbranch_execz .LBB191_4
.LBB191_29:
	s_andn2_b64 vcc, exec, s[18:19]
	s_cbranch_vccnz .LBB191_35
; %bb.30:
	s_andn2_b64 vcc, exec, s[28:29]
	s_cbranch_vccnz .LBB191_36
; %bb.31:
	s_add_i32 s34, s37, 1
	s_and_b32 s39, s34, 30
	s_add_u32 s34, s16, 0xffffffe8
	s_addc_u32 s35, s17, -1
	v_mov_b32_e32 v2, 0
	v_mov_b32_e32 v4, 0
	v_mov_b32_e32 v0, 0
	v_mov_b32_e32 v1, v11
.LBB191_32:                             ; =>This Inner Loop Header: Depth=1
	s_load_dwordx4 s[40:43], s[34:35], 0x1c
	s_load_dwordx2 s[48:49], s[34:35], 0x2c
	s_load_dwordx2 s[50:51], s[34:35], 0xec
	s_load_dwordx4 s[44:47], s[34:35], 0xdc
	s_add_u32 s34, s34, 24
	s_waitcnt lgkmcnt(0)
	v_mul_hi_u32 v3, s41, v1
	s_addc_u32 s35, s35, 0
	s_add_i32 s39, s39, -2
	s_cmp_eq_u32 s39, 0
	v_add_u32_e32 v3, v1, v3
	v_lshrrev_b32_e32 v3, s42, v3
	v_mul_lo_u32 v5, v3, s40
	v_mul_hi_u32 v6, s48, v3
	v_sub_u32_e32 v5, v1, v5
	v_add_u32_e32 v1, v3, v6
	v_lshrrev_b32_e32 v1, s49, v1
	v_mul_lo_u32 v8, v1, s43
	v_mul_lo_u32 v6, v5, s44
	;; [unrolled: 1-line block ×4, first 2 shown]
	v_sub_u32_e32 v3, v3, v8
	v_mul_lo_u32 v8, v3, s47
	v_mul_lo_u32 v9, v3, s50
	;; [unrolled: 1-line block ×3, first 2 shown]
	v_add3_u32 v0, v6, v0, v8
	v_add3_u32 v4, v7, v4, v9
	v_add3_u32 v2, v5, v2, v3
	s_cbranch_scc0 .LBB191_32
; %bb.33:
	s_bitcmp1_b32 s37, 0
	s_cselect_b64 s[40:41], -1, 0
	s_and_b64 vcc, exec, s[40:41]
	s_cbranch_vccnz .LBB191_37
; %bb.34:
	s_load_dwordx2 s[40:41], s[34:35], 0x1c
	s_load_dword s39, s[34:35], 0x24
	s_load_dwordx2 s[42:43], s[34:35], 0xdc
	s_waitcnt lgkmcnt(0)
	v_mul_hi_u32 v3, s41, v1
	v_add_u32_e32 v3, v1, v3
	v_lshrrev_b32_e32 v3, s39, v3
	v_mul_lo_u32 v3, v3, s40
	s_load_dword s39, s[34:35], 0xe4
	v_sub_u32_e32 v3, v1, v3
	v_mad_u64_u32 v[0:1], s[34:35], v3, s42, v[0:1]
	v_mad_u64_u32 v[4:5], s[34:35], v3, s43, v[4:5]
	s_waitcnt lgkmcnt(0)
	v_mad_u64_u32 v[2:3], s[34:35], v3, s39, v[2:3]
	s_branch .LBB191_37
.LBB191_35:
                                        ; implicit-def: $vgpr0
                                        ; implicit-def: $vgpr4
                                        ; implicit-def: $vgpr2
	s_branch .LBB191_38
.LBB191_36:
	v_mov_b32_e32 v0, 0
	v_mov_b32_e32 v4, 0
	;; [unrolled: 1-line block ×3, first 2 shown]
.LBB191_37:
	s_cbranch_execnz .LBB191_40
.LBB191_38:
	s_waitcnt lgkmcnt(0)
	v_mul_hi_u32 v0, s13, v11
	s_andn2_b64 vcc, exec, s[26:27]
	v_add_u32_e32 v0, v11, v0
	v_lshrrev_b32_e32 v1, s14, v0
	v_mul_lo_u32 v0, v1, s12
	v_sub_u32_e32 v2, v11, v0
	v_mul_lo_u32 v0, v2, s8
	v_mul_lo_u32 v4, v2, s9
	;; [unrolled: 1-line block ×3, first 2 shown]
	s_cbranch_vccnz .LBB191_40
; %bb.39:
	v_mul_hi_u32 v3, s24, v1
	v_add_u32_e32 v3, v1, v3
	v_lshrrev_b32_e32 v3, s25, v3
	v_mul_lo_u32 v3, v3, s15
	v_sub_u32_e32 v3, v1, v3
	v_mad_u64_u32 v[0:1], s[34:35], v3, s11, v[0:1]
	v_mad_u64_u32 v[4:5], s[34:35], v3, s22, v[4:5]
	;; [unrolled: 1-line block ×3, first 2 shown]
.LBB191_40:
	s_waitcnt lgkmcnt(0)
	global_load_ushort v1, v4, s[2:3]
	global_load_dword v3, v2, s[4:5]
	v_mov_b32_e32 v2, s7
	v_add_u32_e32 v11, 0x80, v11
	s_waitcnt vmcnt(1)
	v_cvt_f32_f16_e32 v1, v1
	v_cmp_nge_f32_e32 vcc, s6, v1
	s_waitcnt vmcnt(0)
	v_cndmask_b32_e32 v1, v2, v3, vcc
	v_cvt_f16_f32_e32 v1, v1
	global_store_short v0, v1, s[0:1]
	s_or_b64 exec, exec, s[30:31]
	v_cmp_gt_i32_e32 vcc, s38, v11
	s_and_saveexec_b64 s[30:31], vcc
	s_cbranch_execz .LBB191_53
.LBB191_41:
	s_andn2_b64 vcc, exec, s[18:19]
	s_cbranch_vccnz .LBB191_47
; %bb.42:
	s_andn2_b64 vcc, exec, s[28:29]
	s_cbranch_vccnz .LBB191_48
; %bb.43:
	s_add_i32 s28, s37, 1
	s_and_b32 s34, s28, 30
	s_add_u32 s28, s16, 0xffffffe8
	s_addc_u32 s29, s17, -1
	v_mov_b32_e32 v2, 0
	v_mov_b32_e32 v4, 0
	;; [unrolled: 1-line block ×4, first 2 shown]
.LBB191_44:                             ; =>This Inner Loop Header: Depth=1
	s_load_dwordx4 s[40:43], s[28:29], 0x1c
	s_load_dwordx2 s[38:39], s[28:29], 0x2c
	s_load_dwordx2 s[48:49], s[28:29], 0xec
	s_load_dwordx4 s[44:47], s[28:29], 0xdc
	s_add_u32 s28, s28, 24
	s_waitcnt lgkmcnt(0)
	v_mul_hi_u32 v3, s41, v1
	s_addc_u32 s29, s29, 0
	s_add_i32 s34, s34, -2
	s_cmp_eq_u32 s34, 0
	v_add_u32_e32 v3, v1, v3
	v_lshrrev_b32_e32 v3, s42, v3
	v_mul_lo_u32 v5, v3, s40
	v_mul_hi_u32 v6, s38, v3
	v_sub_u32_e32 v5, v1, v5
	v_add_u32_e32 v1, v3, v6
	v_lshrrev_b32_e32 v1, s39, v1
	v_mul_lo_u32 v8, v1, s43
	v_mul_lo_u32 v6, v5, s44
	;; [unrolled: 1-line block ×4, first 2 shown]
	v_sub_u32_e32 v3, v3, v8
	v_mul_lo_u32 v8, v3, s47
	v_mul_lo_u32 v9, v3, s48
	v_mul_lo_u32 v3, v3, s49
	v_add3_u32 v0, v6, v0, v8
	v_add3_u32 v4, v7, v4, v9
	;; [unrolled: 1-line block ×3, first 2 shown]
	s_cbranch_scc0 .LBB191_44
; %bb.45:
	s_bitcmp1_b32 s37, 0
	s_cselect_b64 s[34:35], -1, 0
	s_and_b64 vcc, exec, s[34:35]
	s_cbranch_vccnz .LBB191_49
; %bb.46:
	s_load_dwordx2 s[34:35], s[28:29], 0x1c
	s_load_dword s37, s[28:29], 0x24
	s_load_dwordx2 s[38:39], s[28:29], 0xdc
	s_waitcnt lgkmcnt(0)
	v_mul_hi_u32 v3, s35, v1
	v_add_u32_e32 v3, v1, v3
	v_lshrrev_b32_e32 v3, s37, v3
	v_mul_lo_u32 v3, v3, s34
	s_load_dword s34, s[28:29], 0xe4
	v_sub_u32_e32 v3, v1, v3
	v_mad_u64_u32 v[0:1], s[28:29], v3, s38, v[0:1]
	v_mad_u64_u32 v[4:5], s[28:29], v3, s39, v[4:5]
	s_waitcnt lgkmcnt(0)
	v_mad_u64_u32 v[2:3], s[28:29], v3, s34, v[2:3]
	s_branch .LBB191_49
.LBB191_47:
                                        ; implicit-def: $vgpr0
                                        ; implicit-def: $vgpr4
                                        ; implicit-def: $vgpr2
	s_branch .LBB191_50
.LBB191_48:
	v_mov_b32_e32 v0, 0
	v_mov_b32_e32 v4, 0
	;; [unrolled: 1-line block ×3, first 2 shown]
.LBB191_49:
	s_cbranch_execnz .LBB191_52
.LBB191_50:
	s_waitcnt lgkmcnt(0)
	v_mul_hi_u32 v0, s13, v11
	s_andn2_b64 vcc, exec, s[26:27]
	v_add_u32_e32 v0, v11, v0
	v_lshrrev_b32_e32 v1, s14, v0
	v_mul_lo_u32 v0, v1, s12
	v_sub_u32_e32 v2, v11, v0
	v_mul_lo_u32 v0, v2, s8
	v_mul_lo_u32 v4, v2, s9
	;; [unrolled: 1-line block ×3, first 2 shown]
	s_cbranch_vccnz .LBB191_52
; %bb.51:
	v_mul_hi_u32 v3, s24, v1
	v_add_u32_e32 v3, v1, v3
	v_lshrrev_b32_e32 v3, s25, v3
	v_mul_lo_u32 v3, v3, s15
	v_sub_u32_e32 v3, v1, v3
	v_mad_u64_u32 v[0:1], s[8:9], v3, s11, v[0:1]
	v_mad_u64_u32 v[4:5], s[8:9], v3, s22, v[4:5]
	;; [unrolled: 1-line block ×3, first 2 shown]
.LBB191_52:
	s_waitcnt lgkmcnt(0)
	global_load_ushort v1, v4, s[2:3]
	global_load_dword v3, v2, s[4:5]
	v_mov_b32_e32 v2, s7
	s_waitcnt vmcnt(1)
	v_cvt_f32_f16_e32 v1, v1
	v_cmp_nge_f32_e32 vcc, s6, v1
	s_waitcnt vmcnt(0)
	v_cndmask_b32_e32 v1, v2, v3, vcc
	v_cvt_f16_f32_e32 v1, v1
	global_store_short v0, v1, s[0:1]
.LBB191_53:
	s_or_b64 exec, exec, s[30:31]
                                        ; implicit-def: $vgpr21
                                        ; implicit-def: $vgpr11
.LBB191_54:
	s_waitcnt lgkmcnt(0)
	s_andn2_saveexec_b64 s[0:1], s[20:21]
	s_cbranch_execz .LBB191_61
; %bb.55:
	v_cndmask_b32_e64 v0, 0, 1, s[18:19]
	v_cmp_ne_u32_e64 s[0:1], 1, v0
	s_andn2_b64 vcc, exec, s[18:19]
	s_cbranch_vccnz .LBB191_62
; %bb.56:
	s_cmp_lg_u32 s33, 0
	s_cbranch_scc0 .LBB191_63
; %bb.57:
	s_min_u32 s4, s36, 15
	s_add_i32 s2, s4, 1
	s_and_b32 s5, s2, 30
	s_add_u32 s2, s16, 0xffffffe8
	s_addc_u32 s3, s17, -1
	v_mov_b32_e32 v2, 0
	v_mov_b32_e32 v4, 0
	;; [unrolled: 1-line block ×4, first 2 shown]
.LBB191_58:                             ; =>This Inner Loop Header: Depth=1
	s_load_dwordx4 s[8:11], s[2:3], 0x1c
	s_load_dwordx2 s[6:7], s[2:3], 0x2c
	s_load_dwordx2 s[18:19], s[2:3], 0xec
	s_load_dwordx4 s[12:15], s[2:3], 0xdc
	s_add_u32 s2, s2, 24
	s_waitcnt lgkmcnt(0)
	v_mul_hi_u32 v3, s9, v1
	s_addc_u32 s3, s3, 0
	s_add_i32 s5, s5, -2
	s_cmp_lg_u32 s5, 0
	v_add_u32_e32 v3, v1, v3
	v_lshrrev_b32_e32 v3, s10, v3
	v_mul_lo_u32 v5, v3, s8
	v_mul_hi_u32 v6, s6, v3
	v_sub_u32_e32 v5, v1, v5
	v_add_u32_e32 v1, v3, v6
	v_lshrrev_b32_e32 v1, s7, v1
	v_mul_lo_u32 v8, v1, s11
	v_mul_lo_u32 v6, v5, s12
	;; [unrolled: 1-line block ×4, first 2 shown]
	v_sub_u32_e32 v3, v3, v8
	v_mul_lo_u32 v8, v3, s15
	v_mul_lo_u32 v9, v3, s18
	;; [unrolled: 1-line block ×3, first 2 shown]
	v_add3_u32 v0, v6, v0, v8
	v_add3_u32 v4, v7, v4, v9
	;; [unrolled: 1-line block ×3, first 2 shown]
	s_cbranch_scc1 .LBB191_58
; %bb.59:
	s_bitcmp1_b32 s4, 0
	s_cselect_b64 s[4:5], -1, 0
	s_and_b64 vcc, exec, s[4:5]
	s_cbranch_vccnz .LBB191_64
; %bb.60:
	s_load_dwordx2 s[4:5], s[2:3], 0x1c
	s_load_dword s8, s[2:3], 0x24
	s_load_dwordx2 s[6:7], s[2:3], 0xdc
	s_waitcnt lgkmcnt(0)
	v_mul_hi_u32 v3, s5, v1
	v_add_u32_e32 v3, v1, v3
	v_lshrrev_b32_e32 v3, s8, v3
	v_mul_lo_u32 v3, v3, s4
	s_load_dword s4, s[2:3], 0xe4
	v_sub_u32_e32 v3, v1, v3
	v_mad_u64_u32 v[0:1], s[2:3], v3, s6, v[0:1]
	v_mad_u64_u32 v[4:5], s[2:3], v3, s7, v[4:5]
	s_waitcnt lgkmcnt(0)
	v_mad_u64_u32 v[2:3], s[2:3], v3, s4, v[2:3]
	s_cbranch_execz .LBB191_65
	s_branch .LBB191_67
.LBB191_61:
	s_endpgm
.LBB191_62:
                                        ; implicit-def: $vgpr0
                                        ; implicit-def: $vgpr4
                                        ; implicit-def: $vgpr2
	s_branch .LBB191_65
.LBB191_63:
	v_mov_b32_e32 v0, 0
	v_mov_b32_e32 v4, 0
	;; [unrolled: 1-line block ×3, first 2 shown]
.LBB191_64:
	s_cbranch_execnz .LBB191_67
.LBB191_65:
	s_load_dwordx4 s[4:7], s[16:17], 0x4
	s_load_dwordx4 s[8:11], s[16:17], 0xc4
	s_cmp_lt_u32 s33, 2
	s_waitcnt lgkmcnt(0)
	v_mul_hi_u32 v0, s5, v11
	v_add_u32_e32 v0, v11, v0
	v_lshrrev_b32_e32 v1, s6, v0
	v_mul_lo_u32 v0, v1, s4
	v_sub_u32_e32 v2, v11, v0
	v_mul_lo_u32 v0, v2, s8
	v_mul_lo_u32 v4, v2, s9
	v_mul_lo_u32 v2, v2, s10
	s_cbranch_scc1 .LBB191_67
; %bb.66:
	s_load_dwordx4 s[4:7], s[16:17], 0x10
	s_load_dwordx4 s[8:11], s[16:17], 0xd0
	s_waitcnt lgkmcnt(0)
	v_mul_hi_u32 v3, s5, v1
	v_add_u32_e32 v3, v1, v3
	v_lshrrev_b32_e32 v3, s6, v3
	v_mul_lo_u32 v3, v3, s4
	v_sub_u32_e32 v3, v1, v3
	v_mad_u64_u32 v[0:1], s[2:3], v3, s8, v[0:1]
	v_mad_u64_u32 v[4:5], s[2:3], v3, s9, v[4:5]
	;; [unrolled: 1-line block ×3, first 2 shown]
.LBB191_67:
	s_and_b64 vcc, exec, s[0:1]
	v_add_u32_e32 v1, 0x80, v11
	s_cbranch_vccnz .LBB191_73
; %bb.68:
	s_cmp_lg_u32 s33, 0
	s_cbranch_scc0 .LBB191_74
; %bb.69:
	s_min_u32 s4, s36, 15
	s_add_i32 s2, s4, 1
	s_and_b32 s5, s2, 30
	s_add_u32 s2, s16, 0xffffffe8
	s_addc_u32 s3, s17, -1
	v_mov_b32_e32 v7, 0
	v_mov_b32_e32 v9, 0
	;; [unrolled: 1-line block ×4, first 2 shown]
.LBB191_70:                             ; =>This Inner Loop Header: Depth=1
	s_load_dwordx4 s[8:11], s[2:3], 0x1c
	s_load_dwordx2 s[6:7], s[2:3], 0x2c
	s_load_dwordx2 s[18:19], s[2:3], 0xec
	s_load_dwordx4 s[12:15], s[2:3], 0xdc
	s_add_u32 s2, s2, 24
	s_waitcnt lgkmcnt(0)
	v_mul_hi_u32 v6, s9, v3
	s_addc_u32 s3, s3, 0
	s_add_i32 s5, s5, -2
	s_cmp_lg_u32 s5, 0
	v_add_u32_e32 v6, v3, v6
	v_lshrrev_b32_e32 v6, s10, v6
	v_mul_lo_u32 v8, v6, s8
	v_mul_hi_u32 v10, s6, v6
	v_sub_u32_e32 v8, v3, v8
	v_add_u32_e32 v3, v6, v10
	v_lshrrev_b32_e32 v3, s7, v3
	v_mul_lo_u32 v13, v3, s11
	v_mul_lo_u32 v10, v8, s12
	;; [unrolled: 1-line block ×4, first 2 shown]
	v_sub_u32_e32 v6, v6, v13
	v_mul_lo_u32 v13, v6, s15
	v_mul_lo_u32 v14, v6, s18
	;; [unrolled: 1-line block ×3, first 2 shown]
	v_add3_u32 v5, v10, v5, v13
	v_add3_u32 v9, v12, v9, v14
	;; [unrolled: 1-line block ×3, first 2 shown]
	s_cbranch_scc1 .LBB191_70
; %bb.71:
	s_bitcmp1_b32 s4, 0
	s_cselect_b64 s[4:5], -1, 0
	s_and_b64 vcc, exec, s[4:5]
	s_cbranch_vccnz .LBB191_75
; %bb.72:
	s_load_dwordx2 s[4:5], s[2:3], 0x1c
	s_load_dword s8, s[2:3], 0x24
	s_load_dwordx2 s[6:7], s[2:3], 0xdc
	s_waitcnt lgkmcnt(0)
	v_mul_hi_u32 v6, s5, v3
	v_add_u32_e32 v6, v3, v6
	v_lshrrev_b32_e32 v6, s8, v6
	v_mul_lo_u32 v6, v6, s4
	s_load_dword s4, s[2:3], 0xe4
	v_sub_u32_e32 v3, v3, v6
	v_mad_u64_u32 v[5:6], s[2:3], v3, s6, v[5:6]
	v_mad_u64_u32 v[9:10], s[2:3], v3, s7, v[9:10]
	s_waitcnt lgkmcnt(0)
	v_mad_u64_u32 v[7:8], s[2:3], v3, s4, v[7:8]
	s_cbranch_execz .LBB191_76
	s_branch .LBB191_78
.LBB191_73:
                                        ; implicit-def: $vgpr5
                                        ; implicit-def: $vgpr9
                                        ; implicit-def: $vgpr7
	s_branch .LBB191_76
.LBB191_74:
	v_mov_b32_e32 v5, 0
	v_mov_b32_e32 v9, 0
	;; [unrolled: 1-line block ×3, first 2 shown]
.LBB191_75:
	s_cbranch_execnz .LBB191_78
.LBB191_76:
	s_load_dwordx4 s[4:7], s[16:17], 0x4
	s_load_dwordx4 s[8:11], s[16:17], 0xc4
	s_cmp_lt_u32 s33, 2
	s_waitcnt lgkmcnt(0)
	v_mul_hi_u32 v3, s5, v1
	v_add_u32_e32 v3, v1, v3
	v_lshrrev_b32_e32 v3, s6, v3
	v_mul_lo_u32 v5, v3, s4
	v_sub_u32_e32 v1, v1, v5
	v_mul_lo_u32 v5, v1, s8
	v_mul_lo_u32 v9, v1, s9
	;; [unrolled: 1-line block ×3, first 2 shown]
	s_cbranch_scc1 .LBB191_78
; %bb.77:
	s_load_dwordx4 s[4:7], s[16:17], 0x10
	s_load_dwordx4 s[8:11], s[16:17], 0xd0
	s_waitcnt lgkmcnt(0)
	v_mul_hi_u32 v1, s5, v3
	v_add_u32_e32 v1, v3, v1
	v_lshrrev_b32_e32 v1, s6, v1
	v_mul_lo_u32 v1, v1, s4
	v_sub_u32_e32 v1, v3, v1
	v_mad_u64_u32 v[5:6], s[2:3], v1, s8, v[5:6]
	v_mad_u64_u32 v[9:10], s[2:3], v1, s9, v[9:10]
	;; [unrolled: 1-line block ×3, first 2 shown]
.LBB191_78:
	s_and_b64 vcc, exec, s[0:1]
	v_add_u32_e32 v1, 0x100, v11
	s_cbranch_vccnz .LBB191_84
; %bb.79:
	s_cmp_lg_u32 s33, 0
	s_cbranch_scc0 .LBB191_85
; %bb.80:
	s_min_u32 s4, s36, 15
	s_add_i32 s2, s4, 1
	s_and_b32 s5, s2, 30
	s_add_u32 s2, s16, 0xffffffe8
	s_addc_u32 s3, s17, -1
	v_mov_b32_e32 v12, 0
	v_mov_b32_e32 v14, 0
	;; [unrolled: 1-line block ×4, first 2 shown]
.LBB191_81:                             ; =>This Inner Loop Header: Depth=1
	s_load_dwordx4 s[8:11], s[2:3], 0x1c
	s_load_dwordx2 s[6:7], s[2:3], 0x2c
	s_load_dwordx2 s[18:19], s[2:3], 0xec
	s_load_dwordx4 s[12:15], s[2:3], 0xdc
	s_add_u32 s2, s2, 24
	s_waitcnt lgkmcnt(0)
	v_mul_hi_u32 v6, s9, v3
	s_addc_u32 s3, s3, 0
	s_add_i32 s5, s5, -2
	s_cmp_lg_u32 s5, 0
	v_add_u32_e32 v6, v3, v6
	v_lshrrev_b32_e32 v6, s10, v6
	v_mul_lo_u32 v8, v6, s8
	v_mul_hi_u32 v11, s6, v6
	v_sub_u32_e32 v8, v3, v8
	v_add_u32_e32 v3, v6, v11
	v_lshrrev_b32_e32 v3, s7, v3
	v_mul_lo_u32 v15, v3, s11
	v_mul_lo_u32 v11, v8, s12
	;; [unrolled: 1-line block ×4, first 2 shown]
	v_sub_u32_e32 v6, v6, v15
	v_mul_lo_u32 v15, v6, s15
	v_mul_lo_u32 v16, v6, s18
	;; [unrolled: 1-line block ×3, first 2 shown]
	v_add3_u32 v10, v11, v10, v15
	v_add3_u32 v14, v13, v14, v16
	;; [unrolled: 1-line block ×3, first 2 shown]
	s_cbranch_scc1 .LBB191_81
; %bb.82:
	s_bitcmp1_b32 s4, 0
	s_cselect_b64 s[4:5], -1, 0
	s_and_b64 vcc, exec, s[4:5]
	s_cbranch_vccnz .LBB191_86
; %bb.83:
	s_load_dwordx2 s[4:5], s[2:3], 0x1c
	s_load_dword s8, s[2:3], 0x24
	s_load_dwordx2 s[6:7], s[2:3], 0xdc
	s_waitcnt lgkmcnt(0)
	v_mul_hi_u32 v6, s5, v3
	v_add_u32_e32 v6, v3, v6
	v_lshrrev_b32_e32 v6, s8, v6
	v_mul_lo_u32 v6, v6, s4
	s_load_dword s4, s[2:3], 0xe4
	v_sub_u32_e32 v3, v3, v6
	v_mad_u64_u32 v[10:11], s[2:3], v3, s6, v[10:11]
	v_mad_u64_u32 v[14:15], s[2:3], v3, s7, v[14:15]
	s_waitcnt lgkmcnt(0)
	v_mad_u64_u32 v[12:13], s[2:3], v3, s4, v[12:13]
	s_cbranch_execz .LBB191_87
	s_branch .LBB191_89
.LBB191_84:
                                        ; implicit-def: $vgpr10
                                        ; implicit-def: $vgpr14
                                        ; implicit-def: $vgpr12
	s_branch .LBB191_87
.LBB191_85:
	v_mov_b32_e32 v10, 0
	v_mov_b32_e32 v14, 0
	;; [unrolled: 1-line block ×3, first 2 shown]
.LBB191_86:
	s_cbranch_execnz .LBB191_89
.LBB191_87:
	s_load_dwordx4 s[4:7], s[16:17], 0x4
	s_load_dwordx4 s[8:11], s[16:17], 0xc4
	s_cmp_lt_u32 s33, 2
	s_waitcnt lgkmcnt(0)
	v_mul_hi_u32 v3, s5, v1
	v_add_u32_e32 v3, v1, v3
	v_lshrrev_b32_e32 v3, s6, v3
	v_mul_lo_u32 v6, v3, s4
	v_sub_u32_e32 v1, v1, v6
	v_mul_lo_u32 v10, v1, s8
	v_mul_lo_u32 v14, v1, s9
	;; [unrolled: 1-line block ×3, first 2 shown]
	s_cbranch_scc1 .LBB191_89
; %bb.88:
	s_load_dwordx4 s[4:7], s[16:17], 0x10
	s_load_dwordx4 s[8:11], s[16:17], 0xd0
	s_waitcnt lgkmcnt(0)
	v_mul_hi_u32 v1, s5, v3
	v_add_u32_e32 v1, v3, v1
	v_lshrrev_b32_e32 v1, s6, v1
	v_mul_lo_u32 v1, v1, s4
	v_sub_u32_e32 v1, v3, v1
	v_mad_u64_u32 v[10:11], s[2:3], v1, s8, v[10:11]
	v_mad_u64_u32 v[14:15], s[2:3], v1, s9, v[14:15]
	;; [unrolled: 1-line block ×3, first 2 shown]
.LBB191_89:
	s_and_b64 vcc, exec, s[0:1]
	s_cbranch_vccnz .LBB191_95
; %bb.90:
	s_cmp_lg_u32 s33, 0
	s_cbranch_scc0 .LBB191_96
; %bb.91:
	s_min_u32 s2, s36, 15
	s_add_i32 s0, s2, 1
	s_and_b32 s3, s0, 30
	s_add_u32 s0, s16, 0xffffffe8
	s_addc_u32 s1, s17, -1
	v_mov_b32_e32 v17, 0
	v_mov_b32_e32 v19, 0
	;; [unrolled: 1-line block ×4, first 2 shown]
.LBB191_92:                             ; =>This Inner Loop Header: Depth=1
	s_load_dwordx4 s[4:7], s[0:1], 0x1c
	s_load_dwordx2 s[12:13], s[0:1], 0x2c
	s_load_dwordx2 s[14:15], s[0:1], 0xec
	s_load_dwordx4 s[8:11], s[0:1], 0xdc
	s_add_u32 s0, s0, 24
	s_waitcnt lgkmcnt(0)
	v_mul_hi_u32 v3, s5, v1
	s_addc_u32 s1, s1, 0
	s_add_i32 s3, s3, -2
	s_cmp_lg_u32 s3, 0
	v_add_u32_e32 v3, v1, v3
	v_lshrrev_b32_e32 v3, s6, v3
	v_mul_lo_u32 v6, v3, s4
	v_mul_hi_u32 v8, s12, v3
	v_sub_u32_e32 v6, v1, v6
	v_add_u32_e32 v1, v3, v8
	v_lshrrev_b32_e32 v1, s13, v1
	v_mul_lo_u32 v13, v1, s7
	v_mul_lo_u32 v8, v6, s8
	;; [unrolled: 1-line block ×4, first 2 shown]
	v_sub_u32_e32 v3, v3, v13
	v_mul_lo_u32 v13, v3, s11
	v_mul_lo_u32 v16, v3, s14
	;; [unrolled: 1-line block ×3, first 2 shown]
	v_add3_u32 v15, v8, v15, v13
	v_add3_u32 v19, v11, v19, v16
	;; [unrolled: 1-line block ×3, first 2 shown]
	s_cbranch_scc1 .LBB191_92
; %bb.93:
	s_bitcmp1_b32 s2, 0
	s_cselect_b64 s[2:3], -1, 0
	s_and_b64 vcc, exec, s[2:3]
	s_cbranch_vccnz .LBB191_97
; %bb.94:
	s_load_dwordx2 s[2:3], s[0:1], 0x1c
	s_load_dword s6, s[0:1], 0x24
	s_load_dwordx2 s[4:5], s[0:1], 0xdc
	s_waitcnt lgkmcnt(0)
	v_mul_hi_u32 v3, s3, v1
	v_add_u32_e32 v3, v1, v3
	v_lshrrev_b32_e32 v3, s6, v3
	v_mul_lo_u32 v3, v3, s2
	s_load_dword s2, s[0:1], 0xe4
	v_sub_u32_e32 v1, v1, v3
	v_mad_u64_u32 v[15:16], s[0:1], v1, s4, v[15:16]
	v_mad_u64_u32 v[19:20], s[0:1], v1, s5, v[19:20]
	s_waitcnt lgkmcnt(0)
	v_mad_u64_u32 v[17:18], s[0:1], v1, s2, v[17:18]
	s_cbranch_execz .LBB191_98
	s_branch .LBB191_100
.LBB191_95:
                                        ; implicit-def: $vgpr15
                                        ; implicit-def: $vgpr19
                                        ; implicit-def: $vgpr17
	s_branch .LBB191_98
.LBB191_96:
	v_mov_b32_e32 v15, 0
	v_mov_b32_e32 v19, 0
	;; [unrolled: 1-line block ×3, first 2 shown]
.LBB191_97:
	s_cbranch_execnz .LBB191_100
.LBB191_98:
	s_load_dwordx4 s[0:3], s[16:17], 0x4
	s_load_dwordx4 s[4:7], s[16:17], 0xc4
	s_cmp_lt_u32 s33, 2
	s_waitcnt lgkmcnt(0)
	v_mul_hi_u32 v1, s1, v21
	v_add_u32_e32 v1, v21, v1
	v_lshrrev_b32_e32 v1, s2, v1
	v_mul_lo_u32 v3, v1, s0
	v_sub_u32_e32 v3, v21, v3
	v_mul_lo_u32 v15, v3, s4
	v_mul_lo_u32 v19, v3, s5
	;; [unrolled: 1-line block ×3, first 2 shown]
	s_cbranch_scc1 .LBB191_100
; %bb.99:
	s_load_dwordx4 s[0:3], s[16:17], 0x10
	s_load_dwordx4 s[4:7], s[16:17], 0xd0
	s_waitcnt lgkmcnt(0)
	v_mul_hi_u32 v3, s1, v1
	v_add_u32_e32 v3, v1, v3
	v_lshrrev_b32_e32 v3, s2, v3
	v_mul_lo_u32 v3, v3, s0
	v_sub_u32_e32 v1, v1, v3
	v_mad_u64_u32 v[15:16], s[0:1], v1, s4, v[15:16]
	v_mad_u64_u32 v[19:20], s[0:1], v1, s5, v[19:20]
	;; [unrolled: 1-line block ×3, first 2 shown]
.LBB191_100:
	s_load_dwordx8 s[0:7], s[16:17], 0x188
	s_waitcnt lgkmcnt(0)
	global_load_ushort v1, v4, s[2:3]
	global_load_ushort v3, v9, s[2:3]
	;; [unrolled: 1-line block ×4, first 2 shown]
	global_load_dword v11, v2, s[4:5]
	global_load_dword v13, v7, s[4:5]
	;; [unrolled: 1-line block ×4, first 2 shown]
	v_mov_b32_e32 v2, s7
	s_waitcnt vmcnt(7)
	v_cvt_f32_f16_e32 v1, v1
	s_waitcnt vmcnt(6)
	v_cvt_f32_f16_e32 v3, v3
	;; [unrolled: 2-line block ×4, first 2 shown]
	v_cmp_nge_f32_e32 vcc, s6, v1
	s_waitcnt vmcnt(3)
	v_cndmask_b32_e32 v1, v2, v11, vcc
	v_cmp_nge_f32_e32 vcc, s6, v3
	s_waitcnt vmcnt(2)
	v_cndmask_b32_e32 v3, v2, v13, vcc
	v_cmp_nge_f32_e32 vcc, s6, v4
	v_cvt_f16_f32_e32 v1, v1
	s_waitcnt vmcnt(1)
	v_cndmask_b32_e32 v4, v2, v16, vcc
	v_cmp_nge_f32_e32 vcc, s6, v6
	v_cvt_f16_f32_e32 v3, v3
	s_waitcnt vmcnt(0)
	v_cndmask_b32_e32 v2, v2, v18, vcc
	v_cvt_f16_f32_e32 v4, v4
	v_cvt_f16_f32_e32 v2, v2
	global_store_short v0, v1, s[0:1]
	global_store_short v5, v3, s[0:1]
	;; [unrolled: 1-line block ×4, first 2 shown]
	s_endpgm
	.section	.rodata,"a",@progbits
	.p2align	6, 0x0
	.amdhsa_kernel _ZN2at6native32elementwise_kernel_manual_unrollILi128ELi4EZNS0_12_GLOBAL__N_142type_specialized_broadcast_kernel_launcherILi5EE5applyINS0_13BinaryFunctorIfffZNS2_21threshold_kernel_implIfEEvRNS_18TensorIteratorBaseET_SA_EUlffE_EESt5arrayIPcLm3EESD_IN3c1010ScalarTypeELm3EE16OffsetCalculatorILi3EjLb0EEEEvlSA_T0_T1_T2_EUlibE_EEviSM_
		.amdhsa_group_segment_fixed_size 0
		.amdhsa_private_segment_fixed_size 0
		.amdhsa_kernarg_size 432
		.amdhsa_user_sgpr_count 6
		.amdhsa_user_sgpr_private_segment_buffer 1
		.amdhsa_user_sgpr_dispatch_ptr 0
		.amdhsa_user_sgpr_queue_ptr 0
		.amdhsa_user_sgpr_kernarg_segment_ptr 1
		.amdhsa_user_sgpr_dispatch_id 0
		.amdhsa_user_sgpr_flat_scratch_init 0
		.amdhsa_user_sgpr_private_segment_size 0
		.amdhsa_uses_dynamic_stack 0
		.amdhsa_system_sgpr_private_segment_wavefront_offset 0
		.amdhsa_system_sgpr_workgroup_id_x 1
		.amdhsa_system_sgpr_workgroup_id_y 0
		.amdhsa_system_sgpr_workgroup_id_z 0
		.amdhsa_system_sgpr_workgroup_info 0
		.amdhsa_system_vgpr_workitem_id 0
		.amdhsa_next_free_vgpr 22
		.amdhsa_next_free_sgpr 52
		.amdhsa_reserve_vcc 1
		.amdhsa_reserve_flat_scratch 0
		.amdhsa_float_round_mode_32 0
		.amdhsa_float_round_mode_16_64 0
		.amdhsa_float_denorm_mode_32 3
		.amdhsa_float_denorm_mode_16_64 3
		.amdhsa_dx10_clamp 1
		.amdhsa_ieee_mode 1
		.amdhsa_fp16_overflow 0
		.amdhsa_exception_fp_ieee_invalid_op 0
		.amdhsa_exception_fp_denorm_src 0
		.amdhsa_exception_fp_ieee_div_zero 0
		.amdhsa_exception_fp_ieee_overflow 0
		.amdhsa_exception_fp_ieee_underflow 0
		.amdhsa_exception_fp_ieee_inexact 0
		.amdhsa_exception_int_div_zero 0
	.end_amdhsa_kernel
	.section	.text._ZN2at6native32elementwise_kernel_manual_unrollILi128ELi4EZNS0_12_GLOBAL__N_142type_specialized_broadcast_kernel_launcherILi5EE5applyINS0_13BinaryFunctorIfffZNS2_21threshold_kernel_implIfEEvRNS_18TensorIteratorBaseET_SA_EUlffE_EESt5arrayIPcLm3EESD_IN3c1010ScalarTypeELm3EE16OffsetCalculatorILi3EjLb0EEEEvlSA_T0_T1_T2_EUlibE_EEviSM_,"axG",@progbits,_ZN2at6native32elementwise_kernel_manual_unrollILi128ELi4EZNS0_12_GLOBAL__N_142type_specialized_broadcast_kernel_launcherILi5EE5applyINS0_13BinaryFunctorIfffZNS2_21threshold_kernel_implIfEEvRNS_18TensorIteratorBaseET_SA_EUlffE_EESt5arrayIPcLm3EESD_IN3c1010ScalarTypeELm3EE16OffsetCalculatorILi3EjLb0EEEEvlSA_T0_T1_T2_EUlibE_EEviSM_,comdat
.Lfunc_end191:
	.size	_ZN2at6native32elementwise_kernel_manual_unrollILi128ELi4EZNS0_12_GLOBAL__N_142type_specialized_broadcast_kernel_launcherILi5EE5applyINS0_13BinaryFunctorIfffZNS2_21threshold_kernel_implIfEEvRNS_18TensorIteratorBaseET_SA_EUlffE_EESt5arrayIPcLm3EESD_IN3c1010ScalarTypeELm3EE16OffsetCalculatorILi3EjLb0EEEEvlSA_T0_T1_T2_EUlibE_EEviSM_, .Lfunc_end191-_ZN2at6native32elementwise_kernel_manual_unrollILi128ELi4EZNS0_12_GLOBAL__N_142type_specialized_broadcast_kernel_launcherILi5EE5applyINS0_13BinaryFunctorIfffZNS2_21threshold_kernel_implIfEEvRNS_18TensorIteratorBaseET_SA_EUlffE_EESt5arrayIPcLm3EESD_IN3c1010ScalarTypeELm3EE16OffsetCalculatorILi3EjLb0EEEEvlSA_T0_T1_T2_EUlibE_EEviSM_
                                        ; -- End function
	.set _ZN2at6native32elementwise_kernel_manual_unrollILi128ELi4EZNS0_12_GLOBAL__N_142type_specialized_broadcast_kernel_launcherILi5EE5applyINS0_13BinaryFunctorIfffZNS2_21threshold_kernel_implIfEEvRNS_18TensorIteratorBaseET_SA_EUlffE_EESt5arrayIPcLm3EESD_IN3c1010ScalarTypeELm3EE16OffsetCalculatorILi3EjLb0EEEEvlSA_T0_T1_T2_EUlibE_EEviSM_.num_vgpr, 22
	.set _ZN2at6native32elementwise_kernel_manual_unrollILi128ELi4EZNS0_12_GLOBAL__N_142type_specialized_broadcast_kernel_launcherILi5EE5applyINS0_13BinaryFunctorIfffZNS2_21threshold_kernel_implIfEEvRNS_18TensorIteratorBaseET_SA_EUlffE_EESt5arrayIPcLm3EESD_IN3c1010ScalarTypeELm3EE16OffsetCalculatorILi3EjLb0EEEEvlSA_T0_T1_T2_EUlibE_EEviSM_.num_agpr, 0
	.set _ZN2at6native32elementwise_kernel_manual_unrollILi128ELi4EZNS0_12_GLOBAL__N_142type_specialized_broadcast_kernel_launcherILi5EE5applyINS0_13BinaryFunctorIfffZNS2_21threshold_kernel_implIfEEvRNS_18TensorIteratorBaseET_SA_EUlffE_EESt5arrayIPcLm3EESD_IN3c1010ScalarTypeELm3EE16OffsetCalculatorILi3EjLb0EEEEvlSA_T0_T1_T2_EUlibE_EEviSM_.numbered_sgpr, 52
	.set _ZN2at6native32elementwise_kernel_manual_unrollILi128ELi4EZNS0_12_GLOBAL__N_142type_specialized_broadcast_kernel_launcherILi5EE5applyINS0_13BinaryFunctorIfffZNS2_21threshold_kernel_implIfEEvRNS_18TensorIteratorBaseET_SA_EUlffE_EESt5arrayIPcLm3EESD_IN3c1010ScalarTypeELm3EE16OffsetCalculatorILi3EjLb0EEEEvlSA_T0_T1_T2_EUlibE_EEviSM_.num_named_barrier, 0
	.set _ZN2at6native32elementwise_kernel_manual_unrollILi128ELi4EZNS0_12_GLOBAL__N_142type_specialized_broadcast_kernel_launcherILi5EE5applyINS0_13BinaryFunctorIfffZNS2_21threshold_kernel_implIfEEvRNS_18TensorIteratorBaseET_SA_EUlffE_EESt5arrayIPcLm3EESD_IN3c1010ScalarTypeELm3EE16OffsetCalculatorILi3EjLb0EEEEvlSA_T0_T1_T2_EUlibE_EEviSM_.private_seg_size, 0
	.set _ZN2at6native32elementwise_kernel_manual_unrollILi128ELi4EZNS0_12_GLOBAL__N_142type_specialized_broadcast_kernel_launcherILi5EE5applyINS0_13BinaryFunctorIfffZNS2_21threshold_kernel_implIfEEvRNS_18TensorIteratorBaseET_SA_EUlffE_EESt5arrayIPcLm3EESD_IN3c1010ScalarTypeELm3EE16OffsetCalculatorILi3EjLb0EEEEvlSA_T0_T1_T2_EUlibE_EEviSM_.uses_vcc, 1
	.set _ZN2at6native32elementwise_kernel_manual_unrollILi128ELi4EZNS0_12_GLOBAL__N_142type_specialized_broadcast_kernel_launcherILi5EE5applyINS0_13BinaryFunctorIfffZNS2_21threshold_kernel_implIfEEvRNS_18TensorIteratorBaseET_SA_EUlffE_EESt5arrayIPcLm3EESD_IN3c1010ScalarTypeELm3EE16OffsetCalculatorILi3EjLb0EEEEvlSA_T0_T1_T2_EUlibE_EEviSM_.uses_flat_scratch, 0
	.set _ZN2at6native32elementwise_kernel_manual_unrollILi128ELi4EZNS0_12_GLOBAL__N_142type_specialized_broadcast_kernel_launcherILi5EE5applyINS0_13BinaryFunctorIfffZNS2_21threshold_kernel_implIfEEvRNS_18TensorIteratorBaseET_SA_EUlffE_EESt5arrayIPcLm3EESD_IN3c1010ScalarTypeELm3EE16OffsetCalculatorILi3EjLb0EEEEvlSA_T0_T1_T2_EUlibE_EEviSM_.has_dyn_sized_stack, 0
	.set _ZN2at6native32elementwise_kernel_manual_unrollILi128ELi4EZNS0_12_GLOBAL__N_142type_specialized_broadcast_kernel_launcherILi5EE5applyINS0_13BinaryFunctorIfffZNS2_21threshold_kernel_implIfEEvRNS_18TensorIteratorBaseET_SA_EUlffE_EESt5arrayIPcLm3EESD_IN3c1010ScalarTypeELm3EE16OffsetCalculatorILi3EjLb0EEEEvlSA_T0_T1_T2_EUlibE_EEviSM_.has_recursion, 0
	.set _ZN2at6native32elementwise_kernel_manual_unrollILi128ELi4EZNS0_12_GLOBAL__N_142type_specialized_broadcast_kernel_launcherILi5EE5applyINS0_13BinaryFunctorIfffZNS2_21threshold_kernel_implIfEEvRNS_18TensorIteratorBaseET_SA_EUlffE_EESt5arrayIPcLm3EESD_IN3c1010ScalarTypeELm3EE16OffsetCalculatorILi3EjLb0EEEEvlSA_T0_T1_T2_EUlibE_EEviSM_.has_indirect_call, 0
	.section	.AMDGPU.csdata,"",@progbits
; Kernel info:
; codeLenInByte = 4808
; TotalNumSgprs: 56
; NumVgprs: 22
; ScratchSize: 0
; MemoryBound: 0
; FloatMode: 240
; IeeeMode: 1
; LDSByteSize: 0 bytes/workgroup (compile time only)
; SGPRBlocks: 6
; VGPRBlocks: 5
; NumSGPRsForWavesPerEU: 56
; NumVGPRsForWavesPerEU: 22
; Occupancy: 10
; WaveLimiterHint : 1
; COMPUTE_PGM_RSRC2:SCRATCH_EN: 0
; COMPUTE_PGM_RSRC2:USER_SGPR: 6
; COMPUTE_PGM_RSRC2:TRAP_HANDLER: 0
; COMPUTE_PGM_RSRC2:TGID_X_EN: 1
; COMPUTE_PGM_RSRC2:TGID_Y_EN: 0
; COMPUTE_PGM_RSRC2:TGID_Z_EN: 0
; COMPUTE_PGM_RSRC2:TIDIG_COMP_CNT: 0
	.section	.text._ZN2at6native32elementwise_kernel_manual_unrollILi128ELi4EZNS0_15gpu_kernel_implINS0_13BinaryFunctorIfffZNS0_12_GLOBAL__N_121threshold_kernel_implIfEEvRNS_18TensorIteratorBaseET_S8_EUlffE_EEEEvS7_RKS8_EUlibE0_EEviT1_,"axG",@progbits,_ZN2at6native32elementwise_kernel_manual_unrollILi128ELi4EZNS0_15gpu_kernel_implINS0_13BinaryFunctorIfffZNS0_12_GLOBAL__N_121threshold_kernel_implIfEEvRNS_18TensorIteratorBaseET_S8_EUlffE_EEEEvS7_RKS8_EUlibE0_EEviT1_,comdat
	.globl	_ZN2at6native32elementwise_kernel_manual_unrollILi128ELi4EZNS0_15gpu_kernel_implINS0_13BinaryFunctorIfffZNS0_12_GLOBAL__N_121threshold_kernel_implIfEEvRNS_18TensorIteratorBaseET_S8_EUlffE_EEEEvS7_RKS8_EUlibE0_EEviT1_ ; -- Begin function _ZN2at6native32elementwise_kernel_manual_unrollILi128ELi4EZNS0_15gpu_kernel_implINS0_13BinaryFunctorIfffZNS0_12_GLOBAL__N_121threshold_kernel_implIfEEvRNS_18TensorIteratorBaseET_S8_EUlffE_EEEEvS7_RKS8_EUlibE0_EEviT1_
	.p2align	8
	.type	_ZN2at6native32elementwise_kernel_manual_unrollILi128ELi4EZNS0_15gpu_kernel_implINS0_13BinaryFunctorIfffZNS0_12_GLOBAL__N_121threshold_kernel_implIfEEvRNS_18TensorIteratorBaseET_S8_EUlffE_EEEEvS7_RKS8_EUlibE0_EEviT1_,@function
_ZN2at6native32elementwise_kernel_manual_unrollILi128ELi4EZNS0_15gpu_kernel_implINS0_13BinaryFunctorIfffZNS0_12_GLOBAL__N_121threshold_kernel_implIfEEvRNS_18TensorIteratorBaseET_S8_EUlffE_EEEEvS7_RKS8_EUlibE0_EEviT1_: ; @_ZN2at6native32elementwise_kernel_manual_unrollILi128ELi4EZNS0_15gpu_kernel_implINS0_13BinaryFunctorIfffZNS0_12_GLOBAL__N_121threshold_kernel_implIfEEvRNS_18TensorIteratorBaseET_S8_EUlffE_EEEEvS7_RKS8_EUlibE0_EEviT1_
; %bb.0:
	s_load_dword s68, s[4:5], 0x0
	s_load_dword s33, s[4:5], 0x8
	s_add_u32 s2, s4, 8
	s_addc_u32 s3, s5, 0
	v_lshl_or_b32 v8, s6, 9, v0
	v_or_b32_e32 v23, 0x180, v8
	s_waitcnt lgkmcnt(0)
	s_add_i32 s70, s33, -1
	s_cmp_gt_u32 s70, 1
	v_cmp_le_i32_e32 vcc, s68, v23
	s_cselect_b64 s[24:25], -1, 0
	s_mov_b64 s[6:7], 0
	s_mov_b64 s[12:13], 0
	s_and_saveexec_b64 s[0:1], vcc
	s_xor_b64 s[26:27], exec, s[0:1]
	s_cbranch_execz .LBB192_1589
; %bb.1:
	s_load_dwordx8 s[8:15], s[2:3], 0x188
	s_cmp_lg_u32 s33, 0
	s_load_dwordx4 s[16:19], s[2:3], 0x4
	s_load_dwordx2 s[28:29], s[2:3], 0x14
	s_load_dword s71, s[2:3], 0x1a8
	s_load_dwordx4 s[20:23], s[2:3], 0xc4
	s_load_dwordx2 s[30:31], s[2:3], 0xd4
	s_cselect_b64 s[36:37], -1, 0
	s_min_u32 s74, s70, 15
	s_cmp_gt_u32 s33, 1
	s_cselect_b64 s[34:35], -1, 0
	s_waitcnt lgkmcnt(0)
	s_lshr_b32 s73, s71, 8
	s_lshr_b32 s72, s71, 16
	v_cmp_gt_i32_e32 vcc, s68, v8
	s_mov_b64 s[0:1], -1
	s_mov_b64 s[48:49], 0
	s_mov_b64 s[42:43], 0
	;; [unrolled: 1-line block ×4, first 2 shown]
	s_and_saveexec_b64 s[44:45], vcc
	s_cbranch_execz .LBB192_394
; %bb.2:
	s_andn2_b64 vcc, exec, s[24:25]
	s_cbranch_vccnz .LBB192_8
; %bb.3:
	s_andn2_b64 vcc, exec, s[36:37]
	s_cbranch_vccnz .LBB192_9
; %bb.4:
	s_add_i32 s0, s74, 1
	s_and_b32 s38, s0, 30
	s_add_u32 s0, s2, 0xffffffe8
	s_addc_u32 s1, s3, -1
	v_mov_b32_e32 v2, 0
	v_mov_b32_e32 v4, 0
	;; [unrolled: 1-line block ×4, first 2 shown]
.LBB192_5:                              ; =>This Inner Loop Header: Depth=1
	s_load_dwordx4 s[40:43], s[0:1], 0x1c
	s_load_dwordx2 s[46:47], s[0:1], 0x2c
	s_load_dwordx2 s[50:51], s[0:1], 0xec
	s_load_dwordx4 s[52:55], s[0:1], 0xdc
	s_add_u32 s0, s0, 24
	s_waitcnt lgkmcnt(0)
	v_mul_hi_u32 v3, s41, v1
	s_addc_u32 s1, s1, 0
	s_add_i32 s38, s38, -2
	s_cmp_lg_u32 s38, 0
	v_add_u32_e32 v3, v1, v3
	v_lshrrev_b32_e32 v3, s42, v3
	v_mul_lo_u32 v5, v3, s40
	v_mul_hi_u32 v6, s46, v3
	v_sub_u32_e32 v5, v1, v5
	v_add_u32_e32 v1, v3, v6
	v_lshrrev_b32_e32 v1, s47, v1
	v_mul_lo_u32 v9, v1, s43
	v_mul_lo_u32 v6, v5, s52
	v_mul_lo_u32 v7, v5, s53
	v_mul_lo_u32 v5, v5, s54
	v_sub_u32_e32 v3, v3, v9
	v_mul_lo_u32 v9, v3, s55
	v_mul_lo_u32 v10, v3, s50
	;; [unrolled: 1-line block ×3, first 2 shown]
	v_add3_u32 v0, v6, v0, v9
	v_add3_u32 v4, v7, v4, v10
	;; [unrolled: 1-line block ×3, first 2 shown]
	s_cbranch_scc1 .LBB192_5
; %bb.6:
	s_bitcmp1_b32 s74, 0
	s_cselect_b64 s[38:39], -1, 0
	s_and_b64 vcc, exec, s[38:39]
	s_cbranch_vccnz .LBB192_10
; %bb.7:
	s_load_dwordx2 s[38:39], s[0:1], 0x1c
	s_load_dword s42, s[0:1], 0x24
	s_load_dwordx2 s[40:41], s[0:1], 0xdc
	s_waitcnt lgkmcnt(0)
	v_mul_hi_u32 v3, s39, v1
	v_add_u32_e32 v3, v1, v3
	v_lshrrev_b32_e32 v3, s42, v3
	v_mul_lo_u32 v3, v3, s38
	s_load_dword s38, s[0:1], 0xe4
	v_sub_u32_e32 v3, v1, v3
	v_mad_u64_u32 v[0:1], s[0:1], v3, s40, v[0:1]
	v_mad_u64_u32 v[4:5], s[0:1], v3, s41, v[4:5]
	s_waitcnt lgkmcnt(0)
	v_mad_u64_u32 v[2:3], s[0:1], v3, s38, v[2:3]
	s_cbranch_execz .LBB192_11
	s_branch .LBB192_13
.LBB192_8:
                                        ; implicit-def: $vgpr0
                                        ; implicit-def: $vgpr4
                                        ; implicit-def: $vgpr2
	s_andn2_b64 vcc, exec, s[0:1]
	s_cbranch_vccz .LBB192_11
	s_branch .LBB192_13
.LBB192_9:
	v_mov_b32_e32 v0, 0
	v_mov_b32_e32 v4, 0
	v_mov_b32_e32 v2, 0
.LBB192_10:
	s_cbranch_execnz .LBB192_13
.LBB192_11:
	v_mul_hi_u32 v0, s17, v8
	s_andn2_b64 vcc, exec, s[34:35]
	v_add_u32_e32 v0, v8, v0
	v_lshrrev_b32_e32 v1, s18, v0
	v_mul_lo_u32 v0, v1, s16
	v_sub_u32_e32 v2, v8, v0
	v_mul_lo_u32 v0, v2, s20
	v_mul_lo_u32 v4, v2, s21
	v_mul_lo_u32 v2, v2, s22
	s_cbranch_vccnz .LBB192_13
; %bb.12:
	v_mul_hi_u32 v3, s28, v1
	v_add_u32_e32 v3, v1, v3
	v_lshrrev_b32_e32 v3, s29, v3
	v_mul_lo_u32 v3, v3, s19
	v_sub_u32_e32 v3, v1, v3
	v_mad_u64_u32 v[0:1], s[0:1], v3, s23, v[0:1]
	v_mad_u64_u32 v[4:5], s[0:1], v3, s30, v[4:5]
	;; [unrolled: 1-line block ×3, first 2 shown]
.LBB192_13:
	v_mov_b32_e32 v1, s11
	s_and_b32 s46, s73, 0xff
	v_add_co_u32_e32 v3, vcc, s10, v4
	s_cmp_lt_i32 s46, 11
	v_addc_co_u32_e32 v4, vcc, 0, v1, vcc
	s_cbranch_scc1 .LBB192_20
; %bb.14:
	s_and_b32 s47, 0xffff, s46
	s_cmp_gt_i32 s47, 25
	s_cbranch_scc0 .LBB192_29
; %bb.15:
	s_cmp_gt_i32 s47, 28
	s_cbranch_scc0 .LBB192_39
; %bb.16:
	;; [unrolled: 3-line block ×4, first 2 shown]
	s_cmp_eq_u32 s47, 46
	s_mov_b64 s[38:39], 0
	s_cbranch_scc0 .LBB192_48
; %bb.19:
	global_load_dword v1, v[3:4], off
	s_mov_b64 s[0:1], -1
	s_mov_b64 s[42:43], 0
	s_waitcnt vmcnt(0)
	v_lshlrev_b32_e32 v5, 16, v1
	s_branch .LBB192_50
.LBB192_20:
	s_mov_b64 s[42:43], 0
                                        ; implicit-def: $vgpr5
	s_mov_b64 s[0:1], 0
	s_cbranch_execnz .LBB192_116
.LBB192_21:
	s_andn2_b64 vcc, exec, s[0:1]
	s_cbranch_vccnz .LBB192_163
.LBB192_22:
	v_mov_b32_e32 v3, s13
	s_and_b32 s50, s72, 0xff
	v_add_co_u32_e32 v1, vcc, s12, v2
	s_cmp_lt_i32 s50, 11
	v_addc_co_u32_e32 v2, vcc, 0, v3, vcc
	s_cbranch_scc1 .LBB192_30
; %bb.23:
	s_and_b32 s51, 0xffff, s50
	s_cmp_gt_i32 s51, 25
	s_cbranch_scc0 .LBB192_40
; %bb.24:
	s_cmp_gt_i32 s51, 28
	s_cbranch_scc0 .LBB192_43
; %bb.25:
	s_cmp_gt_i32 s51, 43
	s_cbranch_scc0 .LBB192_46
; %bb.26:
	s_cmp_gt_i32 s51, 45
	s_cbranch_scc0 .LBB192_53
; %bb.27:
	s_cmp_eq_u32 s51, 46
	s_mov_b64 s[38:39], 0
	s_cbranch_scc0 .LBB192_164
; %bb.28:
	global_load_dword v3, v[1:2], off
	s_mov_b64 s[0:1], -1
	s_mov_b64 s[40:41], 0
	s_waitcnt vmcnt(0)
	v_lshlrev_b32_e32 v3, 16, v3
	s_branch .LBB192_166
.LBB192_29:
	s_mov_b64 s[42:43], 0
	s_mov_b64 s[0:1], 0
                                        ; implicit-def: $vgpr5
	s_cbranch_execnz .LBB192_81
	s_branch .LBB192_115
.LBB192_30:
	s_mov_b64 s[40:41], 0
                                        ; implicit-def: $vgpr3
	s_mov_b64 s[0:1], 0
	s_cbranch_execnz .LBB192_343
.LBB192_31:
	s_andn2_b64 vcc, exec, s[0:1]
	s_cbranch_vccnz .LBB192_391
.LBB192_32:
	v_mov_b32_e32 v1, s15
	s_waitcnt vmcnt(0)
	v_cmp_nge_f32_e32 vcc, s14, v5
	v_cndmask_b32_e32 v2, v1, v3, vcc
	v_mov_b32_e32 v1, s9
	s_and_b32 s52, s71, 0xff
	v_add_co_u32_e32 v0, vcc, s8, v0
	s_cmp_lt_i32 s52, 11
	v_addc_co_u32_e32 v1, vcc, 0, v1, vcc
	s_cbranch_scc1 .LBB192_41
; %bb.33:
	s_and_b32 s53, 0xffff, s52
	s_cmp_gt_i32 s53, 25
	s_cbranch_scc0 .LBB192_44
; %bb.34:
	s_cmp_gt_i32 s53, 28
	s_cbranch_scc0 .LBB192_47
; %bb.35:
	s_cmp_gt_i32 s53, 43
	s_cbranch_scc0 .LBB192_54
; %bb.36:
	s_cmp_gt_i32 s53, 45
	s_cbranch_scc0 .LBB192_169
; %bb.37:
	s_mov_b64 s[46:47], 0
	s_mov_b64 s[0:1], -1
	s_cmp_eq_u32 s53, 46
	s_mov_b64 s[38:39], 0
	s_cbranch_scc0 .LBB192_170
; %bb.38:
	v_bfe_u32 v3, v2, 16, 1
	s_movk_i32 s0, 0x7fff
	v_add3_u32 v3, v2, v3, s0
	v_cmp_o_f32_e32 vcc, v2, v2
	v_mov_b32_e32 v4, 0x7fc0
	v_cndmask_b32_sdwa v3, v4, v3, vcc dst_sel:DWORD dst_unused:UNUSED_PAD src0_sel:DWORD src1_sel:WORD_1
	global_store_dword v[0:1], v3, off
	s_mov_b64 s[38:39], -1
	s_mov_b64 s[0:1], 0
	s_branch .LBB192_170
.LBB192_39:
	s_mov_b64 s[38:39], -1
	s_mov_b64 s[42:43], 0
	s_mov_b64 s[0:1], 0
                                        ; implicit-def: $vgpr5
	s_branch .LBB192_62
.LBB192_40:
	s_mov_b64 s[38:39], -1
	s_mov_b64 s[40:41], 0
	s_mov_b64 s[0:1], 0
                                        ; implicit-def: $vgpr3
	s_branch .LBB192_307
.LBB192_41:
	s_mov_b64 s[46:47], -1
	s_mov_b64 s[0:1], 0
	s_mov_b64 s[38:39], 0
	s_branch .LBB192_239
.LBB192_42:
	s_mov_b64 s[38:39], -1
	s_mov_b64 s[42:43], 0
	s_mov_b64 s[0:1], 0
                                        ; implicit-def: $vgpr5
	s_branch .LBB192_57
.LBB192_43:
	s_mov_b64 s[38:39], -1
	s_mov_b64 s[40:41], 0
	s_mov_b64 s[0:1], 0
                                        ; implicit-def: $vgpr3
	s_branch .LBB192_288
.LBB192_44:
	s_mov_b64 s[46:47], -1
	s_mov_b64 s[0:1], 0
	s_mov_b64 s[38:39], 0
	s_branch .LBB192_197
.LBB192_45:
	s_mov_b64 s[38:39], -1
	s_mov_b64 s[42:43], 0
	s_branch .LBB192_49
.LBB192_46:
	s_mov_b64 s[38:39], -1
	s_mov_b64 s[40:41], 0
	s_mov_b64 s[0:1], 0
                                        ; implicit-def: $vgpr3
	s_branch .LBB192_283
.LBB192_47:
	s_mov_b64 s[46:47], -1
	s_mov_b64 s[0:1], 0
	s_mov_b64 s[38:39], 0
	s_branch .LBB192_180
.LBB192_48:
	s_mov_b64 s[42:43], -1
.LBB192_49:
	s_mov_b64 s[0:1], 0
                                        ; implicit-def: $vgpr5
.LBB192_50:
	s_and_b64 vcc, exec, s[38:39]
	s_cbranch_vccz .LBB192_56
; %bb.51:
	s_cmp_eq_u32 s47, 44
	s_cbranch_scc0 .LBB192_55
; %bb.52:
	global_load_ubyte v1, v[3:4], off
	s_movk_i32 s38, 0xff
	v_mov_b32_e32 v5, 0x7f800001
	v_mov_b32_e32 v6, 0x400000
	s_mov_b64 s[0:1], -1
	s_mov_b64 s[42:43], 0
	s_waitcnt vmcnt(0)
	v_lshlrev_b32_e32 v7, 23, v1
	v_cmp_ne_u32_e32 vcc, s38, v1
	v_cndmask_b32_e32 v5, v5, v7, vcc
	v_cmp_ne_u32_e32 vcc, 0, v1
	v_cndmask_b32_e32 v5, v6, v5, vcc
	s_branch .LBB192_56
.LBB192_53:
	s_mov_b64 s[38:39], -1
	s_mov_b64 s[40:41], 0
	s_branch .LBB192_165
.LBB192_54:
	s_mov_b64 s[46:47], -1
	s_mov_b64 s[0:1], 0
	s_mov_b64 s[38:39], 0
	s_branch .LBB192_176
.LBB192_55:
	s_mov_b64 s[42:43], -1
                                        ; implicit-def: $vgpr5
.LBB192_56:
	s_mov_b64 s[38:39], 0
.LBB192_57:
	s_and_b64 vcc, exec, s[38:39]
	s_cbranch_vccz .LBB192_61
; %bb.58:
	s_cmp_eq_u32 s47, 29
	s_cbranch_scc0 .LBB192_60
; %bb.59:
	global_load_dwordx2 v[5:6], v[3:4], off
	s_mov_b64 s[0:1], -1
	s_mov_b64 s[42:43], 0
	s_mov_b64 s[38:39], 0
	s_waitcnt vmcnt(0)
	v_ffbh_u32_e32 v1, v6
	v_min_u32_e32 v1, 32, v1
	v_lshlrev_b64 v[5:6], v1, v[5:6]
	v_sub_u32_e32 v1, 32, v1
	v_min_u32_e32 v5, 1, v5
	v_or_b32_e32 v5, v6, v5
	v_cvt_f32_u32_e32 v5, v5
	v_ldexp_f32 v5, v5, v1
	s_branch .LBB192_62
.LBB192_60:
	s_mov_b64 s[42:43], -1
                                        ; implicit-def: $vgpr5
.LBB192_61:
	s_mov_b64 s[38:39], 0
.LBB192_62:
	s_and_b64 vcc, exec, s[38:39]
	s_cbranch_vccz .LBB192_80
; %bb.63:
	s_cmp_lt_i32 s47, 27
	s_cbranch_scc1 .LBB192_66
; %bb.64:
	s_cmp_gt_i32 s47, 27
	s_cbranch_scc0 .LBB192_67
; %bb.65:
	global_load_dword v1, v[3:4], off
	s_mov_b64 s[0:1], 0
	s_waitcnt vmcnt(0)
	v_cvt_f32_u32_e32 v5, v1
	s_branch .LBB192_68
.LBB192_66:
	s_mov_b64 s[0:1], -1
                                        ; implicit-def: $vgpr5
	s_branch .LBB192_71
.LBB192_67:
	s_mov_b64 s[0:1], -1
                                        ; implicit-def: $vgpr5
.LBB192_68:
	s_andn2_b64 vcc, exec, s[0:1]
	s_cbranch_vccnz .LBB192_70
; %bb.69:
	global_load_ushort v1, v[3:4], off
	s_waitcnt vmcnt(0)
	v_cvt_f32_u32_e32 v5, v1
.LBB192_70:
	s_mov_b64 s[0:1], 0
.LBB192_71:
	s_andn2_b64 vcc, exec, s[0:1]
	s_cbranch_vccnz .LBB192_79
; %bb.72:
	global_load_ubyte v1, v[3:4], off
	s_movk_i32 s0, 0x7f
	s_waitcnt vmcnt(0)
	v_cmp_lt_i16_e32 vcc, s0, v1
	s_mov_b64 s[0:1], 0
	s_and_saveexec_b64 s[38:39], vcc
	s_xor_b64 s[38:39], exec, s[38:39]
	s_cbranch_execz .LBB192_92
; %bb.73:
	s_movk_i32 s0, 0x80
	v_cmp_eq_u16_e32 vcc, s0, v1
	s_mov_b64 s[0:1], -1
	s_and_saveexec_b64 s[40:41], vcc
; %bb.74:
	s_xor_b64 s[0:1], exec, -1
; %bb.75:
	s_or_b64 exec, exec, s[40:41]
	s_and_b64 s[0:1], s[0:1], exec
	s_or_saveexec_b64 s[38:39], s[38:39]
	v_mov_b32_e32 v5, 0x7f800001
	s_xor_b64 exec, exec, s[38:39]
	s_cbranch_execnz .LBB192_93
.LBB192_76:
	s_or_b64 exec, exec, s[38:39]
	s_and_saveexec_b64 s[38:39], s[0:1]
	s_cbranch_execz .LBB192_78
.LBB192_77:
	v_lshlrev_b32_e32 v5, 24, v1
	v_and_b32_e32 v1, 0xffff, v1
	v_and_b32_e32 v6, 7, v1
	v_ffbh_u32_e32 v9, v6
	v_min_u32_e32 v9, 32, v9
	v_subrev_u32_e32 v10, 28, v9
	v_bfe_u32 v7, v1, 3, 4
	v_lshlrev_b32_e32 v1, v10, v1
	v_sub_u32_e32 v9, 29, v9
	v_and_b32_e32 v1, 7, v1
	v_cmp_eq_u32_e32 vcc, 0, v7
	v_cndmask_b32_e32 v7, v7, v9, vcc
	v_cndmask_b32_e32 v1, v6, v1, vcc
	v_mov_b32_e32 v6, 0x3b800000
	v_lshlrev_b32_e32 v1, 20, v1
	v_and_b32_e32 v5, 0x80000000, v5
	v_lshl_add_u32 v6, v7, 23, v6
	v_or3_b32 v5, v5, v6, v1
.LBB192_78:
	s_or_b64 exec, exec, s[38:39]
.LBB192_79:
	s_mov_b64 s[0:1], -1
.LBB192_80:
	s_branch .LBB192_115
.LBB192_81:
	s_cmp_gt_i32 s47, 22
	s_cbranch_scc0 .LBB192_91
; %bb.82:
	s_cmp_lt_i32 s47, 24
	s_cbranch_scc1 .LBB192_94
; %bb.83:
	s_cmp_gt_i32 s47, 24
	s_cbranch_scc0 .LBB192_95
; %bb.84:
	global_load_ubyte v1, v[3:4], off
	s_movk_i32 s0, 0x7f
	s_waitcnt vmcnt(0)
	v_cmp_lt_i16_e32 vcc, s0, v1
	s_mov_b64 s[0:1], 0
	s_and_saveexec_b64 s[38:39], vcc
	s_xor_b64 s[38:39], exec, s[38:39]
	s_cbranch_execz .LBB192_107
; %bb.85:
	s_movk_i32 s0, 0x80
	v_cmp_eq_u16_e32 vcc, s0, v1
	s_mov_b64 s[0:1], -1
	s_and_saveexec_b64 s[40:41], vcc
; %bb.86:
	s_xor_b64 s[0:1], exec, -1
; %bb.87:
	s_or_b64 exec, exec, s[40:41]
	s_and_b64 s[0:1], s[0:1], exec
	s_or_saveexec_b64 s[38:39], s[38:39]
	v_mov_b32_e32 v5, 0x7f800001
	s_xor_b64 exec, exec, s[38:39]
	s_cbranch_execnz .LBB192_108
.LBB192_88:
	s_or_b64 exec, exec, s[38:39]
	s_and_saveexec_b64 s[38:39], s[0:1]
	s_cbranch_execz .LBB192_90
.LBB192_89:
	v_lshlrev_b32_e32 v5, 24, v1
	v_and_b32_e32 v1, 0xffff, v1
	v_and_b32_e32 v6, 3, v1
	v_ffbh_u32_e32 v9, v6
	v_min_u32_e32 v9, 32, v9
	v_subrev_u32_e32 v10, 29, v9
	v_bfe_u32 v7, v1, 2, 5
	v_lshlrev_b32_e32 v1, v10, v1
	v_sub_u32_e32 v9, 30, v9
	v_and_b32_e32 v1, 3, v1
	v_cmp_eq_u32_e32 vcc, 0, v7
	v_cndmask_b32_e32 v7, v7, v9, vcc
	v_cndmask_b32_e32 v1, v6, v1, vcc
	v_mov_b32_e32 v6, 0x37800000
	v_lshlrev_b32_e32 v1, 21, v1
	v_and_b32_e32 v5, 0x80000000, v5
	v_lshl_add_u32 v6, v7, 23, v6
	v_or3_b32 v5, v5, v6, v1
.LBB192_90:
	s_or_b64 exec, exec, s[38:39]
	s_mov_b64 s[0:1], 0
	s_branch .LBB192_96
.LBB192_91:
	s_mov_b64 s[38:39], -1
                                        ; implicit-def: $vgpr5
	s_branch .LBB192_102
.LBB192_92:
	s_or_saveexec_b64 s[38:39], s[38:39]
	v_mov_b32_e32 v5, 0x7f800001
	s_xor_b64 exec, exec, s[38:39]
	s_cbranch_execz .LBB192_76
.LBB192_93:
	v_cmp_ne_u16_e32 vcc, 0, v1
	s_andn2_b64 s[0:1], s[0:1], exec
	s_and_b64 s[40:41], vcc, exec
	v_mov_b32_e32 v5, 0
	s_or_b64 s[0:1], s[0:1], s[40:41]
	s_or_b64 exec, exec, s[38:39]
	s_and_saveexec_b64 s[38:39], s[0:1]
	s_cbranch_execnz .LBB192_77
	s_branch .LBB192_78
.LBB192_94:
	s_mov_b64 s[0:1], -1
                                        ; implicit-def: $vgpr5
	s_branch .LBB192_99
.LBB192_95:
	s_mov_b64 s[0:1], -1
                                        ; implicit-def: $vgpr5
.LBB192_96:
	s_and_b64 vcc, exec, s[0:1]
	s_cbranch_vccz .LBB192_98
; %bb.97:
	global_load_ubyte v1, v[3:4], off
	s_mov_b32 s0, 0x7f800000
	s_waitcnt vmcnt(0)
	v_lshlrev_b32_e32 v1, 24, v1
	v_and_b32_e32 v5, 0x7f000000, v1
	v_ffbh_u32_e32 v6, v5
	v_min_u32_e32 v6, 32, v6
	v_sub_u32_e64 v6, v6, 4 clamp
	v_lshlrev_b32_e32 v9, v6, v5
	v_lshlrev_b32_e32 v6, 23, v6
	v_lshrrev_b32_e32 v9, 4, v9
	v_add_u32_e32 v7, 0x1000000, v5
	v_sub_u32_e32 v6, v9, v6
	v_ashrrev_i32_e32 v7, 8, v7
	v_add_u32_e32 v6, 0x3c000000, v6
	v_and_or_b32 v6, v7, s0, v6
	v_cmp_ne_u32_e32 vcc, 0, v5
	v_cndmask_b32_e32 v5, 0, v6, vcc
	s_brev_b32 s0, 1
	v_and_or_b32 v5, v1, s0, v5
.LBB192_98:
	s_mov_b64 s[0:1], 0
.LBB192_99:
	s_andn2_b64 vcc, exec, s[0:1]
	s_cbranch_vccnz .LBB192_101
; %bb.100:
	global_load_ubyte v1, v[3:4], off
	s_movk_i32 s0, 0x7f00
	s_brev_b32 s1, 16
	s_waitcnt vmcnt(0)
	v_lshlrev_b16_e32 v5, 8, v1
	v_lshlrev_b32_e32 v1, 25, v1
	v_lshrrev_b32_e32 v6, 4, v1
	v_and_or_b32 v7, v5, s0, 0.5
	v_or_b32_e32 v6, 0x70000000, v6
	v_add_f32_e32 v7, -0.5, v7
	v_mul_f32_e32 v6, 0x7800000, v6
	v_cmp_gt_u32_e32 vcc, s1, v1
	v_bfe_i32 v5, v5, 0, 16
	v_cndmask_b32_e32 v1, v6, v7, vcc
	s_brev_b32 s0, 1
	v_and_or_b32 v5, v5, s0, v1
.LBB192_101:
	s_mov_b64 s[38:39], 0
	s_mov_b64 s[0:1], -1
.LBB192_102:
	s_andn2_b64 vcc, exec, s[38:39]
	s_cbranch_vccnz .LBB192_115
; %bb.103:
	s_cmp_gt_i32 s47, 14
	s_cbranch_scc0 .LBB192_106
; %bb.104:
	s_cmp_eq_u32 s47, 15
	s_cbranch_scc0 .LBB192_109
; %bb.105:
	global_load_ushort v1, v[3:4], off
	s_mov_b64 s[0:1], -1
	s_mov_b64 s[42:43], 0
	s_waitcnt vmcnt(0)
	v_lshlrev_b32_e32 v5, 16, v1
	s_branch .LBB192_110
.LBB192_106:
	s_mov_b64 s[38:39], -1
                                        ; implicit-def: $vgpr5
	s_branch .LBB192_111
.LBB192_107:
	s_or_saveexec_b64 s[38:39], s[38:39]
	v_mov_b32_e32 v5, 0x7f800001
	s_xor_b64 exec, exec, s[38:39]
	s_cbranch_execz .LBB192_88
.LBB192_108:
	v_cmp_ne_u16_e32 vcc, 0, v1
	s_andn2_b64 s[0:1], s[0:1], exec
	s_and_b64 s[40:41], vcc, exec
	v_mov_b32_e32 v5, 0
	s_or_b64 s[0:1], s[0:1], s[40:41]
	s_or_b64 exec, exec, s[38:39]
	s_and_saveexec_b64 s[38:39], s[0:1]
	s_cbranch_execnz .LBB192_89
	s_branch .LBB192_90
.LBB192_109:
	s_mov_b64 s[42:43], -1
                                        ; implicit-def: $vgpr5
.LBB192_110:
	s_mov_b64 s[38:39], 0
.LBB192_111:
	s_and_b64 vcc, exec, s[38:39]
	s_cbranch_vccz .LBB192_115
; %bb.112:
	s_cmp_eq_u32 s47, 11
	s_cbranch_scc0 .LBB192_114
; %bb.113:
	global_load_ubyte v1, v[3:4], off
	s_mov_b64 s[0:1], -1
	s_mov_b64 s[42:43], 0
	s_waitcnt vmcnt(0)
	v_cmp_ne_u16_e32 vcc, 0, v1
	v_cndmask_b32_e64 v5, 0, 1.0, vcc
	s_branch .LBB192_115
.LBB192_114:
	s_mov_b64 s[42:43], -1
                                        ; implicit-def: $vgpr5
.LBB192_115:
	s_branch .LBB192_21
.LBB192_116:
	s_and_b32 s38, 0xffff, s46
	s_cmp_lt_i32 s38, 5
	s_cbranch_scc1 .LBB192_121
; %bb.117:
	s_cmp_lt_i32 s38, 8
	s_cbranch_scc1 .LBB192_122
; %bb.118:
	s_cmp_lt_i32 s38, 9
	s_cbranch_scc1 .LBB192_123
; %bb.119:
	s_cmp_gt_i32 s38, 9
	s_cbranch_scc0 .LBB192_124
; %bb.120:
	global_load_dwordx2 v[5:6], v[3:4], off
	s_mov_b64 s[0:1], 0
	s_waitcnt vmcnt(0)
	v_cvt_f32_f64_e32 v5, v[5:6]
	s_branch .LBB192_125
.LBB192_121:
                                        ; implicit-def: $vgpr5
	s_branch .LBB192_143
.LBB192_122:
	s_mov_b64 s[0:1], -1
                                        ; implicit-def: $vgpr5
	s_branch .LBB192_131
.LBB192_123:
	s_mov_b64 s[0:1], -1
                                        ; implicit-def: $vgpr5
	s_branch .LBB192_128
.LBB192_124:
	s_mov_b64 s[0:1], -1
                                        ; implicit-def: $vgpr5
.LBB192_125:
	s_andn2_b64 vcc, exec, s[0:1]
	s_cbranch_vccnz .LBB192_127
; %bb.126:
	global_load_dword v5, v[3:4], off
.LBB192_127:
	s_mov_b64 s[0:1], 0
.LBB192_128:
	s_andn2_b64 vcc, exec, s[0:1]
	s_cbranch_vccnz .LBB192_130
; %bb.129:
	global_load_dword v1, v[3:4], off
	s_waitcnt vmcnt(0)
	v_cvt_f32_f16_e32 v5, v1
.LBB192_130:
	s_mov_b64 s[0:1], 0
.LBB192_131:
	s_andn2_b64 vcc, exec, s[0:1]
	s_cbranch_vccnz .LBB192_142
; %bb.132:
	s_cmp_lt_i32 s38, 6
	s_cbranch_scc1 .LBB192_135
; %bb.133:
	s_cmp_gt_i32 s38, 6
	s_cbranch_scc0 .LBB192_136
; %bb.134:
	global_load_dwordx2 v[5:6], v[3:4], off
	s_mov_b64 s[0:1], 0
	s_waitcnt vmcnt(0)
	v_cvt_f32_f64_e32 v5, v[5:6]
	s_branch .LBB192_137
.LBB192_135:
	s_mov_b64 s[0:1], -1
                                        ; implicit-def: $vgpr5
	s_branch .LBB192_140
.LBB192_136:
	s_mov_b64 s[0:1], -1
                                        ; implicit-def: $vgpr5
.LBB192_137:
	s_andn2_b64 vcc, exec, s[0:1]
	s_cbranch_vccnz .LBB192_139
; %bb.138:
	global_load_dword v5, v[3:4], off
.LBB192_139:
	s_mov_b64 s[0:1], 0
.LBB192_140:
	s_andn2_b64 vcc, exec, s[0:1]
	s_cbranch_vccnz .LBB192_142
; %bb.141:
	global_load_ushort v1, v[3:4], off
	s_waitcnt vmcnt(0)
	v_cvt_f32_f16_e32 v5, v1
.LBB192_142:
	s_cbranch_execnz .LBB192_162
.LBB192_143:
	s_cmp_lt_i32 s38, 2
	s_cbranch_scc1 .LBB192_147
; %bb.144:
	s_cmp_lt_i32 s38, 3
	s_cbranch_scc1 .LBB192_148
; %bb.145:
	s_cmp_gt_i32 s38, 3
	s_cbranch_scc0 .LBB192_149
; %bb.146:
	global_load_dwordx2 v[5:6], v[3:4], off
	s_mov_b64 s[0:1], 0
	s_waitcnt vmcnt(0)
	v_xor_b32_e32 v7, v5, v6
	v_ffbh_i32_e32 v1, v6
	v_ashrrev_i32_e32 v7, 31, v7
	v_add_u32_e32 v1, -1, v1
	v_add_u32_e32 v7, 32, v7
	v_min_u32_e32 v1, v1, v7
	v_lshlrev_b64 v[5:6], v1, v[5:6]
	v_sub_u32_e32 v1, 32, v1
	v_min_u32_e32 v5, 1, v5
	v_or_b32_e32 v5, v6, v5
	v_cvt_f32_i32_e32 v5, v5
	v_ldexp_f32 v5, v5, v1
	s_branch .LBB192_150
.LBB192_147:
	s_mov_b64 s[0:1], -1
                                        ; implicit-def: $vgpr5
	s_branch .LBB192_156
.LBB192_148:
	s_mov_b64 s[0:1], -1
                                        ; implicit-def: $vgpr5
	s_branch .LBB192_153
.LBB192_149:
	s_mov_b64 s[0:1], -1
                                        ; implicit-def: $vgpr5
.LBB192_150:
	s_andn2_b64 vcc, exec, s[0:1]
	s_cbranch_vccnz .LBB192_152
; %bb.151:
	global_load_dword v1, v[3:4], off
	s_waitcnt vmcnt(0)
	v_cvt_f32_i32_e32 v5, v1
.LBB192_152:
	s_mov_b64 s[0:1], 0
.LBB192_153:
	s_andn2_b64 vcc, exec, s[0:1]
	s_cbranch_vccnz .LBB192_155
; %bb.154:
	global_load_sshort v1, v[3:4], off
	s_waitcnt vmcnt(0)
	v_cvt_f32_i32_e32 v5, v1
.LBB192_155:
	s_mov_b64 s[0:1], 0
.LBB192_156:
	s_andn2_b64 vcc, exec, s[0:1]
	s_cbranch_vccnz .LBB192_162
; %bb.157:
	s_cmp_gt_i32 s38, 0
	s_cbranch_scc0 .LBB192_159
; %bb.158:
	global_load_sbyte v1, v[3:4], off
	s_mov_b64 s[0:1], 0
	s_waitcnt vmcnt(0)
	v_cvt_f32_i32_e32 v5, v1
	s_branch .LBB192_160
.LBB192_159:
	s_mov_b64 s[0:1], -1
                                        ; implicit-def: $vgpr5
.LBB192_160:
	s_andn2_b64 vcc, exec, s[0:1]
	s_cbranch_vccnz .LBB192_162
; %bb.161:
	global_load_ubyte v1, v[3:4], off
	s_waitcnt vmcnt(0)
	v_cvt_f32_ubyte0_e32 v5, v1
.LBB192_162:
	s_branch .LBB192_22
.LBB192_163:
	s_mov_b64 s[0:1], 0
	s_mov_b64 s[40:41], 0
	s_branch .LBB192_392
.LBB192_164:
	s_mov_b64 s[40:41], -1
.LBB192_165:
	s_mov_b64 s[0:1], 0
                                        ; implicit-def: $vgpr3
.LBB192_166:
	s_and_b64 vcc, exec, s[38:39]
	s_cbranch_vccz .LBB192_282
; %bb.167:
	s_cmp_eq_u32 s51, 44
	s_cbranch_scc0 .LBB192_281
; %bb.168:
	global_load_ubyte v3, v[1:2], off
	s_movk_i32 s38, 0xff
	v_mov_b32_e32 v4, 0x7f800001
	v_mov_b32_e32 v6, 0x400000
	s_mov_b64 s[0:1], -1
	s_mov_b64 s[40:41], 0
	s_waitcnt vmcnt(0)
	v_lshlrev_b32_e32 v7, 23, v3
	v_cmp_ne_u32_e32 vcc, s38, v3
	v_cndmask_b32_e32 v4, v4, v7, vcc
	v_cmp_ne_u32_e32 vcc, 0, v3
	v_cndmask_b32_e32 v3, v6, v4, vcc
	s_branch .LBB192_282
.LBB192_169:
	s_mov_b64 s[46:47], -1
	s_mov_b64 s[0:1], 0
	s_mov_b64 s[38:39], 0
.LBB192_170:
	s_and_b64 vcc, exec, s[46:47]
	s_cbranch_vccz .LBB192_175
; %bb.171:
	s_cmp_eq_u32 s53, 44
	s_mov_b64 s[0:1], -1
	s_cbranch_scc0 .LBB192_175
; %bb.172:
	v_bfe_u32 v3, v2, 23, 8
	s_movk_i32 s0, 0xff
	v_cmp_ne_u32_e32 vcc, s0, v3
	v_mov_b32_e32 v4, 0xff
	s_and_saveexec_b64 s[38:39], vcc
; %bb.173:
	s_mov_b32 s0, 0x3fffff
	v_and_b32_e32 v5, 0x400000, v2
	v_and_or_b32 v3, v2, s0, v3
	v_cmp_ne_u32_e32 vcc, 0, v5
	v_cmp_ne_u32_e64 s[0:1], 0, v3
	s_and_b64 s[0:1], vcc, s[0:1]
	v_lshrrev_b32_e32 v4, 23, v2
	v_cndmask_b32_e64 v3, 0, 1, s[0:1]
	v_add_u32_e32 v4, v4, v3
; %bb.174:
	s_or_b64 exec, exec, s[38:39]
	s_mov_b64 s[38:39], -1
	s_mov_b64 s[0:1], 0
	global_store_byte v[0:1], v4, off
.LBB192_175:
	s_mov_b64 s[46:47], 0
.LBB192_176:
	s_and_b64 vcc, exec, s[46:47]
	s_cbranch_vccz .LBB192_179
; %bb.177:
	s_cmp_eq_u32 s53, 29
	s_mov_b64 s[0:1], -1
	s_cbranch_scc0 .LBB192_179
; %bb.178:
	v_trunc_f32_e32 v3, v2
	v_mul_f32_e32 v4, 0x2f800000, v3
	v_floor_f32_e32 v5, v4
	v_fmac_f32_e32 v3, 0xcf800000, v5
	v_cvt_u32_f32_e32 v4, v5
	v_cvt_u32_f32_e32 v3, v3
	s_mov_b64 s[38:39], -1
	s_mov_b64 s[0:1], 0
	s_mov_b64 s[46:47], 0
	global_store_dwordx2 v[0:1], v[3:4], off
	s_branch .LBB192_180
.LBB192_179:
	s_mov_b64 s[46:47], 0
.LBB192_180:
	s_and_b64 vcc, exec, s[46:47]
	s_cbranch_vccz .LBB192_196
; %bb.181:
	s_cmp_lt_i32 s53, 27
	s_mov_b64 s[38:39], -1
	s_cbranch_scc1 .LBB192_187
; %bb.182:
	v_cvt_u32_f32_e32 v3, v2
	s_cmp_gt_i32 s53, 27
	s_cbranch_scc0 .LBB192_184
; %bb.183:
	s_mov_b64 s[38:39], 0
	global_store_dword v[0:1], v3, off
.LBB192_184:
	s_andn2_b64 vcc, exec, s[38:39]
	s_cbranch_vccnz .LBB192_186
; %bb.185:
	global_store_short v[0:1], v3, off
.LBB192_186:
	s_mov_b64 s[38:39], 0
.LBB192_187:
	s_andn2_b64 vcc, exec, s[38:39]
	s_cbranch_vccnz .LBB192_195
; %bb.188:
	v_and_b32_e32 v3, 0x7fffffff, v2
	s_mov_b32 s38, 0x43800000
	v_cmp_gt_u32_e32 vcc, s38, v3
	v_mov_b32_e32 v4, 0x80
	s_and_saveexec_b64 s[38:39], vcc
	s_cbranch_execz .LBB192_194
; %bb.189:
	s_mov_b32 s46, 0x3bffffff
	v_cmp_lt_u32_e32 vcc, s46, v3
	s_mov_b64 s[46:47], 0
                                        ; implicit-def: $vgpr3
	s_and_saveexec_b64 s[50:51], vcc
	s_xor_b64 s[50:51], exec, s[50:51]
	s_cbranch_execz .LBB192_434
; %bb.190:
	v_bfe_u32 v3, v2, 20, 1
	s_mov_b32 s54, 0x487ffff
	v_add3_u32 v3, v2, v3, s54
	s_mov_b64 s[46:47], exec
	v_lshrrev_b32_e32 v3, 20, v3
	s_andn2_saveexec_b64 s[50:51], s[50:51]
	s_cbranch_execnz .LBB192_435
.LBB192_191:
	s_or_b64 exec, exec, s[50:51]
	v_mov_b32_e32 v4, 0
	s_and_saveexec_b64 s[50:51], s[46:47]
.LBB192_192:
	v_lshrrev_b32_e32 v4, 24, v2
	s_movk_i32 s46, 0x80
	v_and_or_b32 v4, v4, s46, v3
.LBB192_193:
	s_or_b64 exec, exec, s[50:51]
.LBB192_194:
	s_or_b64 exec, exec, s[38:39]
	global_store_byte v[0:1], v4, off
.LBB192_195:
	s_mov_b64 s[38:39], -1
.LBB192_196:
	s_mov_b64 s[46:47], 0
.LBB192_197:
	s_and_b64 vcc, exec, s[46:47]
	s_cbranch_vccz .LBB192_238
; %bb.198:
	s_cmp_gt_i32 s53, 22
	s_mov_b64 s[46:47], -1
	s_cbranch_scc0 .LBB192_230
; %bb.199:
	s_cmp_lt_i32 s53, 24
	s_mov_b64 s[38:39], -1
	s_cbranch_scc1 .LBB192_219
; %bb.200:
	s_cmp_gt_i32 s53, 24
	s_cbranch_scc0 .LBB192_208
; %bb.201:
	v_and_b32_e32 v3, 0x7fffffff, v2
	s_mov_b32 s38, 0x47800000
	v_cmp_gt_u32_e32 vcc, s38, v3
	v_mov_b32_e32 v4, 0x80
	s_and_saveexec_b64 s[38:39], vcc
	s_cbranch_execz .LBB192_207
; %bb.202:
	s_mov_b32 s46, 0x37ffffff
	v_cmp_lt_u32_e32 vcc, s46, v3
	s_mov_b64 s[46:47], 0
                                        ; implicit-def: $vgpr3
	s_and_saveexec_b64 s[50:51], vcc
	s_xor_b64 s[50:51], exec, s[50:51]
	s_cbranch_execz .LBB192_553
; %bb.203:
	v_bfe_u32 v3, v2, 21, 1
	s_mov_b32 s54, 0x88fffff
	v_add3_u32 v3, v2, v3, s54
	s_mov_b64 s[46:47], exec
	v_lshrrev_b32_e32 v3, 21, v3
	s_andn2_saveexec_b64 s[50:51], s[50:51]
	s_cbranch_execnz .LBB192_554
.LBB192_204:
	s_or_b64 exec, exec, s[50:51]
	v_mov_b32_e32 v4, 0
	s_and_saveexec_b64 s[50:51], s[46:47]
.LBB192_205:
	v_lshrrev_b32_e32 v4, 24, v2
	s_movk_i32 s46, 0x80
	v_and_or_b32 v4, v4, s46, v3
.LBB192_206:
	s_or_b64 exec, exec, s[50:51]
.LBB192_207:
	s_or_b64 exec, exec, s[38:39]
	s_mov_b64 s[38:39], 0
	global_store_byte v[0:1], v4, off
.LBB192_208:
	s_and_b64 vcc, exec, s[38:39]
	s_cbranch_vccz .LBB192_218
; %bb.209:
	v_and_b32_e32 v4, 0x7fffffff, v2
	s_mov_b32 s38, 0x43f00000
	v_cmp_gt_u32_e32 vcc, s38, v4
                                        ; implicit-def: $vgpr3
	s_and_saveexec_b64 s[38:39], vcc
	s_xor_b64 s[38:39], exec, s[38:39]
	s_cbranch_execz .LBB192_215
; %bb.210:
	s_mov_b32 s46, 0x3c7fffff
	v_cmp_lt_u32_e32 vcc, s46, v4
                                        ; implicit-def: $vgpr3
	s_and_saveexec_b64 s[46:47], vcc
	s_xor_b64 s[46:47], exec, s[46:47]
; %bb.211:
	v_bfe_u32 v3, v2, 20, 1
	s_mov_b32 s50, 0x407ffff
	v_add3_u32 v3, v2, v3, s50
	v_lshrrev_b32_e32 v4, 20, v3
	v_and_b32_e32 v3, 0xff00000, v3
	s_mov_b32 s50, 0x7f00000
	v_mov_b32_e32 v5, 0x7e
	v_cmp_ne_u32_e32 vcc, s50, v3
	v_cndmask_b32_e32 v3, v5, v4, vcc
; %bb.212:
	s_andn2_saveexec_b64 s[46:47], s[46:47]
; %bb.213:
	s_mov_b32 s50, 0x46800000
	v_add_f32_e64 v3, |v2|, s50
; %bb.214:
	s_or_b64 exec, exec, s[46:47]
                                        ; implicit-def: $vgpr4
.LBB192_215:
	s_andn2_saveexec_b64 s[38:39], s[38:39]
; %bb.216:
	s_mov_b32 s46, 0x7f800000
	v_mov_b32_e32 v3, 0x7e
	v_mov_b32_e32 v5, 0x7f
	v_cmp_lt_u32_e32 vcc, s46, v4
	v_cndmask_b32_e32 v3, v3, v5, vcc
; %bb.217:
	s_or_b64 exec, exec, s[38:39]
	v_lshrrev_b32_e32 v4, 24, v2
	s_movk_i32 s38, 0x80
	v_and_or_b32 v3, v4, s38, v3
	global_store_byte v[0:1], v3, off
.LBB192_218:
	s_mov_b64 s[38:39], 0
.LBB192_219:
	s_andn2_b64 vcc, exec, s[38:39]
	s_cbranch_vccnz .LBB192_229
; %bb.220:
	v_and_b32_e32 v4, 0x7fffffff, v2
	s_mov_b32 s38, 0x47800000
	v_cmp_gt_u32_e32 vcc, s38, v4
                                        ; implicit-def: $vgpr3
	s_and_saveexec_b64 s[38:39], vcc
	s_xor_b64 s[38:39], exec, s[38:39]
	s_cbranch_execz .LBB192_226
; %bb.221:
	s_mov_b32 s46, 0x387fffff
	v_cmp_lt_u32_e32 vcc, s46, v4
                                        ; implicit-def: $vgpr3
	s_and_saveexec_b64 s[46:47], vcc
	s_xor_b64 s[46:47], exec, s[46:47]
; %bb.222:
	v_bfe_u32 v3, v2, 21, 1
	s_mov_b32 s50, 0x80fffff
	v_add3_u32 v3, v2, v3, s50
	v_lshrrev_b32_e32 v3, 21, v3
; %bb.223:
	s_andn2_saveexec_b64 s[46:47], s[46:47]
; %bb.224:
	s_mov_b32 s50, 0x43000000
	v_add_f32_e64 v3, |v2|, s50
; %bb.225:
	s_or_b64 exec, exec, s[46:47]
                                        ; implicit-def: $vgpr4
.LBB192_226:
	s_andn2_saveexec_b64 s[38:39], s[38:39]
; %bb.227:
	s_mov_b32 s46, 0x7f800000
	v_mov_b32_e32 v3, 0x7c
	v_mov_b32_e32 v5, 0x7f
	v_cmp_lt_u32_e32 vcc, s46, v4
	v_cndmask_b32_e32 v3, v3, v5, vcc
; %bb.228:
	s_or_b64 exec, exec, s[38:39]
	v_lshrrev_b32_e32 v4, 24, v2
	s_movk_i32 s38, 0x80
	v_and_or_b32 v3, v4, s38, v3
	global_store_byte v[0:1], v3, off
.LBB192_229:
	s_mov_b64 s[46:47], 0
	s_mov_b64 s[38:39], -1
.LBB192_230:
	s_andn2_b64 vcc, exec, s[46:47]
	s_cbranch_vccnz .LBB192_238
; %bb.231:
	s_cmp_gt_i32 s53, 14
	s_mov_b64 s[46:47], -1
	s_cbranch_scc0 .LBB192_235
; %bb.232:
	s_cmp_eq_u32 s53, 15
	s_mov_b64 s[0:1], -1
	s_cbranch_scc0 .LBB192_234
; %bb.233:
	v_bfe_u32 v3, v2, 16, 1
	s_movk_i32 s0, 0x7fff
	v_add3_u32 v3, v2, v3, s0
	v_cmp_o_f32_e32 vcc, v2, v2
	v_mov_b32_e32 v4, 0x7fc0
	v_cndmask_b32_sdwa v3, v4, v3, vcc dst_sel:DWORD dst_unused:UNUSED_PAD src0_sel:DWORD src1_sel:WORD_1
	global_store_short v[0:1], v3, off
	s_mov_b64 s[38:39], -1
	s_mov_b64 s[0:1], 0
.LBB192_234:
	s_mov_b64 s[46:47], 0
.LBB192_235:
	s_and_b64 vcc, exec, s[46:47]
	s_cbranch_vccz .LBB192_238
; %bb.236:
	s_cmp_eq_u32 s53, 11
	s_mov_b64 s[0:1], -1
	s_cbranch_scc0 .LBB192_238
; %bb.237:
	v_cmp_neq_f32_e32 vcc, 0, v2
	v_cndmask_b32_e64 v3, 0, 1, vcc
	s_mov_b64 s[38:39], -1
	s_mov_b64 s[0:1], 0
	global_store_byte v[0:1], v3, off
.LBB192_238:
	s_mov_b64 s[46:47], 0
.LBB192_239:
	s_and_b64 vcc, exec, s[46:47]
	s_cbranch_vccz .LBB192_278
; %bb.240:
	s_and_b32 s46, 0xffff, s52
	s_cmp_lt_i32 s46, 5
	s_mov_b64 s[38:39], -1
	s_cbranch_scc1 .LBB192_261
; %bb.241:
	s_cmp_lt_i32 s46, 8
	s_cbranch_scc1 .LBB192_251
; %bb.242:
	s_cmp_lt_i32 s46, 9
	s_cbranch_scc1 .LBB192_248
; %bb.243:
	s_cmp_gt_i32 s46, 9
	s_cbranch_scc0 .LBB192_245
; %bb.244:
	v_cvt_f64_f32_e32 v[3:4], v2
	v_mov_b32_e32 v5, 0
	v_mov_b32_e32 v6, v5
	s_mov_b64 s[38:39], 0
	global_store_dwordx4 v[0:1], v[3:6], off
.LBB192_245:
	s_andn2_b64 vcc, exec, s[38:39]
	s_cbranch_vccnz .LBB192_247
; %bb.246:
	v_mov_b32_e32 v3, 0
	global_store_dwordx2 v[0:1], v[2:3], off
.LBB192_247:
	s_mov_b64 s[38:39], 0
.LBB192_248:
	s_andn2_b64 vcc, exec, s[38:39]
	s_cbranch_vccnz .LBB192_250
; %bb.249:
	v_cvt_f16_f32_e32 v3, v2
	global_store_dword v[0:1], v3, off
.LBB192_250:
	s_mov_b64 s[38:39], 0
.LBB192_251:
	s_andn2_b64 vcc, exec, s[38:39]
	s_cbranch_vccnz .LBB192_260
; %bb.252:
	s_cmp_lt_i32 s46, 6
	s_mov_b64 s[38:39], -1
	s_cbranch_scc1 .LBB192_258
; %bb.253:
	s_cmp_gt_i32 s46, 6
	s_cbranch_scc0 .LBB192_255
; %bb.254:
	v_cvt_f64_f32_e32 v[3:4], v2
	s_mov_b64 s[38:39], 0
	global_store_dwordx2 v[0:1], v[3:4], off
.LBB192_255:
	s_andn2_b64 vcc, exec, s[38:39]
	s_cbranch_vccnz .LBB192_257
; %bb.256:
	global_store_dword v[0:1], v2, off
.LBB192_257:
	s_mov_b64 s[38:39], 0
.LBB192_258:
	s_andn2_b64 vcc, exec, s[38:39]
	s_cbranch_vccnz .LBB192_260
; %bb.259:
	v_cvt_f16_f32_e32 v3, v2
	global_store_short v[0:1], v3, off
.LBB192_260:
	s_mov_b64 s[38:39], 0
.LBB192_261:
	s_andn2_b64 vcc, exec, s[38:39]
	s_cbranch_vccnz .LBB192_277
; %bb.262:
	s_cmp_lt_i32 s46, 2
	s_mov_b64 s[38:39], -1
	s_cbranch_scc1 .LBB192_272
; %bb.263:
	s_cmp_lt_i32 s46, 3
	s_cbranch_scc1 .LBB192_269
; %bb.264:
	s_cmp_gt_i32 s46, 3
	s_cbranch_scc0 .LBB192_266
; %bb.265:
	v_trunc_f32_e32 v3, v2
	s_mov_b32 s38, 0x2f800000
	v_mul_f32_e64 v4, |v3|, s38
	v_floor_f32_e32 v4, v4
	s_mov_b32 s38, 0xcf800000
	v_cvt_u32_f32_e32 v5, v4
	v_fma_f32 v4, v4, s38, |v3|
	v_cvt_u32_f32_e32 v4, v4
	v_ashrrev_i32_e32 v6, 31, v3
	v_xor_b32_e32 v5, v5, v6
	s_mov_b64 s[38:39], 0
	v_xor_b32_e32 v3, v4, v6
	v_sub_co_u32_e32 v3, vcc, v3, v6
	v_subb_co_u32_e32 v4, vcc, v5, v6, vcc
	global_store_dwordx2 v[0:1], v[3:4], off
.LBB192_266:
	s_andn2_b64 vcc, exec, s[38:39]
	s_cbranch_vccnz .LBB192_268
; %bb.267:
	v_cvt_i32_f32_e32 v3, v2
	global_store_dword v[0:1], v3, off
.LBB192_268:
	s_mov_b64 s[38:39], 0
.LBB192_269:
	s_andn2_b64 vcc, exec, s[38:39]
	s_cbranch_vccnz .LBB192_271
; %bb.270:
	v_cvt_i32_f32_e32 v3, v2
	global_store_short v[0:1], v3, off
.LBB192_271:
	s_mov_b64 s[38:39], 0
.LBB192_272:
	s_andn2_b64 vcc, exec, s[38:39]
	s_cbranch_vccnz .LBB192_277
; %bb.273:
	s_cmp_gt_i32 s46, 0
	s_mov_b64 s[38:39], -1
	s_cbranch_scc0 .LBB192_275
; %bb.274:
	v_cvt_i32_f32_e32 v3, v2
	s_mov_b64 s[38:39], 0
	global_store_byte v[0:1], v3, off
.LBB192_275:
	s_andn2_b64 vcc, exec, s[38:39]
	s_cbranch_vccnz .LBB192_277
; %bb.276:
	v_trunc_f32_e32 v2, v2
	s_mov_b32 s38, 0x2f800000
	v_mul_f32_e64 v3, |v2|, s38
	v_floor_f32_e32 v3, v3
	s_mov_b32 s38, 0xcf800000
	v_fma_f32 v3, v3, s38, |v2|
	v_cvt_u32_f32_e32 v3, v3
	v_ashrrev_i32_e32 v2, 31, v2
	v_xor_b32_e32 v3, v3, v2
	v_sub_u32_e32 v2, v3, v2
	global_store_byte v[0:1], v2, off
.LBB192_277:
	s_mov_b64 s[38:39], -1
.LBB192_278:
	s_andn2_b64 vcc, exec, s[38:39]
	s_cbranch_vccnz .LBB192_280
; %bb.279:
	v_add_u32_e32 v8, 0x80, v8
	s_mov_b64 s[46:47], -1
	s_branch .LBB192_393
.LBB192_280:
	s_mov_b64 s[46:47], 0
                                        ; implicit-def: $vgpr8
	s_branch .LBB192_393
.LBB192_281:
	s_mov_b64 s[40:41], -1
                                        ; implicit-def: $vgpr3
.LBB192_282:
	s_mov_b64 s[38:39], 0
.LBB192_283:
	s_and_b64 vcc, exec, s[38:39]
	s_cbranch_vccz .LBB192_287
; %bb.284:
	s_cmp_eq_u32 s51, 29
	s_cbranch_scc0 .LBB192_286
; %bb.285:
	global_load_dwordx2 v[3:4], v[1:2], off
	s_mov_b64 s[0:1], -1
	s_mov_b64 s[40:41], 0
	s_mov_b64 s[38:39], 0
	s_waitcnt vmcnt(0)
	v_ffbh_u32_e32 v6, v4
	v_min_u32_e32 v6, 32, v6
	v_lshlrev_b64 v[3:4], v6, v[3:4]
	v_min_u32_e32 v3, 1, v3
	v_or_b32_e32 v3, v4, v3
	v_cvt_f32_u32_e32 v3, v3
	v_sub_u32_e32 v4, 32, v6
	v_ldexp_f32 v3, v3, v4
	s_branch .LBB192_288
.LBB192_286:
	s_mov_b64 s[40:41], -1
                                        ; implicit-def: $vgpr3
.LBB192_287:
	s_mov_b64 s[38:39], 0
.LBB192_288:
	s_and_b64 vcc, exec, s[38:39]
	s_cbranch_vccz .LBB192_306
; %bb.289:
	s_cmp_lt_i32 s51, 27
	s_cbranch_scc1 .LBB192_292
; %bb.290:
	s_cmp_gt_i32 s51, 27
	s_cbranch_scc0 .LBB192_293
; %bb.291:
	global_load_dword v3, v[1:2], off
	s_mov_b64 s[0:1], 0
	s_waitcnt vmcnt(0)
	v_cvt_f32_u32_e32 v3, v3
	s_branch .LBB192_294
.LBB192_292:
	s_mov_b64 s[0:1], -1
                                        ; implicit-def: $vgpr3
	s_branch .LBB192_297
.LBB192_293:
	s_mov_b64 s[0:1], -1
                                        ; implicit-def: $vgpr3
.LBB192_294:
	s_andn2_b64 vcc, exec, s[0:1]
	s_cbranch_vccnz .LBB192_296
; %bb.295:
	global_load_ushort v3, v[1:2], off
	s_waitcnt vmcnt(0)
	v_cvt_f32_u32_e32 v3, v3
.LBB192_296:
	s_mov_b64 s[0:1], 0
.LBB192_297:
	s_andn2_b64 vcc, exec, s[0:1]
	s_cbranch_vccnz .LBB192_305
; %bb.298:
	global_load_ubyte v4, v[1:2], off
	s_movk_i32 s0, 0x7f
	s_waitcnt vmcnt(0)
	v_cmp_lt_i16_e32 vcc, s0, v4
	s_mov_b64 s[0:1], 0
	s_and_saveexec_b64 s[38:39], vcc
	s_xor_b64 s[38:39], exec, s[38:39]
	s_cbranch_execz .LBB192_319
; %bb.299:
	s_movk_i32 s0, 0x80
	v_cmp_eq_u16_e32 vcc, s0, v4
	s_mov_b64 s[0:1], -1
	s_and_saveexec_b64 s[46:47], vcc
; %bb.300:
	s_xor_b64 s[0:1], exec, -1
; %bb.301:
	s_or_b64 exec, exec, s[46:47]
	s_and_b64 s[0:1], s[0:1], exec
	s_or_saveexec_b64 s[38:39], s[38:39]
	v_mov_b32_e32 v3, 0x7f800001
	s_xor_b64 exec, exec, s[38:39]
	s_cbranch_execnz .LBB192_320
.LBB192_302:
	s_or_b64 exec, exec, s[38:39]
	s_and_saveexec_b64 s[38:39], s[0:1]
	s_cbranch_execz .LBB192_304
.LBB192_303:
	v_lshlrev_b32_e32 v3, 24, v4
	v_and_b32_e32 v4, 0xffff, v4
	v_and_b32_e32 v6, 7, v4
	v_ffbh_u32_e32 v9, v6
	v_min_u32_e32 v9, 32, v9
	v_subrev_u32_e32 v10, 28, v9
	v_bfe_u32 v7, v4, 3, 4
	v_lshlrev_b32_e32 v4, v10, v4
	v_sub_u32_e32 v9, 29, v9
	v_and_b32_e32 v4, 7, v4
	v_cmp_eq_u32_e32 vcc, 0, v7
	v_cndmask_b32_e32 v7, v7, v9, vcc
	v_cndmask_b32_e32 v4, v6, v4, vcc
	v_mov_b32_e32 v6, 0x3b800000
	v_lshlrev_b32_e32 v4, 20, v4
	v_and_b32_e32 v3, 0x80000000, v3
	v_lshl_add_u32 v6, v7, 23, v6
	v_or3_b32 v3, v3, v6, v4
.LBB192_304:
	s_or_b64 exec, exec, s[38:39]
.LBB192_305:
	s_mov_b64 s[0:1], -1
.LBB192_306:
	s_mov_b64 s[38:39], 0
.LBB192_307:
	s_and_b64 vcc, exec, s[38:39]
	s_cbranch_vccz .LBB192_342
; %bb.308:
	s_cmp_gt_i32 s51, 22
	s_cbranch_scc0 .LBB192_318
; %bb.309:
	s_cmp_lt_i32 s51, 24
	s_cbranch_scc1 .LBB192_321
; %bb.310:
	s_cmp_gt_i32 s51, 24
	s_cbranch_scc0 .LBB192_322
; %bb.311:
	global_load_ubyte v4, v[1:2], off
	s_movk_i32 s0, 0x7f
	s_waitcnt vmcnt(0)
	v_cmp_lt_i16_e32 vcc, s0, v4
	s_mov_b64 s[0:1], 0
	s_and_saveexec_b64 s[38:39], vcc
	s_xor_b64 s[38:39], exec, s[38:39]
	s_cbranch_execz .LBB192_334
; %bb.312:
	s_movk_i32 s0, 0x80
	v_cmp_eq_u16_e32 vcc, s0, v4
	s_mov_b64 s[0:1], -1
	s_and_saveexec_b64 s[46:47], vcc
; %bb.313:
	s_xor_b64 s[0:1], exec, -1
; %bb.314:
	s_or_b64 exec, exec, s[46:47]
	s_and_b64 s[0:1], s[0:1], exec
	s_or_saveexec_b64 s[38:39], s[38:39]
	v_mov_b32_e32 v3, 0x7f800001
	s_xor_b64 exec, exec, s[38:39]
	s_cbranch_execnz .LBB192_335
.LBB192_315:
	s_or_b64 exec, exec, s[38:39]
	s_and_saveexec_b64 s[38:39], s[0:1]
	s_cbranch_execz .LBB192_317
.LBB192_316:
	v_lshlrev_b32_e32 v3, 24, v4
	v_and_b32_e32 v4, 0xffff, v4
	v_and_b32_e32 v6, 3, v4
	v_ffbh_u32_e32 v9, v6
	v_min_u32_e32 v9, 32, v9
	v_subrev_u32_e32 v10, 29, v9
	v_bfe_u32 v7, v4, 2, 5
	v_lshlrev_b32_e32 v4, v10, v4
	v_sub_u32_e32 v9, 30, v9
	v_and_b32_e32 v4, 3, v4
	v_cmp_eq_u32_e32 vcc, 0, v7
	v_cndmask_b32_e32 v7, v7, v9, vcc
	v_cndmask_b32_e32 v4, v6, v4, vcc
	v_mov_b32_e32 v6, 0x37800000
	v_lshlrev_b32_e32 v4, 21, v4
	v_and_b32_e32 v3, 0x80000000, v3
	v_lshl_add_u32 v6, v7, 23, v6
	v_or3_b32 v3, v3, v6, v4
.LBB192_317:
	s_or_b64 exec, exec, s[38:39]
	s_mov_b64 s[0:1], 0
	s_branch .LBB192_323
.LBB192_318:
	s_mov_b64 s[38:39], -1
                                        ; implicit-def: $vgpr3
	s_branch .LBB192_329
.LBB192_319:
	s_or_saveexec_b64 s[38:39], s[38:39]
	v_mov_b32_e32 v3, 0x7f800001
	s_xor_b64 exec, exec, s[38:39]
	s_cbranch_execz .LBB192_302
.LBB192_320:
	v_cmp_ne_u16_e32 vcc, 0, v4
	s_andn2_b64 s[0:1], s[0:1], exec
	s_and_b64 s[46:47], vcc, exec
	v_mov_b32_e32 v3, 0
	s_or_b64 s[0:1], s[0:1], s[46:47]
	s_or_b64 exec, exec, s[38:39]
	s_and_saveexec_b64 s[38:39], s[0:1]
	s_cbranch_execnz .LBB192_303
	s_branch .LBB192_304
.LBB192_321:
	s_mov_b64 s[0:1], -1
                                        ; implicit-def: $vgpr3
	s_branch .LBB192_326
.LBB192_322:
	s_mov_b64 s[0:1], -1
                                        ; implicit-def: $vgpr3
.LBB192_323:
	s_and_b64 vcc, exec, s[0:1]
	s_cbranch_vccz .LBB192_325
; %bb.324:
	global_load_ubyte v3, v[1:2], off
	s_mov_b32 s0, 0x7f800000
	s_waitcnt vmcnt(0)
	v_lshlrev_b32_e32 v3, 24, v3
	v_and_b32_e32 v4, 0x7f000000, v3
	v_ffbh_u32_e32 v6, v4
	v_min_u32_e32 v6, 32, v6
	v_sub_u32_e64 v6, v6, 4 clamp
	v_lshlrev_b32_e32 v9, v6, v4
	v_lshlrev_b32_e32 v6, 23, v6
	v_lshrrev_b32_e32 v9, 4, v9
	v_add_u32_e32 v7, 0x1000000, v4
	v_sub_u32_e32 v6, v9, v6
	v_ashrrev_i32_e32 v7, 8, v7
	v_add_u32_e32 v6, 0x3c000000, v6
	v_and_or_b32 v6, v7, s0, v6
	v_cmp_ne_u32_e32 vcc, 0, v4
	v_cndmask_b32_e32 v4, 0, v6, vcc
	s_brev_b32 s0, 1
	v_and_or_b32 v3, v3, s0, v4
.LBB192_325:
	s_mov_b64 s[0:1], 0
.LBB192_326:
	s_andn2_b64 vcc, exec, s[0:1]
	s_cbranch_vccnz .LBB192_328
; %bb.327:
	global_load_ubyte v3, v[1:2], off
	s_movk_i32 s0, 0x7f00
	s_brev_b32 s1, 16
	s_waitcnt vmcnt(0)
	v_lshlrev_b16_e32 v4, 8, v3
	v_lshlrev_b32_e32 v3, 25, v3
	v_lshrrev_b32_e32 v6, 4, v3
	v_and_or_b32 v7, v4, s0, 0.5
	v_or_b32_e32 v6, 0x70000000, v6
	v_add_f32_e32 v7, -0.5, v7
	v_mul_f32_e32 v6, 0x7800000, v6
	v_cmp_gt_u32_e32 vcc, s1, v3
	v_bfe_i32 v4, v4, 0, 16
	v_cndmask_b32_e32 v3, v6, v7, vcc
	s_brev_b32 s0, 1
	v_and_or_b32 v3, v4, s0, v3
.LBB192_328:
	s_mov_b64 s[38:39], 0
	s_mov_b64 s[0:1], -1
.LBB192_329:
	s_andn2_b64 vcc, exec, s[38:39]
	s_cbranch_vccnz .LBB192_342
; %bb.330:
	s_cmp_gt_i32 s51, 14
	s_cbranch_scc0 .LBB192_333
; %bb.331:
	s_cmp_eq_u32 s51, 15
	s_cbranch_scc0 .LBB192_336
; %bb.332:
	global_load_ushort v3, v[1:2], off
	s_mov_b64 s[0:1], -1
	s_mov_b64 s[40:41], 0
	s_waitcnt vmcnt(0)
	v_lshlrev_b32_e32 v3, 16, v3
	s_branch .LBB192_337
.LBB192_333:
	s_mov_b64 s[38:39], -1
                                        ; implicit-def: $vgpr3
	s_branch .LBB192_338
.LBB192_334:
	s_or_saveexec_b64 s[38:39], s[38:39]
	v_mov_b32_e32 v3, 0x7f800001
	s_xor_b64 exec, exec, s[38:39]
	s_cbranch_execz .LBB192_315
.LBB192_335:
	v_cmp_ne_u16_e32 vcc, 0, v4
	s_andn2_b64 s[0:1], s[0:1], exec
	s_and_b64 s[46:47], vcc, exec
	v_mov_b32_e32 v3, 0
	s_or_b64 s[0:1], s[0:1], s[46:47]
	s_or_b64 exec, exec, s[38:39]
	s_and_saveexec_b64 s[38:39], s[0:1]
	s_cbranch_execnz .LBB192_316
	s_branch .LBB192_317
.LBB192_336:
	s_mov_b64 s[40:41], -1
                                        ; implicit-def: $vgpr3
.LBB192_337:
	s_mov_b64 s[38:39], 0
.LBB192_338:
	s_and_b64 vcc, exec, s[38:39]
	s_cbranch_vccz .LBB192_342
; %bb.339:
	s_cmp_eq_u32 s51, 11
	s_cbranch_scc0 .LBB192_341
; %bb.340:
	global_load_ubyte v3, v[1:2], off
	s_mov_b64 s[0:1], -1
	s_mov_b64 s[40:41], 0
	s_waitcnt vmcnt(0)
	v_cmp_ne_u16_e32 vcc, 0, v3
	v_cndmask_b32_e64 v3, 0, 1.0, vcc
	s_branch .LBB192_342
.LBB192_341:
	s_mov_b64 s[40:41], -1
                                        ; implicit-def: $vgpr3
.LBB192_342:
	s_branch .LBB192_31
.LBB192_343:
	s_and_b32 s38, 0xffff, s50
	s_cmp_lt_i32 s38, 5
	s_cbranch_scc1 .LBB192_348
; %bb.344:
	s_cmp_lt_i32 s38, 8
	s_cbranch_scc1 .LBB192_349
; %bb.345:
	s_cmp_lt_i32 s38, 9
	s_cbranch_scc1 .LBB192_350
; %bb.346:
	s_cmp_gt_i32 s38, 9
	s_cbranch_scc0 .LBB192_351
; %bb.347:
	global_load_dwordx2 v[3:4], v[1:2], off
	s_mov_b64 s[0:1], 0
	s_waitcnt vmcnt(0)
	v_cvt_f32_f64_e32 v3, v[3:4]
	s_branch .LBB192_352
.LBB192_348:
	s_mov_b64 s[0:1], -1
                                        ; implicit-def: $vgpr3
	s_branch .LBB192_370
.LBB192_349:
	s_mov_b64 s[0:1], -1
                                        ; implicit-def: $vgpr3
	s_branch .LBB192_358
.LBB192_350:
	s_mov_b64 s[0:1], -1
                                        ; implicit-def: $vgpr3
	s_branch .LBB192_355
.LBB192_351:
	s_mov_b64 s[0:1], -1
                                        ; implicit-def: $vgpr3
.LBB192_352:
	s_andn2_b64 vcc, exec, s[0:1]
	s_cbranch_vccnz .LBB192_354
; %bb.353:
	global_load_dword v3, v[1:2], off
.LBB192_354:
	s_mov_b64 s[0:1], 0
.LBB192_355:
	s_andn2_b64 vcc, exec, s[0:1]
	s_cbranch_vccnz .LBB192_357
; %bb.356:
	global_load_dword v3, v[1:2], off
	s_waitcnt vmcnt(0)
	v_cvt_f32_f16_e32 v3, v3
.LBB192_357:
	s_mov_b64 s[0:1], 0
.LBB192_358:
	s_andn2_b64 vcc, exec, s[0:1]
	s_cbranch_vccnz .LBB192_369
; %bb.359:
	s_cmp_lt_i32 s38, 6
	s_cbranch_scc1 .LBB192_362
; %bb.360:
	s_cmp_gt_i32 s38, 6
	s_cbranch_scc0 .LBB192_363
; %bb.361:
	global_load_dwordx2 v[3:4], v[1:2], off
	s_mov_b64 s[0:1], 0
	s_waitcnt vmcnt(0)
	v_cvt_f32_f64_e32 v3, v[3:4]
	s_branch .LBB192_364
.LBB192_362:
	s_mov_b64 s[0:1], -1
                                        ; implicit-def: $vgpr3
	s_branch .LBB192_367
.LBB192_363:
	s_mov_b64 s[0:1], -1
                                        ; implicit-def: $vgpr3
.LBB192_364:
	s_andn2_b64 vcc, exec, s[0:1]
	s_cbranch_vccnz .LBB192_366
; %bb.365:
	global_load_dword v3, v[1:2], off
.LBB192_366:
	s_mov_b64 s[0:1], 0
.LBB192_367:
	s_andn2_b64 vcc, exec, s[0:1]
	s_cbranch_vccnz .LBB192_369
; %bb.368:
	global_load_ushort v3, v[1:2], off
	s_waitcnt vmcnt(0)
	v_cvt_f32_f16_e32 v3, v3
.LBB192_369:
	s_mov_b64 s[0:1], 0
.LBB192_370:
	s_andn2_b64 vcc, exec, s[0:1]
	s_cbranch_vccnz .LBB192_390
; %bb.371:
	s_cmp_lt_i32 s38, 2
	s_cbranch_scc1 .LBB192_375
; %bb.372:
	s_cmp_lt_i32 s38, 3
	s_cbranch_scc1 .LBB192_376
; %bb.373:
	s_cmp_gt_i32 s38, 3
	s_cbranch_scc0 .LBB192_377
; %bb.374:
	global_load_dwordx2 v[3:4], v[1:2], off
	s_mov_b64 s[0:1], 0
	s_waitcnt vmcnt(0)
	v_xor_b32_e32 v7, v3, v4
	v_ffbh_i32_e32 v6, v4
	v_ashrrev_i32_e32 v7, 31, v7
	v_add_u32_e32 v6, -1, v6
	v_add_u32_e32 v7, 32, v7
	v_min_u32_e32 v6, v6, v7
	v_lshlrev_b64 v[3:4], v6, v[3:4]
	v_min_u32_e32 v3, 1, v3
	v_or_b32_e32 v3, v4, v3
	v_cvt_f32_i32_e32 v3, v3
	v_sub_u32_e32 v4, 32, v6
	v_ldexp_f32 v3, v3, v4
	s_branch .LBB192_378
.LBB192_375:
	s_mov_b64 s[0:1], -1
                                        ; implicit-def: $vgpr3
	s_branch .LBB192_384
.LBB192_376:
	s_mov_b64 s[0:1], -1
                                        ; implicit-def: $vgpr3
	s_branch .LBB192_381
.LBB192_377:
	s_mov_b64 s[0:1], -1
                                        ; implicit-def: $vgpr3
.LBB192_378:
	s_andn2_b64 vcc, exec, s[0:1]
	s_cbranch_vccnz .LBB192_380
; %bb.379:
	global_load_dword v3, v[1:2], off
	s_waitcnt vmcnt(0)
	v_cvt_f32_i32_e32 v3, v3
.LBB192_380:
	s_mov_b64 s[0:1], 0
.LBB192_381:
	s_andn2_b64 vcc, exec, s[0:1]
	s_cbranch_vccnz .LBB192_383
; %bb.382:
	global_load_sshort v3, v[1:2], off
	s_waitcnt vmcnt(0)
	v_cvt_f32_i32_e32 v3, v3
.LBB192_383:
	s_mov_b64 s[0:1], 0
.LBB192_384:
	s_andn2_b64 vcc, exec, s[0:1]
	s_cbranch_vccnz .LBB192_390
; %bb.385:
	s_cmp_gt_i32 s38, 0
	s_cbranch_scc0 .LBB192_387
; %bb.386:
	global_load_sbyte v3, v[1:2], off
	s_mov_b64 s[0:1], 0
	s_waitcnt vmcnt(0)
	v_cvt_f32_i32_e32 v3, v3
	s_branch .LBB192_388
.LBB192_387:
	s_mov_b64 s[0:1], -1
                                        ; implicit-def: $vgpr3
.LBB192_388:
	s_andn2_b64 vcc, exec, s[0:1]
	s_cbranch_vccnz .LBB192_390
; %bb.389:
	global_load_ubyte v1, v[1:2], off
	s_waitcnt vmcnt(0)
	v_cvt_f32_ubyte0_e32 v3, v1
.LBB192_390:
	s_branch .LBB192_32
.LBB192_391:
	s_mov_b64 s[0:1], 0
.LBB192_392:
                                        ; implicit-def: $vgpr8
	s_mov_b64 s[46:47], 0
.LBB192_393:
	s_and_b64 s[38:39], s[0:1], exec
	s_and_b64 s[40:41], s[40:41], exec
	;; [unrolled: 1-line block ×3, first 2 shown]
	s_orn2_b64 s[0:1], s[46:47], exec
.LBB192_394:
	s_or_b64 exec, exec, s[44:45]
	s_mov_b64 s[52:53], 0
	s_mov_b64 s[50:51], 0
                                        ; implicit-def: $sgpr75
                                        ; implicit-def: $vgpr3_vgpr4
                                        ; implicit-def: $vgpr0
                                        ; implicit-def: $vgpr2
                                        ; implicit-def: $vgpr5
	s_and_saveexec_b64 s[44:45], s[0:1]
	s_cbranch_execz .LBB192_402
; %bb.395:
	v_cmp_gt_i32_e32 vcc, s68, v8
	s_mov_b64 s[0:1], -1
	s_mov_b64 s[46:47], s[42:43]
	s_mov_b64 s[48:49], s[40:41]
	;; [unrolled: 1-line block ×3, first 2 shown]
	s_and_saveexec_b64 s[52:53], vcc
	s_cbranch_execz .LBB192_795
; %bb.396:
	s_andn2_b64 vcc, exec, s[24:25]
	s_cbranch_vccnz .LBB192_405
; %bb.397:
	s_andn2_b64 vcc, exec, s[36:37]
	s_cbranch_vccnz .LBB192_406
; %bb.398:
	s_add_i32 s0, s74, 1
	s_and_b32 s46, s0, 30
	s_add_u32 s0, s2, 0xffffffe8
	s_addc_u32 s1, s3, -1
	v_mov_b32_e32 v2, 0
	v_mov_b32_e32 v4, 0
	;; [unrolled: 1-line block ×4, first 2 shown]
.LBB192_399:                            ; =>This Inner Loop Header: Depth=1
	s_load_dwordx4 s[48:51], s[0:1], 0x1c
	s_load_dwordx2 s[54:55], s[0:1], 0x2c
	s_load_dwordx2 s[60:61], s[0:1], 0xec
	s_load_dwordx4 s[56:59], s[0:1], 0xdc
	s_add_u32 s0, s0, 24
	s_waitcnt vmcnt(0) lgkmcnt(0)
	v_mul_hi_u32 v3, s49, v1
	s_addc_u32 s1, s1, 0
	s_add_i32 s46, s46, -2
	s_cmp_eq_u32 s46, 0
	v_add_u32_e32 v3, v1, v3
	v_lshrrev_b32_e32 v3, s50, v3
	v_mul_lo_u32 v5, v3, s48
	v_mul_hi_u32 v6, s54, v3
	v_sub_u32_e32 v5, v1, v5
	v_add_u32_e32 v1, v3, v6
	v_lshrrev_b32_e32 v1, s55, v1
	v_mul_lo_u32 v9, v1, s51
	v_mul_lo_u32 v6, v5, s56
	;; [unrolled: 1-line block ×4, first 2 shown]
	v_sub_u32_e32 v3, v3, v9
	v_mul_lo_u32 v9, v3, s59
	v_mul_lo_u32 v10, v3, s60
	v_mul_lo_u32 v3, v3, s61
	v_add3_u32 v0, v6, v0, v9
	v_add3_u32 v4, v7, v4, v10
	;; [unrolled: 1-line block ×3, first 2 shown]
	s_cbranch_scc0 .LBB192_399
; %bb.400:
	s_bitcmp1_b32 s74, 0
	s_cselect_b64 s[46:47], -1, 0
	s_and_b64 vcc, exec, s[46:47]
	s_cbranch_vccnz .LBB192_407
; %bb.401:
	s_load_dwordx2 s[46:47], s[0:1], 0x1c
	s_load_dword s50, s[0:1], 0x24
	s_load_dwordx2 s[48:49], s[0:1], 0xdc
	s_waitcnt lgkmcnt(0)
	v_mul_hi_u32 v3, s47, v1
	v_add_u32_e32 v3, v1, v3
	v_lshrrev_b32_e32 v3, s50, v3
	v_mul_lo_u32 v3, v3, s46
	s_load_dword s46, s[0:1], 0xe4
	v_sub_u32_e32 v3, v1, v3
	v_mad_u64_u32 v[0:1], s[0:1], v3, s48, v[0:1]
	v_mad_u64_u32 v[4:5], s[0:1], v3, s49, v[4:5]
	s_waitcnt lgkmcnt(0)
	v_mad_u64_u32 v[2:3], s[0:1], v3, s46, v[2:3]
	s_branch .LBB192_407
.LBB192_402:
	s_or_b64 exec, exec, s[44:45]
	s_mov_b64 s[10:11], 0
	s_and_saveexec_b64 s[0:1], s[42:43]
	s_cbranch_execnz .LBB192_1293
.LBB192_403:
	s_or_b64 exec, exec, s[0:1]
	s_and_saveexec_b64 s[0:1], s[48:49]
	s_xor_b64 s[0:1], exec, s[0:1]
	s_cbranch_execz .LBB192_1294
.LBB192_404:
	s_waitcnt vmcnt(0)
	global_load_ubyte v1, v[3:4], off
	s_or_b64 s[50:51], s[50:51], exec
	s_waitcnt vmcnt(0)
	v_cmp_ne_u16_e32 vcc, 0, v1
	v_cndmask_b32_e64 v5, 0, 1.0, vcc
	s_or_b64 exec, exec, s[0:1]
	s_and_saveexec_b64 s[0:1], s[52:53]
	s_cbranch_execz .LBB192_1340
	s_branch .LBB192_1295
.LBB192_405:
                                        ; implicit-def: $vgpr0
                                        ; implicit-def: $vgpr4
                                        ; implicit-def: $vgpr2
	s_andn2_b64 vcc, exec, s[0:1]
	s_cbranch_vccz .LBB192_408
	s_branch .LBB192_410
.LBB192_406:
	v_mov_b32_e32 v0, 0
	v_mov_b32_e32 v4, 0
	;; [unrolled: 1-line block ×3, first 2 shown]
.LBB192_407:
	s_cbranch_execnz .LBB192_410
.LBB192_408:
	v_mul_hi_u32 v0, s17, v8
	s_andn2_b64 vcc, exec, s[34:35]
	v_add_u32_e32 v0, v8, v0
	v_lshrrev_b32_e32 v1, s18, v0
	v_mul_lo_u32 v0, v1, s16
	v_sub_u32_e32 v2, v8, v0
	v_mul_lo_u32 v0, v2, s20
	v_mul_lo_u32 v4, v2, s21
	;; [unrolled: 1-line block ×3, first 2 shown]
	s_cbranch_vccnz .LBB192_410
; %bb.409:
	s_waitcnt vmcnt(0)
	v_mul_hi_u32 v3, s28, v1
	v_add_u32_e32 v3, v1, v3
	v_lshrrev_b32_e32 v3, s29, v3
	v_mul_lo_u32 v3, v3, s19
	v_sub_u32_e32 v3, v1, v3
	v_mad_u64_u32 v[0:1], s[0:1], v3, s23, v[0:1]
	v_mad_u64_u32 v[4:5], s[0:1], v3, s30, v[4:5]
	;; [unrolled: 1-line block ×3, first 2 shown]
.LBB192_410:
	v_mov_b32_e32 v1, s11
	s_and_b32 s54, s73, 0xff
	s_waitcnt vmcnt(0)
	v_add_co_u32_e32 v3, vcc, s10, v4
	s_cmp_lt_i32 s54, 11
	v_addc_co_u32_e32 v4, vcc, 0, v1, vcc
	s_cbranch_scc1 .LBB192_417
; %bb.411:
	s_and_b32 s55, 0xffff, s54
	s_cmp_gt_i32 s55, 25
	s_cbranch_scc0 .LBB192_426
; %bb.412:
	s_cmp_gt_i32 s55, 28
	s_cbranch_scc0 .LBB192_428
; %bb.413:
	s_cmp_gt_i32 s55, 43
	s_cbranch_scc0 .LBB192_430
; %bb.414:
	s_cmp_gt_i32 s55, 45
	s_cbranch_scc0 .LBB192_432
; %bb.415:
	s_cmp_eq_u32 s55, 46
	s_mov_b64 s[48:49], 0
	s_cbranch_scc0 .LBB192_436
; %bb.416:
	global_load_dword v1, v[3:4], off
	s_mov_b64 s[0:1], -1
	s_mov_b64 s[46:47], 0
	s_waitcnt vmcnt(0)
	v_lshlrev_b32_e32 v5, 16, v1
	s_branch .LBB192_437
.LBB192_417:
	s_mov_b64 s[0:1], 0
                                        ; implicit-def: $vgpr5
	s_mov_b64 s[46:47], s[42:43]
	s_cbranch_execnz .LBB192_503
.LBB192_418:
	s_andn2_b64 vcc, exec, s[0:1]
	s_cbranch_vccnz .LBB192_551
.LBB192_419:
	v_mov_b32_e32 v3, s13
	s_and_b32 s56, s72, 0xff
	v_add_co_u32_e32 v1, vcc, s12, v2
	s_cmp_lt_i32 s56, 11
	v_addc_co_u32_e32 v2, vcc, 0, v3, vcc
	s_cbranch_scc1 .LBB192_427
; %bb.420:
	s_and_b32 s57, 0xffff, s56
	s_cmp_gt_i32 s57, 25
	s_cbranch_scc0 .LBB192_429
; %bb.421:
	s_cmp_gt_i32 s57, 28
	s_cbranch_scc0 .LBB192_431
; %bb.422:
	;; [unrolled: 3-line block ×4, first 2 shown]
	s_cmp_eq_u32 s57, 46
	s_mov_b64 s[50:51], 0
	s_cbranch_scc0 .LBB192_555
; %bb.425:
	global_load_dword v3, v[1:2], off
	s_mov_b64 s[0:1], -1
	s_mov_b64 s[48:49], 0
	s_waitcnt vmcnt(0)
	v_lshlrev_b32_e32 v3, 16, v3
	s_branch .LBB192_556
.LBB192_426:
	s_mov_b64 s[48:49], -1
	s_mov_b64 s[0:1], 0
	s_mov_b64 s[46:47], s[42:43]
                                        ; implicit-def: $vgpr5
	s_branch .LBB192_467
.LBB192_427:
	s_mov_b64 s[50:51], -1
	s_mov_b64 s[0:1], 0
                                        ; implicit-def: $vgpr3
	s_mov_b64 s[48:49], s[40:41]
	s_branch .LBB192_621
.LBB192_428:
	s_mov_b64 s[48:49], -1
	s_mov_b64 s[0:1], 0
	s_mov_b64 s[46:47], s[42:43]
                                        ; implicit-def: $vgpr5
	s_branch .LBB192_448
.LBB192_429:
	s_mov_b64 s[50:51], -1
	s_mov_b64 s[0:1], 0
	s_mov_b64 s[48:49], s[40:41]
                                        ; implicit-def: $vgpr3
	s_branch .LBB192_585
.LBB192_430:
	s_mov_b64 s[48:49], -1
	s_mov_b64 s[0:1], 0
	s_mov_b64 s[46:47], s[42:43]
                                        ; implicit-def: $vgpr5
	s_branch .LBB192_443
.LBB192_431:
	s_mov_b64 s[50:51], -1
	s_mov_b64 s[0:1], 0
	s_mov_b64 s[48:49], s[40:41]
                                        ; implicit-def: $vgpr3
	s_branch .LBB192_566
.LBB192_432:
	s_mov_b64 s[48:49], -1
	s_mov_b64 s[0:1], 0
	s_mov_b64 s[46:47], s[42:43]
                                        ; implicit-def: $vgpr5
	s_branch .LBB192_437
.LBB192_433:
	s_mov_b64 s[50:51], -1
	s_mov_b64 s[0:1], 0
	s_mov_b64 s[48:49], s[40:41]
                                        ; implicit-def: $vgpr3
	s_branch .LBB192_561
.LBB192_434:
	s_andn2_saveexec_b64 s[50:51], s[50:51]
	s_cbranch_execz .LBB192_191
.LBB192_435:
	s_mov_b32 s54, 0x46000000
	v_add_f32_e64 v3, |v2|, s54
	v_and_b32_e32 v3, 0xff, v3
	v_cmp_ne_u32_e32 vcc, 0, v3
	s_andn2_b64 s[46:47], s[46:47], exec
	s_and_b64 s[54:55], vcc, exec
	s_or_b64 s[46:47], s[46:47], s[54:55]
	s_or_b64 exec, exec, s[50:51]
	v_mov_b32_e32 v4, 0
	s_and_saveexec_b64 s[50:51], s[46:47]
	s_cbranch_execnz .LBB192_192
	s_branch .LBB192_193
.LBB192_436:
	s_mov_b64 s[46:47], -1
                                        ; implicit-def: $vgpr5
	s_mov_b64 s[0:1], 0
.LBB192_437:
	s_and_b64 vcc, exec, s[48:49]
	s_cbranch_vccz .LBB192_442
; %bb.438:
	s_cmp_eq_u32 s55, 44
	s_cbranch_scc0 .LBB192_441
; %bb.439:
	global_load_ubyte v1, v[3:4], off
	s_movk_i32 s46, 0xff
	v_mov_b32_e32 v5, 0x7f800001
	v_mov_b32_e32 v6, 0x400000
	s_mov_b64 s[0:1], -1
	s_waitcnt vmcnt(0)
	v_lshlrev_b32_e32 v7, 23, v1
	v_cmp_ne_u32_e32 vcc, s46, v1
	v_cndmask_b32_e32 v5, v5, v7, vcc
	v_cmp_ne_u32_e32 vcc, 0, v1
	v_cndmask_b32_e32 v5, v6, v5, vcc
	s_mov_b64 s[46:47], 0
	s_branch .LBB192_442
.LBB192_440:
	s_mov_b64 s[50:51], -1
	s_mov_b64 s[0:1], 0
	s_mov_b64 s[48:49], s[40:41]
                                        ; implicit-def: $vgpr3
	s_branch .LBB192_556
.LBB192_441:
	s_mov_b64 s[46:47], -1
                                        ; implicit-def: $vgpr5
.LBB192_442:
	s_mov_b64 s[48:49], 0
.LBB192_443:
	s_and_b64 vcc, exec, s[48:49]
	s_cbranch_vccz .LBB192_447
; %bb.444:
	s_cmp_eq_u32 s55, 29
	s_cbranch_scc0 .LBB192_446
; %bb.445:
	global_load_dwordx2 v[5:6], v[3:4], off
	s_mov_b64 s[0:1], -1
	s_mov_b64 s[46:47], 0
	s_mov_b64 s[48:49], 0
	s_waitcnt vmcnt(0)
	v_ffbh_u32_e32 v1, v6
	v_min_u32_e32 v1, 32, v1
	v_lshlrev_b64 v[5:6], v1, v[5:6]
	v_sub_u32_e32 v1, 32, v1
	v_min_u32_e32 v5, 1, v5
	v_or_b32_e32 v5, v6, v5
	v_cvt_f32_u32_e32 v5, v5
	v_ldexp_f32 v5, v5, v1
	s_branch .LBB192_448
.LBB192_446:
	s_mov_b64 s[46:47], -1
                                        ; implicit-def: $vgpr5
.LBB192_447:
	s_mov_b64 s[48:49], 0
.LBB192_448:
	s_and_b64 vcc, exec, s[48:49]
	s_cbranch_vccz .LBB192_466
; %bb.449:
	s_cmp_lt_i32 s55, 27
	s_cbranch_scc1 .LBB192_452
; %bb.450:
	s_cmp_gt_i32 s55, 27
	s_cbranch_scc0 .LBB192_453
; %bb.451:
	global_load_dword v1, v[3:4], off
	s_mov_b64 s[0:1], 0
	s_waitcnt vmcnt(0)
	v_cvt_f32_u32_e32 v5, v1
	s_branch .LBB192_454
.LBB192_452:
	s_mov_b64 s[0:1], -1
                                        ; implicit-def: $vgpr5
	s_branch .LBB192_457
.LBB192_453:
	s_mov_b64 s[0:1], -1
                                        ; implicit-def: $vgpr5
.LBB192_454:
	s_andn2_b64 vcc, exec, s[0:1]
	s_cbranch_vccnz .LBB192_456
; %bb.455:
	global_load_ushort v1, v[3:4], off
	s_waitcnt vmcnt(0)
	v_cvt_f32_u32_e32 v5, v1
.LBB192_456:
	s_mov_b64 s[0:1], 0
.LBB192_457:
	s_andn2_b64 vcc, exec, s[0:1]
	s_cbranch_vccnz .LBB192_465
; %bb.458:
	global_load_ubyte v1, v[3:4], off
	s_movk_i32 s0, 0x7f
	s_waitcnt vmcnt(0)
	v_cmp_lt_i16_e32 vcc, s0, v1
	s_mov_b64 s[0:1], 0
	s_and_saveexec_b64 s[48:49], vcc
	s_xor_b64 s[48:49], exec, s[48:49]
	s_cbranch_execz .LBB192_479
; %bb.459:
	s_movk_i32 s0, 0x80
	v_cmp_eq_u16_e32 vcc, s0, v1
	s_mov_b64 s[0:1], -1
	s_and_saveexec_b64 s[50:51], vcc
; %bb.460:
	s_xor_b64 s[0:1], exec, -1
; %bb.461:
	s_or_b64 exec, exec, s[50:51]
	s_and_b64 s[0:1], s[0:1], exec
	s_or_saveexec_b64 s[48:49], s[48:49]
	v_mov_b32_e32 v5, 0x7f800001
	s_xor_b64 exec, exec, s[48:49]
	s_cbranch_execnz .LBB192_480
.LBB192_462:
	s_or_b64 exec, exec, s[48:49]
	s_and_saveexec_b64 s[48:49], s[0:1]
	s_cbranch_execz .LBB192_464
.LBB192_463:
	v_lshlrev_b32_e32 v5, 24, v1
	v_and_b32_e32 v1, 0xffff, v1
	v_and_b32_e32 v6, 7, v1
	v_ffbh_u32_e32 v9, v6
	v_min_u32_e32 v9, 32, v9
	v_subrev_u32_e32 v10, 28, v9
	v_bfe_u32 v7, v1, 3, 4
	v_lshlrev_b32_e32 v1, v10, v1
	v_sub_u32_e32 v9, 29, v9
	v_and_b32_e32 v1, 7, v1
	v_cmp_eq_u32_e32 vcc, 0, v7
	v_cndmask_b32_e32 v7, v7, v9, vcc
	v_cndmask_b32_e32 v1, v6, v1, vcc
	v_mov_b32_e32 v6, 0x3b800000
	v_lshlrev_b32_e32 v1, 20, v1
	v_and_b32_e32 v5, 0x80000000, v5
	v_lshl_add_u32 v6, v7, 23, v6
	v_or3_b32 v5, v5, v6, v1
.LBB192_464:
	s_or_b64 exec, exec, s[48:49]
.LBB192_465:
	s_mov_b64 s[0:1], -1
.LBB192_466:
	s_mov_b64 s[48:49], 0
.LBB192_467:
	s_and_b64 vcc, exec, s[48:49]
	s_cbranch_vccz .LBB192_502
; %bb.468:
	s_cmp_gt_i32 s55, 22
	s_cbranch_scc0 .LBB192_478
; %bb.469:
	s_cmp_lt_i32 s55, 24
	s_cbranch_scc1 .LBB192_481
; %bb.470:
	s_cmp_gt_i32 s55, 24
	s_cbranch_scc0 .LBB192_482
; %bb.471:
	global_load_ubyte v1, v[3:4], off
	s_movk_i32 s0, 0x7f
	s_waitcnt vmcnt(0)
	v_cmp_lt_i16_e32 vcc, s0, v1
	s_mov_b64 s[0:1], 0
	s_and_saveexec_b64 s[48:49], vcc
	s_xor_b64 s[48:49], exec, s[48:49]
	s_cbranch_execz .LBB192_494
; %bb.472:
	s_movk_i32 s0, 0x80
	v_cmp_eq_u16_e32 vcc, s0, v1
	s_mov_b64 s[0:1], -1
	s_and_saveexec_b64 s[50:51], vcc
; %bb.473:
	s_xor_b64 s[0:1], exec, -1
; %bb.474:
	s_or_b64 exec, exec, s[50:51]
	s_and_b64 s[0:1], s[0:1], exec
	s_or_saveexec_b64 s[48:49], s[48:49]
	v_mov_b32_e32 v5, 0x7f800001
	s_xor_b64 exec, exec, s[48:49]
	s_cbranch_execnz .LBB192_495
.LBB192_475:
	s_or_b64 exec, exec, s[48:49]
	s_and_saveexec_b64 s[48:49], s[0:1]
	s_cbranch_execz .LBB192_477
.LBB192_476:
	v_lshlrev_b32_e32 v5, 24, v1
	v_and_b32_e32 v1, 0xffff, v1
	v_and_b32_e32 v6, 3, v1
	v_ffbh_u32_e32 v9, v6
	v_min_u32_e32 v9, 32, v9
	v_subrev_u32_e32 v10, 29, v9
	v_bfe_u32 v7, v1, 2, 5
	v_lshlrev_b32_e32 v1, v10, v1
	v_sub_u32_e32 v9, 30, v9
	v_and_b32_e32 v1, 3, v1
	v_cmp_eq_u32_e32 vcc, 0, v7
	v_cndmask_b32_e32 v7, v7, v9, vcc
	v_cndmask_b32_e32 v1, v6, v1, vcc
	v_mov_b32_e32 v6, 0x37800000
	v_lshlrev_b32_e32 v1, 21, v1
	v_and_b32_e32 v5, 0x80000000, v5
	v_lshl_add_u32 v6, v7, 23, v6
	v_or3_b32 v5, v5, v6, v1
.LBB192_477:
	s_or_b64 exec, exec, s[48:49]
	s_mov_b64 s[0:1], 0
	s_branch .LBB192_483
.LBB192_478:
	s_mov_b64 s[48:49], -1
                                        ; implicit-def: $vgpr5
	s_branch .LBB192_489
.LBB192_479:
	s_or_saveexec_b64 s[48:49], s[48:49]
	v_mov_b32_e32 v5, 0x7f800001
	s_xor_b64 exec, exec, s[48:49]
	s_cbranch_execz .LBB192_462
.LBB192_480:
	v_cmp_ne_u16_e32 vcc, 0, v1
	s_andn2_b64 s[0:1], s[0:1], exec
	s_and_b64 s[50:51], vcc, exec
	v_mov_b32_e32 v5, 0
	s_or_b64 s[0:1], s[0:1], s[50:51]
	s_or_b64 exec, exec, s[48:49]
	s_and_saveexec_b64 s[48:49], s[0:1]
	s_cbranch_execnz .LBB192_463
	s_branch .LBB192_464
.LBB192_481:
	s_mov_b64 s[0:1], -1
                                        ; implicit-def: $vgpr5
	s_branch .LBB192_486
.LBB192_482:
	s_mov_b64 s[0:1], -1
                                        ; implicit-def: $vgpr5
.LBB192_483:
	s_and_b64 vcc, exec, s[0:1]
	s_cbranch_vccz .LBB192_485
; %bb.484:
	global_load_ubyte v1, v[3:4], off
	s_mov_b32 s0, 0x7f800000
	s_waitcnt vmcnt(0)
	v_lshlrev_b32_e32 v1, 24, v1
	v_and_b32_e32 v5, 0x7f000000, v1
	v_ffbh_u32_e32 v6, v5
	v_min_u32_e32 v6, 32, v6
	v_sub_u32_e64 v6, v6, 4 clamp
	v_lshlrev_b32_e32 v9, v6, v5
	v_lshlrev_b32_e32 v6, 23, v6
	v_lshrrev_b32_e32 v9, 4, v9
	v_add_u32_e32 v7, 0x1000000, v5
	v_sub_u32_e32 v6, v9, v6
	v_ashrrev_i32_e32 v7, 8, v7
	v_add_u32_e32 v6, 0x3c000000, v6
	v_and_or_b32 v6, v7, s0, v6
	v_cmp_ne_u32_e32 vcc, 0, v5
	v_cndmask_b32_e32 v5, 0, v6, vcc
	s_brev_b32 s0, 1
	v_and_or_b32 v5, v1, s0, v5
.LBB192_485:
	s_mov_b64 s[0:1], 0
.LBB192_486:
	s_andn2_b64 vcc, exec, s[0:1]
	s_cbranch_vccnz .LBB192_488
; %bb.487:
	global_load_ubyte v1, v[3:4], off
	s_movk_i32 s0, 0x7f00
	s_brev_b32 s1, 16
	s_waitcnt vmcnt(0)
	v_lshlrev_b16_e32 v5, 8, v1
	v_lshlrev_b32_e32 v1, 25, v1
	v_lshrrev_b32_e32 v6, 4, v1
	v_and_or_b32 v7, v5, s0, 0.5
	v_or_b32_e32 v6, 0x70000000, v6
	v_add_f32_e32 v7, -0.5, v7
	v_mul_f32_e32 v6, 0x7800000, v6
	v_cmp_gt_u32_e32 vcc, s1, v1
	v_bfe_i32 v5, v5, 0, 16
	v_cndmask_b32_e32 v1, v6, v7, vcc
	s_brev_b32 s0, 1
	v_and_or_b32 v5, v5, s0, v1
.LBB192_488:
	s_mov_b64 s[48:49], 0
	s_mov_b64 s[0:1], -1
.LBB192_489:
	s_andn2_b64 vcc, exec, s[48:49]
	s_cbranch_vccnz .LBB192_502
; %bb.490:
	s_cmp_gt_i32 s55, 14
	s_cbranch_scc0 .LBB192_493
; %bb.491:
	s_cmp_eq_u32 s55, 15
	s_cbranch_scc0 .LBB192_496
; %bb.492:
	global_load_ushort v1, v[3:4], off
	s_mov_b64 s[0:1], -1
	s_mov_b64 s[46:47], 0
	s_waitcnt vmcnt(0)
	v_lshlrev_b32_e32 v5, 16, v1
	s_branch .LBB192_497
.LBB192_493:
	s_mov_b64 s[48:49], -1
                                        ; implicit-def: $vgpr5
	s_branch .LBB192_498
.LBB192_494:
	s_or_saveexec_b64 s[48:49], s[48:49]
	v_mov_b32_e32 v5, 0x7f800001
	s_xor_b64 exec, exec, s[48:49]
	s_cbranch_execz .LBB192_475
.LBB192_495:
	v_cmp_ne_u16_e32 vcc, 0, v1
	s_andn2_b64 s[0:1], s[0:1], exec
	s_and_b64 s[50:51], vcc, exec
	v_mov_b32_e32 v5, 0
	s_or_b64 s[0:1], s[0:1], s[50:51]
	s_or_b64 exec, exec, s[48:49]
	s_and_saveexec_b64 s[48:49], s[0:1]
	s_cbranch_execnz .LBB192_476
	s_branch .LBB192_477
.LBB192_496:
	s_mov_b64 s[46:47], -1
                                        ; implicit-def: $vgpr5
.LBB192_497:
	s_mov_b64 s[48:49], 0
.LBB192_498:
	s_and_b64 vcc, exec, s[48:49]
	s_cbranch_vccz .LBB192_502
; %bb.499:
	s_cmp_eq_u32 s55, 11
	s_cbranch_scc0 .LBB192_501
; %bb.500:
	global_load_ubyte v1, v[3:4], off
	s_mov_b64 s[0:1], -1
	s_mov_b64 s[46:47], 0
	s_waitcnt vmcnt(0)
	v_cmp_ne_u16_e32 vcc, 0, v1
	v_cndmask_b32_e64 v5, 0, 1.0, vcc
	s_branch .LBB192_502
.LBB192_501:
	s_mov_b64 s[46:47], -1
                                        ; implicit-def: $vgpr5
.LBB192_502:
	s_branch .LBB192_418
.LBB192_503:
	s_and_b32 s48, 0xffff, s54
	s_cmp_lt_i32 s48, 5
	s_cbranch_scc1 .LBB192_508
; %bb.504:
	s_cmp_lt_i32 s48, 8
	s_cbranch_scc1 .LBB192_509
; %bb.505:
	;; [unrolled: 3-line block ×3, first 2 shown]
	s_cmp_gt_i32 s48, 9
	s_cbranch_scc0 .LBB192_511
; %bb.507:
	global_load_dwordx2 v[5:6], v[3:4], off
	s_mov_b64 s[0:1], 0
	s_waitcnt vmcnt(0)
	v_cvt_f32_f64_e32 v5, v[5:6]
	s_branch .LBB192_512
.LBB192_508:
	s_mov_b64 s[0:1], -1
                                        ; implicit-def: $vgpr5
	s_branch .LBB192_530
.LBB192_509:
	s_mov_b64 s[0:1], -1
                                        ; implicit-def: $vgpr5
	s_branch .LBB192_518
.LBB192_510:
	s_mov_b64 s[0:1], -1
                                        ; implicit-def: $vgpr5
	s_branch .LBB192_515
.LBB192_511:
	s_mov_b64 s[0:1], -1
                                        ; implicit-def: $vgpr5
.LBB192_512:
	s_andn2_b64 vcc, exec, s[0:1]
	s_cbranch_vccnz .LBB192_514
; %bb.513:
	global_load_dword v5, v[3:4], off
.LBB192_514:
	s_mov_b64 s[0:1], 0
.LBB192_515:
	s_andn2_b64 vcc, exec, s[0:1]
	s_cbranch_vccnz .LBB192_517
; %bb.516:
	global_load_dword v1, v[3:4], off
	s_waitcnt vmcnt(0)
	v_cvt_f32_f16_e32 v5, v1
.LBB192_517:
	s_mov_b64 s[0:1], 0
.LBB192_518:
	s_andn2_b64 vcc, exec, s[0:1]
	s_cbranch_vccnz .LBB192_529
; %bb.519:
	s_cmp_lt_i32 s48, 6
	s_cbranch_scc1 .LBB192_522
; %bb.520:
	s_cmp_gt_i32 s48, 6
	s_cbranch_scc0 .LBB192_523
; %bb.521:
	global_load_dwordx2 v[5:6], v[3:4], off
	s_mov_b64 s[0:1], 0
	s_waitcnt vmcnt(0)
	v_cvt_f32_f64_e32 v5, v[5:6]
	s_branch .LBB192_524
.LBB192_522:
	s_mov_b64 s[0:1], -1
                                        ; implicit-def: $vgpr5
	s_branch .LBB192_527
.LBB192_523:
	s_mov_b64 s[0:1], -1
                                        ; implicit-def: $vgpr5
.LBB192_524:
	s_andn2_b64 vcc, exec, s[0:1]
	s_cbranch_vccnz .LBB192_526
; %bb.525:
	global_load_dword v5, v[3:4], off
.LBB192_526:
	s_mov_b64 s[0:1], 0
.LBB192_527:
	s_andn2_b64 vcc, exec, s[0:1]
	s_cbranch_vccnz .LBB192_529
; %bb.528:
	global_load_ushort v1, v[3:4], off
	s_waitcnt vmcnt(0)
	v_cvt_f32_f16_e32 v5, v1
.LBB192_529:
	s_mov_b64 s[0:1], 0
.LBB192_530:
	s_andn2_b64 vcc, exec, s[0:1]
	s_cbranch_vccnz .LBB192_550
; %bb.531:
	s_cmp_lt_i32 s48, 2
	s_cbranch_scc1 .LBB192_535
; %bb.532:
	s_cmp_lt_i32 s48, 3
	s_cbranch_scc1 .LBB192_536
; %bb.533:
	s_cmp_gt_i32 s48, 3
	s_cbranch_scc0 .LBB192_537
; %bb.534:
	global_load_dwordx2 v[5:6], v[3:4], off
	s_mov_b64 s[0:1], 0
	s_waitcnt vmcnt(0)
	v_xor_b32_e32 v7, v5, v6
	v_ffbh_i32_e32 v1, v6
	v_ashrrev_i32_e32 v7, 31, v7
	v_add_u32_e32 v1, -1, v1
	v_add_u32_e32 v7, 32, v7
	v_min_u32_e32 v1, v1, v7
	v_lshlrev_b64 v[5:6], v1, v[5:6]
	v_sub_u32_e32 v1, 32, v1
	v_min_u32_e32 v5, 1, v5
	v_or_b32_e32 v5, v6, v5
	v_cvt_f32_i32_e32 v5, v5
	v_ldexp_f32 v5, v5, v1
	s_branch .LBB192_538
.LBB192_535:
	s_mov_b64 s[0:1], -1
                                        ; implicit-def: $vgpr5
	s_branch .LBB192_544
.LBB192_536:
	s_mov_b64 s[0:1], -1
                                        ; implicit-def: $vgpr5
	s_branch .LBB192_541
.LBB192_537:
	s_mov_b64 s[0:1], -1
                                        ; implicit-def: $vgpr5
.LBB192_538:
	s_andn2_b64 vcc, exec, s[0:1]
	s_cbranch_vccnz .LBB192_540
; %bb.539:
	global_load_dword v1, v[3:4], off
	s_waitcnt vmcnt(0)
	v_cvt_f32_i32_e32 v5, v1
.LBB192_540:
	s_mov_b64 s[0:1], 0
.LBB192_541:
	s_andn2_b64 vcc, exec, s[0:1]
	s_cbranch_vccnz .LBB192_543
; %bb.542:
	global_load_sshort v1, v[3:4], off
	s_waitcnt vmcnt(0)
	v_cvt_f32_i32_e32 v5, v1
.LBB192_543:
	s_mov_b64 s[0:1], 0
.LBB192_544:
	s_andn2_b64 vcc, exec, s[0:1]
	s_cbranch_vccnz .LBB192_550
; %bb.545:
	s_cmp_gt_i32 s48, 0
	s_cbranch_scc0 .LBB192_547
; %bb.546:
	global_load_sbyte v1, v[3:4], off
	s_mov_b64 s[0:1], 0
	s_waitcnt vmcnt(0)
	v_cvt_f32_i32_e32 v5, v1
	s_branch .LBB192_548
.LBB192_547:
	s_mov_b64 s[0:1], -1
                                        ; implicit-def: $vgpr5
.LBB192_548:
	s_andn2_b64 vcc, exec, s[0:1]
	s_cbranch_vccnz .LBB192_550
; %bb.549:
	global_load_ubyte v1, v[3:4], off
	s_waitcnt vmcnt(0)
	v_cvt_f32_ubyte0_e32 v5, v1
.LBB192_550:
	s_branch .LBB192_419
.LBB192_551:
	s_mov_b64 s[54:55], 0
	s_mov_b64 s[0:1], s[38:39]
	;; [unrolled: 1-line block ×3, first 2 shown]
.LBB192_552:
                                        ; implicit-def: $vgpr8
	s_branch .LBB192_794
.LBB192_553:
	s_andn2_saveexec_b64 s[50:51], s[50:51]
	s_cbranch_execz .LBB192_204
.LBB192_554:
	s_mov_b32 s54, 0x42800000
	v_add_f32_e64 v3, |v2|, s54
	v_and_b32_e32 v3, 0xff, v3
	v_cmp_ne_u32_e32 vcc, 0, v3
	s_andn2_b64 s[46:47], s[46:47], exec
	s_and_b64 s[54:55], vcc, exec
	s_or_b64 s[46:47], s[46:47], s[54:55]
	s_or_b64 exec, exec, s[50:51]
	v_mov_b32_e32 v4, 0
	s_and_saveexec_b64 s[50:51], s[46:47]
	s_cbranch_execnz .LBB192_205
	s_branch .LBB192_206
.LBB192_555:
	s_mov_b64 s[48:49], -1
                                        ; implicit-def: $vgpr3
	s_mov_b64 s[0:1], 0
.LBB192_556:
	s_and_b64 vcc, exec, s[50:51]
	s_cbranch_vccz .LBB192_560
; %bb.557:
	s_cmp_eq_u32 s57, 44
	s_cbranch_scc0 .LBB192_559
; %bb.558:
	global_load_ubyte v3, v[1:2], off
	s_movk_i32 s48, 0xff
	v_mov_b32_e32 v4, 0x7f800001
	v_mov_b32_e32 v6, 0x400000
	s_mov_b64 s[0:1], -1
	s_waitcnt vmcnt(0)
	v_lshlrev_b32_e32 v7, 23, v3
	v_cmp_ne_u32_e32 vcc, s48, v3
	v_cndmask_b32_e32 v4, v4, v7, vcc
	v_cmp_ne_u32_e32 vcc, 0, v3
	v_cndmask_b32_e32 v3, v6, v4, vcc
	s_mov_b64 s[48:49], 0
	s_branch .LBB192_560
.LBB192_559:
	s_mov_b64 s[48:49], -1
                                        ; implicit-def: $vgpr3
.LBB192_560:
	s_mov_b64 s[50:51], 0
.LBB192_561:
	s_and_b64 vcc, exec, s[50:51]
	s_cbranch_vccz .LBB192_565
; %bb.562:
	s_cmp_eq_u32 s57, 29
	s_cbranch_scc0 .LBB192_564
; %bb.563:
	global_load_dwordx2 v[3:4], v[1:2], off
	s_mov_b64 s[0:1], -1
	s_mov_b64 s[48:49], 0
	s_mov_b64 s[50:51], 0
	s_waitcnt vmcnt(0)
	v_ffbh_u32_e32 v6, v4
	v_min_u32_e32 v6, 32, v6
	v_lshlrev_b64 v[3:4], v6, v[3:4]
	v_min_u32_e32 v3, 1, v3
	v_or_b32_e32 v3, v4, v3
	v_cvt_f32_u32_e32 v3, v3
	v_sub_u32_e32 v4, 32, v6
	v_ldexp_f32 v3, v3, v4
	s_branch .LBB192_566
.LBB192_564:
	s_mov_b64 s[48:49], -1
                                        ; implicit-def: $vgpr3
.LBB192_565:
	s_mov_b64 s[50:51], 0
.LBB192_566:
	s_and_b64 vcc, exec, s[50:51]
	s_cbranch_vccz .LBB192_584
; %bb.567:
	s_cmp_lt_i32 s57, 27
	s_cbranch_scc1 .LBB192_570
; %bb.568:
	s_cmp_gt_i32 s57, 27
	s_cbranch_scc0 .LBB192_571
; %bb.569:
	global_load_dword v3, v[1:2], off
	s_mov_b64 s[0:1], 0
	s_waitcnt vmcnt(0)
	v_cvt_f32_u32_e32 v3, v3
	s_branch .LBB192_572
.LBB192_570:
	s_mov_b64 s[0:1], -1
                                        ; implicit-def: $vgpr3
	s_branch .LBB192_575
.LBB192_571:
	s_mov_b64 s[0:1], -1
                                        ; implicit-def: $vgpr3
.LBB192_572:
	s_andn2_b64 vcc, exec, s[0:1]
	s_cbranch_vccnz .LBB192_574
; %bb.573:
	global_load_ushort v3, v[1:2], off
	s_waitcnt vmcnt(0)
	v_cvt_f32_u32_e32 v3, v3
.LBB192_574:
	s_mov_b64 s[0:1], 0
.LBB192_575:
	s_andn2_b64 vcc, exec, s[0:1]
	s_cbranch_vccnz .LBB192_583
; %bb.576:
	global_load_ubyte v4, v[1:2], off
	s_movk_i32 s0, 0x7f
	s_waitcnt vmcnt(0)
	v_cmp_lt_i16_e32 vcc, s0, v4
	s_mov_b64 s[0:1], 0
	s_and_saveexec_b64 s[50:51], vcc
	s_xor_b64 s[50:51], exec, s[50:51]
	s_cbranch_execz .LBB192_597
; %bb.577:
	s_movk_i32 s0, 0x80
	v_cmp_eq_u16_e32 vcc, s0, v4
	s_mov_b64 s[0:1], -1
	s_and_saveexec_b64 s[54:55], vcc
; %bb.578:
	s_xor_b64 s[0:1], exec, -1
; %bb.579:
	s_or_b64 exec, exec, s[54:55]
	s_and_b64 s[0:1], s[0:1], exec
	s_or_saveexec_b64 s[50:51], s[50:51]
	v_mov_b32_e32 v3, 0x7f800001
	s_xor_b64 exec, exec, s[50:51]
	s_cbranch_execnz .LBB192_598
.LBB192_580:
	s_or_b64 exec, exec, s[50:51]
	s_and_saveexec_b64 s[50:51], s[0:1]
	s_cbranch_execz .LBB192_582
.LBB192_581:
	v_lshlrev_b32_e32 v3, 24, v4
	v_and_b32_e32 v4, 0xffff, v4
	v_and_b32_e32 v6, 7, v4
	v_ffbh_u32_e32 v9, v6
	v_min_u32_e32 v9, 32, v9
	v_subrev_u32_e32 v10, 28, v9
	v_bfe_u32 v7, v4, 3, 4
	v_lshlrev_b32_e32 v4, v10, v4
	v_sub_u32_e32 v9, 29, v9
	v_and_b32_e32 v4, 7, v4
	v_cmp_eq_u32_e32 vcc, 0, v7
	v_cndmask_b32_e32 v7, v7, v9, vcc
	v_cndmask_b32_e32 v4, v6, v4, vcc
	v_mov_b32_e32 v6, 0x3b800000
	v_lshlrev_b32_e32 v4, 20, v4
	v_and_b32_e32 v3, 0x80000000, v3
	v_lshl_add_u32 v6, v7, 23, v6
	v_or3_b32 v3, v3, v6, v4
.LBB192_582:
	s_or_b64 exec, exec, s[50:51]
.LBB192_583:
	s_mov_b64 s[0:1], -1
.LBB192_584:
	s_mov_b64 s[50:51], 0
.LBB192_585:
	s_and_b64 vcc, exec, s[50:51]
	s_cbranch_vccz .LBB192_620
; %bb.586:
	s_cmp_gt_i32 s57, 22
	s_cbranch_scc0 .LBB192_596
; %bb.587:
	s_cmp_lt_i32 s57, 24
	s_cbranch_scc1 .LBB192_599
; %bb.588:
	s_cmp_gt_i32 s57, 24
	s_cbranch_scc0 .LBB192_600
; %bb.589:
	global_load_ubyte v4, v[1:2], off
	s_movk_i32 s0, 0x7f
	s_waitcnt vmcnt(0)
	v_cmp_lt_i16_e32 vcc, s0, v4
	s_mov_b64 s[0:1], 0
	s_and_saveexec_b64 s[50:51], vcc
	s_xor_b64 s[50:51], exec, s[50:51]
	s_cbranch_execz .LBB192_612
; %bb.590:
	s_movk_i32 s0, 0x80
	v_cmp_eq_u16_e32 vcc, s0, v4
	s_mov_b64 s[0:1], -1
	s_and_saveexec_b64 s[54:55], vcc
; %bb.591:
	s_xor_b64 s[0:1], exec, -1
; %bb.592:
	s_or_b64 exec, exec, s[54:55]
	s_and_b64 s[0:1], s[0:1], exec
	s_or_saveexec_b64 s[50:51], s[50:51]
	v_mov_b32_e32 v3, 0x7f800001
	s_xor_b64 exec, exec, s[50:51]
	s_cbranch_execnz .LBB192_613
.LBB192_593:
	s_or_b64 exec, exec, s[50:51]
	s_and_saveexec_b64 s[50:51], s[0:1]
	s_cbranch_execz .LBB192_595
.LBB192_594:
	v_lshlrev_b32_e32 v3, 24, v4
	v_and_b32_e32 v4, 0xffff, v4
	v_and_b32_e32 v6, 3, v4
	v_ffbh_u32_e32 v9, v6
	v_min_u32_e32 v9, 32, v9
	v_subrev_u32_e32 v10, 29, v9
	v_bfe_u32 v7, v4, 2, 5
	v_lshlrev_b32_e32 v4, v10, v4
	v_sub_u32_e32 v9, 30, v9
	v_and_b32_e32 v4, 3, v4
	v_cmp_eq_u32_e32 vcc, 0, v7
	v_cndmask_b32_e32 v7, v7, v9, vcc
	v_cndmask_b32_e32 v4, v6, v4, vcc
	v_mov_b32_e32 v6, 0x37800000
	v_lshlrev_b32_e32 v4, 21, v4
	v_and_b32_e32 v3, 0x80000000, v3
	v_lshl_add_u32 v6, v7, 23, v6
	v_or3_b32 v3, v3, v6, v4
.LBB192_595:
	s_or_b64 exec, exec, s[50:51]
	s_mov_b64 s[0:1], 0
	s_branch .LBB192_601
.LBB192_596:
	s_mov_b64 s[50:51], -1
                                        ; implicit-def: $vgpr3
	s_branch .LBB192_607
.LBB192_597:
	s_or_saveexec_b64 s[50:51], s[50:51]
	v_mov_b32_e32 v3, 0x7f800001
	s_xor_b64 exec, exec, s[50:51]
	s_cbranch_execz .LBB192_580
.LBB192_598:
	v_cmp_ne_u16_e32 vcc, 0, v4
	s_andn2_b64 s[0:1], s[0:1], exec
	s_and_b64 s[54:55], vcc, exec
	v_mov_b32_e32 v3, 0
	s_or_b64 s[0:1], s[0:1], s[54:55]
	s_or_b64 exec, exec, s[50:51]
	s_and_saveexec_b64 s[50:51], s[0:1]
	s_cbranch_execnz .LBB192_581
	s_branch .LBB192_582
.LBB192_599:
	s_mov_b64 s[0:1], -1
                                        ; implicit-def: $vgpr3
	s_branch .LBB192_604
.LBB192_600:
	s_mov_b64 s[0:1], -1
                                        ; implicit-def: $vgpr3
.LBB192_601:
	s_and_b64 vcc, exec, s[0:1]
	s_cbranch_vccz .LBB192_603
; %bb.602:
	global_load_ubyte v3, v[1:2], off
	s_mov_b32 s0, 0x7f800000
	s_waitcnt vmcnt(0)
	v_lshlrev_b32_e32 v3, 24, v3
	v_and_b32_e32 v4, 0x7f000000, v3
	v_ffbh_u32_e32 v6, v4
	v_min_u32_e32 v6, 32, v6
	v_sub_u32_e64 v6, v6, 4 clamp
	v_lshlrev_b32_e32 v9, v6, v4
	v_lshlrev_b32_e32 v6, 23, v6
	v_lshrrev_b32_e32 v9, 4, v9
	v_add_u32_e32 v7, 0x1000000, v4
	v_sub_u32_e32 v6, v9, v6
	v_ashrrev_i32_e32 v7, 8, v7
	v_add_u32_e32 v6, 0x3c000000, v6
	v_and_or_b32 v6, v7, s0, v6
	v_cmp_ne_u32_e32 vcc, 0, v4
	v_cndmask_b32_e32 v4, 0, v6, vcc
	s_brev_b32 s0, 1
	v_and_or_b32 v3, v3, s0, v4
.LBB192_603:
	s_mov_b64 s[0:1], 0
.LBB192_604:
	s_andn2_b64 vcc, exec, s[0:1]
	s_cbranch_vccnz .LBB192_606
; %bb.605:
	global_load_ubyte v3, v[1:2], off
	s_movk_i32 s0, 0x7f00
	s_brev_b32 s1, 16
	s_waitcnt vmcnt(0)
	v_lshlrev_b16_e32 v4, 8, v3
	v_lshlrev_b32_e32 v3, 25, v3
	v_lshrrev_b32_e32 v6, 4, v3
	v_and_or_b32 v7, v4, s0, 0.5
	v_or_b32_e32 v6, 0x70000000, v6
	v_add_f32_e32 v7, -0.5, v7
	v_mul_f32_e32 v6, 0x7800000, v6
	v_cmp_gt_u32_e32 vcc, s1, v3
	v_bfe_i32 v4, v4, 0, 16
	v_cndmask_b32_e32 v3, v6, v7, vcc
	s_brev_b32 s0, 1
	v_and_or_b32 v3, v4, s0, v3
.LBB192_606:
	s_mov_b64 s[50:51], 0
	s_mov_b64 s[0:1], -1
.LBB192_607:
	s_andn2_b64 vcc, exec, s[50:51]
	s_cbranch_vccnz .LBB192_620
; %bb.608:
	s_cmp_gt_i32 s57, 14
	s_cbranch_scc0 .LBB192_611
; %bb.609:
	s_cmp_eq_u32 s57, 15
	s_cbranch_scc0 .LBB192_614
; %bb.610:
	global_load_ushort v3, v[1:2], off
	s_mov_b64 s[0:1], -1
	s_mov_b64 s[48:49], 0
	s_waitcnt vmcnt(0)
	v_lshlrev_b32_e32 v3, 16, v3
	s_branch .LBB192_615
.LBB192_611:
	s_mov_b64 s[50:51], -1
                                        ; implicit-def: $vgpr3
	s_branch .LBB192_616
.LBB192_612:
	s_or_saveexec_b64 s[50:51], s[50:51]
	v_mov_b32_e32 v3, 0x7f800001
	s_xor_b64 exec, exec, s[50:51]
	s_cbranch_execz .LBB192_593
.LBB192_613:
	v_cmp_ne_u16_e32 vcc, 0, v4
	s_andn2_b64 s[0:1], s[0:1], exec
	s_and_b64 s[54:55], vcc, exec
	v_mov_b32_e32 v3, 0
	s_or_b64 s[0:1], s[0:1], s[54:55]
	s_or_b64 exec, exec, s[50:51]
	s_and_saveexec_b64 s[50:51], s[0:1]
	s_cbranch_execnz .LBB192_594
	s_branch .LBB192_595
.LBB192_614:
	s_mov_b64 s[48:49], -1
                                        ; implicit-def: $vgpr3
.LBB192_615:
	s_mov_b64 s[50:51], 0
.LBB192_616:
	s_and_b64 vcc, exec, s[50:51]
	s_cbranch_vccz .LBB192_620
; %bb.617:
	s_cmp_eq_u32 s57, 11
	s_cbranch_scc0 .LBB192_619
; %bb.618:
	global_load_ubyte v3, v[1:2], off
	s_mov_b64 s[0:1], -1
	s_mov_b64 s[48:49], 0
	s_waitcnt vmcnt(0)
	v_cmp_ne_u16_e32 vcc, 0, v3
	v_cndmask_b32_e64 v3, 0, 1.0, vcc
	s_branch .LBB192_620
.LBB192_619:
	s_mov_b64 s[48:49], -1
                                        ; implicit-def: $vgpr3
.LBB192_620:
	s_mov_b64 s[50:51], 0
.LBB192_621:
	s_and_b64 vcc, exec, s[50:51]
	s_cbranch_vccz .LBB192_670
; %bb.622:
	s_and_b32 s50, 0xffff, s56
	s_cmp_lt_i32 s50, 5
	s_cbranch_scc1 .LBB192_627
; %bb.623:
	s_cmp_lt_i32 s50, 8
	s_cbranch_scc1 .LBB192_628
; %bb.624:
	;; [unrolled: 3-line block ×3, first 2 shown]
	s_cmp_gt_i32 s50, 9
	s_cbranch_scc0 .LBB192_630
; %bb.626:
	global_load_dwordx2 v[3:4], v[1:2], off
	s_mov_b64 s[0:1], 0
	s_waitcnt vmcnt(0)
	v_cvt_f32_f64_e32 v3, v[3:4]
	s_branch .LBB192_631
.LBB192_627:
	s_mov_b64 s[0:1], -1
                                        ; implicit-def: $vgpr3
	s_branch .LBB192_649
.LBB192_628:
	s_mov_b64 s[0:1], -1
                                        ; implicit-def: $vgpr3
	s_branch .LBB192_637
.LBB192_629:
	s_mov_b64 s[0:1], -1
                                        ; implicit-def: $vgpr3
	s_branch .LBB192_634
.LBB192_630:
	s_mov_b64 s[0:1], -1
                                        ; implicit-def: $vgpr3
.LBB192_631:
	s_andn2_b64 vcc, exec, s[0:1]
	s_cbranch_vccnz .LBB192_633
; %bb.632:
	global_load_dword v3, v[1:2], off
.LBB192_633:
	s_mov_b64 s[0:1], 0
.LBB192_634:
	s_andn2_b64 vcc, exec, s[0:1]
	s_cbranch_vccnz .LBB192_636
; %bb.635:
	global_load_dword v3, v[1:2], off
	s_waitcnt vmcnt(0)
	v_cvt_f32_f16_e32 v3, v3
.LBB192_636:
	s_mov_b64 s[0:1], 0
.LBB192_637:
	s_andn2_b64 vcc, exec, s[0:1]
	s_cbranch_vccnz .LBB192_648
; %bb.638:
	s_cmp_lt_i32 s50, 6
	s_cbranch_scc1 .LBB192_641
; %bb.639:
	s_cmp_gt_i32 s50, 6
	s_cbranch_scc0 .LBB192_642
; %bb.640:
	global_load_dwordx2 v[3:4], v[1:2], off
	s_mov_b64 s[0:1], 0
	s_waitcnt vmcnt(0)
	v_cvt_f32_f64_e32 v3, v[3:4]
	s_branch .LBB192_643
.LBB192_641:
	s_mov_b64 s[0:1], -1
                                        ; implicit-def: $vgpr3
	s_branch .LBB192_646
.LBB192_642:
	s_mov_b64 s[0:1], -1
                                        ; implicit-def: $vgpr3
.LBB192_643:
	s_andn2_b64 vcc, exec, s[0:1]
	s_cbranch_vccnz .LBB192_645
; %bb.644:
	global_load_dword v3, v[1:2], off
.LBB192_645:
	s_mov_b64 s[0:1], 0
.LBB192_646:
	s_andn2_b64 vcc, exec, s[0:1]
	s_cbranch_vccnz .LBB192_648
; %bb.647:
	global_load_ushort v3, v[1:2], off
	s_waitcnt vmcnt(0)
	v_cvt_f32_f16_e32 v3, v3
.LBB192_648:
	s_mov_b64 s[0:1], 0
.LBB192_649:
	s_andn2_b64 vcc, exec, s[0:1]
	s_cbranch_vccnz .LBB192_669
; %bb.650:
	s_cmp_lt_i32 s50, 2
	s_cbranch_scc1 .LBB192_654
; %bb.651:
	s_cmp_lt_i32 s50, 3
	s_cbranch_scc1 .LBB192_655
; %bb.652:
	s_cmp_gt_i32 s50, 3
	s_cbranch_scc0 .LBB192_656
; %bb.653:
	global_load_dwordx2 v[3:4], v[1:2], off
	s_mov_b64 s[0:1], 0
	s_waitcnt vmcnt(0)
	v_xor_b32_e32 v7, v3, v4
	v_ffbh_i32_e32 v6, v4
	v_ashrrev_i32_e32 v7, 31, v7
	v_add_u32_e32 v6, -1, v6
	v_add_u32_e32 v7, 32, v7
	v_min_u32_e32 v6, v6, v7
	v_lshlrev_b64 v[3:4], v6, v[3:4]
	v_min_u32_e32 v3, 1, v3
	v_or_b32_e32 v3, v4, v3
	v_cvt_f32_i32_e32 v3, v3
	v_sub_u32_e32 v4, 32, v6
	v_ldexp_f32 v3, v3, v4
	s_branch .LBB192_657
.LBB192_654:
	s_mov_b64 s[0:1], -1
                                        ; implicit-def: $vgpr3
	s_branch .LBB192_663
.LBB192_655:
	s_mov_b64 s[0:1], -1
                                        ; implicit-def: $vgpr3
	s_branch .LBB192_660
.LBB192_656:
	s_mov_b64 s[0:1], -1
                                        ; implicit-def: $vgpr3
.LBB192_657:
	s_andn2_b64 vcc, exec, s[0:1]
	s_cbranch_vccnz .LBB192_659
; %bb.658:
	global_load_dword v3, v[1:2], off
	s_waitcnt vmcnt(0)
	v_cvt_f32_i32_e32 v3, v3
.LBB192_659:
	s_mov_b64 s[0:1], 0
.LBB192_660:
	s_andn2_b64 vcc, exec, s[0:1]
	s_cbranch_vccnz .LBB192_662
; %bb.661:
	global_load_sshort v3, v[1:2], off
	s_waitcnt vmcnt(0)
	v_cvt_f32_i32_e32 v3, v3
.LBB192_662:
	s_mov_b64 s[0:1], 0
.LBB192_663:
	s_andn2_b64 vcc, exec, s[0:1]
	s_cbranch_vccnz .LBB192_669
; %bb.664:
	s_cmp_gt_i32 s50, 0
	s_cbranch_scc0 .LBB192_666
; %bb.665:
	global_load_sbyte v3, v[1:2], off
	s_mov_b64 s[0:1], 0
	s_waitcnt vmcnt(0)
	v_cvt_f32_i32_e32 v3, v3
	s_branch .LBB192_667
.LBB192_666:
	s_mov_b64 s[0:1], -1
                                        ; implicit-def: $vgpr3
.LBB192_667:
	s_andn2_b64 vcc, exec, s[0:1]
	s_cbranch_vccnz .LBB192_669
; %bb.668:
	global_load_ubyte v1, v[1:2], off
	s_waitcnt vmcnt(0)
	v_cvt_f32_ubyte0_e32 v3, v1
.LBB192_669:
	s_mov_b64 s[0:1], -1
.LBB192_670:
	s_andn2_b64 vcc, exec, s[0:1]
	s_cbranch_vccnz .LBB192_678
; %bb.671:
	v_mov_b32_e32 v1, s15
	s_waitcnt vmcnt(0)
	v_cmp_nge_f32_e32 vcc, s14, v5
	v_cndmask_b32_e32 v2, v1, v3, vcc
	v_mov_b32_e32 v1, s9
	s_and_b32 s58, s71, 0xff
	v_add_co_u32_e32 v0, vcc, s8, v0
	s_cmp_lt_i32 s58, 11
	v_addc_co_u32_e32 v1, vcc, 0, v1, vcc
	s_cbranch_scc1 .LBB192_679
; %bb.672:
	s_and_b32 s59, 0xffff, s58
	s_cmp_gt_i32 s59, 25
	s_cbranch_scc0 .LBB192_680
; %bb.673:
	s_cmp_gt_i32 s59, 28
	s_cbranch_scc0 .LBB192_681
; %bb.674:
	;; [unrolled: 3-line block ×4, first 2 shown]
	s_mov_b64 s[54:55], 0
	s_mov_b64 s[0:1], -1
	s_cmp_eq_u32 s59, 46
	s_mov_b64 s[50:51], 0
	s_cbranch_scc0 .LBB192_684
; %bb.677:
	v_bfe_u32 v3, v2, 16, 1
	s_movk_i32 s0, 0x7fff
	v_add3_u32 v3, v2, v3, s0
	v_cmp_o_f32_e32 vcc, v2, v2
	v_mov_b32_e32 v4, 0x7fc0
	v_cndmask_b32_sdwa v3, v4, v3, vcc dst_sel:DWORD dst_unused:UNUSED_PAD src0_sel:DWORD src1_sel:WORD_1
	global_store_dword v[0:1], v3, off
	s_mov_b64 s[50:51], -1
	s_mov_b64 s[0:1], 0
	s_branch .LBB192_684
.LBB192_678:
	s_mov_b64 s[54:55], 0
                                        ; implicit-def: $vgpr8
	s_mov_b64 s[0:1], s[38:39]
	s_branch .LBB192_794
.LBB192_679:
	s_mov_b64 s[54:55], -1
	s_mov_b64 s[50:51], 0
	s_mov_b64 s[0:1], s[38:39]
	s_branch .LBB192_753
.LBB192_680:
	s_mov_b64 s[54:55], -1
	s_mov_b64 s[50:51], 0
	s_mov_b64 s[0:1], s[38:39]
	s_branch .LBB192_711
.LBB192_681:
	s_mov_b64 s[54:55], -1
	s_mov_b64 s[50:51], 0
	s_mov_b64 s[0:1], s[38:39]
	s_branch .LBB192_694
.LBB192_682:
	s_mov_b64 s[54:55], -1
	s_mov_b64 s[50:51], 0
	s_mov_b64 s[0:1], s[38:39]
	s_branch .LBB192_690
.LBB192_683:
	s_mov_b64 s[54:55], -1
	s_mov_b64 s[50:51], 0
	s_mov_b64 s[0:1], s[38:39]
.LBB192_684:
	s_and_b64 vcc, exec, s[54:55]
	s_cbranch_vccz .LBB192_689
; %bb.685:
	s_cmp_eq_u32 s59, 44
	s_mov_b64 s[0:1], -1
	s_cbranch_scc0 .LBB192_689
; %bb.686:
	v_bfe_u32 v3, v2, 23, 8
	s_movk_i32 s0, 0xff
	v_cmp_ne_u32_e32 vcc, s0, v3
	v_mov_b32_e32 v4, 0xff
	s_and_saveexec_b64 s[50:51], vcc
; %bb.687:
	s_mov_b32 s0, 0x3fffff
	v_and_b32_e32 v5, 0x400000, v2
	v_and_or_b32 v3, v2, s0, v3
	v_cmp_ne_u32_e32 vcc, 0, v5
	v_cmp_ne_u32_e64 s[0:1], 0, v3
	s_and_b64 s[0:1], vcc, s[0:1]
	v_lshrrev_b32_e32 v4, 23, v2
	v_cndmask_b32_e64 v3, 0, 1, s[0:1]
	v_add_u32_e32 v4, v4, v3
; %bb.688:
	s_or_b64 exec, exec, s[50:51]
	s_mov_b64 s[50:51], -1
	s_mov_b64 s[0:1], 0
	global_store_byte v[0:1], v4, off
.LBB192_689:
	s_mov_b64 s[54:55], 0
.LBB192_690:
	s_and_b64 vcc, exec, s[54:55]
	s_cbranch_vccz .LBB192_693
; %bb.691:
	s_cmp_eq_u32 s59, 29
	s_mov_b64 s[0:1], -1
	s_cbranch_scc0 .LBB192_693
; %bb.692:
	v_trunc_f32_e32 v3, v2
	v_mul_f32_e32 v4, 0x2f800000, v3
	v_floor_f32_e32 v5, v4
	v_fmac_f32_e32 v3, 0xcf800000, v5
	v_cvt_u32_f32_e32 v4, v5
	v_cvt_u32_f32_e32 v3, v3
	s_mov_b64 s[50:51], -1
	s_mov_b64 s[0:1], 0
	s_mov_b64 s[54:55], 0
	global_store_dwordx2 v[0:1], v[3:4], off
	s_branch .LBB192_694
.LBB192_693:
	s_mov_b64 s[54:55], 0
.LBB192_694:
	s_and_b64 vcc, exec, s[54:55]
	s_cbranch_vccz .LBB192_710
; %bb.695:
	s_cmp_lt_i32 s59, 27
	s_mov_b64 s[50:51], -1
	s_cbranch_scc1 .LBB192_701
; %bb.696:
	v_cvt_u32_f32_e32 v3, v2
	s_cmp_gt_i32 s59, 27
	s_cbranch_scc0 .LBB192_698
; %bb.697:
	s_mov_b64 s[50:51], 0
	global_store_dword v[0:1], v3, off
.LBB192_698:
	s_andn2_b64 vcc, exec, s[50:51]
	s_cbranch_vccnz .LBB192_700
; %bb.699:
	global_store_short v[0:1], v3, off
.LBB192_700:
	s_mov_b64 s[50:51], 0
.LBB192_701:
	s_andn2_b64 vcc, exec, s[50:51]
	s_cbranch_vccnz .LBB192_709
; %bb.702:
	v_and_b32_e32 v3, 0x7fffffff, v2
	s_mov_b32 s50, 0x43800000
	v_cmp_gt_u32_e32 vcc, s50, v3
	v_mov_b32_e32 v4, 0x80
	s_and_saveexec_b64 s[50:51], vcc
	s_cbranch_execz .LBB192_708
; %bb.703:
	s_mov_b32 s54, 0x3bffffff
	v_cmp_lt_u32_e32 vcc, s54, v3
	s_mov_b64 s[54:55], 0
                                        ; implicit-def: $vgpr3
	s_and_saveexec_b64 s[56:57], vcc
	s_xor_b64 s[56:57], exec, s[56:57]
	s_cbranch_execz .LBB192_822
; %bb.704:
	v_bfe_u32 v3, v2, 20, 1
	s_mov_b32 s60, 0x487ffff
	v_add3_u32 v3, v2, v3, s60
	s_mov_b64 s[54:55], exec
	v_lshrrev_b32_e32 v3, 20, v3
	s_andn2_saveexec_b64 s[56:57], s[56:57]
	s_cbranch_execnz .LBB192_823
.LBB192_705:
	s_or_b64 exec, exec, s[56:57]
	v_mov_b32_e32 v4, 0
	s_and_saveexec_b64 s[56:57], s[54:55]
.LBB192_706:
	v_lshrrev_b32_e32 v4, 24, v2
	s_movk_i32 s54, 0x80
	v_and_or_b32 v4, v4, s54, v3
.LBB192_707:
	s_or_b64 exec, exec, s[56:57]
.LBB192_708:
	s_or_b64 exec, exec, s[50:51]
	global_store_byte v[0:1], v4, off
.LBB192_709:
	s_mov_b64 s[50:51], -1
.LBB192_710:
	s_mov_b64 s[54:55], 0
.LBB192_711:
	s_and_b64 vcc, exec, s[54:55]
	s_cbranch_vccz .LBB192_752
; %bb.712:
	s_cmp_gt_i32 s59, 22
	s_mov_b64 s[54:55], -1
	s_cbranch_scc0 .LBB192_744
; %bb.713:
	s_cmp_lt_i32 s59, 24
	s_mov_b64 s[50:51], -1
	s_cbranch_scc1 .LBB192_733
; %bb.714:
	s_cmp_gt_i32 s59, 24
	s_cbranch_scc0 .LBB192_722
; %bb.715:
	v_and_b32_e32 v3, 0x7fffffff, v2
	s_mov_b32 s50, 0x47800000
	v_cmp_gt_u32_e32 vcc, s50, v3
	v_mov_b32_e32 v4, 0x80
	s_and_saveexec_b64 s[50:51], vcc
	s_cbranch_execz .LBB192_721
; %bb.716:
	s_mov_b32 s54, 0x37ffffff
	v_cmp_lt_u32_e32 vcc, s54, v3
	s_mov_b64 s[54:55], 0
                                        ; implicit-def: $vgpr3
	s_and_saveexec_b64 s[56:57], vcc
	s_xor_b64 s[56:57], exec, s[56:57]
	s_cbranch_execz .LBB192_954
; %bb.717:
	v_bfe_u32 v3, v2, 21, 1
	s_mov_b32 s60, 0x88fffff
	v_add3_u32 v3, v2, v3, s60
	s_mov_b64 s[54:55], exec
	v_lshrrev_b32_e32 v3, 21, v3
	s_andn2_saveexec_b64 s[56:57], s[56:57]
	s_cbranch_execnz .LBB192_955
.LBB192_718:
	s_or_b64 exec, exec, s[56:57]
	v_mov_b32_e32 v4, 0
	s_and_saveexec_b64 s[56:57], s[54:55]
.LBB192_719:
	v_lshrrev_b32_e32 v4, 24, v2
	s_movk_i32 s54, 0x80
	v_and_or_b32 v4, v4, s54, v3
.LBB192_720:
	s_or_b64 exec, exec, s[56:57]
.LBB192_721:
	s_or_b64 exec, exec, s[50:51]
	s_mov_b64 s[50:51], 0
	global_store_byte v[0:1], v4, off
.LBB192_722:
	s_and_b64 vcc, exec, s[50:51]
	s_cbranch_vccz .LBB192_732
; %bb.723:
	v_and_b32_e32 v4, 0x7fffffff, v2
	s_mov_b32 s50, 0x43f00000
	v_cmp_gt_u32_e32 vcc, s50, v4
                                        ; implicit-def: $vgpr3
	s_and_saveexec_b64 s[50:51], vcc
	s_xor_b64 s[50:51], exec, s[50:51]
	s_cbranch_execz .LBB192_729
; %bb.724:
	s_mov_b32 s54, 0x3c7fffff
	v_cmp_lt_u32_e32 vcc, s54, v4
                                        ; implicit-def: $vgpr3
	s_and_saveexec_b64 s[54:55], vcc
	s_xor_b64 s[54:55], exec, s[54:55]
; %bb.725:
	v_bfe_u32 v3, v2, 20, 1
	s_mov_b32 s56, 0x407ffff
	v_add3_u32 v3, v2, v3, s56
	v_lshrrev_b32_e32 v4, 20, v3
	v_and_b32_e32 v3, 0xff00000, v3
	s_mov_b32 s56, 0x7f00000
	v_mov_b32_e32 v5, 0x7e
	v_cmp_ne_u32_e32 vcc, s56, v3
	v_cndmask_b32_e32 v3, v5, v4, vcc
; %bb.726:
	s_andn2_saveexec_b64 s[54:55], s[54:55]
; %bb.727:
	s_mov_b32 s56, 0x46800000
	v_add_f32_e64 v3, |v2|, s56
; %bb.728:
	s_or_b64 exec, exec, s[54:55]
                                        ; implicit-def: $vgpr4
.LBB192_729:
	s_andn2_saveexec_b64 s[50:51], s[50:51]
; %bb.730:
	s_mov_b32 s54, 0x7f800000
	v_mov_b32_e32 v3, 0x7e
	v_mov_b32_e32 v5, 0x7f
	v_cmp_lt_u32_e32 vcc, s54, v4
	v_cndmask_b32_e32 v3, v3, v5, vcc
; %bb.731:
	s_or_b64 exec, exec, s[50:51]
	v_lshrrev_b32_e32 v4, 24, v2
	s_movk_i32 s50, 0x80
	v_and_or_b32 v3, v4, s50, v3
	global_store_byte v[0:1], v3, off
.LBB192_732:
	s_mov_b64 s[50:51], 0
.LBB192_733:
	s_andn2_b64 vcc, exec, s[50:51]
	s_cbranch_vccnz .LBB192_743
; %bb.734:
	v_and_b32_e32 v4, 0x7fffffff, v2
	s_mov_b32 s50, 0x47800000
	v_cmp_gt_u32_e32 vcc, s50, v4
                                        ; implicit-def: $vgpr3
	s_and_saveexec_b64 s[50:51], vcc
	s_xor_b64 s[50:51], exec, s[50:51]
	s_cbranch_execz .LBB192_740
; %bb.735:
	s_mov_b32 s54, 0x387fffff
	v_cmp_lt_u32_e32 vcc, s54, v4
                                        ; implicit-def: $vgpr3
	s_and_saveexec_b64 s[54:55], vcc
	s_xor_b64 s[54:55], exec, s[54:55]
; %bb.736:
	v_bfe_u32 v3, v2, 21, 1
	s_mov_b32 s56, 0x80fffff
	v_add3_u32 v3, v2, v3, s56
	v_lshrrev_b32_e32 v3, 21, v3
; %bb.737:
	s_andn2_saveexec_b64 s[54:55], s[54:55]
; %bb.738:
	s_mov_b32 s56, 0x43000000
	v_add_f32_e64 v3, |v2|, s56
; %bb.739:
	s_or_b64 exec, exec, s[54:55]
                                        ; implicit-def: $vgpr4
.LBB192_740:
	s_andn2_saveexec_b64 s[50:51], s[50:51]
; %bb.741:
	s_mov_b32 s54, 0x7f800000
	v_mov_b32_e32 v3, 0x7c
	v_mov_b32_e32 v5, 0x7f
	v_cmp_lt_u32_e32 vcc, s54, v4
	v_cndmask_b32_e32 v3, v3, v5, vcc
; %bb.742:
	s_or_b64 exec, exec, s[50:51]
	v_lshrrev_b32_e32 v4, 24, v2
	s_movk_i32 s50, 0x80
	v_and_or_b32 v3, v4, s50, v3
	global_store_byte v[0:1], v3, off
.LBB192_743:
	s_mov_b64 s[54:55], 0
	s_mov_b64 s[50:51], -1
.LBB192_744:
	s_andn2_b64 vcc, exec, s[54:55]
	s_cbranch_vccnz .LBB192_752
; %bb.745:
	s_cmp_gt_i32 s59, 14
	s_mov_b64 s[54:55], -1
	s_cbranch_scc0 .LBB192_749
; %bb.746:
	s_cmp_eq_u32 s59, 15
	s_mov_b64 s[0:1], -1
	s_cbranch_scc0 .LBB192_748
; %bb.747:
	v_bfe_u32 v3, v2, 16, 1
	s_movk_i32 s0, 0x7fff
	v_add3_u32 v3, v2, v3, s0
	v_cmp_o_f32_e32 vcc, v2, v2
	v_mov_b32_e32 v4, 0x7fc0
	v_cndmask_b32_sdwa v3, v4, v3, vcc dst_sel:DWORD dst_unused:UNUSED_PAD src0_sel:DWORD src1_sel:WORD_1
	global_store_short v[0:1], v3, off
	s_mov_b64 s[50:51], -1
	s_mov_b64 s[0:1], 0
.LBB192_748:
	s_mov_b64 s[54:55], 0
.LBB192_749:
	s_and_b64 vcc, exec, s[54:55]
	s_cbranch_vccz .LBB192_752
; %bb.750:
	s_cmp_eq_u32 s59, 11
	s_mov_b64 s[0:1], -1
	s_cbranch_scc0 .LBB192_752
; %bb.751:
	v_cmp_neq_f32_e32 vcc, 0, v2
	v_cndmask_b32_e64 v3, 0, 1, vcc
	s_mov_b64 s[50:51], -1
	s_mov_b64 s[0:1], 0
	global_store_byte v[0:1], v3, off
.LBB192_752:
	s_mov_b64 s[54:55], 0
.LBB192_753:
	s_and_b64 vcc, exec, s[54:55]
	s_cbranch_vccz .LBB192_792
; %bb.754:
	s_and_b32 s54, 0xffff, s58
	s_cmp_lt_i32 s54, 5
	s_mov_b64 s[50:51], -1
	s_cbranch_scc1 .LBB192_775
; %bb.755:
	s_cmp_lt_i32 s54, 8
	s_cbranch_scc1 .LBB192_765
; %bb.756:
	s_cmp_lt_i32 s54, 9
	s_cbranch_scc1 .LBB192_762
; %bb.757:
	s_cmp_gt_i32 s54, 9
	s_cbranch_scc0 .LBB192_759
; %bb.758:
	v_cvt_f64_f32_e32 v[3:4], v2
	v_mov_b32_e32 v5, 0
	v_mov_b32_e32 v6, v5
	s_mov_b64 s[50:51], 0
	global_store_dwordx4 v[0:1], v[3:6], off
.LBB192_759:
	s_andn2_b64 vcc, exec, s[50:51]
	s_cbranch_vccnz .LBB192_761
; %bb.760:
	v_mov_b32_e32 v3, 0
	global_store_dwordx2 v[0:1], v[2:3], off
.LBB192_761:
	s_mov_b64 s[50:51], 0
.LBB192_762:
	s_andn2_b64 vcc, exec, s[50:51]
	s_cbranch_vccnz .LBB192_764
; %bb.763:
	v_cvt_f16_f32_e32 v3, v2
	global_store_dword v[0:1], v3, off
.LBB192_764:
	s_mov_b64 s[50:51], 0
.LBB192_765:
	s_andn2_b64 vcc, exec, s[50:51]
	s_cbranch_vccnz .LBB192_774
; %bb.766:
	s_cmp_lt_i32 s54, 6
	s_mov_b64 s[50:51], -1
	s_cbranch_scc1 .LBB192_772
; %bb.767:
	s_cmp_gt_i32 s54, 6
	s_cbranch_scc0 .LBB192_769
; %bb.768:
	v_cvt_f64_f32_e32 v[3:4], v2
	s_mov_b64 s[50:51], 0
	global_store_dwordx2 v[0:1], v[3:4], off
.LBB192_769:
	s_andn2_b64 vcc, exec, s[50:51]
	s_cbranch_vccnz .LBB192_771
; %bb.770:
	global_store_dword v[0:1], v2, off
.LBB192_771:
	s_mov_b64 s[50:51], 0
.LBB192_772:
	s_andn2_b64 vcc, exec, s[50:51]
	s_cbranch_vccnz .LBB192_774
; %bb.773:
	v_cvt_f16_f32_e32 v3, v2
	global_store_short v[0:1], v3, off
.LBB192_774:
	s_mov_b64 s[50:51], 0
.LBB192_775:
	s_andn2_b64 vcc, exec, s[50:51]
	s_cbranch_vccnz .LBB192_791
; %bb.776:
	s_cmp_lt_i32 s54, 2
	s_mov_b64 s[50:51], -1
	s_cbranch_scc1 .LBB192_786
; %bb.777:
	s_cmp_lt_i32 s54, 3
	s_cbranch_scc1 .LBB192_783
; %bb.778:
	s_cmp_gt_i32 s54, 3
	s_cbranch_scc0 .LBB192_780
; %bb.779:
	v_trunc_f32_e32 v3, v2
	s_mov_b32 s50, 0x2f800000
	v_mul_f32_e64 v4, |v3|, s50
	v_floor_f32_e32 v4, v4
	s_mov_b32 s50, 0xcf800000
	v_cvt_u32_f32_e32 v5, v4
	v_fma_f32 v4, v4, s50, |v3|
	v_cvt_u32_f32_e32 v4, v4
	v_ashrrev_i32_e32 v6, 31, v3
	v_xor_b32_e32 v5, v5, v6
	s_mov_b64 s[50:51], 0
	v_xor_b32_e32 v3, v4, v6
	v_sub_co_u32_e32 v3, vcc, v3, v6
	v_subb_co_u32_e32 v4, vcc, v5, v6, vcc
	global_store_dwordx2 v[0:1], v[3:4], off
.LBB192_780:
	s_andn2_b64 vcc, exec, s[50:51]
	s_cbranch_vccnz .LBB192_782
; %bb.781:
	v_cvt_i32_f32_e32 v3, v2
	global_store_dword v[0:1], v3, off
.LBB192_782:
	s_mov_b64 s[50:51], 0
.LBB192_783:
	s_andn2_b64 vcc, exec, s[50:51]
	s_cbranch_vccnz .LBB192_785
; %bb.784:
	v_cvt_i32_f32_e32 v3, v2
	global_store_short v[0:1], v3, off
.LBB192_785:
	s_mov_b64 s[50:51], 0
.LBB192_786:
	s_andn2_b64 vcc, exec, s[50:51]
	s_cbranch_vccnz .LBB192_791
; %bb.787:
	s_cmp_gt_i32 s54, 0
	s_mov_b64 s[50:51], -1
	s_cbranch_scc0 .LBB192_789
; %bb.788:
	v_cvt_i32_f32_e32 v3, v2
	s_mov_b64 s[50:51], 0
	global_store_byte v[0:1], v3, off
.LBB192_789:
	s_andn2_b64 vcc, exec, s[50:51]
	s_cbranch_vccnz .LBB192_791
; %bb.790:
	v_trunc_f32_e32 v2, v2
	s_mov_b32 s50, 0x2f800000
	v_mul_f32_e64 v3, |v2|, s50
	v_floor_f32_e32 v3, v3
	s_mov_b32 s50, 0xcf800000
	v_fma_f32 v3, v3, s50, |v2|
	v_cvt_u32_f32_e32 v3, v3
	v_ashrrev_i32_e32 v2, 31, v2
	v_xor_b32_e32 v3, v3, v2
	v_sub_u32_e32 v2, v3, v2
	global_store_byte v[0:1], v2, off
.LBB192_791:
	s_mov_b64 s[50:51], -1
.LBB192_792:
	s_andn2_b64 vcc, exec, s[50:51]
	s_cbranch_vccnz .LBB192_804
; %bb.793:
	v_add_u32_e32 v8, 0x80, v8
	s_mov_b64 s[54:55], -1
.LBB192_794:
	s_andn2_b64 s[50:51], s[38:39], exec
	s_and_b64 s[0:1], s[0:1], exec
	s_or_b64 s[50:51], s[50:51], s[0:1]
	s_andn2_b64 s[0:1], s[40:41], exec
	s_and_b64 s[48:49], s[48:49], exec
	s_or_b64 s[48:49], s[0:1], s[48:49]
	;; [unrolled: 3-line block ×3, first 2 shown]
	s_orn2_b64 s[0:1], s[54:55], exec
.LBB192_795:
	s_or_b64 exec, exec, s[52:53]
	s_mov_b64 s[54:55], 0
	s_mov_b64 s[56:57], 0
	;; [unrolled: 1-line block ×3, first 2 shown]
                                        ; implicit-def: $sgpr75
                                        ; implicit-def: $vgpr3_vgpr4
                                        ; implicit-def: $vgpr0
                                        ; implicit-def: $vgpr2
                                        ; implicit-def: $vgpr5
	s_and_saveexec_b64 s[52:53], s[0:1]
	s_cbranch_execz .LBB192_1292
; %bb.796:
	v_cmp_gt_i32_e32 vcc, s68, v8
	s_mov_b64 s[66:67], -1
	s_mov_b64 s[0:1], s[46:47]
	s_mov_b64 s[58:59], s[48:49]
	;; [unrolled: 1-line block ×3, first 2 shown]
	s_and_saveexec_b64 s[54:55], vcc
	s_cbranch_execz .LBB192_1196
; %bb.797:
	s_andn2_b64 vcc, exec, s[24:25]
	s_cbranch_vccnz .LBB192_803
; %bb.798:
	s_andn2_b64 vcc, exec, s[36:37]
	s_cbranch_vccnz .LBB192_805
; %bb.799:
	s_add_i32 s0, s74, 1
	s_and_b32 s56, s0, 30
	s_add_u32 s0, s2, 0xffffffe8
	s_addc_u32 s1, s3, -1
	v_mov_b32_e32 v2, 0
	v_mov_b32_e32 v4, 0
	;; [unrolled: 1-line block ×4, first 2 shown]
.LBB192_800:                            ; =>This Inner Loop Header: Depth=1
	s_load_dwordx4 s[60:63], s[0:1], 0x1c
	s_load_dwordx2 s[58:59], s[0:1], 0x2c
	s_load_dwordx2 s[76:77], s[0:1], 0xec
	s_load_dwordx4 s[64:67], s[0:1], 0xdc
	s_add_u32 s0, s0, 24
	s_waitcnt vmcnt(0) lgkmcnt(0)
	v_mul_hi_u32 v3, s61, v1
	s_addc_u32 s1, s1, 0
	s_add_i32 s56, s56, -2
	s_cmp_eq_u32 s56, 0
	v_add_u32_e32 v3, v1, v3
	v_lshrrev_b32_e32 v3, s62, v3
	v_mul_lo_u32 v5, v3, s60
	v_mul_hi_u32 v6, s58, v3
	v_sub_u32_e32 v5, v1, v5
	v_add_u32_e32 v1, v3, v6
	v_lshrrev_b32_e32 v1, s59, v1
	v_mul_lo_u32 v9, v1, s63
	v_mul_lo_u32 v6, v5, s64
	;; [unrolled: 1-line block ×4, first 2 shown]
	v_sub_u32_e32 v3, v3, v9
	v_mul_lo_u32 v9, v3, s67
	v_mul_lo_u32 v10, v3, s76
	;; [unrolled: 1-line block ×3, first 2 shown]
	v_add3_u32 v0, v6, v0, v9
	v_add3_u32 v4, v7, v4, v10
	v_add3_u32 v2, v5, v2, v3
	s_cbranch_scc0 .LBB192_800
; %bb.801:
	s_bitcmp1_b32 s74, 0
	s_cselect_b64 s[56:57], -1, 0
	s_and_b64 vcc, exec, s[56:57]
	s_cbranch_vccnz .LBB192_806
; %bb.802:
	s_load_dwordx2 s[56:57], s[0:1], 0x1c
	s_load_dword s60, s[0:1], 0x24
	s_load_dwordx2 s[58:59], s[0:1], 0xdc
	s_waitcnt lgkmcnt(0)
	v_mul_hi_u32 v3, s57, v1
	v_add_u32_e32 v3, v1, v3
	v_lshrrev_b32_e32 v3, s60, v3
	v_mul_lo_u32 v3, v3, s56
	s_load_dword s56, s[0:1], 0xe4
	v_sub_u32_e32 v3, v1, v3
	v_mad_u64_u32 v[0:1], s[0:1], v3, s58, v[0:1]
	v_mad_u64_u32 v[4:5], s[0:1], v3, s59, v[4:5]
	s_waitcnt lgkmcnt(0)
	v_mad_u64_u32 v[2:3], s[0:1], v3, s56, v[2:3]
	s_branch .LBB192_806
.LBB192_803:
	s_mov_b64 s[0:1], -1
                                        ; implicit-def: $vgpr0
                                        ; implicit-def: $vgpr4
                                        ; implicit-def: $vgpr2
	s_branch .LBB192_807
.LBB192_804:
	s_mov_b64 s[54:55], 0
	s_branch .LBB192_552
.LBB192_805:
	v_mov_b32_e32 v0, 0
	v_mov_b32_e32 v4, 0
	;; [unrolled: 1-line block ×3, first 2 shown]
.LBB192_806:
	s_mov_b64 s[0:1], 0
.LBB192_807:
	s_andn2_b64 vcc, exec, s[0:1]
	s_cbranch_vccnz .LBB192_810
; %bb.808:
	v_mul_hi_u32 v0, s17, v8
	s_andn2_b64 vcc, exec, s[34:35]
	v_add_u32_e32 v0, v8, v0
	v_lshrrev_b32_e32 v1, s18, v0
	v_mul_lo_u32 v0, v1, s16
	v_sub_u32_e32 v2, v8, v0
	v_mul_lo_u32 v0, v2, s20
	v_mul_lo_u32 v4, v2, s21
	;; [unrolled: 1-line block ×3, first 2 shown]
	s_cbranch_vccnz .LBB192_810
; %bb.809:
	s_waitcnt vmcnt(0)
	v_mul_hi_u32 v3, s28, v1
	v_add_u32_e32 v3, v1, v3
	v_lshrrev_b32_e32 v3, s29, v3
	v_mul_lo_u32 v3, v3, s19
	v_sub_u32_e32 v3, v1, v3
	v_mad_u64_u32 v[0:1], s[0:1], v3, s23, v[0:1]
	v_mad_u64_u32 v[4:5], s[0:1], v3, s30, v[4:5]
	;; [unrolled: 1-line block ×3, first 2 shown]
.LBB192_810:
	v_mov_b32_e32 v1, s11
	s_and_b32 s62, s73, 0xff
	s_waitcnt vmcnt(0)
	v_add_co_u32_e32 v3, vcc, s10, v4
	s_cmp_lt_i32 s62, 11
	v_addc_co_u32_e32 v4, vcc, 0, v1, vcc
	s_cbranch_scc1 .LBB192_817
; %bb.811:
	s_and_b32 s63, 0xffff, s62
	s_cmp_gt_i32 s63, 25
	s_cbranch_scc0 .LBB192_818
; %bb.812:
	s_cmp_gt_i32 s63, 28
	s_cbranch_scc0 .LBB192_819
; %bb.813:
	;; [unrolled: 3-line block ×4, first 2 shown]
	s_cmp_eq_u32 s63, 46
	s_mov_b64 s[58:59], 0
	s_cbranch_scc0 .LBB192_824
; %bb.816:
	global_load_dword v1, v[3:4], off
	s_mov_b64 s[0:1], -1
	s_mov_b64 s[56:57], 0
	s_waitcnt vmcnt(0)
	v_lshlrev_b32_e32 v5, 16, v1
	s_branch .LBB192_825
.LBB192_817:
	s_mov_b64 s[58:59], -1
	s_mov_b64 s[0:1], 0
                                        ; implicit-def: $vgpr5
	s_mov_b64 s[56:57], s[46:47]
	s_branch .LBB192_890
.LBB192_818:
	s_mov_b64 s[58:59], -1
	s_mov_b64 s[0:1], 0
	s_mov_b64 s[56:57], s[46:47]
                                        ; implicit-def: $vgpr5
	s_branch .LBB192_854
.LBB192_819:
	s_mov_b64 s[58:59], -1
	s_mov_b64 s[0:1], 0
	s_mov_b64 s[56:57], s[46:47]
                                        ; implicit-def: $vgpr5
	s_branch .LBB192_835
.LBB192_820:
	s_mov_b64 s[58:59], -1
	s_mov_b64 s[0:1], 0
	s_mov_b64 s[56:57], s[46:47]
                                        ; implicit-def: $vgpr5
	s_branch .LBB192_830
.LBB192_821:
	s_mov_b64 s[58:59], -1
	s_mov_b64 s[0:1], 0
	s_mov_b64 s[56:57], s[46:47]
                                        ; implicit-def: $vgpr5
	s_branch .LBB192_825
.LBB192_822:
	s_andn2_saveexec_b64 s[56:57], s[56:57]
	s_cbranch_execz .LBB192_705
.LBB192_823:
	s_mov_b32 s60, 0x46000000
	v_add_f32_e64 v3, |v2|, s60
	v_and_b32_e32 v3, 0xff, v3
	v_cmp_ne_u32_e32 vcc, 0, v3
	s_andn2_b64 s[54:55], s[54:55], exec
	s_and_b64 s[60:61], vcc, exec
	s_or_b64 s[54:55], s[54:55], s[60:61]
	s_or_b64 exec, exec, s[56:57]
	v_mov_b32_e32 v4, 0
	s_and_saveexec_b64 s[56:57], s[54:55]
	s_cbranch_execnz .LBB192_706
	s_branch .LBB192_707
.LBB192_824:
	s_mov_b64 s[56:57], -1
                                        ; implicit-def: $vgpr5
	s_mov_b64 s[0:1], 0
.LBB192_825:
	s_and_b64 vcc, exec, s[58:59]
	s_cbranch_vccz .LBB192_829
; %bb.826:
	s_cmp_eq_u32 s63, 44
	s_cbranch_scc0 .LBB192_828
; %bb.827:
	global_load_ubyte v1, v[3:4], off
	s_movk_i32 s56, 0xff
	v_mov_b32_e32 v5, 0x7f800001
	v_mov_b32_e32 v6, 0x400000
	s_mov_b64 s[0:1], -1
	s_waitcnt vmcnt(0)
	v_lshlrev_b32_e32 v7, 23, v1
	v_cmp_ne_u32_e32 vcc, s56, v1
	v_cndmask_b32_e32 v5, v5, v7, vcc
	v_cmp_ne_u32_e32 vcc, 0, v1
	v_cndmask_b32_e32 v5, v6, v5, vcc
	s_mov_b64 s[56:57], 0
	s_branch .LBB192_829
.LBB192_828:
	s_mov_b64 s[56:57], -1
                                        ; implicit-def: $vgpr5
.LBB192_829:
	s_mov_b64 s[58:59], 0
.LBB192_830:
	s_and_b64 vcc, exec, s[58:59]
	s_cbranch_vccz .LBB192_834
; %bb.831:
	s_cmp_eq_u32 s63, 29
	s_cbranch_scc0 .LBB192_833
; %bb.832:
	global_load_dwordx2 v[5:6], v[3:4], off
	s_mov_b64 s[0:1], -1
	s_mov_b64 s[56:57], 0
	s_mov_b64 s[58:59], 0
	s_waitcnt vmcnt(0)
	v_ffbh_u32_e32 v1, v6
	v_min_u32_e32 v1, 32, v1
	v_lshlrev_b64 v[5:6], v1, v[5:6]
	v_sub_u32_e32 v1, 32, v1
	v_min_u32_e32 v5, 1, v5
	v_or_b32_e32 v5, v6, v5
	v_cvt_f32_u32_e32 v5, v5
	v_ldexp_f32 v5, v5, v1
	s_branch .LBB192_835
.LBB192_833:
	s_mov_b64 s[56:57], -1
                                        ; implicit-def: $vgpr5
.LBB192_834:
	s_mov_b64 s[58:59], 0
.LBB192_835:
	s_and_b64 vcc, exec, s[58:59]
	s_cbranch_vccz .LBB192_853
; %bb.836:
	s_cmp_lt_i32 s63, 27
	s_cbranch_scc1 .LBB192_839
; %bb.837:
	s_cmp_gt_i32 s63, 27
	s_cbranch_scc0 .LBB192_840
; %bb.838:
	global_load_dword v1, v[3:4], off
	s_mov_b64 s[0:1], 0
	s_waitcnt vmcnt(0)
	v_cvt_f32_u32_e32 v5, v1
	s_branch .LBB192_841
.LBB192_839:
	s_mov_b64 s[0:1], -1
                                        ; implicit-def: $vgpr5
	s_branch .LBB192_844
.LBB192_840:
	s_mov_b64 s[0:1], -1
                                        ; implicit-def: $vgpr5
.LBB192_841:
	s_andn2_b64 vcc, exec, s[0:1]
	s_cbranch_vccnz .LBB192_843
; %bb.842:
	global_load_ushort v1, v[3:4], off
	s_waitcnt vmcnt(0)
	v_cvt_f32_u32_e32 v5, v1
.LBB192_843:
	s_mov_b64 s[0:1], 0
.LBB192_844:
	s_andn2_b64 vcc, exec, s[0:1]
	s_cbranch_vccnz .LBB192_852
; %bb.845:
	global_load_ubyte v1, v[3:4], off
	s_movk_i32 s0, 0x7f
	s_waitcnt vmcnt(0)
	v_cmp_lt_i16_e32 vcc, s0, v1
	s_mov_b64 s[0:1], 0
	s_and_saveexec_b64 s[58:59], vcc
	s_xor_b64 s[58:59], exec, s[58:59]
	s_cbranch_execz .LBB192_866
; %bb.846:
	s_movk_i32 s0, 0x80
	v_cmp_eq_u16_e32 vcc, s0, v1
	s_mov_b64 s[0:1], -1
	s_and_saveexec_b64 s[60:61], vcc
; %bb.847:
	s_xor_b64 s[0:1], exec, -1
; %bb.848:
	s_or_b64 exec, exec, s[60:61]
	s_and_b64 s[0:1], s[0:1], exec
	s_or_saveexec_b64 s[58:59], s[58:59]
	v_mov_b32_e32 v5, 0x7f800001
	s_xor_b64 exec, exec, s[58:59]
	s_cbranch_execnz .LBB192_867
.LBB192_849:
	s_or_b64 exec, exec, s[58:59]
	s_and_saveexec_b64 s[58:59], s[0:1]
	s_cbranch_execz .LBB192_851
.LBB192_850:
	v_lshlrev_b32_e32 v5, 24, v1
	v_and_b32_e32 v1, 0xffff, v1
	v_and_b32_e32 v6, 7, v1
	v_ffbh_u32_e32 v9, v6
	v_min_u32_e32 v9, 32, v9
	v_subrev_u32_e32 v10, 28, v9
	v_bfe_u32 v7, v1, 3, 4
	v_lshlrev_b32_e32 v1, v10, v1
	v_sub_u32_e32 v9, 29, v9
	v_and_b32_e32 v1, 7, v1
	v_cmp_eq_u32_e32 vcc, 0, v7
	v_cndmask_b32_e32 v7, v7, v9, vcc
	v_cndmask_b32_e32 v1, v6, v1, vcc
	v_mov_b32_e32 v6, 0x3b800000
	v_lshlrev_b32_e32 v1, 20, v1
	v_and_b32_e32 v5, 0x80000000, v5
	v_lshl_add_u32 v6, v7, 23, v6
	v_or3_b32 v5, v5, v6, v1
.LBB192_851:
	s_or_b64 exec, exec, s[58:59]
.LBB192_852:
	s_mov_b64 s[0:1], -1
.LBB192_853:
	s_mov_b64 s[58:59], 0
.LBB192_854:
	s_and_b64 vcc, exec, s[58:59]
	s_cbranch_vccz .LBB192_889
; %bb.855:
	s_cmp_gt_i32 s63, 22
	s_cbranch_scc0 .LBB192_865
; %bb.856:
	s_cmp_lt_i32 s63, 24
	s_cbranch_scc1 .LBB192_868
; %bb.857:
	s_cmp_gt_i32 s63, 24
	s_cbranch_scc0 .LBB192_869
; %bb.858:
	global_load_ubyte v1, v[3:4], off
	s_movk_i32 s0, 0x7f
	s_waitcnt vmcnt(0)
	v_cmp_lt_i16_e32 vcc, s0, v1
	s_mov_b64 s[0:1], 0
	s_and_saveexec_b64 s[58:59], vcc
	s_xor_b64 s[58:59], exec, s[58:59]
	s_cbranch_execz .LBB192_881
; %bb.859:
	s_movk_i32 s0, 0x80
	v_cmp_eq_u16_e32 vcc, s0, v1
	s_mov_b64 s[0:1], -1
	s_and_saveexec_b64 s[60:61], vcc
; %bb.860:
	s_xor_b64 s[0:1], exec, -1
; %bb.861:
	s_or_b64 exec, exec, s[60:61]
	s_and_b64 s[0:1], s[0:1], exec
	s_or_saveexec_b64 s[58:59], s[58:59]
	v_mov_b32_e32 v5, 0x7f800001
	s_xor_b64 exec, exec, s[58:59]
	s_cbranch_execnz .LBB192_882
.LBB192_862:
	s_or_b64 exec, exec, s[58:59]
	s_and_saveexec_b64 s[58:59], s[0:1]
	s_cbranch_execz .LBB192_864
.LBB192_863:
	v_lshlrev_b32_e32 v5, 24, v1
	v_and_b32_e32 v1, 0xffff, v1
	v_and_b32_e32 v6, 3, v1
	v_ffbh_u32_e32 v9, v6
	v_min_u32_e32 v9, 32, v9
	v_subrev_u32_e32 v10, 29, v9
	v_bfe_u32 v7, v1, 2, 5
	v_lshlrev_b32_e32 v1, v10, v1
	v_sub_u32_e32 v9, 30, v9
	v_and_b32_e32 v1, 3, v1
	v_cmp_eq_u32_e32 vcc, 0, v7
	v_cndmask_b32_e32 v7, v7, v9, vcc
	v_cndmask_b32_e32 v1, v6, v1, vcc
	v_mov_b32_e32 v6, 0x37800000
	v_lshlrev_b32_e32 v1, 21, v1
	v_and_b32_e32 v5, 0x80000000, v5
	v_lshl_add_u32 v6, v7, 23, v6
	v_or3_b32 v5, v5, v6, v1
.LBB192_864:
	s_or_b64 exec, exec, s[58:59]
	s_mov_b64 s[0:1], 0
	s_branch .LBB192_870
.LBB192_865:
	s_mov_b64 s[58:59], -1
                                        ; implicit-def: $vgpr5
	s_branch .LBB192_876
.LBB192_866:
	s_or_saveexec_b64 s[58:59], s[58:59]
	v_mov_b32_e32 v5, 0x7f800001
	s_xor_b64 exec, exec, s[58:59]
	s_cbranch_execz .LBB192_849
.LBB192_867:
	v_cmp_ne_u16_e32 vcc, 0, v1
	s_andn2_b64 s[0:1], s[0:1], exec
	s_and_b64 s[60:61], vcc, exec
	v_mov_b32_e32 v5, 0
	s_or_b64 s[0:1], s[0:1], s[60:61]
	s_or_b64 exec, exec, s[58:59]
	s_and_saveexec_b64 s[58:59], s[0:1]
	s_cbranch_execnz .LBB192_850
	s_branch .LBB192_851
.LBB192_868:
	s_mov_b64 s[0:1], -1
                                        ; implicit-def: $vgpr5
	s_branch .LBB192_873
.LBB192_869:
	s_mov_b64 s[0:1], -1
                                        ; implicit-def: $vgpr5
.LBB192_870:
	s_and_b64 vcc, exec, s[0:1]
	s_cbranch_vccz .LBB192_872
; %bb.871:
	global_load_ubyte v1, v[3:4], off
	s_mov_b32 s0, 0x7f800000
	s_waitcnt vmcnt(0)
	v_lshlrev_b32_e32 v1, 24, v1
	v_and_b32_e32 v5, 0x7f000000, v1
	v_ffbh_u32_e32 v6, v5
	v_min_u32_e32 v6, 32, v6
	v_sub_u32_e64 v6, v6, 4 clamp
	v_lshlrev_b32_e32 v9, v6, v5
	v_lshlrev_b32_e32 v6, 23, v6
	v_lshrrev_b32_e32 v9, 4, v9
	v_add_u32_e32 v7, 0x1000000, v5
	v_sub_u32_e32 v6, v9, v6
	v_ashrrev_i32_e32 v7, 8, v7
	v_add_u32_e32 v6, 0x3c000000, v6
	v_and_or_b32 v6, v7, s0, v6
	v_cmp_ne_u32_e32 vcc, 0, v5
	v_cndmask_b32_e32 v5, 0, v6, vcc
	s_brev_b32 s0, 1
	v_and_or_b32 v5, v1, s0, v5
.LBB192_872:
	s_mov_b64 s[0:1], 0
.LBB192_873:
	s_andn2_b64 vcc, exec, s[0:1]
	s_cbranch_vccnz .LBB192_875
; %bb.874:
	global_load_ubyte v1, v[3:4], off
	s_movk_i32 s0, 0x7f00
	s_brev_b32 s1, 16
	s_waitcnt vmcnt(0)
	v_lshlrev_b16_e32 v5, 8, v1
	v_lshlrev_b32_e32 v1, 25, v1
	v_lshrrev_b32_e32 v6, 4, v1
	v_and_or_b32 v7, v5, s0, 0.5
	v_or_b32_e32 v6, 0x70000000, v6
	v_add_f32_e32 v7, -0.5, v7
	v_mul_f32_e32 v6, 0x7800000, v6
	v_cmp_gt_u32_e32 vcc, s1, v1
	v_bfe_i32 v5, v5, 0, 16
	v_cndmask_b32_e32 v1, v6, v7, vcc
	s_brev_b32 s0, 1
	v_and_or_b32 v5, v5, s0, v1
.LBB192_875:
	s_mov_b64 s[58:59], 0
	s_mov_b64 s[0:1], -1
.LBB192_876:
	s_andn2_b64 vcc, exec, s[58:59]
	s_cbranch_vccnz .LBB192_889
; %bb.877:
	s_cmp_gt_i32 s63, 14
	s_cbranch_scc0 .LBB192_880
; %bb.878:
	s_cmp_eq_u32 s63, 15
	s_cbranch_scc0 .LBB192_883
; %bb.879:
	global_load_ushort v1, v[3:4], off
	s_mov_b64 s[0:1], -1
	s_mov_b64 s[56:57], 0
	s_waitcnt vmcnt(0)
	v_lshlrev_b32_e32 v5, 16, v1
	s_branch .LBB192_884
.LBB192_880:
	s_mov_b64 s[58:59], -1
                                        ; implicit-def: $vgpr5
	s_branch .LBB192_885
.LBB192_881:
	s_or_saveexec_b64 s[58:59], s[58:59]
	v_mov_b32_e32 v5, 0x7f800001
	s_xor_b64 exec, exec, s[58:59]
	s_cbranch_execz .LBB192_862
.LBB192_882:
	v_cmp_ne_u16_e32 vcc, 0, v1
	s_andn2_b64 s[0:1], s[0:1], exec
	s_and_b64 s[60:61], vcc, exec
	v_mov_b32_e32 v5, 0
	s_or_b64 s[0:1], s[0:1], s[60:61]
	s_or_b64 exec, exec, s[58:59]
	s_and_saveexec_b64 s[58:59], s[0:1]
	s_cbranch_execnz .LBB192_863
	s_branch .LBB192_864
.LBB192_883:
	s_mov_b64 s[56:57], -1
                                        ; implicit-def: $vgpr5
.LBB192_884:
	s_mov_b64 s[58:59], 0
.LBB192_885:
	s_and_b64 vcc, exec, s[58:59]
	s_cbranch_vccz .LBB192_889
; %bb.886:
	s_cmp_eq_u32 s63, 11
	s_cbranch_scc0 .LBB192_888
; %bb.887:
	global_load_ubyte v1, v[3:4], off
	s_mov_b64 s[0:1], -1
	s_mov_b64 s[56:57], 0
	s_waitcnt vmcnt(0)
	v_cmp_ne_u16_e32 vcc, 0, v1
	v_cndmask_b32_e64 v5, 0, 1.0, vcc
	s_branch .LBB192_889
.LBB192_888:
	s_mov_b64 s[56:57], -1
                                        ; implicit-def: $vgpr5
.LBB192_889:
	s_mov_b64 s[58:59], 0
.LBB192_890:
	s_and_b64 vcc, exec, s[58:59]
	s_cbranch_vccz .LBB192_939
; %bb.891:
	s_and_b32 s58, 0xffff, s62
	s_cmp_lt_i32 s58, 5
	s_cbranch_scc1 .LBB192_896
; %bb.892:
	s_cmp_lt_i32 s58, 8
	s_cbranch_scc1 .LBB192_897
; %bb.893:
	;; [unrolled: 3-line block ×3, first 2 shown]
	s_cmp_gt_i32 s58, 9
	s_cbranch_scc0 .LBB192_899
; %bb.895:
	global_load_dwordx2 v[5:6], v[3:4], off
	s_mov_b64 s[0:1], 0
	s_waitcnt vmcnt(0)
	v_cvt_f32_f64_e32 v5, v[5:6]
	s_branch .LBB192_900
.LBB192_896:
	s_mov_b64 s[0:1], -1
                                        ; implicit-def: $vgpr5
	s_branch .LBB192_918
.LBB192_897:
	s_mov_b64 s[0:1], -1
                                        ; implicit-def: $vgpr5
	s_branch .LBB192_906
.LBB192_898:
	s_mov_b64 s[0:1], -1
                                        ; implicit-def: $vgpr5
	s_branch .LBB192_903
.LBB192_899:
	s_mov_b64 s[0:1], -1
                                        ; implicit-def: $vgpr5
.LBB192_900:
	s_andn2_b64 vcc, exec, s[0:1]
	s_cbranch_vccnz .LBB192_902
; %bb.901:
	global_load_dword v5, v[3:4], off
.LBB192_902:
	s_mov_b64 s[0:1], 0
.LBB192_903:
	s_andn2_b64 vcc, exec, s[0:1]
	s_cbranch_vccnz .LBB192_905
; %bb.904:
	global_load_dword v1, v[3:4], off
	s_waitcnt vmcnt(0)
	v_cvt_f32_f16_e32 v5, v1
.LBB192_905:
	s_mov_b64 s[0:1], 0
.LBB192_906:
	s_andn2_b64 vcc, exec, s[0:1]
	s_cbranch_vccnz .LBB192_917
; %bb.907:
	s_cmp_lt_i32 s58, 6
	s_cbranch_scc1 .LBB192_910
; %bb.908:
	s_cmp_gt_i32 s58, 6
	s_cbranch_scc0 .LBB192_911
; %bb.909:
	global_load_dwordx2 v[5:6], v[3:4], off
	s_mov_b64 s[0:1], 0
	s_waitcnt vmcnt(0)
	v_cvt_f32_f64_e32 v5, v[5:6]
	s_branch .LBB192_912
.LBB192_910:
	s_mov_b64 s[0:1], -1
                                        ; implicit-def: $vgpr5
	s_branch .LBB192_915
.LBB192_911:
	s_mov_b64 s[0:1], -1
                                        ; implicit-def: $vgpr5
.LBB192_912:
	s_andn2_b64 vcc, exec, s[0:1]
	s_cbranch_vccnz .LBB192_914
; %bb.913:
	global_load_dword v5, v[3:4], off
.LBB192_914:
	s_mov_b64 s[0:1], 0
.LBB192_915:
	s_andn2_b64 vcc, exec, s[0:1]
	s_cbranch_vccnz .LBB192_917
; %bb.916:
	global_load_ushort v1, v[3:4], off
	s_waitcnt vmcnt(0)
	v_cvt_f32_f16_e32 v5, v1
.LBB192_917:
	s_mov_b64 s[0:1], 0
.LBB192_918:
	s_andn2_b64 vcc, exec, s[0:1]
	s_cbranch_vccnz .LBB192_938
; %bb.919:
	s_cmp_lt_i32 s58, 2
	s_cbranch_scc1 .LBB192_923
; %bb.920:
	s_cmp_lt_i32 s58, 3
	s_cbranch_scc1 .LBB192_924
; %bb.921:
	s_cmp_gt_i32 s58, 3
	s_cbranch_scc0 .LBB192_925
; %bb.922:
	global_load_dwordx2 v[5:6], v[3:4], off
	s_mov_b64 s[0:1], 0
	s_waitcnt vmcnt(0)
	v_xor_b32_e32 v7, v5, v6
	v_ffbh_i32_e32 v1, v6
	v_ashrrev_i32_e32 v7, 31, v7
	v_add_u32_e32 v1, -1, v1
	v_add_u32_e32 v7, 32, v7
	v_min_u32_e32 v1, v1, v7
	v_lshlrev_b64 v[5:6], v1, v[5:6]
	v_sub_u32_e32 v1, 32, v1
	v_min_u32_e32 v5, 1, v5
	v_or_b32_e32 v5, v6, v5
	v_cvt_f32_i32_e32 v5, v5
	v_ldexp_f32 v5, v5, v1
	s_branch .LBB192_926
.LBB192_923:
	s_mov_b64 s[0:1], -1
                                        ; implicit-def: $vgpr5
	s_branch .LBB192_932
.LBB192_924:
	s_mov_b64 s[0:1], -1
                                        ; implicit-def: $vgpr5
	s_branch .LBB192_929
.LBB192_925:
	s_mov_b64 s[0:1], -1
                                        ; implicit-def: $vgpr5
.LBB192_926:
	s_andn2_b64 vcc, exec, s[0:1]
	s_cbranch_vccnz .LBB192_928
; %bb.927:
	global_load_dword v1, v[3:4], off
	s_waitcnt vmcnt(0)
	v_cvt_f32_i32_e32 v5, v1
.LBB192_928:
	s_mov_b64 s[0:1], 0
.LBB192_929:
	s_andn2_b64 vcc, exec, s[0:1]
	s_cbranch_vccnz .LBB192_931
; %bb.930:
	global_load_sshort v1, v[3:4], off
	s_waitcnt vmcnt(0)
	v_cvt_f32_i32_e32 v5, v1
.LBB192_931:
	s_mov_b64 s[0:1], 0
.LBB192_932:
	s_andn2_b64 vcc, exec, s[0:1]
	s_cbranch_vccnz .LBB192_938
; %bb.933:
	s_cmp_gt_i32 s58, 0
	s_cbranch_scc0 .LBB192_935
; %bb.934:
	global_load_sbyte v1, v[3:4], off
	s_mov_b64 s[0:1], 0
	s_waitcnt vmcnt(0)
	v_cvt_f32_i32_e32 v5, v1
	s_branch .LBB192_936
.LBB192_935:
	s_mov_b64 s[0:1], -1
                                        ; implicit-def: $vgpr5
.LBB192_936:
	s_andn2_b64 vcc, exec, s[0:1]
	s_cbranch_vccnz .LBB192_938
; %bb.937:
	global_load_ubyte v1, v[3:4], off
	s_waitcnt vmcnt(0)
	v_cvt_f32_ubyte0_e32 v5, v1
.LBB192_938:
	s_mov_b64 s[0:1], -1
.LBB192_939:
	s_andn2_b64 vcc, exec, s[0:1]
	s_cbranch_vccnz .LBB192_947
; %bb.940:
	v_mov_b32_e32 v3, s13
	s_and_b32 s64, s72, 0xff
	v_add_co_u32_e32 v1, vcc, s12, v2
	s_cmp_lt_i32 s64, 11
	v_addc_co_u32_e32 v2, vcc, 0, v3, vcc
	s_cbranch_scc1 .LBB192_949
; %bb.941:
	s_and_b32 s65, 0xffff, s64
	s_cmp_gt_i32 s65, 25
	s_cbranch_scc0 .LBB192_950
; %bb.942:
	s_cmp_gt_i32 s65, 28
	s_cbranch_scc0 .LBB192_951
; %bb.943:
	;; [unrolled: 3-line block ×4, first 2 shown]
	s_cmp_eq_u32 s65, 46
	s_mov_b64 s[60:61], 0
	s_cbranch_scc0 .LBB192_956
; %bb.946:
	global_load_dword v3, v[1:2], off
	s_mov_b64 s[0:1], -1
	s_mov_b64 s[58:59], 0
	s_waitcnt vmcnt(0)
	v_lshlrev_b32_e32 v3, 16, v3
	s_branch .LBB192_957
.LBB192_947:
	s_mov_b64 s[62:63], 0
	s_mov_b64 s[0:1], s[50:51]
	;; [unrolled: 1-line block ×3, first 2 shown]
.LBB192_948:
                                        ; implicit-def: $vgpr8
	s_branch .LBB192_1195
.LBB192_949:
	s_mov_b64 s[60:61], -1
	s_mov_b64 s[0:1], 0
                                        ; implicit-def: $vgpr3
	s_mov_b64 s[58:59], s[48:49]
	s_branch .LBB192_1022
.LBB192_950:
	s_mov_b64 s[60:61], -1
	s_mov_b64 s[0:1], 0
	s_mov_b64 s[58:59], s[48:49]
                                        ; implicit-def: $vgpr3
	s_branch .LBB192_986
.LBB192_951:
	s_mov_b64 s[60:61], -1
	s_mov_b64 s[0:1], 0
	s_mov_b64 s[58:59], s[48:49]
                                        ; implicit-def: $vgpr3
	s_branch .LBB192_967
.LBB192_952:
	s_mov_b64 s[60:61], -1
	s_mov_b64 s[0:1], 0
	s_mov_b64 s[58:59], s[48:49]
                                        ; implicit-def: $vgpr3
	s_branch .LBB192_962
.LBB192_953:
	s_mov_b64 s[60:61], -1
	s_mov_b64 s[0:1], 0
	s_mov_b64 s[58:59], s[48:49]
                                        ; implicit-def: $vgpr3
	s_branch .LBB192_957
.LBB192_954:
	s_andn2_saveexec_b64 s[56:57], s[56:57]
	s_cbranch_execz .LBB192_718
.LBB192_955:
	s_mov_b32 s60, 0x42800000
	v_add_f32_e64 v3, |v2|, s60
	v_and_b32_e32 v3, 0xff, v3
	v_cmp_ne_u32_e32 vcc, 0, v3
	s_andn2_b64 s[54:55], s[54:55], exec
	s_and_b64 s[60:61], vcc, exec
	s_or_b64 s[54:55], s[54:55], s[60:61]
	s_or_b64 exec, exec, s[56:57]
	v_mov_b32_e32 v4, 0
	s_and_saveexec_b64 s[56:57], s[54:55]
	s_cbranch_execnz .LBB192_719
	s_branch .LBB192_720
.LBB192_956:
	s_mov_b64 s[58:59], -1
                                        ; implicit-def: $vgpr3
	s_mov_b64 s[0:1], 0
.LBB192_957:
	s_and_b64 vcc, exec, s[60:61]
	s_cbranch_vccz .LBB192_961
; %bb.958:
	s_cmp_eq_u32 s65, 44
	s_cbranch_scc0 .LBB192_960
; %bb.959:
	global_load_ubyte v3, v[1:2], off
	s_movk_i32 s58, 0xff
	v_mov_b32_e32 v4, 0x7f800001
	v_mov_b32_e32 v6, 0x400000
	s_mov_b64 s[0:1], -1
	s_waitcnt vmcnt(0)
	v_lshlrev_b32_e32 v7, 23, v3
	v_cmp_ne_u32_e32 vcc, s58, v3
	v_cndmask_b32_e32 v4, v4, v7, vcc
	v_cmp_ne_u32_e32 vcc, 0, v3
	v_cndmask_b32_e32 v3, v6, v4, vcc
	s_mov_b64 s[58:59], 0
	s_branch .LBB192_961
.LBB192_960:
	s_mov_b64 s[58:59], -1
                                        ; implicit-def: $vgpr3
.LBB192_961:
	s_mov_b64 s[60:61], 0
.LBB192_962:
	s_and_b64 vcc, exec, s[60:61]
	s_cbranch_vccz .LBB192_966
; %bb.963:
	s_cmp_eq_u32 s65, 29
	s_cbranch_scc0 .LBB192_965
; %bb.964:
	global_load_dwordx2 v[3:4], v[1:2], off
	s_mov_b64 s[0:1], -1
	s_mov_b64 s[58:59], 0
	s_mov_b64 s[60:61], 0
	s_waitcnt vmcnt(0)
	v_ffbh_u32_e32 v6, v4
	v_min_u32_e32 v6, 32, v6
	v_lshlrev_b64 v[3:4], v6, v[3:4]
	v_min_u32_e32 v3, 1, v3
	v_or_b32_e32 v3, v4, v3
	v_cvt_f32_u32_e32 v3, v3
	v_sub_u32_e32 v4, 32, v6
	v_ldexp_f32 v3, v3, v4
	s_branch .LBB192_967
.LBB192_965:
	s_mov_b64 s[58:59], -1
                                        ; implicit-def: $vgpr3
.LBB192_966:
	s_mov_b64 s[60:61], 0
.LBB192_967:
	s_and_b64 vcc, exec, s[60:61]
	s_cbranch_vccz .LBB192_985
; %bb.968:
	s_cmp_lt_i32 s65, 27
	s_cbranch_scc1 .LBB192_971
; %bb.969:
	s_cmp_gt_i32 s65, 27
	s_cbranch_scc0 .LBB192_972
; %bb.970:
	global_load_dword v3, v[1:2], off
	s_mov_b64 s[0:1], 0
	s_waitcnt vmcnt(0)
	v_cvt_f32_u32_e32 v3, v3
	s_branch .LBB192_973
.LBB192_971:
	s_mov_b64 s[0:1], -1
                                        ; implicit-def: $vgpr3
	s_branch .LBB192_976
.LBB192_972:
	s_mov_b64 s[0:1], -1
                                        ; implicit-def: $vgpr3
.LBB192_973:
	s_andn2_b64 vcc, exec, s[0:1]
	s_cbranch_vccnz .LBB192_975
; %bb.974:
	global_load_ushort v3, v[1:2], off
	s_waitcnt vmcnt(0)
	v_cvt_f32_u32_e32 v3, v3
.LBB192_975:
	s_mov_b64 s[0:1], 0
.LBB192_976:
	s_andn2_b64 vcc, exec, s[0:1]
	s_cbranch_vccnz .LBB192_984
; %bb.977:
	global_load_ubyte v4, v[1:2], off
	s_movk_i32 s0, 0x7f
	s_waitcnt vmcnt(0)
	v_cmp_lt_i16_e32 vcc, s0, v4
	s_mov_b64 s[0:1], 0
	s_and_saveexec_b64 s[60:61], vcc
	s_xor_b64 s[60:61], exec, s[60:61]
	s_cbranch_execz .LBB192_998
; %bb.978:
	s_movk_i32 s0, 0x80
	v_cmp_eq_u16_e32 vcc, s0, v4
	s_mov_b64 s[0:1], -1
	s_and_saveexec_b64 s[62:63], vcc
; %bb.979:
	s_xor_b64 s[0:1], exec, -1
; %bb.980:
	s_or_b64 exec, exec, s[62:63]
	s_and_b64 s[0:1], s[0:1], exec
	s_or_saveexec_b64 s[60:61], s[60:61]
	v_mov_b32_e32 v3, 0x7f800001
	s_xor_b64 exec, exec, s[60:61]
	s_cbranch_execnz .LBB192_999
.LBB192_981:
	s_or_b64 exec, exec, s[60:61]
	s_and_saveexec_b64 s[60:61], s[0:1]
	s_cbranch_execz .LBB192_983
.LBB192_982:
	v_lshlrev_b32_e32 v3, 24, v4
	v_and_b32_e32 v4, 0xffff, v4
	v_and_b32_e32 v6, 7, v4
	v_ffbh_u32_e32 v9, v6
	v_min_u32_e32 v9, 32, v9
	v_subrev_u32_e32 v10, 28, v9
	v_bfe_u32 v7, v4, 3, 4
	v_lshlrev_b32_e32 v4, v10, v4
	v_sub_u32_e32 v9, 29, v9
	v_and_b32_e32 v4, 7, v4
	v_cmp_eq_u32_e32 vcc, 0, v7
	v_cndmask_b32_e32 v7, v7, v9, vcc
	v_cndmask_b32_e32 v4, v6, v4, vcc
	v_mov_b32_e32 v6, 0x3b800000
	v_lshlrev_b32_e32 v4, 20, v4
	v_and_b32_e32 v3, 0x80000000, v3
	v_lshl_add_u32 v6, v7, 23, v6
	v_or3_b32 v3, v3, v6, v4
.LBB192_983:
	s_or_b64 exec, exec, s[60:61]
.LBB192_984:
	s_mov_b64 s[0:1], -1
.LBB192_985:
	s_mov_b64 s[60:61], 0
.LBB192_986:
	s_and_b64 vcc, exec, s[60:61]
	s_cbranch_vccz .LBB192_1021
; %bb.987:
	s_cmp_gt_i32 s65, 22
	s_cbranch_scc0 .LBB192_997
; %bb.988:
	s_cmp_lt_i32 s65, 24
	s_cbranch_scc1 .LBB192_1000
; %bb.989:
	s_cmp_gt_i32 s65, 24
	s_cbranch_scc0 .LBB192_1001
; %bb.990:
	global_load_ubyte v4, v[1:2], off
	s_movk_i32 s0, 0x7f
	s_waitcnt vmcnt(0)
	v_cmp_lt_i16_e32 vcc, s0, v4
	s_mov_b64 s[0:1], 0
	s_and_saveexec_b64 s[60:61], vcc
	s_xor_b64 s[60:61], exec, s[60:61]
	s_cbranch_execz .LBB192_1013
; %bb.991:
	s_movk_i32 s0, 0x80
	v_cmp_eq_u16_e32 vcc, s0, v4
	s_mov_b64 s[0:1], -1
	s_and_saveexec_b64 s[62:63], vcc
; %bb.992:
	s_xor_b64 s[0:1], exec, -1
; %bb.993:
	s_or_b64 exec, exec, s[62:63]
	s_and_b64 s[0:1], s[0:1], exec
	s_or_saveexec_b64 s[60:61], s[60:61]
	v_mov_b32_e32 v3, 0x7f800001
	s_xor_b64 exec, exec, s[60:61]
	s_cbranch_execnz .LBB192_1014
.LBB192_994:
	s_or_b64 exec, exec, s[60:61]
	s_and_saveexec_b64 s[60:61], s[0:1]
	s_cbranch_execz .LBB192_996
.LBB192_995:
	v_lshlrev_b32_e32 v3, 24, v4
	v_and_b32_e32 v4, 0xffff, v4
	v_and_b32_e32 v6, 3, v4
	v_ffbh_u32_e32 v9, v6
	v_min_u32_e32 v9, 32, v9
	v_subrev_u32_e32 v10, 29, v9
	v_bfe_u32 v7, v4, 2, 5
	v_lshlrev_b32_e32 v4, v10, v4
	v_sub_u32_e32 v9, 30, v9
	v_and_b32_e32 v4, 3, v4
	v_cmp_eq_u32_e32 vcc, 0, v7
	v_cndmask_b32_e32 v7, v7, v9, vcc
	v_cndmask_b32_e32 v4, v6, v4, vcc
	v_mov_b32_e32 v6, 0x37800000
	v_lshlrev_b32_e32 v4, 21, v4
	v_and_b32_e32 v3, 0x80000000, v3
	v_lshl_add_u32 v6, v7, 23, v6
	v_or3_b32 v3, v3, v6, v4
.LBB192_996:
	s_or_b64 exec, exec, s[60:61]
	s_mov_b64 s[0:1], 0
	s_branch .LBB192_1002
.LBB192_997:
	s_mov_b64 s[60:61], -1
                                        ; implicit-def: $vgpr3
	s_branch .LBB192_1008
.LBB192_998:
	s_or_saveexec_b64 s[60:61], s[60:61]
	v_mov_b32_e32 v3, 0x7f800001
	s_xor_b64 exec, exec, s[60:61]
	s_cbranch_execz .LBB192_981
.LBB192_999:
	v_cmp_ne_u16_e32 vcc, 0, v4
	s_andn2_b64 s[0:1], s[0:1], exec
	s_and_b64 s[62:63], vcc, exec
	v_mov_b32_e32 v3, 0
	s_or_b64 s[0:1], s[0:1], s[62:63]
	s_or_b64 exec, exec, s[60:61]
	s_and_saveexec_b64 s[60:61], s[0:1]
	s_cbranch_execnz .LBB192_982
	s_branch .LBB192_983
.LBB192_1000:
	s_mov_b64 s[0:1], -1
                                        ; implicit-def: $vgpr3
	s_branch .LBB192_1005
.LBB192_1001:
	s_mov_b64 s[0:1], -1
                                        ; implicit-def: $vgpr3
.LBB192_1002:
	s_and_b64 vcc, exec, s[0:1]
	s_cbranch_vccz .LBB192_1004
; %bb.1003:
	global_load_ubyte v3, v[1:2], off
	s_mov_b32 s0, 0x7f800000
	s_waitcnt vmcnt(0)
	v_lshlrev_b32_e32 v3, 24, v3
	v_and_b32_e32 v4, 0x7f000000, v3
	v_ffbh_u32_e32 v6, v4
	v_min_u32_e32 v6, 32, v6
	v_sub_u32_e64 v6, v6, 4 clamp
	v_lshlrev_b32_e32 v9, v6, v4
	v_lshlrev_b32_e32 v6, 23, v6
	v_lshrrev_b32_e32 v9, 4, v9
	v_add_u32_e32 v7, 0x1000000, v4
	v_sub_u32_e32 v6, v9, v6
	v_ashrrev_i32_e32 v7, 8, v7
	v_add_u32_e32 v6, 0x3c000000, v6
	v_and_or_b32 v6, v7, s0, v6
	v_cmp_ne_u32_e32 vcc, 0, v4
	v_cndmask_b32_e32 v4, 0, v6, vcc
	s_brev_b32 s0, 1
	v_and_or_b32 v3, v3, s0, v4
.LBB192_1004:
	s_mov_b64 s[0:1], 0
.LBB192_1005:
	s_andn2_b64 vcc, exec, s[0:1]
	s_cbranch_vccnz .LBB192_1007
; %bb.1006:
	global_load_ubyte v3, v[1:2], off
	s_movk_i32 s0, 0x7f00
	s_brev_b32 s1, 16
	s_waitcnt vmcnt(0)
	v_lshlrev_b16_e32 v4, 8, v3
	v_lshlrev_b32_e32 v3, 25, v3
	v_lshrrev_b32_e32 v6, 4, v3
	v_and_or_b32 v7, v4, s0, 0.5
	v_or_b32_e32 v6, 0x70000000, v6
	v_add_f32_e32 v7, -0.5, v7
	v_mul_f32_e32 v6, 0x7800000, v6
	v_cmp_gt_u32_e32 vcc, s1, v3
	v_bfe_i32 v4, v4, 0, 16
	v_cndmask_b32_e32 v3, v6, v7, vcc
	s_brev_b32 s0, 1
	v_and_or_b32 v3, v4, s0, v3
.LBB192_1007:
	s_mov_b64 s[60:61], 0
	s_mov_b64 s[0:1], -1
.LBB192_1008:
	s_andn2_b64 vcc, exec, s[60:61]
	s_cbranch_vccnz .LBB192_1021
; %bb.1009:
	s_cmp_gt_i32 s65, 14
	s_cbranch_scc0 .LBB192_1012
; %bb.1010:
	s_cmp_eq_u32 s65, 15
	s_cbranch_scc0 .LBB192_1015
; %bb.1011:
	global_load_ushort v3, v[1:2], off
	s_mov_b64 s[0:1], -1
	s_mov_b64 s[58:59], 0
	s_waitcnt vmcnt(0)
	v_lshlrev_b32_e32 v3, 16, v3
	s_branch .LBB192_1016
.LBB192_1012:
	s_mov_b64 s[60:61], -1
                                        ; implicit-def: $vgpr3
	s_branch .LBB192_1017
.LBB192_1013:
	s_or_saveexec_b64 s[60:61], s[60:61]
	v_mov_b32_e32 v3, 0x7f800001
	s_xor_b64 exec, exec, s[60:61]
	s_cbranch_execz .LBB192_994
.LBB192_1014:
	v_cmp_ne_u16_e32 vcc, 0, v4
	s_andn2_b64 s[0:1], s[0:1], exec
	s_and_b64 s[62:63], vcc, exec
	v_mov_b32_e32 v3, 0
	s_or_b64 s[0:1], s[0:1], s[62:63]
	s_or_b64 exec, exec, s[60:61]
	s_and_saveexec_b64 s[60:61], s[0:1]
	s_cbranch_execnz .LBB192_995
	s_branch .LBB192_996
.LBB192_1015:
	s_mov_b64 s[58:59], -1
                                        ; implicit-def: $vgpr3
.LBB192_1016:
	s_mov_b64 s[60:61], 0
.LBB192_1017:
	s_and_b64 vcc, exec, s[60:61]
	s_cbranch_vccz .LBB192_1021
; %bb.1018:
	s_cmp_eq_u32 s65, 11
	s_cbranch_scc0 .LBB192_1020
; %bb.1019:
	global_load_ubyte v3, v[1:2], off
	s_mov_b64 s[0:1], -1
	s_mov_b64 s[58:59], 0
	s_waitcnt vmcnt(0)
	v_cmp_ne_u16_e32 vcc, 0, v3
	v_cndmask_b32_e64 v3, 0, 1.0, vcc
	s_branch .LBB192_1021
.LBB192_1020:
	s_mov_b64 s[58:59], -1
                                        ; implicit-def: $vgpr3
.LBB192_1021:
	s_mov_b64 s[60:61], 0
.LBB192_1022:
	s_and_b64 vcc, exec, s[60:61]
	s_cbranch_vccz .LBB192_1071
; %bb.1023:
	s_and_b32 s60, 0xffff, s64
	s_cmp_lt_i32 s60, 5
	s_cbranch_scc1 .LBB192_1028
; %bb.1024:
	s_cmp_lt_i32 s60, 8
	s_cbranch_scc1 .LBB192_1029
; %bb.1025:
	;; [unrolled: 3-line block ×3, first 2 shown]
	s_cmp_gt_i32 s60, 9
	s_cbranch_scc0 .LBB192_1031
; %bb.1027:
	global_load_dwordx2 v[3:4], v[1:2], off
	s_mov_b64 s[0:1], 0
	s_waitcnt vmcnt(0)
	v_cvt_f32_f64_e32 v3, v[3:4]
	s_branch .LBB192_1032
.LBB192_1028:
	s_mov_b64 s[0:1], -1
                                        ; implicit-def: $vgpr3
	s_branch .LBB192_1050
.LBB192_1029:
	s_mov_b64 s[0:1], -1
                                        ; implicit-def: $vgpr3
	s_branch .LBB192_1038
.LBB192_1030:
	s_mov_b64 s[0:1], -1
                                        ; implicit-def: $vgpr3
	s_branch .LBB192_1035
.LBB192_1031:
	s_mov_b64 s[0:1], -1
                                        ; implicit-def: $vgpr3
.LBB192_1032:
	s_andn2_b64 vcc, exec, s[0:1]
	s_cbranch_vccnz .LBB192_1034
; %bb.1033:
	global_load_dword v3, v[1:2], off
.LBB192_1034:
	s_mov_b64 s[0:1], 0
.LBB192_1035:
	s_andn2_b64 vcc, exec, s[0:1]
	s_cbranch_vccnz .LBB192_1037
; %bb.1036:
	global_load_dword v3, v[1:2], off
	s_waitcnt vmcnt(0)
	v_cvt_f32_f16_e32 v3, v3
.LBB192_1037:
	s_mov_b64 s[0:1], 0
.LBB192_1038:
	s_andn2_b64 vcc, exec, s[0:1]
	s_cbranch_vccnz .LBB192_1049
; %bb.1039:
	s_cmp_lt_i32 s60, 6
	s_cbranch_scc1 .LBB192_1042
; %bb.1040:
	s_cmp_gt_i32 s60, 6
	s_cbranch_scc0 .LBB192_1043
; %bb.1041:
	global_load_dwordx2 v[3:4], v[1:2], off
	s_mov_b64 s[0:1], 0
	s_waitcnt vmcnt(0)
	v_cvt_f32_f64_e32 v3, v[3:4]
	s_branch .LBB192_1044
.LBB192_1042:
	s_mov_b64 s[0:1], -1
                                        ; implicit-def: $vgpr3
	s_branch .LBB192_1047
.LBB192_1043:
	s_mov_b64 s[0:1], -1
                                        ; implicit-def: $vgpr3
.LBB192_1044:
	s_andn2_b64 vcc, exec, s[0:1]
	s_cbranch_vccnz .LBB192_1046
; %bb.1045:
	global_load_dword v3, v[1:2], off
.LBB192_1046:
	s_mov_b64 s[0:1], 0
.LBB192_1047:
	s_andn2_b64 vcc, exec, s[0:1]
	s_cbranch_vccnz .LBB192_1049
; %bb.1048:
	global_load_ushort v3, v[1:2], off
	s_waitcnt vmcnt(0)
	v_cvt_f32_f16_e32 v3, v3
.LBB192_1049:
	s_mov_b64 s[0:1], 0
.LBB192_1050:
	s_andn2_b64 vcc, exec, s[0:1]
	s_cbranch_vccnz .LBB192_1070
; %bb.1051:
	s_cmp_lt_i32 s60, 2
	s_cbranch_scc1 .LBB192_1055
; %bb.1052:
	s_cmp_lt_i32 s60, 3
	s_cbranch_scc1 .LBB192_1056
; %bb.1053:
	s_cmp_gt_i32 s60, 3
	s_cbranch_scc0 .LBB192_1057
; %bb.1054:
	global_load_dwordx2 v[3:4], v[1:2], off
	s_mov_b64 s[0:1], 0
	s_waitcnt vmcnt(0)
	v_xor_b32_e32 v7, v3, v4
	v_ffbh_i32_e32 v6, v4
	v_ashrrev_i32_e32 v7, 31, v7
	v_add_u32_e32 v6, -1, v6
	v_add_u32_e32 v7, 32, v7
	v_min_u32_e32 v6, v6, v7
	v_lshlrev_b64 v[3:4], v6, v[3:4]
	v_min_u32_e32 v3, 1, v3
	v_or_b32_e32 v3, v4, v3
	v_cvt_f32_i32_e32 v3, v3
	v_sub_u32_e32 v4, 32, v6
	v_ldexp_f32 v3, v3, v4
	s_branch .LBB192_1058
.LBB192_1055:
	s_mov_b64 s[0:1], -1
                                        ; implicit-def: $vgpr3
	s_branch .LBB192_1064
.LBB192_1056:
	s_mov_b64 s[0:1], -1
                                        ; implicit-def: $vgpr3
	s_branch .LBB192_1061
.LBB192_1057:
	s_mov_b64 s[0:1], -1
                                        ; implicit-def: $vgpr3
.LBB192_1058:
	s_andn2_b64 vcc, exec, s[0:1]
	s_cbranch_vccnz .LBB192_1060
; %bb.1059:
	global_load_dword v3, v[1:2], off
	s_waitcnt vmcnt(0)
	v_cvt_f32_i32_e32 v3, v3
.LBB192_1060:
	s_mov_b64 s[0:1], 0
.LBB192_1061:
	s_andn2_b64 vcc, exec, s[0:1]
	s_cbranch_vccnz .LBB192_1063
; %bb.1062:
	global_load_sshort v3, v[1:2], off
	s_waitcnt vmcnt(0)
	v_cvt_f32_i32_e32 v3, v3
.LBB192_1063:
	s_mov_b64 s[0:1], 0
.LBB192_1064:
	s_andn2_b64 vcc, exec, s[0:1]
	s_cbranch_vccnz .LBB192_1070
; %bb.1065:
	s_cmp_gt_i32 s60, 0
	s_cbranch_scc0 .LBB192_1067
; %bb.1066:
	global_load_sbyte v3, v[1:2], off
	s_mov_b64 s[0:1], 0
	s_waitcnt vmcnt(0)
	v_cvt_f32_i32_e32 v3, v3
	s_branch .LBB192_1068
.LBB192_1067:
	s_mov_b64 s[0:1], -1
                                        ; implicit-def: $vgpr3
.LBB192_1068:
	s_andn2_b64 vcc, exec, s[0:1]
	s_cbranch_vccnz .LBB192_1070
; %bb.1069:
	global_load_ubyte v1, v[1:2], off
	s_waitcnt vmcnt(0)
	v_cvt_f32_ubyte0_e32 v3, v1
.LBB192_1070:
	s_mov_b64 s[0:1], -1
.LBB192_1071:
	s_andn2_b64 vcc, exec, s[0:1]
	s_cbranch_vccnz .LBB192_1079
; %bb.1072:
	v_mov_b32_e32 v1, s15
	s_waitcnt vmcnt(0)
	v_cmp_nge_f32_e32 vcc, s14, v5
	v_cndmask_b32_e32 v2, v1, v3, vcc
	v_mov_b32_e32 v1, s9
	s_and_b32 s66, s71, 0xff
	v_add_co_u32_e32 v0, vcc, s8, v0
	s_cmp_lt_i32 s66, 11
	v_addc_co_u32_e32 v1, vcc, 0, v1, vcc
	s_cbranch_scc1 .LBB192_1080
; %bb.1073:
	s_and_b32 s67, 0xffff, s66
	s_cmp_gt_i32 s67, 25
	s_cbranch_scc0 .LBB192_1081
; %bb.1074:
	s_cmp_gt_i32 s67, 28
	s_cbranch_scc0 .LBB192_1082
; %bb.1075:
	;; [unrolled: 3-line block ×4, first 2 shown]
	s_mov_b64 s[62:63], 0
	s_mov_b64 s[0:1], -1
	s_cmp_eq_u32 s67, 46
	s_mov_b64 s[60:61], 0
	s_cbranch_scc0 .LBB192_1085
; %bb.1078:
	v_bfe_u32 v3, v2, 16, 1
	s_movk_i32 s0, 0x7fff
	v_add3_u32 v3, v2, v3, s0
	v_cmp_o_f32_e32 vcc, v2, v2
	v_mov_b32_e32 v4, 0x7fc0
	v_cndmask_b32_sdwa v3, v4, v3, vcc dst_sel:DWORD dst_unused:UNUSED_PAD src0_sel:DWORD src1_sel:WORD_1
	global_store_dword v[0:1], v3, off
	s_mov_b64 s[60:61], -1
	s_mov_b64 s[0:1], 0
	s_branch .LBB192_1085
.LBB192_1079:
	s_mov_b64 s[62:63], 0
                                        ; implicit-def: $vgpr8
	s_mov_b64 s[0:1], s[50:51]
	s_branch .LBB192_1195
.LBB192_1080:
	s_mov_b64 s[62:63], -1
	s_mov_b64 s[60:61], 0
	s_mov_b64 s[0:1], s[50:51]
	s_branch .LBB192_1154
.LBB192_1081:
	s_mov_b64 s[62:63], -1
	s_mov_b64 s[60:61], 0
	s_mov_b64 s[0:1], s[50:51]
	s_branch .LBB192_1112
.LBB192_1082:
	s_mov_b64 s[62:63], -1
	s_mov_b64 s[60:61], 0
	s_mov_b64 s[0:1], s[50:51]
	s_branch .LBB192_1095
.LBB192_1083:
	s_mov_b64 s[62:63], -1
	s_mov_b64 s[60:61], 0
	s_mov_b64 s[0:1], s[50:51]
	s_branch .LBB192_1091
.LBB192_1084:
	s_mov_b64 s[62:63], -1
	s_mov_b64 s[60:61], 0
	s_mov_b64 s[0:1], s[50:51]
.LBB192_1085:
	s_and_b64 vcc, exec, s[62:63]
	s_cbranch_vccz .LBB192_1090
; %bb.1086:
	s_cmp_eq_u32 s67, 44
	s_mov_b64 s[0:1], -1
	s_cbranch_scc0 .LBB192_1090
; %bb.1087:
	v_bfe_u32 v3, v2, 23, 8
	s_movk_i32 s0, 0xff
	v_cmp_ne_u32_e32 vcc, s0, v3
	v_mov_b32_e32 v4, 0xff
	s_and_saveexec_b64 s[60:61], vcc
; %bb.1088:
	s_mov_b32 s0, 0x3fffff
	v_and_b32_e32 v5, 0x400000, v2
	v_and_or_b32 v3, v2, s0, v3
	v_cmp_ne_u32_e32 vcc, 0, v5
	v_cmp_ne_u32_e64 s[0:1], 0, v3
	s_and_b64 s[0:1], vcc, s[0:1]
	v_lshrrev_b32_e32 v4, 23, v2
	v_cndmask_b32_e64 v3, 0, 1, s[0:1]
	v_add_u32_e32 v4, v4, v3
; %bb.1089:
	s_or_b64 exec, exec, s[60:61]
	s_mov_b64 s[60:61], -1
	s_mov_b64 s[0:1], 0
	global_store_byte v[0:1], v4, off
.LBB192_1090:
	s_mov_b64 s[62:63], 0
.LBB192_1091:
	s_and_b64 vcc, exec, s[62:63]
	s_cbranch_vccz .LBB192_1094
; %bb.1092:
	s_cmp_eq_u32 s67, 29
	s_mov_b64 s[0:1], -1
	s_cbranch_scc0 .LBB192_1094
; %bb.1093:
	v_trunc_f32_e32 v3, v2
	v_mul_f32_e32 v4, 0x2f800000, v3
	v_floor_f32_e32 v5, v4
	v_fmac_f32_e32 v3, 0xcf800000, v5
	v_cvt_u32_f32_e32 v4, v5
	v_cvt_u32_f32_e32 v3, v3
	s_mov_b64 s[60:61], -1
	s_mov_b64 s[0:1], 0
	s_mov_b64 s[62:63], 0
	global_store_dwordx2 v[0:1], v[3:4], off
	s_branch .LBB192_1095
.LBB192_1094:
	s_mov_b64 s[62:63], 0
.LBB192_1095:
	s_and_b64 vcc, exec, s[62:63]
	s_cbranch_vccz .LBB192_1111
; %bb.1096:
	s_cmp_lt_i32 s67, 27
	s_mov_b64 s[60:61], -1
	s_cbranch_scc1 .LBB192_1102
; %bb.1097:
	s_cmp_gt_i32 s67, 27
	s_cbranch_scc0 .LBB192_1099
; %bb.1098:
	v_cvt_u32_f32_e32 v3, v2
	s_mov_b64 s[60:61], 0
	global_store_dword v[0:1], v3, off
.LBB192_1099:
	s_andn2_b64 vcc, exec, s[60:61]
	s_cbranch_vccnz .LBB192_1101
; %bb.1100:
	v_cvt_u32_f32_e32 v3, v2
	global_store_short v[0:1], v3, off
.LBB192_1101:
	s_mov_b64 s[60:61], 0
.LBB192_1102:
	s_andn2_b64 vcc, exec, s[60:61]
	s_cbranch_vccnz .LBB192_1110
; %bb.1103:
	v_and_b32_e32 v3, 0x7fffffff, v2
	s_mov_b32 s60, 0x43800000
	v_cmp_gt_u32_e32 vcc, s60, v3
	v_mov_b32_e32 v4, 0x80
	s_and_saveexec_b64 s[60:61], vcc
	s_cbranch_execz .LBB192_1109
; %bb.1104:
	s_mov_b32 s62, 0x3bffffff
	v_cmp_lt_u32_e32 vcc, s62, v3
	s_mov_b64 s[62:63], 0
                                        ; implicit-def: $vgpr3
	s_and_saveexec_b64 s[64:65], vcc
	s_xor_b64 s[64:65], exec, s[64:65]
	s_cbranch_execz .LBB192_1223
; %bb.1105:
	v_bfe_u32 v3, v2, 20, 1
	s_mov_b32 s69, 0x487ffff
	v_add3_u32 v3, v2, v3, s69
	s_mov_b64 s[62:63], exec
	v_lshrrev_b32_e32 v3, 20, v3
	s_andn2_saveexec_b64 s[64:65], s[64:65]
	s_cbranch_execnz .LBB192_1224
.LBB192_1106:
	s_or_b64 exec, exec, s[64:65]
	v_mov_b32_e32 v4, 0
	s_and_saveexec_b64 s[64:65], s[62:63]
.LBB192_1107:
	v_lshrrev_b32_e32 v4, 24, v2
	s_movk_i32 s62, 0x80
	v_and_or_b32 v4, v4, s62, v3
.LBB192_1108:
	s_or_b64 exec, exec, s[64:65]
.LBB192_1109:
	s_or_b64 exec, exec, s[60:61]
	global_store_byte v[0:1], v4, off
.LBB192_1110:
	s_mov_b64 s[60:61], -1
.LBB192_1111:
	s_mov_b64 s[62:63], 0
.LBB192_1112:
	s_and_b64 vcc, exec, s[62:63]
	s_cbranch_vccz .LBB192_1153
; %bb.1113:
	s_cmp_gt_i32 s67, 22
	s_mov_b64 s[62:63], -1
	s_cbranch_scc0 .LBB192_1145
; %bb.1114:
	s_cmp_lt_i32 s67, 24
	s_mov_b64 s[60:61], -1
	s_cbranch_scc1 .LBB192_1134
; %bb.1115:
	s_cmp_gt_i32 s67, 24
	s_cbranch_scc0 .LBB192_1123
; %bb.1116:
	v_and_b32_e32 v3, 0x7fffffff, v2
	s_mov_b32 s60, 0x47800000
	v_cmp_gt_u32_e32 vcc, s60, v3
	v_mov_b32_e32 v4, 0x80
	s_and_saveexec_b64 s[60:61], vcc
	s_cbranch_execz .LBB192_1122
; %bb.1117:
	s_mov_b32 s62, 0x37ffffff
	v_cmp_lt_u32_e32 vcc, s62, v3
	s_mov_b64 s[62:63], 0
                                        ; implicit-def: $vgpr3
	s_and_saveexec_b64 s[64:65], vcc
	s_xor_b64 s[64:65], exec, s[64:65]
	s_cbranch_execz .LBB192_2289
; %bb.1118:
	v_bfe_u32 v3, v2, 21, 1
	s_mov_b32 s69, 0x88fffff
	v_add3_u32 v3, v2, v3, s69
	s_mov_b64 s[62:63], exec
	v_lshrrev_b32_e32 v3, 21, v3
	s_andn2_saveexec_b64 s[64:65], s[64:65]
	s_cbranch_execnz .LBB192_2290
.LBB192_1119:
	s_or_b64 exec, exec, s[64:65]
	v_mov_b32_e32 v4, 0
	s_and_saveexec_b64 s[64:65], s[62:63]
.LBB192_1120:
	v_lshrrev_b32_e32 v4, 24, v2
	s_movk_i32 s62, 0x80
	v_and_or_b32 v4, v4, s62, v3
.LBB192_1121:
	s_or_b64 exec, exec, s[64:65]
.LBB192_1122:
	s_or_b64 exec, exec, s[60:61]
	s_mov_b64 s[60:61], 0
	global_store_byte v[0:1], v4, off
.LBB192_1123:
	s_and_b64 vcc, exec, s[60:61]
	s_cbranch_vccz .LBB192_1133
; %bb.1124:
	v_and_b32_e32 v4, 0x7fffffff, v2
	s_mov_b32 s60, 0x43f00000
	v_cmp_gt_u32_e32 vcc, s60, v4
                                        ; implicit-def: $vgpr3
	s_and_saveexec_b64 s[60:61], vcc
	s_xor_b64 s[60:61], exec, s[60:61]
	s_cbranch_execz .LBB192_1130
; %bb.1125:
	s_mov_b32 s62, 0x3c7fffff
	v_cmp_lt_u32_e32 vcc, s62, v4
                                        ; implicit-def: $vgpr3
	s_and_saveexec_b64 s[62:63], vcc
	s_xor_b64 s[62:63], exec, s[62:63]
; %bb.1126:
	v_bfe_u32 v3, v2, 20, 1
	s_mov_b32 s64, 0x407ffff
	v_add3_u32 v3, v2, v3, s64
	v_lshrrev_b32_e32 v4, 20, v3
	v_and_b32_e32 v3, 0xff00000, v3
	s_mov_b32 s64, 0x7f00000
	v_mov_b32_e32 v5, 0x7e
	v_cmp_ne_u32_e32 vcc, s64, v3
	v_cndmask_b32_e32 v3, v5, v4, vcc
; %bb.1127:
	s_andn2_saveexec_b64 s[62:63], s[62:63]
; %bb.1128:
	s_mov_b32 s64, 0x46800000
	v_add_f32_e64 v3, |v2|, s64
; %bb.1129:
	s_or_b64 exec, exec, s[62:63]
                                        ; implicit-def: $vgpr4
.LBB192_1130:
	s_andn2_saveexec_b64 s[60:61], s[60:61]
; %bb.1131:
	s_mov_b32 s62, 0x7f800000
	v_mov_b32_e32 v3, 0x7e
	v_mov_b32_e32 v5, 0x7f
	v_cmp_lt_u32_e32 vcc, s62, v4
	v_cndmask_b32_e32 v3, v3, v5, vcc
; %bb.1132:
	s_or_b64 exec, exec, s[60:61]
	v_lshrrev_b32_e32 v4, 24, v2
	s_movk_i32 s60, 0x80
	v_and_or_b32 v3, v4, s60, v3
	global_store_byte v[0:1], v3, off
.LBB192_1133:
	s_mov_b64 s[60:61], 0
.LBB192_1134:
	s_andn2_b64 vcc, exec, s[60:61]
	s_cbranch_vccnz .LBB192_1144
; %bb.1135:
	v_and_b32_e32 v4, 0x7fffffff, v2
	s_mov_b32 s60, 0x47800000
	v_cmp_gt_u32_e32 vcc, s60, v4
                                        ; implicit-def: $vgpr3
	s_and_saveexec_b64 s[60:61], vcc
	s_xor_b64 s[60:61], exec, s[60:61]
	s_cbranch_execz .LBB192_1141
; %bb.1136:
	s_mov_b32 s62, 0x387fffff
	v_cmp_lt_u32_e32 vcc, s62, v4
                                        ; implicit-def: $vgpr3
	s_and_saveexec_b64 s[62:63], vcc
	s_xor_b64 s[62:63], exec, s[62:63]
; %bb.1137:
	v_bfe_u32 v3, v2, 21, 1
	s_mov_b32 s64, 0x80fffff
	v_add3_u32 v3, v2, v3, s64
	v_lshrrev_b32_e32 v3, 21, v3
; %bb.1138:
	s_andn2_saveexec_b64 s[62:63], s[62:63]
; %bb.1139:
	s_mov_b32 s64, 0x43000000
	v_add_f32_e64 v3, |v2|, s64
; %bb.1140:
	s_or_b64 exec, exec, s[62:63]
                                        ; implicit-def: $vgpr4
.LBB192_1141:
	s_andn2_saveexec_b64 s[60:61], s[60:61]
; %bb.1142:
	s_mov_b32 s62, 0x7f800000
	v_mov_b32_e32 v3, 0x7c
	v_mov_b32_e32 v5, 0x7f
	v_cmp_lt_u32_e32 vcc, s62, v4
	v_cndmask_b32_e32 v3, v3, v5, vcc
; %bb.1143:
	s_or_b64 exec, exec, s[60:61]
	v_lshrrev_b32_e32 v4, 24, v2
	s_movk_i32 s60, 0x80
	v_and_or_b32 v3, v4, s60, v3
	global_store_byte v[0:1], v3, off
.LBB192_1144:
	s_mov_b64 s[62:63], 0
	s_mov_b64 s[60:61], -1
.LBB192_1145:
	s_andn2_b64 vcc, exec, s[62:63]
	s_cbranch_vccnz .LBB192_1153
; %bb.1146:
	s_cmp_gt_i32 s67, 14
	s_mov_b64 s[62:63], -1
	s_cbranch_scc0 .LBB192_1150
; %bb.1147:
	s_cmp_eq_u32 s67, 15
	s_mov_b64 s[0:1], -1
	s_cbranch_scc0 .LBB192_1149
; %bb.1148:
	v_bfe_u32 v3, v2, 16, 1
	s_movk_i32 s0, 0x7fff
	v_add3_u32 v3, v2, v3, s0
	v_cmp_o_f32_e32 vcc, v2, v2
	v_mov_b32_e32 v4, 0x7fc0
	v_cndmask_b32_sdwa v3, v4, v3, vcc dst_sel:DWORD dst_unused:UNUSED_PAD src0_sel:DWORD src1_sel:WORD_1
	global_store_short v[0:1], v3, off
	s_mov_b64 s[60:61], -1
	s_mov_b64 s[0:1], 0
.LBB192_1149:
	s_mov_b64 s[62:63], 0
.LBB192_1150:
	s_and_b64 vcc, exec, s[62:63]
	s_cbranch_vccz .LBB192_1153
; %bb.1151:
	s_cmp_eq_u32 s67, 11
	s_mov_b64 s[0:1], -1
	s_cbranch_scc0 .LBB192_1153
; %bb.1152:
	v_cmp_neq_f32_e32 vcc, 0, v2
	v_cndmask_b32_e64 v3, 0, 1, vcc
	s_mov_b64 s[60:61], -1
	s_mov_b64 s[0:1], 0
	global_store_byte v[0:1], v3, off
.LBB192_1153:
	s_mov_b64 s[62:63], 0
.LBB192_1154:
	s_and_b64 vcc, exec, s[62:63]
	s_cbranch_vccz .LBB192_1193
; %bb.1155:
	s_and_b32 s62, 0xffff, s66
	s_cmp_lt_i32 s62, 5
	s_mov_b64 s[60:61], -1
	s_cbranch_scc1 .LBB192_1176
; %bb.1156:
	s_cmp_lt_i32 s62, 8
	s_cbranch_scc1 .LBB192_1166
; %bb.1157:
	s_cmp_lt_i32 s62, 9
	s_cbranch_scc1 .LBB192_1163
; %bb.1158:
	s_cmp_gt_i32 s62, 9
	s_cbranch_scc0 .LBB192_1160
; %bb.1159:
	v_cvt_f64_f32_e32 v[3:4], v2
	v_mov_b32_e32 v5, 0
	v_mov_b32_e32 v6, v5
	s_mov_b64 s[60:61], 0
	global_store_dwordx4 v[0:1], v[3:6], off
.LBB192_1160:
	s_andn2_b64 vcc, exec, s[60:61]
	s_cbranch_vccnz .LBB192_1162
; %bb.1161:
	v_mov_b32_e32 v3, 0
	global_store_dwordx2 v[0:1], v[2:3], off
.LBB192_1162:
	s_mov_b64 s[60:61], 0
.LBB192_1163:
	s_andn2_b64 vcc, exec, s[60:61]
	s_cbranch_vccnz .LBB192_1165
; %bb.1164:
	v_cvt_f16_f32_e32 v3, v2
	global_store_dword v[0:1], v3, off
.LBB192_1165:
	s_mov_b64 s[60:61], 0
.LBB192_1166:
	s_andn2_b64 vcc, exec, s[60:61]
	s_cbranch_vccnz .LBB192_1175
; %bb.1167:
	s_cmp_lt_i32 s62, 6
	s_mov_b64 s[60:61], -1
	s_cbranch_scc1 .LBB192_1173
; %bb.1168:
	s_cmp_gt_i32 s62, 6
	s_cbranch_scc0 .LBB192_1170
; %bb.1169:
	v_cvt_f64_f32_e32 v[3:4], v2
	s_mov_b64 s[60:61], 0
	global_store_dwordx2 v[0:1], v[3:4], off
.LBB192_1170:
	s_andn2_b64 vcc, exec, s[60:61]
	s_cbranch_vccnz .LBB192_1172
; %bb.1171:
	global_store_dword v[0:1], v2, off
.LBB192_1172:
	s_mov_b64 s[60:61], 0
.LBB192_1173:
	s_andn2_b64 vcc, exec, s[60:61]
	s_cbranch_vccnz .LBB192_1175
; %bb.1174:
	v_cvt_f16_f32_e32 v3, v2
	global_store_short v[0:1], v3, off
.LBB192_1175:
	s_mov_b64 s[60:61], 0
.LBB192_1176:
	s_andn2_b64 vcc, exec, s[60:61]
	s_cbranch_vccnz .LBB192_1192
; %bb.1177:
	s_cmp_lt_i32 s62, 2
	s_mov_b64 s[60:61], -1
	s_cbranch_scc1 .LBB192_1187
; %bb.1178:
	s_cmp_lt_i32 s62, 3
	s_cbranch_scc1 .LBB192_1184
; %bb.1179:
	s_cmp_gt_i32 s62, 3
	s_cbranch_scc0 .LBB192_1181
; %bb.1180:
	v_trunc_f32_e32 v3, v2
	s_mov_b32 s60, 0x2f800000
	v_mul_f32_e64 v4, |v3|, s60
	v_floor_f32_e32 v4, v4
	s_mov_b32 s60, 0xcf800000
	v_cvt_u32_f32_e32 v5, v4
	v_fma_f32 v4, v4, s60, |v3|
	v_cvt_u32_f32_e32 v4, v4
	v_ashrrev_i32_e32 v6, 31, v3
	v_xor_b32_e32 v5, v5, v6
	s_mov_b64 s[60:61], 0
	v_xor_b32_e32 v3, v4, v6
	v_sub_co_u32_e32 v3, vcc, v3, v6
	v_subb_co_u32_e32 v4, vcc, v5, v6, vcc
	global_store_dwordx2 v[0:1], v[3:4], off
.LBB192_1181:
	s_andn2_b64 vcc, exec, s[60:61]
	s_cbranch_vccnz .LBB192_1183
; %bb.1182:
	v_cvt_i32_f32_e32 v3, v2
	global_store_dword v[0:1], v3, off
.LBB192_1183:
	s_mov_b64 s[60:61], 0
.LBB192_1184:
	s_andn2_b64 vcc, exec, s[60:61]
	s_cbranch_vccnz .LBB192_1186
; %bb.1185:
	v_cvt_i32_f32_e32 v3, v2
	global_store_short v[0:1], v3, off
.LBB192_1186:
	s_mov_b64 s[60:61], 0
.LBB192_1187:
	s_andn2_b64 vcc, exec, s[60:61]
	s_cbranch_vccnz .LBB192_1192
; %bb.1188:
	s_cmp_gt_i32 s62, 0
	s_mov_b64 s[60:61], -1
	s_cbranch_scc0 .LBB192_1190
; %bb.1189:
	v_cvt_i32_f32_e32 v3, v2
	s_mov_b64 s[60:61], 0
	global_store_byte v[0:1], v3, off
.LBB192_1190:
	s_andn2_b64 vcc, exec, s[60:61]
	s_cbranch_vccnz .LBB192_1192
; %bb.1191:
	v_trunc_f32_e32 v2, v2
	s_mov_b32 s60, 0x2f800000
	v_mul_f32_e64 v3, |v2|, s60
	v_floor_f32_e32 v3, v3
	s_mov_b32 s60, 0xcf800000
	v_fma_f32 v3, v3, s60, |v2|
	v_cvt_u32_f32_e32 v3, v3
	v_ashrrev_i32_e32 v2, 31, v2
	v_xor_b32_e32 v3, v3, v2
	v_sub_u32_e32 v2, v3, v2
	global_store_byte v[0:1], v2, off
.LBB192_1192:
	s_mov_b64 s[60:61], -1
.LBB192_1193:
	s_andn2_b64 vcc, exec, s[60:61]
	s_cbranch_vccnz .LBB192_1205
; %bb.1194:
	v_add_u32_e32 v8, 0x80, v8
	s_mov_b64 s[62:63], -1
.LBB192_1195:
	s_andn2_b64 s[60:61], s[50:51], exec
	s_and_b64 s[0:1], s[0:1], exec
	s_or_b64 s[60:61], s[60:61], s[0:1]
	s_andn2_b64 s[0:1], s[48:49], exec
	s_and_b64 s[58:59], s[58:59], exec
	s_or_b64 s[58:59], s[0:1], s[58:59]
	;; [unrolled: 3-line block ×3, first 2 shown]
	s_orn2_b64 s[66:67], s[62:63], exec
.LBB192_1196:
	s_or_b64 exec, exec, s[54:55]
	s_mov_b64 s[62:63], 0
	s_mov_b64 s[56:57], 0
	;; [unrolled: 1-line block ×3, first 2 shown]
                                        ; implicit-def: $sgpr75
                                        ; implicit-def: $vgpr3_vgpr4
                                        ; implicit-def: $vgpr0
                                        ; implicit-def: $vgpr2
                                        ; implicit-def: $vgpr5
	s_and_saveexec_b64 s[54:55], s[66:67]
	s_cbranch_execz .LBB192_1291
; %bb.1197:
	v_cmp_gt_i32_e32 vcc, s68, v8
	s_mov_b64 s[66:67], s[0:1]
	s_mov_b64 s[68:69], 0
                                        ; implicit-def: $sgpr75
                                        ; implicit-def: $vgpr3_vgpr4
                                        ; implicit-def: $vgpr0
                                        ; implicit-def: $vgpr2
                                        ; implicit-def: $vgpr5
	s_and_saveexec_b64 s[56:57], vcc
	s_cbranch_execz .LBB192_1290
; %bb.1198:
	s_andn2_b64 vcc, exec, s[24:25]
	s_cbranch_vccnz .LBB192_1204
; %bb.1199:
	s_andn2_b64 vcc, exec, s[36:37]
	s_cbranch_vccnz .LBB192_1206
; %bb.1200:
	s_add_i32 s36, s74, 1
	s_and_b32 s62, s36, 30
	s_add_u32 s36, s2, 0xffffffe8
	s_addc_u32 s37, s3, -1
	v_mov_b32_e32 v2, 0
	v_mov_b32_e32 v4, 0
	;; [unrolled: 1-line block ×4, first 2 shown]
.LBB192_1201:                           ; =>This Inner Loop Header: Depth=1
	s_load_dwordx4 s[64:67], s[36:37], 0x1c
	s_load_dwordx2 s[68:69], s[36:37], 0x2c
	s_load_dwordx2 s[80:81], s[36:37], 0xec
	s_load_dwordx4 s[76:79], s[36:37], 0xdc
	s_add_u32 s36, s36, 24
	s_waitcnt vmcnt(0) lgkmcnt(0)
	v_mul_hi_u32 v3, s65, v1
	s_addc_u32 s37, s37, 0
	s_add_i32 s62, s62, -2
	s_cmp_eq_u32 s62, 0
	v_add_u32_e32 v3, v1, v3
	v_lshrrev_b32_e32 v3, s66, v3
	v_mul_lo_u32 v5, v3, s64
	v_mul_hi_u32 v6, s68, v3
	v_sub_u32_e32 v5, v1, v5
	v_add_u32_e32 v1, v3, v6
	v_lshrrev_b32_e32 v1, s69, v1
	v_mul_lo_u32 v9, v1, s67
	v_mul_lo_u32 v6, v5, s76
	;; [unrolled: 1-line block ×4, first 2 shown]
	v_sub_u32_e32 v3, v3, v9
	v_mul_lo_u32 v9, v3, s79
	v_mul_lo_u32 v10, v3, s80
	;; [unrolled: 1-line block ×3, first 2 shown]
	v_add3_u32 v0, v6, v0, v9
	v_add3_u32 v4, v7, v4, v10
	;; [unrolled: 1-line block ×3, first 2 shown]
	s_cbranch_scc0 .LBB192_1201
; %bb.1202:
	s_bitcmp1_b32 s74, 0
	s_cselect_b64 s[62:63], -1, 0
	s_and_b64 vcc, exec, s[62:63]
	s_cbranch_vccnz .LBB192_1207
; %bb.1203:
	s_load_dwordx2 s[62:63], s[36:37], 0x1c
	s_load_dword s66, s[36:37], 0x24
	s_load_dwordx2 s[64:65], s[36:37], 0xdc
	s_waitcnt lgkmcnt(0)
	v_mul_hi_u32 v3, s63, v1
	v_add_u32_e32 v3, v1, v3
	v_lshrrev_b32_e32 v3, s66, v3
	v_mul_lo_u32 v3, v3, s62
	s_load_dword s62, s[36:37], 0xe4
	v_sub_u32_e32 v3, v1, v3
	v_mad_u64_u32 v[0:1], s[36:37], v3, s64, v[0:1]
	v_mad_u64_u32 v[4:5], s[36:37], v3, s65, v[4:5]
	s_waitcnt lgkmcnt(0)
	v_mad_u64_u32 v[2:3], s[36:37], v3, s62, v[2:3]
	s_branch .LBB192_1207
.LBB192_1204:
	s_mov_b64 s[36:37], -1
                                        ; implicit-def: $vgpr0
                                        ; implicit-def: $vgpr4
                                        ; implicit-def: $vgpr2
	s_branch .LBB192_1208
.LBB192_1205:
	s_mov_b64 s[62:63], 0
	s_branch .LBB192_948
.LBB192_1206:
	v_mov_b32_e32 v0, 0
	v_mov_b32_e32 v4, 0
	;; [unrolled: 1-line block ×3, first 2 shown]
.LBB192_1207:
	s_mov_b64 s[36:37], 0
.LBB192_1208:
	s_andn2_b64 vcc, exec, s[36:37]
	s_cbranch_vccnz .LBB192_1211
; %bb.1209:
	v_mul_hi_u32 v0, s17, v8
	s_andn2_b64 vcc, exec, s[34:35]
	v_add_u32_e32 v0, v8, v0
	v_lshrrev_b32_e32 v1, s18, v0
	v_mul_lo_u32 v0, v1, s16
	v_sub_u32_e32 v2, v8, v0
	v_mul_lo_u32 v0, v2, s20
	v_mul_lo_u32 v4, v2, s21
	v_mul_lo_u32 v2, v2, s22
	s_cbranch_vccnz .LBB192_1211
; %bb.1210:
	s_waitcnt vmcnt(0)
	v_mul_hi_u32 v3, s28, v1
	v_add_u32_e32 v3, v1, v3
	v_lshrrev_b32_e32 v3, s29, v3
	v_mul_lo_u32 v3, v3, s19
	v_sub_u32_e32 v3, v1, v3
	v_mad_u64_u32 v[0:1], s[16:17], v3, s23, v[0:1]
	v_mad_u64_u32 v[4:5], s[16:17], v3, s30, v[4:5]
	;; [unrolled: 1-line block ×3, first 2 shown]
.LBB192_1211:
	v_mov_b32_e32 v1, s11
	s_and_b32 s75, s73, 0xff
	s_waitcnt vmcnt(0)
	v_add_co_u32_e32 v3, vcc, s10, v4
	s_cmp_lt_i32 s75, 11
	v_addc_co_u32_e32 v4, vcc, 0, v1, vcc
	s_cbranch_scc1 .LBB192_1218
; %bb.1212:
	s_and_b32 s28, 0xffff, s75
	s_cmp_gt_i32 s28, 25
	s_mov_b64 s[16:17], 0
	s_cbranch_scc0 .LBB192_1219
; %bb.1213:
	s_cmp_gt_i32 s28, 28
	s_cbranch_scc0 .LBB192_1220
; %bb.1214:
	s_cmp_gt_i32 s28, 43
	;; [unrolled: 3-line block ×3, first 2 shown]
	s_cbranch_scc0 .LBB192_1222
; %bb.1216:
	s_cmp_eq_u32 s28, 46
	s_mov_b64 s[20:21], 0
	s_cbranch_scc0 .LBB192_1225
; %bb.1217:
	global_load_dword v1, v[3:4], off
	s_mov_b64 s[10:11], 0
	s_mov_b64 s[18:19], -1
	s_waitcnt vmcnt(0)
	v_lshlrev_b32_e32 v5, 16, v1
	s_branch .LBB192_1226
.LBB192_1218:
	s_mov_b64 s[20:21], -1
	s_mov_b64 s[18:19], 0
	s_mov_b64 s[16:17], 0
	s_mov_b64 s[10:11], s[0:1]
                                        ; implicit-def: $vgpr5
	s_branch .LBB192_1289
.LBB192_1219:
	s_mov_b64 s[20:21], -1
	s_mov_b64 s[18:19], 0
	s_mov_b64 s[10:11], s[0:1]
                                        ; implicit-def: $vgpr5
	s_branch .LBB192_1255
.LBB192_1220:
	s_mov_b64 s[20:21], -1
	s_mov_b64 s[18:19], 0
	s_mov_b64 s[10:11], s[0:1]
                                        ; implicit-def: $vgpr5
	s_branch .LBB192_1236
.LBB192_1221:
	s_mov_b64 s[20:21], -1
	s_mov_b64 s[18:19], 0
	s_mov_b64 s[10:11], s[0:1]
                                        ; implicit-def: $vgpr5
	s_branch .LBB192_1231
.LBB192_1222:
	s_mov_b64 s[20:21], -1
	s_mov_b64 s[18:19], 0
	s_mov_b64 s[10:11], s[0:1]
                                        ; implicit-def: $vgpr5
	s_branch .LBB192_1226
.LBB192_1223:
	s_andn2_saveexec_b64 s[64:65], s[64:65]
	s_cbranch_execz .LBB192_1106
.LBB192_1224:
	s_mov_b32 s69, 0x46000000
	v_add_f32_e64 v3, |v2|, s69
	v_and_b32_e32 v3, 0xff, v3
	v_cmp_ne_u32_e32 vcc, 0, v3
	s_andn2_b64 s[62:63], s[62:63], exec
	s_and_b64 s[76:77], vcc, exec
	s_or_b64 s[62:63], s[62:63], s[76:77]
	s_or_b64 exec, exec, s[64:65]
	v_mov_b32_e32 v4, 0
	s_and_saveexec_b64 s[64:65], s[62:63]
	s_cbranch_execnz .LBB192_1107
	s_branch .LBB192_1108
.LBB192_1225:
	s_mov_b64 s[10:11], -1
                                        ; implicit-def: $vgpr5
	s_mov_b64 s[18:19], 0
.LBB192_1226:
	s_and_b64 vcc, exec, s[20:21]
	s_cbranch_vccz .LBB192_1230
; %bb.1227:
	s_cmp_eq_u32 s28, 44
	s_cbranch_scc0 .LBB192_1229
; %bb.1228:
	global_load_ubyte v1, v[3:4], off
	s_movk_i32 s18, 0xff
	v_mov_b32_e32 v5, 0x7f800001
	v_mov_b32_e32 v6, 0x400000
	s_mov_b64 s[10:11], 0
	s_waitcnt vmcnt(0)
	v_lshlrev_b32_e32 v7, 23, v1
	v_cmp_ne_u32_e32 vcc, s18, v1
	v_cndmask_b32_e32 v5, v5, v7, vcc
	v_cmp_ne_u32_e32 vcc, 0, v1
	v_cndmask_b32_e32 v5, v6, v5, vcc
	s_mov_b64 s[18:19], -1
	s_branch .LBB192_1230
.LBB192_1229:
	s_mov_b64 s[10:11], -1
                                        ; implicit-def: $vgpr5
.LBB192_1230:
	s_mov_b64 s[20:21], 0
.LBB192_1231:
	s_and_b64 vcc, exec, s[20:21]
	s_cbranch_vccz .LBB192_1235
; %bb.1232:
	s_cmp_eq_u32 s28, 29
	s_cbranch_scc0 .LBB192_1234
; %bb.1233:
	global_load_dwordx2 v[5:6], v[3:4], off
	s_mov_b64 s[10:11], 0
	s_mov_b64 s[18:19], -1
	s_mov_b64 s[20:21], 0
	s_waitcnt vmcnt(0)
	v_ffbh_u32_e32 v1, v6
	v_min_u32_e32 v1, 32, v1
	v_lshlrev_b64 v[5:6], v1, v[5:6]
	v_sub_u32_e32 v1, 32, v1
	v_min_u32_e32 v5, 1, v5
	v_or_b32_e32 v5, v6, v5
	v_cvt_f32_u32_e32 v5, v5
	v_ldexp_f32 v5, v5, v1
	s_branch .LBB192_1236
.LBB192_1234:
	s_mov_b64 s[10:11], -1
                                        ; implicit-def: $vgpr5
.LBB192_1235:
	s_mov_b64 s[20:21], 0
.LBB192_1236:
	s_and_b64 vcc, exec, s[20:21]
	s_cbranch_vccz .LBB192_1254
; %bb.1237:
	s_cmp_lt_i32 s28, 27
	s_cbranch_scc1 .LBB192_1240
; %bb.1238:
	s_cmp_gt_i32 s28, 27
	s_cbranch_scc0 .LBB192_1241
; %bb.1239:
	global_load_dword v1, v[3:4], off
	s_mov_b64 s[18:19], 0
	s_waitcnt vmcnt(0)
	v_cvt_f32_u32_e32 v5, v1
	s_branch .LBB192_1242
.LBB192_1240:
	s_mov_b64 s[18:19], -1
                                        ; implicit-def: $vgpr5
	s_branch .LBB192_1245
.LBB192_1241:
	s_mov_b64 s[18:19], -1
                                        ; implicit-def: $vgpr5
.LBB192_1242:
	s_andn2_b64 vcc, exec, s[18:19]
	s_cbranch_vccnz .LBB192_1244
; %bb.1243:
	global_load_ushort v1, v[3:4], off
	s_waitcnt vmcnt(0)
	v_cvt_f32_u32_e32 v5, v1
.LBB192_1244:
	s_mov_b64 s[18:19], 0
.LBB192_1245:
	s_andn2_b64 vcc, exec, s[18:19]
	s_cbranch_vccnz .LBB192_1253
; %bb.1246:
	global_load_ubyte v1, v[3:4], off
	s_movk_i32 s18, 0x7f
	s_waitcnt vmcnt(0)
	v_cmp_lt_i16_e32 vcc, s18, v1
	s_mov_b64 s[18:19], 0
	s_and_saveexec_b64 s[20:21], vcc
	s_xor_b64 s[20:21], exec, s[20:21]
	s_cbranch_execz .LBB192_1267
; %bb.1247:
	s_movk_i32 s18, 0x80
	v_cmp_eq_u16_e32 vcc, s18, v1
	s_mov_b64 s[18:19], -1
	s_and_saveexec_b64 s[22:23], vcc
; %bb.1248:
	s_xor_b64 s[18:19], exec, -1
; %bb.1249:
	s_or_b64 exec, exec, s[22:23]
	s_and_b64 s[18:19], s[18:19], exec
	s_or_saveexec_b64 s[20:21], s[20:21]
	v_mov_b32_e32 v5, 0x7f800001
	s_xor_b64 exec, exec, s[20:21]
	s_cbranch_execnz .LBB192_1268
.LBB192_1250:
	s_or_b64 exec, exec, s[20:21]
	s_and_saveexec_b64 s[20:21], s[18:19]
	s_cbranch_execz .LBB192_1252
.LBB192_1251:
	v_lshlrev_b32_e32 v5, 24, v1
	v_and_b32_e32 v1, 0xffff, v1
	v_and_b32_e32 v6, 7, v1
	v_ffbh_u32_e32 v8, v6
	v_min_u32_e32 v8, 32, v8
	v_subrev_u32_e32 v9, 28, v8
	v_bfe_u32 v7, v1, 3, 4
	v_lshlrev_b32_e32 v1, v9, v1
	v_sub_u32_e32 v8, 29, v8
	v_and_b32_e32 v1, 7, v1
	v_cmp_eq_u32_e32 vcc, 0, v7
	v_cndmask_b32_e32 v7, v7, v8, vcc
	v_cndmask_b32_e32 v1, v6, v1, vcc
	v_mov_b32_e32 v6, 0x3b800000
	v_lshlrev_b32_e32 v1, 20, v1
	v_and_b32_e32 v5, 0x80000000, v5
	v_lshl_add_u32 v6, v7, 23, v6
	v_or3_b32 v5, v5, v6, v1
.LBB192_1252:
	s_or_b64 exec, exec, s[20:21]
.LBB192_1253:
	s_mov_b64 s[18:19], -1
.LBB192_1254:
	s_mov_b64 s[20:21], 0
.LBB192_1255:
	s_and_b64 vcc, exec, s[20:21]
	s_cbranch_vccz .LBB192_1288
; %bb.1256:
	s_cmp_gt_i32 s28, 22
	s_cbranch_scc0 .LBB192_1266
; %bb.1257:
	s_cmp_lt_i32 s28, 24
	s_cbranch_scc1 .LBB192_1269
; %bb.1258:
	s_cmp_gt_i32 s28, 24
	s_cbranch_scc0 .LBB192_1270
; %bb.1259:
	global_load_ubyte v1, v[3:4], off
	s_movk_i32 s16, 0x7f
	s_waitcnt vmcnt(0)
	v_cmp_lt_i16_e32 vcc, s16, v1
	s_mov_b64 s[16:17], 0
	s_and_saveexec_b64 s[18:19], vcc
	s_xor_b64 s[18:19], exec, s[18:19]
	s_cbranch_execz .LBB192_1282
; %bb.1260:
	s_movk_i32 s16, 0x80
	v_cmp_eq_u16_e32 vcc, s16, v1
	s_mov_b64 s[16:17], -1
	s_and_saveexec_b64 s[20:21], vcc
; %bb.1261:
	s_xor_b64 s[16:17], exec, -1
; %bb.1262:
	s_or_b64 exec, exec, s[20:21]
	s_and_b64 s[16:17], s[16:17], exec
	s_or_saveexec_b64 s[18:19], s[18:19]
	v_mov_b32_e32 v5, 0x7f800001
	s_xor_b64 exec, exec, s[18:19]
	s_cbranch_execnz .LBB192_1283
.LBB192_1263:
	s_or_b64 exec, exec, s[18:19]
	s_and_saveexec_b64 s[18:19], s[16:17]
	s_cbranch_execz .LBB192_1265
.LBB192_1264:
	v_lshlrev_b32_e32 v5, 24, v1
	v_and_b32_e32 v1, 0xffff, v1
	v_and_b32_e32 v6, 3, v1
	v_ffbh_u32_e32 v8, v6
	v_min_u32_e32 v8, 32, v8
	v_subrev_u32_e32 v9, 29, v8
	v_bfe_u32 v7, v1, 2, 5
	v_lshlrev_b32_e32 v1, v9, v1
	v_sub_u32_e32 v8, 30, v8
	v_and_b32_e32 v1, 3, v1
	v_cmp_eq_u32_e32 vcc, 0, v7
	v_cndmask_b32_e32 v7, v7, v8, vcc
	v_cndmask_b32_e32 v1, v6, v1, vcc
	v_mov_b32_e32 v6, 0x37800000
	v_lshlrev_b32_e32 v1, 21, v1
	v_and_b32_e32 v5, 0x80000000, v5
	v_lshl_add_u32 v6, v7, 23, v6
	v_or3_b32 v5, v5, v6, v1
.LBB192_1265:
	s_or_b64 exec, exec, s[18:19]
	s_mov_b64 s[16:17], 0
	s_branch .LBB192_1271
.LBB192_1266:
	s_mov_b64 s[16:17], -1
                                        ; implicit-def: $vgpr5
	s_branch .LBB192_1277
.LBB192_1267:
	s_or_saveexec_b64 s[20:21], s[20:21]
	v_mov_b32_e32 v5, 0x7f800001
	s_xor_b64 exec, exec, s[20:21]
	s_cbranch_execz .LBB192_1250
.LBB192_1268:
	v_cmp_ne_u16_e32 vcc, 0, v1
	s_andn2_b64 s[18:19], s[18:19], exec
	s_and_b64 s[22:23], vcc, exec
	v_mov_b32_e32 v5, 0
	s_or_b64 s[18:19], s[18:19], s[22:23]
	s_or_b64 exec, exec, s[20:21]
	s_and_saveexec_b64 s[20:21], s[18:19]
	s_cbranch_execnz .LBB192_1251
	s_branch .LBB192_1252
.LBB192_1269:
	s_mov_b64 s[16:17], -1
                                        ; implicit-def: $vgpr5
	s_branch .LBB192_1274
.LBB192_1270:
	s_mov_b64 s[16:17], -1
                                        ; implicit-def: $vgpr5
.LBB192_1271:
	s_and_b64 vcc, exec, s[16:17]
	s_cbranch_vccz .LBB192_1273
; %bb.1272:
	global_load_ubyte v1, v[3:4], off
	s_mov_b32 s16, 0x7f800000
	s_waitcnt vmcnt(0)
	v_lshlrev_b32_e32 v1, 24, v1
	v_and_b32_e32 v5, 0x7f000000, v1
	v_ffbh_u32_e32 v6, v5
	v_min_u32_e32 v6, 32, v6
	v_sub_u32_e64 v6, v6, 4 clamp
	v_lshlrev_b32_e32 v8, v6, v5
	v_lshlrev_b32_e32 v6, 23, v6
	v_lshrrev_b32_e32 v8, 4, v8
	v_add_u32_e32 v7, 0x1000000, v5
	v_sub_u32_e32 v6, v8, v6
	v_ashrrev_i32_e32 v7, 8, v7
	v_add_u32_e32 v6, 0x3c000000, v6
	v_and_or_b32 v6, v7, s16, v6
	v_cmp_ne_u32_e32 vcc, 0, v5
	v_cndmask_b32_e32 v5, 0, v6, vcc
	s_brev_b32 s16, 1
	v_and_or_b32 v5, v1, s16, v5
.LBB192_1273:
	s_mov_b64 s[16:17], 0
.LBB192_1274:
	s_andn2_b64 vcc, exec, s[16:17]
	s_cbranch_vccnz .LBB192_1276
; %bb.1275:
	global_load_ubyte v1, v[3:4], off
	s_movk_i32 s16, 0x7f00
	s_brev_b32 s17, 16
	s_waitcnt vmcnt(0)
	v_lshlrev_b16_e32 v5, 8, v1
	v_lshlrev_b32_e32 v1, 25, v1
	v_lshrrev_b32_e32 v6, 4, v1
	v_and_or_b32 v7, v5, s16, 0.5
	v_or_b32_e32 v6, 0x70000000, v6
	v_add_f32_e32 v7, -0.5, v7
	v_mul_f32_e32 v6, 0x7800000, v6
	v_cmp_gt_u32_e32 vcc, s17, v1
	v_bfe_i32 v5, v5, 0, 16
	v_cndmask_b32_e32 v1, v6, v7, vcc
	s_brev_b32 s16, 1
	v_and_or_b32 v5, v5, s16, v1
.LBB192_1276:
	s_mov_b64 s[16:17], 0
	s_mov_b64 s[18:19], -1
.LBB192_1277:
	s_andn2_b64 vcc, exec, s[16:17]
	s_mov_b64 s[16:17], 0
	s_cbranch_vccnz .LBB192_1288
; %bb.1278:
	s_cmp_gt_i32 s28, 14
	s_cbranch_scc0 .LBB192_1281
; %bb.1279:
	s_cmp_eq_u32 s28, 15
	s_cbranch_scc0 .LBB192_1284
; %bb.1280:
	global_load_ushort v1, v[3:4], off
	s_mov_b64 s[10:11], 0
	s_mov_b64 s[18:19], -1
	s_waitcnt vmcnt(0)
	v_lshlrev_b32_e32 v5, 16, v1
	s_branch .LBB192_1285
.LBB192_1281:
	s_mov_b64 s[20:21], -1
                                        ; implicit-def: $vgpr5
	s_branch .LBB192_1286
.LBB192_1282:
	s_or_saveexec_b64 s[18:19], s[18:19]
	v_mov_b32_e32 v5, 0x7f800001
	s_xor_b64 exec, exec, s[18:19]
	s_cbranch_execz .LBB192_1263
.LBB192_1283:
	v_cmp_ne_u16_e32 vcc, 0, v1
	s_andn2_b64 s[16:17], s[16:17], exec
	s_and_b64 s[20:21], vcc, exec
	v_mov_b32_e32 v5, 0
	s_or_b64 s[16:17], s[16:17], s[20:21]
	s_or_b64 exec, exec, s[18:19]
	s_and_saveexec_b64 s[18:19], s[16:17]
	s_cbranch_execnz .LBB192_1264
	s_branch .LBB192_1265
.LBB192_1284:
	s_mov_b64 s[10:11], -1
                                        ; implicit-def: $vgpr5
.LBB192_1285:
	s_mov_b64 s[20:21], 0
.LBB192_1286:
	s_and_b64 vcc, exec, s[20:21]
	s_cbranch_vccz .LBB192_1288
; %bb.1287:
	s_cmp_lg_u32 s28, 11
	s_cselect_b64 s[20:21], -1, 0
	s_andn2_b64 s[10:11], s[10:11], exec
	s_and_b64 s[20:21], s[20:21], exec
	s_mov_b64 s[16:17], -1
	s_or_b64 s[10:11], s[10:11], s[20:21]
.LBB192_1288:
	s_mov_b64 s[20:21], 0
.LBB192_1289:
	s_and_b64 s[62:63], s[16:17], exec
	s_andn2_b64 s[16:17], s[0:1], exec
	s_and_b64 s[10:11], s[10:11], exec
	s_and_b64 s[64:65], s[18:19], exec
	;; [unrolled: 1-line block ×3, first 2 shown]
	s_or_b64 s[66:67], s[16:17], s[10:11]
.LBB192_1290:
	s_or_b64 exec, exec, s[56:57]
	s_andn2_b64 s[0:1], s[0:1], exec
	s_and_b64 s[10:11], s[66:67], exec
	s_and_b64 s[64:65], s[64:65], exec
	;; [unrolled: 1-line block ×4, first 2 shown]
	s_or_b64 s[0:1], s[0:1], s[10:11]
.LBB192_1291:
	s_or_b64 exec, exec, s[54:55]
	s_andn2_b64 s[10:11], s[50:51], exec
	s_and_b64 s[16:17], s[60:61], exec
	s_or_b64 s[50:51], s[10:11], s[16:17]
	s_andn2_b64 s[10:11], s[48:49], exec
	s_and_b64 s[16:17], s[58:59], exec
	s_or_b64 s[48:49], s[10:11], s[16:17]
	s_andn2_b64 s[10:11], s[46:47], exec
	s_and_b64 s[0:1], s[0:1], exec
	s_and_b64 s[58:59], s[64:65], exec
	;; [unrolled: 1-line block ×4, first 2 shown]
	s_or_b64 s[46:47], s[10:11], s[0:1]
.LBB192_1292:
	s_or_b64 exec, exec, s[52:53]
	s_andn2_b64 s[0:1], s[38:39], exec
	s_and_b64 s[10:11], s[50:51], exec
	s_or_b64 s[38:39], s[0:1], s[10:11]
	s_andn2_b64 s[0:1], s[40:41], exec
	s_and_b64 s[10:11], s[48:49], exec
	s_or_b64 s[40:41], s[0:1], s[10:11]
	s_andn2_b64 s[0:1], s[42:43], exec
	s_and_b64 s[10:11], s[46:47], exec
	s_and_b64 s[50:51], s[58:59], exec
	;; [unrolled: 1-line block ×4, first 2 shown]
	s_or_b64 s[42:43], s[0:1], s[10:11]
	s_or_b64 exec, exec, s[44:45]
	s_mov_b64 s[10:11], 0
	s_and_saveexec_b64 s[0:1], s[42:43]
	s_cbranch_execz .LBB192_403
.LBB192_1293:
	s_mov_b64 s[10:11], exec
	s_andn2_b64 s[48:49], s[48:49], exec
	s_trap 2
	s_or_b64 exec, exec, s[0:1]
	s_and_saveexec_b64 s[0:1], s[48:49]
	s_xor_b64 s[0:1], exec, s[0:1]
	s_cbranch_execnz .LBB192_404
.LBB192_1294:
	s_or_b64 exec, exec, s[0:1]
	s_and_saveexec_b64 s[0:1], s[52:53]
	s_cbranch_execz .LBB192_1340
.LBB192_1295:
	s_sext_i32_i16 s16, s75
	s_cmp_lt_i32 s16, 5
	s_cbranch_scc1 .LBB192_1300
; %bb.1296:
	s_cmp_lt_i32 s16, 8
	s_cbranch_scc1 .LBB192_1301
; %bb.1297:
	;; [unrolled: 3-line block ×3, first 2 shown]
	s_cmp_gt_i32 s16, 9
	s_cbranch_scc0 .LBB192_1303
; %bb.1299:
	s_waitcnt vmcnt(0)
	global_load_dwordx2 v[5:6], v[3:4], off
	s_mov_b64 s[16:17], 0
	s_waitcnt vmcnt(0)
	v_cvt_f32_f64_e32 v5, v[5:6]
	s_branch .LBB192_1304
.LBB192_1300:
                                        ; implicit-def: $vgpr5
	s_branch .LBB192_1321
.LBB192_1301:
                                        ; implicit-def: $vgpr5
	s_branch .LBB192_1310
.LBB192_1302:
	s_mov_b64 s[16:17], -1
                                        ; implicit-def: $vgpr5
	s_branch .LBB192_1307
.LBB192_1303:
	s_mov_b64 s[16:17], -1
                                        ; implicit-def: $vgpr5
.LBB192_1304:
	s_andn2_b64 vcc, exec, s[16:17]
	s_cbranch_vccnz .LBB192_1306
; %bb.1305:
	s_waitcnt vmcnt(0)
	global_load_dword v5, v[3:4], off
.LBB192_1306:
	s_mov_b64 s[16:17], 0
.LBB192_1307:
	s_andn2_b64 vcc, exec, s[16:17]
	s_cbranch_vccnz .LBB192_1309
; %bb.1308:
	s_waitcnt vmcnt(0)
	global_load_dword v1, v[3:4], off
	s_waitcnt vmcnt(0)
	v_cvt_f32_f16_e32 v5, v1
.LBB192_1309:
	s_cbranch_execnz .LBB192_1320
.LBB192_1310:
	s_sext_i32_i16 s16, s75
	s_cmp_lt_i32 s16, 6
	s_cbranch_scc1 .LBB192_1313
; %bb.1311:
	s_cmp_gt_i32 s16, 6
	s_cbranch_scc0 .LBB192_1314
; %bb.1312:
	s_waitcnt vmcnt(0)
	global_load_dwordx2 v[5:6], v[3:4], off
	s_mov_b64 s[16:17], 0
	s_waitcnt vmcnt(0)
	v_cvt_f32_f64_e32 v5, v[5:6]
	s_branch .LBB192_1315
.LBB192_1313:
	s_mov_b64 s[16:17], -1
                                        ; implicit-def: $vgpr5
	s_branch .LBB192_1318
.LBB192_1314:
	s_mov_b64 s[16:17], -1
                                        ; implicit-def: $vgpr5
.LBB192_1315:
	s_andn2_b64 vcc, exec, s[16:17]
	s_cbranch_vccnz .LBB192_1317
; %bb.1316:
	s_waitcnt vmcnt(0)
	global_load_dword v5, v[3:4], off
.LBB192_1317:
	s_mov_b64 s[16:17], 0
.LBB192_1318:
	s_andn2_b64 vcc, exec, s[16:17]
	s_cbranch_vccnz .LBB192_1320
; %bb.1319:
	s_waitcnt vmcnt(0)
	global_load_ushort v1, v[3:4], off
	s_waitcnt vmcnt(0)
	v_cvt_f32_f16_e32 v5, v1
.LBB192_1320:
	s_cbranch_execnz .LBB192_1339
.LBB192_1321:
	s_sext_i32_i16 s16, s75
	s_cmp_lt_i32 s16, 2
	s_cbranch_scc1 .LBB192_1325
; %bb.1322:
	s_cmp_lt_i32 s16, 3
	s_cbranch_scc1 .LBB192_1326
; %bb.1323:
	s_cmp_gt_i32 s16, 3
	s_cbranch_scc0 .LBB192_1327
; %bb.1324:
	s_waitcnt vmcnt(0)
	global_load_dwordx2 v[5:6], v[3:4], off
	s_mov_b64 s[16:17], 0
	s_waitcnt vmcnt(0)
	v_xor_b32_e32 v7, v5, v6
	v_ffbh_i32_e32 v1, v6
	v_ashrrev_i32_e32 v7, 31, v7
	v_add_u32_e32 v1, -1, v1
	v_add_u32_e32 v7, 32, v7
	v_min_u32_e32 v1, v1, v7
	v_lshlrev_b64 v[5:6], v1, v[5:6]
	v_sub_u32_e32 v1, 32, v1
	v_min_u32_e32 v5, 1, v5
	v_or_b32_e32 v5, v6, v5
	v_cvt_f32_i32_e32 v5, v5
	v_ldexp_f32 v5, v5, v1
	s_branch .LBB192_1328
.LBB192_1325:
                                        ; implicit-def: $vgpr5
	s_branch .LBB192_1334
.LBB192_1326:
	s_mov_b64 s[16:17], -1
                                        ; implicit-def: $vgpr5
	s_branch .LBB192_1331
.LBB192_1327:
	s_mov_b64 s[16:17], -1
                                        ; implicit-def: $vgpr5
.LBB192_1328:
	s_andn2_b64 vcc, exec, s[16:17]
	s_cbranch_vccnz .LBB192_1330
; %bb.1329:
	s_waitcnt vmcnt(0)
	global_load_dword v1, v[3:4], off
	s_waitcnt vmcnt(0)
	v_cvt_f32_i32_e32 v5, v1
.LBB192_1330:
	s_mov_b64 s[16:17], 0
.LBB192_1331:
	s_andn2_b64 vcc, exec, s[16:17]
	s_cbranch_vccnz .LBB192_1333
; %bb.1332:
	s_waitcnt vmcnt(0)
	global_load_sshort v1, v[3:4], off
	s_waitcnt vmcnt(0)
	v_cvt_f32_i32_e32 v5, v1
.LBB192_1333:
	s_cbranch_execnz .LBB192_1339
.LBB192_1334:
	s_sext_i32_i16 s16, s75
	s_cmp_gt_i32 s16, 0
	s_cbranch_scc0 .LBB192_1336
; %bb.1335:
	s_waitcnt vmcnt(0)
	global_load_sbyte v1, v[3:4], off
	s_mov_b64 s[16:17], 0
	s_waitcnt vmcnt(0)
	v_cvt_f32_i32_e32 v5, v1
	s_branch .LBB192_1337
.LBB192_1336:
	s_mov_b64 s[16:17], -1
                                        ; implicit-def: $vgpr5
.LBB192_1337:
	s_andn2_b64 vcc, exec, s[16:17]
	s_cbranch_vccnz .LBB192_1339
; %bb.1338:
	s_waitcnt vmcnt(0)
	global_load_ubyte v1, v[3:4], off
	s_waitcnt vmcnt(0)
	v_cvt_f32_ubyte0_e32 v5, v1
.LBB192_1339:
	s_or_b64 s[50:51], s[50:51], exec
.LBB192_1340:
	s_or_b64 exec, exec, s[0:1]
	s_mov_b64 s[16:17], 0
	s_mov_b64 s[20:21], 0
	;; [unrolled: 1-line block ×3, first 2 shown]
                                        ; implicit-def: $sgpr28
                                        ; implicit-def: $vgpr3_vgpr4
                                        ; implicit-def: $vgpr6
	s_and_saveexec_b64 s[0:1], s[50:51]
	s_cbranch_execz .LBB192_1348
; %bb.1341:
	v_mov_b32_e32 v1, s13
	s_and_b32 s28, s72, 0xff
	s_waitcnt vmcnt(0)
	v_add_co_u32_e32 v3, vcc, s12, v2
	s_cmp_lt_i32 s28, 11
	v_addc_co_u32_e32 v4, vcc, 0, v1, vcc
	s_cbranch_scc1 .LBB192_1351
; %bb.1342:
	s_and_b32 s29, 0xffff, s28
	s_cmp_gt_i32 s29, 25
	s_cbranch_scc0 .LBB192_1352
; %bb.1343:
	s_cmp_gt_i32 s29, 28
	s_cbranch_scc0 .LBB192_1353
; %bb.1344:
	;; [unrolled: 3-line block ×4, first 2 shown]
	s_cmp_eq_u32 s29, 46
	s_cbranch_scc0 .LBB192_1356
; %bb.1347:
	global_load_dword v1, v[3:4], off
	s_mov_b64 s[12:13], 0
	s_mov_b64 s[18:19], -1
	s_waitcnt vmcnt(0)
	v_lshlrev_b32_e32 v6, 16, v1
	s_branch .LBB192_1358
.LBB192_1348:
	s_or_b64 exec, exec, s[0:1]
	s_and_saveexec_b64 s[0:1], s[40:41]
	s_cbranch_execnz .LBB192_1421
.LBB192_1349:
	s_or_b64 exec, exec, s[0:1]
	s_and_saveexec_b64 s[0:1], s[16:17]
	s_xor_b64 s[0:1], exec, s[0:1]
	s_cbranch_execz .LBB192_1422
.LBB192_1350:
	s_waitcnt vmcnt(0)
	global_load_ubyte v1, v[3:4], off
	s_or_b64 s[18:19], s[18:19], exec
	s_waitcnt vmcnt(0)
	v_cmp_ne_u16_e32 vcc, 0, v1
	v_cndmask_b32_e64 v6, 0, 1.0, vcc
	s_or_b64 exec, exec, s[0:1]
	s_and_saveexec_b64 s[0:1], s[20:21]
	s_cbranch_execz .LBB192_1468
	s_branch .LBB192_1423
.LBB192_1351:
	s_mov_b64 s[20:21], -1
                                        ; implicit-def: $vgpr6
	s_mov_b64 s[12:13], s[40:41]
	s_branch .LBB192_1420
.LBB192_1352:
	s_mov_b64 s[12:13], s[40:41]
                                        ; implicit-def: $vgpr6
	s_cbranch_execnz .LBB192_1387
	s_branch .LBB192_1419
.LBB192_1353:
	s_mov_b64 s[20:21], -1
	s_mov_b64 s[12:13], s[40:41]
                                        ; implicit-def: $vgpr6
	s_branch .LBB192_1368
.LBB192_1354:
	s_mov_b64 s[20:21], -1
	s_mov_b64 s[12:13], s[40:41]
                                        ; implicit-def: $vgpr6
	s_branch .LBB192_1363
.LBB192_1355:
	s_mov_b64 s[20:21], -1
	s_mov_b64 s[12:13], s[40:41]
	s_branch .LBB192_1357
.LBB192_1356:
	s_mov_b64 s[12:13], -1
.LBB192_1357:
                                        ; implicit-def: $vgpr6
.LBB192_1358:
	s_and_b64 vcc, exec, s[20:21]
	s_cbranch_vccz .LBB192_1362
; %bb.1359:
	s_cmp_eq_u32 s29, 44
	s_cbranch_scc0 .LBB192_1361
; %bb.1360:
	global_load_ubyte v1, v[3:4], off
	s_movk_i32 s18, 0xff
	v_mov_b32_e32 v2, 0x7f800001
	v_mov_b32_e32 v6, 0x400000
	s_mov_b64 s[12:13], 0
	s_waitcnt vmcnt(0)
	v_lshlrev_b32_e32 v7, 23, v1
	v_cmp_ne_u32_e32 vcc, s18, v1
	v_cndmask_b32_e32 v2, v2, v7, vcc
	v_cmp_ne_u32_e32 vcc, 0, v1
	v_cndmask_b32_e32 v6, v6, v2, vcc
	s_mov_b64 s[18:19], -1
	s_branch .LBB192_1362
.LBB192_1361:
	s_mov_b64 s[12:13], -1
                                        ; implicit-def: $vgpr6
.LBB192_1362:
	s_mov_b64 s[20:21], 0
.LBB192_1363:
	s_and_b64 vcc, exec, s[20:21]
	s_cbranch_vccz .LBB192_1367
; %bb.1364:
	s_cmp_eq_u32 s29, 29
	s_cbranch_scc0 .LBB192_1366
; %bb.1365:
	global_load_dwordx2 v[1:2], v[3:4], off
	s_mov_b64 s[12:13], 0
	s_mov_b64 s[18:19], -1
	s_mov_b64 s[20:21], 0
	s_waitcnt vmcnt(0)
	v_ffbh_u32_e32 v6, v2
	v_min_u32_e32 v6, 32, v6
	v_lshlrev_b64 v[1:2], v6, v[1:2]
	v_min_u32_e32 v1, 1, v1
	v_or_b32_e32 v1, v2, v1
	v_cvt_f32_u32_e32 v1, v1
	v_sub_u32_e32 v2, 32, v6
	v_ldexp_f32 v6, v1, v2
	s_branch .LBB192_1368
.LBB192_1366:
	s_mov_b64 s[12:13], -1
                                        ; implicit-def: $vgpr6
.LBB192_1367:
	s_mov_b64 s[20:21], 0
.LBB192_1368:
	s_and_b64 vcc, exec, s[20:21]
	s_cbranch_vccz .LBB192_1386
; %bb.1369:
	s_cmp_lt_i32 s29, 27
	s_cbranch_scc1 .LBB192_1372
; %bb.1370:
	s_cmp_gt_i32 s29, 27
	s_cbranch_scc0 .LBB192_1373
; %bb.1371:
	global_load_dword v1, v[3:4], off
	s_mov_b64 s[18:19], 0
	s_waitcnt vmcnt(0)
	v_cvt_f32_u32_e32 v6, v1
	s_branch .LBB192_1374
.LBB192_1372:
	s_mov_b64 s[18:19], -1
                                        ; implicit-def: $vgpr6
	s_branch .LBB192_1377
.LBB192_1373:
	s_mov_b64 s[18:19], -1
                                        ; implicit-def: $vgpr6
.LBB192_1374:
	s_andn2_b64 vcc, exec, s[18:19]
	s_cbranch_vccnz .LBB192_1376
; %bb.1375:
	global_load_ushort v1, v[3:4], off
	s_waitcnt vmcnt(0)
	v_cvt_f32_u32_e32 v6, v1
.LBB192_1376:
	s_mov_b64 s[18:19], 0
.LBB192_1377:
	s_andn2_b64 vcc, exec, s[18:19]
	s_cbranch_vccnz .LBB192_1385
; %bb.1378:
	global_load_ubyte v1, v[3:4], off
	s_movk_i32 s18, 0x7f
	s_waitcnt vmcnt(0)
	v_cmp_lt_i16_e32 vcc, s18, v1
	s_mov_b64 s[18:19], 0
	s_and_saveexec_b64 s[20:21], vcc
	s_xor_b64 s[20:21], exec, s[20:21]
	s_cbranch_execz .LBB192_1398
; %bb.1379:
	s_movk_i32 s18, 0x80
	v_cmp_eq_u16_e32 vcc, s18, v1
	s_mov_b64 s[18:19], -1
	s_and_saveexec_b64 s[22:23], vcc
; %bb.1380:
	s_xor_b64 s[18:19], exec, -1
; %bb.1381:
	s_or_b64 exec, exec, s[22:23]
	s_and_b64 s[18:19], s[18:19], exec
	s_or_saveexec_b64 s[20:21], s[20:21]
	v_mov_b32_e32 v6, 0x7f800001
	s_xor_b64 exec, exec, s[20:21]
	s_cbranch_execnz .LBB192_1399
.LBB192_1382:
	s_or_b64 exec, exec, s[20:21]
	s_and_saveexec_b64 s[20:21], s[18:19]
	s_cbranch_execz .LBB192_1384
.LBB192_1383:
	v_lshlrev_b32_e32 v2, 24, v1
	v_and_b32_e32 v1, 0xffff, v1
	v_and_b32_e32 v6, 7, v1
	v_ffbh_u32_e32 v8, v6
	v_min_u32_e32 v8, 32, v8
	v_subrev_u32_e32 v9, 28, v8
	v_bfe_u32 v7, v1, 3, 4
	v_lshlrev_b32_e32 v1, v9, v1
	v_sub_u32_e32 v8, 29, v8
	v_and_b32_e32 v1, 7, v1
	v_cmp_eq_u32_e32 vcc, 0, v7
	v_cndmask_b32_e32 v7, v7, v8, vcc
	v_cndmask_b32_e32 v1, v6, v1, vcc
	v_mov_b32_e32 v6, 0x3b800000
	v_lshlrev_b32_e32 v1, 20, v1
	v_and_b32_e32 v2, 0x80000000, v2
	v_lshl_add_u32 v6, v7, 23, v6
	v_or3_b32 v6, v2, v6, v1
.LBB192_1384:
	s_or_b64 exec, exec, s[20:21]
.LBB192_1385:
	s_mov_b64 s[18:19], -1
.LBB192_1386:
	s_branch .LBB192_1419
.LBB192_1387:
	s_cmp_gt_i32 s29, 22
	s_cbranch_scc0 .LBB192_1397
; %bb.1388:
	s_cmp_lt_i32 s29, 24
	s_cbranch_scc1 .LBB192_1400
; %bb.1389:
	s_cmp_gt_i32 s29, 24
	s_cbranch_scc0 .LBB192_1401
; %bb.1390:
	global_load_ubyte v1, v[3:4], off
	s_movk_i32 s16, 0x7f
	s_waitcnt vmcnt(0)
	v_cmp_lt_i16_e32 vcc, s16, v1
	s_mov_b64 s[16:17], 0
	s_and_saveexec_b64 s[18:19], vcc
	s_xor_b64 s[18:19], exec, s[18:19]
	s_cbranch_execz .LBB192_1413
; %bb.1391:
	s_movk_i32 s16, 0x80
	v_cmp_eq_u16_e32 vcc, s16, v1
	s_mov_b64 s[16:17], -1
	s_and_saveexec_b64 s[20:21], vcc
; %bb.1392:
	s_xor_b64 s[16:17], exec, -1
; %bb.1393:
	s_or_b64 exec, exec, s[20:21]
	s_and_b64 s[16:17], s[16:17], exec
	s_or_saveexec_b64 s[18:19], s[18:19]
	v_mov_b32_e32 v6, 0x7f800001
	s_xor_b64 exec, exec, s[18:19]
	s_cbranch_execnz .LBB192_1414
.LBB192_1394:
	s_or_b64 exec, exec, s[18:19]
	s_and_saveexec_b64 s[18:19], s[16:17]
	s_cbranch_execz .LBB192_1396
.LBB192_1395:
	v_lshlrev_b32_e32 v2, 24, v1
	v_and_b32_e32 v1, 0xffff, v1
	v_and_b32_e32 v6, 3, v1
	v_ffbh_u32_e32 v8, v6
	v_min_u32_e32 v8, 32, v8
	v_subrev_u32_e32 v9, 29, v8
	v_bfe_u32 v7, v1, 2, 5
	v_lshlrev_b32_e32 v1, v9, v1
	v_sub_u32_e32 v8, 30, v8
	v_and_b32_e32 v1, 3, v1
	v_cmp_eq_u32_e32 vcc, 0, v7
	v_cndmask_b32_e32 v7, v7, v8, vcc
	v_cndmask_b32_e32 v1, v6, v1, vcc
	v_mov_b32_e32 v6, 0x37800000
	v_lshlrev_b32_e32 v1, 21, v1
	v_and_b32_e32 v2, 0x80000000, v2
	v_lshl_add_u32 v6, v7, 23, v6
	v_or3_b32 v6, v2, v6, v1
.LBB192_1396:
	s_or_b64 exec, exec, s[18:19]
	s_mov_b64 s[16:17], 0
	s_branch .LBB192_1402
.LBB192_1397:
	s_mov_b64 s[16:17], -1
                                        ; implicit-def: $vgpr6
	s_branch .LBB192_1408
.LBB192_1398:
	s_or_saveexec_b64 s[20:21], s[20:21]
	v_mov_b32_e32 v6, 0x7f800001
	s_xor_b64 exec, exec, s[20:21]
	s_cbranch_execz .LBB192_1382
.LBB192_1399:
	v_cmp_ne_u16_e32 vcc, 0, v1
	s_andn2_b64 s[18:19], s[18:19], exec
	s_and_b64 s[22:23], vcc, exec
	v_mov_b32_e32 v6, 0
	s_or_b64 s[18:19], s[18:19], s[22:23]
	s_or_b64 exec, exec, s[20:21]
	s_and_saveexec_b64 s[20:21], s[18:19]
	s_cbranch_execnz .LBB192_1383
	s_branch .LBB192_1384
.LBB192_1400:
	s_mov_b64 s[16:17], -1
                                        ; implicit-def: $vgpr6
	s_branch .LBB192_1405
.LBB192_1401:
	s_mov_b64 s[16:17], -1
                                        ; implicit-def: $vgpr6
.LBB192_1402:
	s_and_b64 vcc, exec, s[16:17]
	s_cbranch_vccz .LBB192_1404
; %bb.1403:
	global_load_ubyte v1, v[3:4], off
	s_mov_b32 s16, 0x7f800000
	s_waitcnt vmcnt(0)
	v_lshlrev_b32_e32 v1, 24, v1
	v_and_b32_e32 v2, 0x7f000000, v1
	v_ffbh_u32_e32 v6, v2
	v_min_u32_e32 v6, 32, v6
	v_sub_u32_e64 v6, v6, 4 clamp
	v_lshlrev_b32_e32 v8, v6, v2
	v_lshlrev_b32_e32 v6, 23, v6
	v_lshrrev_b32_e32 v8, 4, v8
	v_add_u32_e32 v7, 0x1000000, v2
	v_sub_u32_e32 v6, v8, v6
	v_ashrrev_i32_e32 v7, 8, v7
	v_add_u32_e32 v6, 0x3c000000, v6
	v_and_or_b32 v6, v7, s16, v6
	v_cmp_ne_u32_e32 vcc, 0, v2
	v_cndmask_b32_e32 v2, 0, v6, vcc
	s_brev_b32 s16, 1
	v_and_or_b32 v6, v1, s16, v2
.LBB192_1404:
	s_mov_b64 s[16:17], 0
.LBB192_1405:
	s_andn2_b64 vcc, exec, s[16:17]
	s_cbranch_vccnz .LBB192_1407
; %bb.1406:
	global_load_ubyte v1, v[3:4], off
	s_movk_i32 s16, 0x7f00
	s_brev_b32 s17, 16
	s_waitcnt vmcnt(0)
	v_lshlrev_b16_e32 v2, 8, v1
	v_lshlrev_b32_e32 v1, 25, v1
	v_lshrrev_b32_e32 v6, 4, v1
	v_and_or_b32 v7, v2, s16, 0.5
	v_or_b32_e32 v6, 0x70000000, v6
	v_add_f32_e32 v7, -0.5, v7
	v_mul_f32_e32 v6, 0x7800000, v6
	v_cmp_gt_u32_e32 vcc, s17, v1
	v_bfe_i32 v2, v2, 0, 16
	v_cndmask_b32_e32 v1, v6, v7, vcc
	s_brev_b32 s16, 1
	v_and_or_b32 v6, v2, s16, v1
.LBB192_1407:
	s_mov_b64 s[16:17], 0
	s_mov_b64 s[18:19], -1
.LBB192_1408:
	s_andn2_b64 vcc, exec, s[16:17]
	s_mov_b64 s[16:17], 0
	s_cbranch_vccnz .LBB192_1419
; %bb.1409:
	s_cmp_gt_i32 s29, 14
	s_cbranch_scc0 .LBB192_1412
; %bb.1410:
	s_cmp_eq_u32 s29, 15
	s_cbranch_scc0 .LBB192_1415
; %bb.1411:
	global_load_ushort v1, v[3:4], off
	s_mov_b64 s[12:13], 0
	s_mov_b64 s[18:19], -1
	s_waitcnt vmcnt(0)
	v_lshlrev_b32_e32 v6, 16, v1
	s_branch .LBB192_1416
.LBB192_1412:
	s_mov_b64 s[20:21], -1
                                        ; implicit-def: $vgpr6
	s_branch .LBB192_1417
.LBB192_1413:
	s_or_saveexec_b64 s[18:19], s[18:19]
	v_mov_b32_e32 v6, 0x7f800001
	s_xor_b64 exec, exec, s[18:19]
	s_cbranch_execz .LBB192_1394
.LBB192_1414:
	v_cmp_ne_u16_e32 vcc, 0, v1
	s_andn2_b64 s[16:17], s[16:17], exec
	s_and_b64 s[20:21], vcc, exec
	v_mov_b32_e32 v6, 0
	s_or_b64 s[16:17], s[16:17], s[20:21]
	s_or_b64 exec, exec, s[18:19]
	s_and_saveexec_b64 s[18:19], s[16:17]
	s_cbranch_execnz .LBB192_1395
	s_branch .LBB192_1396
.LBB192_1415:
	s_mov_b64 s[12:13], -1
                                        ; implicit-def: $vgpr6
.LBB192_1416:
	s_mov_b64 s[20:21], 0
.LBB192_1417:
	s_and_b64 vcc, exec, s[20:21]
	s_cbranch_vccz .LBB192_1419
; %bb.1418:
	s_cmp_lg_u32 s29, 11
	s_cselect_b64 s[20:21], -1, 0
	s_andn2_b64 s[12:13], s[12:13], exec
	s_and_b64 s[20:21], s[20:21], exec
	s_mov_b64 s[16:17], -1
	s_or_b64 s[12:13], s[12:13], s[20:21]
.LBB192_1419:
	s_mov_b64 s[20:21], 0
.LBB192_1420:
	s_andn2_b64 s[22:23], s[40:41], exec
	s_and_b64 s[12:13], s[12:13], exec
	s_and_b64 s[18:19], s[18:19], exec
	;; [unrolled: 1-line block ×4, first 2 shown]
	s_or_b64 s[40:41], s[22:23], s[12:13]
	s_or_b64 exec, exec, s[0:1]
	s_and_saveexec_b64 s[0:1], s[40:41]
	s_cbranch_execz .LBB192_1349
.LBB192_1421:
	s_or_b64 s[10:11], s[10:11], exec
	s_andn2_b64 s[16:17], s[16:17], exec
	s_trap 2
	s_or_b64 exec, exec, s[0:1]
	s_and_saveexec_b64 s[0:1], s[16:17]
	s_xor_b64 s[0:1], exec, s[0:1]
	s_cbranch_execnz .LBB192_1350
.LBB192_1422:
	s_or_b64 exec, exec, s[0:1]
	s_and_saveexec_b64 s[0:1], s[20:21]
	s_cbranch_execz .LBB192_1468
.LBB192_1423:
	s_sext_i32_i16 s12, s28
	s_cmp_lt_i32 s12, 5
	s_cbranch_scc1 .LBB192_1428
; %bb.1424:
	s_cmp_lt_i32 s12, 8
	s_cbranch_scc1 .LBB192_1429
; %bb.1425:
	;; [unrolled: 3-line block ×3, first 2 shown]
	s_cmp_gt_i32 s12, 9
	s_cbranch_scc0 .LBB192_1431
; %bb.1427:
	s_waitcnt vmcnt(0)
	global_load_dwordx2 v[1:2], v[3:4], off
	s_mov_b64 s[12:13], 0
	s_waitcnt vmcnt(0)
	v_cvt_f32_f64_e32 v6, v[1:2]
	s_branch .LBB192_1432
.LBB192_1428:
                                        ; implicit-def: $vgpr6
	s_branch .LBB192_1449
.LBB192_1429:
                                        ; implicit-def: $vgpr6
	s_branch .LBB192_1438
.LBB192_1430:
	s_mov_b64 s[12:13], -1
                                        ; implicit-def: $vgpr6
	s_branch .LBB192_1435
.LBB192_1431:
	s_mov_b64 s[12:13], -1
                                        ; implicit-def: $vgpr6
.LBB192_1432:
	s_andn2_b64 vcc, exec, s[12:13]
	s_cbranch_vccnz .LBB192_1434
; %bb.1433:
	s_waitcnt vmcnt(0)
	global_load_dword v6, v[3:4], off
.LBB192_1434:
	s_mov_b64 s[12:13], 0
.LBB192_1435:
	s_andn2_b64 vcc, exec, s[12:13]
	s_cbranch_vccnz .LBB192_1437
; %bb.1436:
	s_waitcnt vmcnt(0)
	global_load_dword v1, v[3:4], off
	s_waitcnt vmcnt(0)
	v_cvt_f32_f16_e32 v6, v1
.LBB192_1437:
	s_cbranch_execnz .LBB192_1448
.LBB192_1438:
	s_sext_i32_i16 s12, s28
	s_cmp_lt_i32 s12, 6
	s_cbranch_scc1 .LBB192_1441
; %bb.1439:
	s_cmp_gt_i32 s12, 6
	s_cbranch_scc0 .LBB192_1442
; %bb.1440:
	s_waitcnt vmcnt(0)
	global_load_dwordx2 v[1:2], v[3:4], off
	s_mov_b64 s[12:13], 0
	s_waitcnt vmcnt(0)
	v_cvt_f32_f64_e32 v6, v[1:2]
	s_branch .LBB192_1443
.LBB192_1441:
	s_mov_b64 s[12:13], -1
                                        ; implicit-def: $vgpr6
	s_branch .LBB192_1446
.LBB192_1442:
	s_mov_b64 s[12:13], -1
                                        ; implicit-def: $vgpr6
.LBB192_1443:
	s_andn2_b64 vcc, exec, s[12:13]
	s_cbranch_vccnz .LBB192_1445
; %bb.1444:
	s_waitcnt vmcnt(0)
	global_load_dword v6, v[3:4], off
.LBB192_1445:
	s_mov_b64 s[12:13], 0
.LBB192_1446:
	s_andn2_b64 vcc, exec, s[12:13]
	s_cbranch_vccnz .LBB192_1448
; %bb.1447:
	s_waitcnt vmcnt(0)
	global_load_ushort v1, v[3:4], off
	s_waitcnt vmcnt(0)
	v_cvt_f32_f16_e32 v6, v1
.LBB192_1448:
	s_cbranch_execnz .LBB192_1467
.LBB192_1449:
	s_sext_i32_i16 s12, s28
	s_cmp_lt_i32 s12, 2
	s_cbranch_scc1 .LBB192_1453
; %bb.1450:
	s_cmp_lt_i32 s12, 3
	s_cbranch_scc1 .LBB192_1454
; %bb.1451:
	s_cmp_gt_i32 s12, 3
	s_cbranch_scc0 .LBB192_1455
; %bb.1452:
	s_waitcnt vmcnt(0)
	global_load_dwordx2 v[1:2], v[3:4], off
	s_mov_b64 s[12:13], 0
	s_waitcnt vmcnt(0)
	v_xor_b32_e32 v7, v1, v2
	v_ffbh_i32_e32 v6, v2
	v_ashrrev_i32_e32 v7, 31, v7
	v_add_u32_e32 v6, -1, v6
	v_add_u32_e32 v7, 32, v7
	v_min_u32_e32 v6, v6, v7
	v_lshlrev_b64 v[1:2], v6, v[1:2]
	v_min_u32_e32 v1, 1, v1
	v_or_b32_e32 v1, v2, v1
	v_cvt_f32_i32_e32 v1, v1
	v_sub_u32_e32 v2, 32, v6
	v_ldexp_f32 v6, v1, v2
	s_branch .LBB192_1456
.LBB192_1453:
                                        ; implicit-def: $vgpr6
	s_branch .LBB192_1462
.LBB192_1454:
	s_mov_b64 s[12:13], -1
                                        ; implicit-def: $vgpr6
	s_branch .LBB192_1459
.LBB192_1455:
	s_mov_b64 s[12:13], -1
                                        ; implicit-def: $vgpr6
.LBB192_1456:
	s_andn2_b64 vcc, exec, s[12:13]
	s_cbranch_vccnz .LBB192_1458
; %bb.1457:
	s_waitcnt vmcnt(0)
	global_load_dword v1, v[3:4], off
	s_waitcnt vmcnt(0)
	v_cvt_f32_i32_e32 v6, v1
.LBB192_1458:
	s_mov_b64 s[12:13], 0
.LBB192_1459:
	s_andn2_b64 vcc, exec, s[12:13]
	s_cbranch_vccnz .LBB192_1461
; %bb.1460:
	s_waitcnt vmcnt(0)
	global_load_sshort v1, v[3:4], off
	s_waitcnt vmcnt(0)
	v_cvt_f32_i32_e32 v6, v1
.LBB192_1461:
	s_cbranch_execnz .LBB192_1467
.LBB192_1462:
	s_sext_i32_i16 s12, s28
	s_cmp_gt_i32 s12, 0
	s_cbranch_scc0 .LBB192_1464
; %bb.1463:
	s_waitcnt vmcnt(0)
	global_load_sbyte v1, v[3:4], off
	s_mov_b64 s[12:13], 0
	s_waitcnt vmcnt(0)
	v_cvt_f32_i32_e32 v6, v1
	s_branch .LBB192_1465
.LBB192_1464:
	s_mov_b64 s[12:13], -1
                                        ; implicit-def: $vgpr6
.LBB192_1465:
	s_andn2_b64 vcc, exec, s[12:13]
	s_cbranch_vccnz .LBB192_1467
; %bb.1466:
	s_waitcnt vmcnt(0)
	global_load_ubyte v1, v[3:4], off
	s_waitcnt vmcnt(0)
	v_cvt_f32_ubyte0_e32 v6, v1
.LBB192_1467:
	s_or_b64 s[18:19], s[18:19], exec
.LBB192_1468:
	s_or_b64 exec, exec, s[0:1]
	s_mov_b64 s[20:21], 0
	s_mov_b64 s[16:17], 0
                                        ; implicit-def: $sgpr22
                                        ; implicit-def: $vgpr1_vgpr2
                                        ; implicit-def: $vgpr3
	s_and_saveexec_b64 s[12:13], s[18:19]
	s_cbranch_execz .LBB192_1486
; %bb.1469:
	v_mov_b32_e32 v1, s15
	s_waitcnt vmcnt(0)
	v_cmp_nge_f32_e32 vcc, s14, v5
	v_cndmask_b32_e32 v3, v1, v6, vcc
	v_mov_b32_e32 v2, s9
	s_and_b32 s22, s71, 0xff
	v_add_co_u32_e32 v1, vcc, s8, v0
	s_cmp_lt_i32 s22, 11
	v_addc_co_u32_e32 v2, vcc, 0, v2, vcc
	s_cbranch_scc1 .LBB192_1489
; %bb.1470:
	s_and_b32 s20, 0xffff, s22
	s_mov_b64 s[14:15], -1
	s_cmp_gt_i32 s20, 25
	s_mov_b64 s[0:1], s[38:39]
	s_cbranch_scc0 .LBB192_1507
; %bb.1471:
	s_mov_b64 s[8:9], -1
	s_cmp_gt_i32 s20, 28
	s_mov_b64 s[0:1], s[38:39]
	s_cbranch_scc0 .LBB192_1491
; %bb.1472:
	s_cmp_gt_i32 s20, 43
	s_mov_b64 s[0:1], s[38:39]
	s_cbranch_scc0 .LBB192_1483
; %bb.1473:
	;; [unrolled: 4-line block ×3, first 2 shown]
	s_cmp_eq_u32 s20, 46
	s_mov_b64 s[0:1], -1
	s_cbranch_scc0 .LBB192_1476
; %bb.1475:
	v_bfe_u32 v0, v3, 16, 1
	s_movk_i32 s0, 0x7fff
	v_add3_u32 v0, v3, v0, s0
	v_cmp_o_f32_e32 vcc, v3, v3
	v_mov_b32_e32 v4, 0x7fc0
	v_cndmask_b32_sdwa v0, v4, v0, vcc dst_sel:DWORD dst_unused:UNUSED_PAD src0_sel:DWORD src1_sel:WORD_1
	global_store_dword v[1:2], v0, off
	s_mov_b64 s[0:1], 0
.LBB192_1476:
	s_mov_b64 s[8:9], 0
.LBB192_1477:
	s_and_b64 vcc, exec, s[8:9]
	s_cbranch_vccz .LBB192_1482
; %bb.1478:
	s_cmp_eq_u32 s20, 44
	s_mov_b64 s[0:1], -1
	s_cbranch_scc0 .LBB192_1482
; %bb.1479:
	v_bfe_u32 v0, v3, 23, 8
	s_movk_i32 s0, 0xff
	v_cmp_ne_u32_e32 vcc, s0, v0
	v_mov_b32_e32 v4, 0xff
	s_and_saveexec_b64 s[8:9], vcc
; %bb.1480:
	s_mov_b32 s0, 0x3fffff
	v_and_b32_e32 v5, 0x400000, v3
	v_and_or_b32 v0, v3, s0, v0
	v_cmp_ne_u32_e32 vcc, 0, v5
	v_cmp_ne_u32_e64 s[0:1], 0, v0
	s_and_b64 s[0:1], vcc, s[0:1]
	v_lshrrev_b32_e32 v4, 23, v3
	v_cndmask_b32_e64 v0, 0, 1, s[0:1]
	v_add_u32_e32 v4, v4, v0
; %bb.1481:
	s_or_b64 exec, exec, s[8:9]
	s_mov_b64 s[0:1], 0
	global_store_byte v[1:2], v4, off
.LBB192_1482:
	s_mov_b64 s[8:9], 0
.LBB192_1483:
	s_and_b64 vcc, exec, s[8:9]
	s_cbranch_vccz .LBB192_1490
; %bb.1484:
	s_cmp_eq_u32 s20, 29
	s_mov_b64 s[0:1], -1
	s_cbranch_scc0 .LBB192_1490
; %bb.1485:
	v_trunc_f32_e32 v0, v3
	v_mul_f32_e32 v4, 0x2f800000, v0
	v_floor_f32_e32 v4, v4
	v_fmac_f32_e32 v0, 0xcf800000, v4
	v_cvt_u32_f32_e32 v5, v4
	v_cvt_u32_f32_e32 v4, v0
	s_mov_b64 s[0:1], 0
	s_mov_b64 s[8:9], 0
	global_store_dwordx2 v[1:2], v[4:5], off
	s_branch .LBB192_1491
.LBB192_1486:
	s_or_b64 exec, exec, s[12:13]
	s_and_saveexec_b64 s[0:1], s[38:39]
	s_cbranch_execnz .LBB192_1549
.LBB192_1487:
	s_or_b64 exec, exec, s[0:1]
	s_and_saveexec_b64 s[0:1], s[20:21]
	s_xor_b64 s[0:1], exec, s[0:1]
	s_cbranch_execz .LBB192_1550
.LBB192_1488:
	s_waitcnt vmcnt(0)
	v_cmp_neq_f32_e32 vcc, 0, v3
	v_cndmask_b32_e64 v0, 0, 1, vcc
	global_store_byte v[1:2], v0, off
	s_or_b64 exec, exec, s[0:1]
	s_and_saveexec_b64 s[0:1], s[16:17]
	s_xor_b64 s[0:1], exec, s[0:1]
	s_cbranch_execz .LBB192_1588
	s_branch .LBB192_1551
.LBB192_1489:
	s_mov_b64 s[14:15], 0
	s_mov_b64 s[8:9], -1
	s_mov_b64 s[0:1], s[38:39]
	s_branch .LBB192_1548
.LBB192_1490:
	s_mov_b64 s[8:9], 0
.LBB192_1491:
	s_and_b64 vcc, exec, s[8:9]
	s_cbranch_vccz .LBB192_1506
; %bb.1492:
	s_cmp_lt_i32 s20, 27
	s_mov_b64 s[8:9], -1
	s_cbranch_scc1 .LBB192_1498
; %bb.1493:
	s_cmp_gt_i32 s20, 27
	s_cbranch_scc0 .LBB192_1495
; %bb.1494:
	v_cvt_u32_f32_e32 v0, v3
	s_mov_b64 s[8:9], 0
	global_store_dword v[1:2], v0, off
.LBB192_1495:
	s_andn2_b64 vcc, exec, s[8:9]
	s_cbranch_vccnz .LBB192_1497
; %bb.1496:
	v_cvt_u32_f32_e32 v0, v3
	global_store_short v[1:2], v0, off
.LBB192_1497:
	s_mov_b64 s[8:9], 0
.LBB192_1498:
	s_andn2_b64 vcc, exec, s[8:9]
	s_cbranch_vccnz .LBB192_1506
; %bb.1499:
	v_and_b32_e32 v0, 0x7fffffff, v3
	s_mov_b32 s8, 0x43800000
	v_cmp_gt_u32_e32 vcc, s8, v0
	v_mov_b32_e32 v4, 0x80
	s_and_saveexec_b64 s[8:9], vcc
	s_cbranch_execz .LBB192_1505
; %bb.1500:
	s_mov_b32 s14, 0x3bffffff
	v_cmp_lt_u32_e32 vcc, s14, v0
	s_mov_b64 s[14:15], 0
                                        ; implicit-def: $vgpr0
	s_and_saveexec_b64 s[16:17], vcc
	s_xor_b64 s[16:17], exec, s[16:17]
	s_cbranch_execz .LBB192_1647
; %bb.1501:
	v_bfe_u32 v0, v3, 20, 1
	s_mov_b32 s18, 0x487ffff
	v_add3_u32 v0, v3, v0, s18
	s_mov_b64 s[14:15], exec
	v_lshrrev_b32_e32 v0, 20, v0
	s_andn2_saveexec_b64 s[16:17], s[16:17]
	s_cbranch_execnz .LBB192_1648
.LBB192_1502:
	s_or_b64 exec, exec, s[16:17]
	v_mov_b32_e32 v4, 0
	s_and_saveexec_b64 s[16:17], s[14:15]
.LBB192_1503:
	v_lshrrev_b32_e32 v4, 24, v3
	s_movk_i32 s14, 0x80
	v_and_or_b32 v4, v4, s14, v0
.LBB192_1504:
	s_or_b64 exec, exec, s[16:17]
.LBB192_1505:
	s_or_b64 exec, exec, s[8:9]
	global_store_byte v[1:2], v4, off
.LBB192_1506:
	s_mov_b64 s[14:15], 0
.LBB192_1507:
	s_mov_b64 s[8:9], 0
	s_and_b64 vcc, exec, s[14:15]
	s_cbranch_vccz .LBB192_1547
; %bb.1508:
	s_cmp_gt_i32 s20, 22
	s_mov_b64 s[14:15], -1
	s_cbranch_scc0 .LBB192_1540
; %bb.1509:
	s_cmp_lt_i32 s20, 24
	s_cbranch_scc1 .LBB192_1529
; %bb.1510:
	s_cmp_gt_i32 s20, 24
	s_cbranch_scc0 .LBB192_1518
; %bb.1511:
	v_and_b32_e32 v0, 0x7fffffff, v3
	s_mov_b32 s14, 0x47800000
	v_cmp_gt_u32_e32 vcc, s14, v0
	v_mov_b32_e32 v4, 0x80
	s_and_saveexec_b64 s[14:15], vcc
	s_cbranch_execz .LBB192_1517
; %bb.1512:
	s_mov_b32 s16, 0x37ffffff
	v_cmp_lt_u32_e32 vcc, s16, v0
	s_mov_b64 s[16:17], 0
                                        ; implicit-def: $vgpr0
	s_and_saveexec_b64 s[18:19], vcc
	s_xor_b64 s[18:19], exec, s[18:19]
	s_cbranch_execz .LBB192_1772
; %bb.1513:
	v_bfe_u32 v0, v3, 21, 1
	s_mov_b32 s21, 0x88fffff
	v_add3_u32 v0, v3, v0, s21
	s_mov_b64 s[16:17], exec
	v_lshrrev_b32_e32 v0, 21, v0
	s_andn2_saveexec_b64 s[18:19], s[18:19]
	s_cbranch_execnz .LBB192_1773
.LBB192_1514:
	s_or_b64 exec, exec, s[18:19]
	v_mov_b32_e32 v4, 0
	s_and_saveexec_b64 s[18:19], s[16:17]
.LBB192_1515:
	v_lshrrev_b32_e32 v4, 24, v3
	s_movk_i32 s16, 0x80
	v_and_or_b32 v4, v4, s16, v0
.LBB192_1516:
	s_or_b64 exec, exec, s[18:19]
.LBB192_1517:
	s_or_b64 exec, exec, s[14:15]
	s_mov_b64 s[14:15], 0
	global_store_byte v[1:2], v4, off
.LBB192_1518:
	s_and_b64 vcc, exec, s[14:15]
	s_cbranch_vccz .LBB192_1528
; %bb.1519:
	v_and_b32_e32 v4, 0x7fffffff, v3
	s_mov_b32 s14, 0x43f00000
	v_cmp_gt_u32_e32 vcc, s14, v4
                                        ; implicit-def: $vgpr0
	s_and_saveexec_b64 s[14:15], vcc
	s_xor_b64 s[14:15], exec, s[14:15]
	s_cbranch_execz .LBB192_1525
; %bb.1520:
	s_mov_b32 s16, 0x3c7fffff
	v_cmp_lt_u32_e32 vcc, s16, v4
                                        ; implicit-def: $vgpr0
	s_and_saveexec_b64 s[16:17], vcc
	s_xor_b64 s[16:17], exec, s[16:17]
; %bb.1521:
	v_bfe_u32 v0, v3, 20, 1
	s_mov_b32 s18, 0x407ffff
	v_add3_u32 v0, v3, v0, s18
	v_lshrrev_b32_e32 v4, 20, v0
	v_and_b32_e32 v0, 0xff00000, v0
	s_mov_b32 s18, 0x7f00000
	v_mov_b32_e32 v5, 0x7e
	v_cmp_ne_u32_e32 vcc, s18, v0
	v_cndmask_b32_e32 v0, v5, v4, vcc
; %bb.1522:
	s_andn2_saveexec_b64 s[16:17], s[16:17]
; %bb.1523:
	s_mov_b32 s18, 0x46800000
	v_add_f32_e64 v0, |v3|, s18
; %bb.1524:
	s_or_b64 exec, exec, s[16:17]
                                        ; implicit-def: $vgpr4
.LBB192_1525:
	s_andn2_saveexec_b64 s[14:15], s[14:15]
; %bb.1526:
	s_mov_b32 s16, 0x7f800000
	v_mov_b32_e32 v0, 0x7e
	v_mov_b32_e32 v5, 0x7f
	v_cmp_lt_u32_e32 vcc, s16, v4
	v_cndmask_b32_e32 v0, v0, v5, vcc
; %bb.1527:
	s_or_b64 exec, exec, s[14:15]
	v_lshrrev_b32_e32 v4, 24, v3
	s_movk_i32 s14, 0x80
	v_and_or_b32 v0, v4, s14, v0
	global_store_byte v[1:2], v0, off
.LBB192_1528:
	s_mov_b64 s[14:15], 0
.LBB192_1529:
	s_andn2_b64 vcc, exec, s[14:15]
	s_cbranch_vccnz .LBB192_1539
; %bb.1530:
	v_and_b32_e32 v4, 0x7fffffff, v3
	s_mov_b32 s14, 0x47800000
	v_cmp_gt_u32_e32 vcc, s14, v4
                                        ; implicit-def: $vgpr0
	s_and_saveexec_b64 s[14:15], vcc
	s_xor_b64 s[14:15], exec, s[14:15]
	s_cbranch_execz .LBB192_1536
; %bb.1531:
	s_mov_b32 s16, 0x387fffff
	v_cmp_lt_u32_e32 vcc, s16, v4
                                        ; implicit-def: $vgpr0
	s_and_saveexec_b64 s[16:17], vcc
	s_xor_b64 s[16:17], exec, s[16:17]
; %bb.1532:
	v_bfe_u32 v0, v3, 21, 1
	s_mov_b32 s18, 0x80fffff
	v_add3_u32 v0, v3, v0, s18
	v_lshrrev_b32_e32 v0, 21, v0
; %bb.1533:
	s_andn2_saveexec_b64 s[16:17], s[16:17]
; %bb.1534:
	s_mov_b32 s18, 0x43000000
	v_add_f32_e64 v0, |v3|, s18
; %bb.1535:
	s_or_b64 exec, exec, s[16:17]
                                        ; implicit-def: $vgpr4
.LBB192_1536:
	s_andn2_saveexec_b64 s[14:15], s[14:15]
; %bb.1537:
	s_mov_b32 s16, 0x7f800000
	v_mov_b32_e32 v0, 0x7c
	v_mov_b32_e32 v5, 0x7f
	v_cmp_lt_u32_e32 vcc, s16, v4
	v_cndmask_b32_e32 v0, v0, v5, vcc
; %bb.1538:
	s_or_b64 exec, exec, s[14:15]
	v_lshrrev_b32_e32 v4, 24, v3
	s_movk_i32 s14, 0x80
	v_and_or_b32 v0, v4, s14, v0
	global_store_byte v[1:2], v0, off
.LBB192_1539:
	s_mov_b64 s[14:15], 0
.LBB192_1540:
	s_andn2_b64 vcc, exec, s[14:15]
	s_mov_b64 s[14:15], 0
	s_cbranch_vccnz .LBB192_1548
; %bb.1541:
	s_cmp_gt_i32 s20, 14
	s_mov_b64 s[16:17], -1
	s_cbranch_scc0 .LBB192_1545
; %bb.1542:
	s_cmp_eq_u32 s20, 15
	s_mov_b64 s[0:1], -1
	s_cbranch_scc0 .LBB192_1544
; %bb.1543:
	v_bfe_u32 v0, v3, 16, 1
	s_movk_i32 s0, 0x7fff
	v_add3_u32 v0, v3, v0, s0
	v_cmp_o_f32_e32 vcc, v3, v3
	v_mov_b32_e32 v4, 0x7fc0
	v_cndmask_b32_sdwa v0, v4, v0, vcc dst_sel:DWORD dst_unused:UNUSED_PAD src0_sel:DWORD src1_sel:WORD_1
	global_store_short v[1:2], v0, off
	s_mov_b64 s[0:1], 0
.LBB192_1544:
	s_mov_b64 s[16:17], 0
.LBB192_1545:
	s_and_b64 vcc, exec, s[16:17]
	s_cbranch_vccz .LBB192_1548
; %bb.1546:
	s_cmp_lg_u32 s20, 11
	s_cselect_b64 s[16:17], -1, 0
	s_andn2_b64 s[0:1], s[0:1], exec
	s_and_b64 s[16:17], s[16:17], exec
	s_mov_b64 s[14:15], -1
	s_or_b64 s[0:1], s[0:1], s[16:17]
	s_branch .LBB192_1548
.LBB192_1547:
	s_mov_b64 s[14:15], 0
.LBB192_1548:
	s_and_b64 s[16:17], s[8:9], exec
	s_andn2_b64 s[8:9], s[38:39], exec
	s_and_b64 s[0:1], s[0:1], exec
	s_and_b64 s[20:21], s[14:15], exec
	s_or_b64 s[38:39], s[8:9], s[0:1]
	s_or_b64 exec, exec, s[12:13]
	s_and_saveexec_b64 s[0:1], s[38:39]
	s_cbranch_execz .LBB192_1487
.LBB192_1549:
	s_or_b64 s[10:11], s[10:11], exec
	s_andn2_b64 s[20:21], s[20:21], exec
	s_trap 2
	s_or_b64 exec, exec, s[0:1]
	s_and_saveexec_b64 s[0:1], s[20:21]
	s_xor_b64 s[0:1], exec, s[0:1]
	s_cbranch_execnz .LBB192_1488
.LBB192_1550:
	s_or_b64 exec, exec, s[0:1]
	s_and_saveexec_b64 s[0:1], s[16:17]
	s_xor_b64 s[0:1], exec, s[0:1]
	s_cbranch_execz .LBB192_1588
.LBB192_1551:
	s_sext_i32_i16 s12, s22
	s_cmp_lt_i32 s12, 5
	s_mov_b64 s[8:9], -1
	s_cbranch_scc1 .LBB192_1572
; %bb.1552:
	s_cmp_lt_i32 s12, 8
	s_cbranch_scc1 .LBB192_1562
; %bb.1553:
	s_cmp_lt_i32 s12, 9
	s_cbranch_scc1 .LBB192_1559
; %bb.1554:
	s_cmp_gt_i32 s12, 9
	s_cbranch_scc0 .LBB192_1556
; %bb.1555:
	s_waitcnt vmcnt(0)
	v_cvt_f64_f32_e32 v[4:5], v3
	v_mov_b32_e32 v6, 0
	v_mov_b32_e32 v7, v6
	s_mov_b64 s[8:9], 0
	global_store_dwordx4 v[1:2], v[4:7], off
.LBB192_1556:
	s_andn2_b64 vcc, exec, s[8:9]
	s_cbranch_vccnz .LBB192_1558
; %bb.1557:
	v_mov_b32_e32 v4, 0
	s_waitcnt vmcnt(0)
	global_store_dwordx2 v[1:2], v[3:4], off
.LBB192_1558:
	s_mov_b64 s[8:9], 0
.LBB192_1559:
	s_andn2_b64 vcc, exec, s[8:9]
	s_cbranch_vccnz .LBB192_1561
; %bb.1560:
	s_waitcnt vmcnt(0)
	v_cvt_f16_f32_e32 v0, v3
	global_store_dword v[1:2], v0, off
.LBB192_1561:
	s_mov_b64 s[8:9], 0
.LBB192_1562:
	s_andn2_b64 vcc, exec, s[8:9]
	s_cbranch_vccnz .LBB192_1571
; %bb.1563:
	s_sext_i32_i16 s12, s22
	s_cmp_lt_i32 s12, 6
	s_mov_b64 s[8:9], -1
	s_cbranch_scc1 .LBB192_1569
; %bb.1564:
	s_cmp_gt_i32 s12, 6
	s_cbranch_scc0 .LBB192_1566
; %bb.1565:
	s_waitcnt vmcnt(0)
	v_cvt_f64_f32_e32 v[4:5], v3
	s_mov_b64 s[8:9], 0
	global_store_dwordx2 v[1:2], v[4:5], off
.LBB192_1566:
	s_andn2_b64 vcc, exec, s[8:9]
	s_cbranch_vccnz .LBB192_1568
; %bb.1567:
	s_waitcnt vmcnt(0)
	global_store_dword v[1:2], v3, off
.LBB192_1568:
	s_mov_b64 s[8:9], 0
.LBB192_1569:
	s_andn2_b64 vcc, exec, s[8:9]
	s_cbranch_vccnz .LBB192_1571
; %bb.1570:
	s_waitcnt vmcnt(0)
	v_cvt_f16_f32_e32 v0, v3
	global_store_short v[1:2], v0, off
.LBB192_1571:
	s_mov_b64 s[8:9], 0
.LBB192_1572:
	s_andn2_b64 vcc, exec, s[8:9]
	s_cbranch_vccnz .LBB192_1588
; %bb.1573:
	s_sext_i32_i16 s12, s22
	s_cmp_lt_i32 s12, 2
	s_mov_b64 s[8:9], -1
	s_cbranch_scc1 .LBB192_1583
; %bb.1574:
	s_cmp_lt_i32 s12, 3
	s_cbranch_scc1 .LBB192_1580
; %bb.1575:
	s_cmp_gt_i32 s12, 3
	s_cbranch_scc0 .LBB192_1577
; %bb.1576:
	s_waitcnt vmcnt(0)
	v_trunc_f32_e32 v0, v3
	s_mov_b32 s8, 0x2f800000
	v_mul_f32_e64 v4, |v0|, s8
	v_floor_f32_e32 v4, v4
	s_mov_b32 s8, 0xcf800000
	v_cvt_u32_f32_e32 v5, v4
	v_fma_f32 v4, v4, s8, |v0|
	v_cvt_u32_f32_e32 v4, v4
	v_ashrrev_i32_e32 v0, 31, v0
	v_xor_b32_e32 v5, v5, v0
	s_mov_b64 s[8:9], 0
	v_xor_b32_e32 v4, v4, v0
	v_sub_co_u32_e32 v4, vcc, v4, v0
	v_subb_co_u32_e32 v5, vcc, v5, v0, vcc
	global_store_dwordx2 v[1:2], v[4:5], off
.LBB192_1577:
	s_andn2_b64 vcc, exec, s[8:9]
	s_cbranch_vccnz .LBB192_1579
; %bb.1578:
	s_waitcnt vmcnt(0)
	v_cvt_i32_f32_e32 v0, v3
	global_store_dword v[1:2], v0, off
.LBB192_1579:
	s_mov_b64 s[8:9], 0
.LBB192_1580:
	s_andn2_b64 vcc, exec, s[8:9]
	s_cbranch_vccnz .LBB192_1582
; %bb.1581:
	s_waitcnt vmcnt(0)
	v_cvt_i32_f32_e32 v0, v3
	global_store_short v[1:2], v0, off
.LBB192_1582:
	s_mov_b64 s[8:9], 0
.LBB192_1583:
	s_andn2_b64 vcc, exec, s[8:9]
	s_cbranch_vccnz .LBB192_1588
; %bb.1584:
	s_sext_i32_i16 s8, s22
	s_cmp_gt_i32 s8, 0
	s_mov_b64 s[8:9], -1
	s_cbranch_scc0 .LBB192_1586
; %bb.1585:
	s_waitcnt vmcnt(0)
	v_cvt_i32_f32_e32 v0, v3
	s_mov_b64 s[8:9], 0
	global_store_byte v[1:2], v0, off
.LBB192_1586:
	s_andn2_b64 vcc, exec, s[8:9]
	s_cbranch_vccnz .LBB192_1588
; %bb.1587:
	s_waitcnt vmcnt(0)
	v_trunc_f32_e32 v0, v3
	s_mov_b32 s8, 0x2f800000
	v_mul_f32_e64 v3, |v0|, s8
	v_floor_f32_e32 v3, v3
	s_mov_b32 s8, 0xcf800000
	v_fma_f32 v3, v3, s8, |v0|
	v_cvt_u32_f32_e32 v3, v3
	v_ashrrev_i32_e32 v0, 31, v0
	v_xor_b32_e32 v3, v3, v0
	v_sub_u32_e32 v0, v3, v0
	global_store_byte v[1:2], v0, off
.LBB192_1588:
	s_or_b64 exec, exec, s[0:1]
	s_and_b64 s[12:13], s[10:11], exec
                                        ; implicit-def: $vgpr23
                                        ; implicit-def: $vgpr8
.LBB192_1589:
	s_or_saveexec_b64 s[14:15], s[26:27]
	s_mov_b64 s[0:1], 0
                                        ; implicit-def: $vgpr0_vgpr1
                                        ; implicit-def: $sgpr20
                                        ; implicit-def: $vgpr2
	s_xor_b64 exec, exec, s[14:15]
	s_cbranch_execz .LBB192_3103
; %bb.1590:
	v_cndmask_b32_e64 v0, 0, 1, s[24:25]
	v_cmp_ne_u32_e64 s[0:1], 1, v0
	s_andn2_b64 vcc, exec, s[24:25]
	s_cbranch_vccnz .LBB192_1596
; %bb.1591:
	s_cmp_lg_u32 s33, 0
	s_cbranch_scc0 .LBB192_1597
; %bb.1592:
	s_min_u32 s8, s70, 15
	s_add_i32 s6, s8, 1
	s_and_b32 s9, s6, 30
	s_add_u32 s6, s2, 0xffffffe8
	s_addc_u32 s7, s3, -1
	v_mov_b32_e32 v19, 0
	v_mov_b32_e32 v21, 0
	s_waitcnt vmcnt(0)
	v_mov_b32_e32 v6, 0
	v_mov_b32_e32 v0, v8
.LBB192_1593:                           ; =>This Inner Loop Header: Depth=1
	s_load_dwordx4 s[16:19], s[6:7], 0x1c
	s_load_dwordx2 s[10:11], s[6:7], 0x2c
	s_load_dwordx2 s[24:25], s[6:7], 0xec
	s_load_dwordx4 s[20:23], s[6:7], 0xdc
	s_add_u32 s6, s6, 24
	s_waitcnt lgkmcnt(0)
	v_mul_hi_u32 v1, s17, v0
	s_addc_u32 s7, s7, 0
	s_add_i32 s9, s9, -2
	s_cmp_lg_u32 s9, 0
	v_add_u32_e32 v1, v0, v1
	v_lshrrev_b32_e32 v1, s18, v1
	v_mul_lo_u32 v2, v1, s16
	v_mul_hi_u32 v3, s10, v1
	v_sub_u32_e32 v2, v0, v2
	v_add_u32_e32 v0, v1, v3
	v_lshrrev_b32_e32 v0, s11, v0
	v_mul_lo_u32 v5, v0, s19
	v_mul_lo_u32 v3, v2, s20
	;; [unrolled: 1-line block ×4, first 2 shown]
	v_sub_u32_e32 v1, v1, v5
	v_mul_lo_u32 v5, v1, s23
	v_mul_lo_u32 v7, v1, s24
	;; [unrolled: 1-line block ×3, first 2 shown]
	v_add3_u32 v6, v3, v6, v5
	v_add3_u32 v21, v4, v21, v7
	v_add3_u32 v19, v2, v19, v1
	s_cbranch_scc1 .LBB192_1593
; %bb.1594:
	s_bitcmp1_b32 s8, 0
	s_cselect_b64 s[8:9], -1, 0
	s_and_b64 vcc, exec, s[8:9]
	s_cbranch_vccnz .LBB192_1598
; %bb.1595:
	s_load_dwordx2 s[8:9], s[6:7], 0x1c
	s_load_dword s16, s[6:7], 0x24
	s_load_dwordx2 s[10:11], s[6:7], 0xdc
	s_waitcnt lgkmcnt(0)
	v_mul_hi_u32 v1, s9, v0
	v_add_u32_e32 v1, v0, v1
	v_lshrrev_b32_e32 v1, s16, v1
	v_mul_lo_u32 v1, v1, s8
	s_load_dword s8, s[6:7], 0xe4
	v_sub_u32_e32 v0, v0, v1
	v_mad_u64_u32 v[6:7], s[6:7], v0, s10, v[6:7]
	v_mad_u64_u32 v[21:22], s[6:7], v0, s11, v[21:22]
	s_waitcnt lgkmcnt(0)
	v_mad_u64_u32 v[19:20], s[6:7], v0, s8, v[19:20]
	s_cbranch_execz .LBB192_1599
	s_branch .LBB192_1601
.LBB192_1596:
                                        ; implicit-def: $vgpr6
                                        ; implicit-def: $vgpr21
                                        ; implicit-def: $vgpr19
	s_branch .LBB192_1599
.LBB192_1597:
	s_waitcnt vmcnt(0)
	v_mov_b32_e32 v6, 0
	v_mov_b32_e32 v21, 0
	v_mov_b32_e32 v19, 0
.LBB192_1598:
	s_cbranch_execnz .LBB192_1601
.LBB192_1599:
	s_load_dwordx4 s[8:11], s[2:3], 0x4
	s_load_dwordx4 s[16:19], s[2:3], 0xc4
	s_cmp_lt_u32 s33, 2
	s_waitcnt lgkmcnt(0)
	v_mul_hi_u32 v0, s9, v8
	v_add_u32_e32 v0, v8, v0
	v_lshrrev_b32_e32 v0, s10, v0
	v_mul_lo_u32 v1, v0, s8
	v_sub_u32_e32 v1, v8, v1
	s_waitcnt vmcnt(0)
	v_mul_lo_u32 v6, v1, s16
	v_mul_lo_u32 v21, v1, s17
	;; [unrolled: 1-line block ×3, first 2 shown]
	s_cbranch_scc1 .LBB192_1601
; %bb.1600:
	s_load_dwordx4 s[8:11], s[2:3], 0x10
	s_load_dwordx4 s[16:19], s[2:3], 0xd0
	s_waitcnt lgkmcnt(0)
	v_mul_hi_u32 v1, s9, v0
	v_add_u32_e32 v1, v0, v1
	v_lshrrev_b32_e32 v1, s10, v1
	v_mul_lo_u32 v1, v1, s8
	v_sub_u32_e32 v0, v0, v1
	v_mad_u64_u32 v[6:7], s[6:7], v0, s16, v[6:7]
	v_mad_u64_u32 v[21:22], s[6:7], v0, s17, v[21:22]
	;; [unrolled: 1-line block ×3, first 2 shown]
.LBB192_1601:
	s_and_b64 vcc, exec, s[0:1]
	v_add_u32_e32 v0, 0x80, v8
	s_cbranch_vccnz .LBB192_1607
; %bb.1602:
	s_cmp_lg_u32 s33, 0
	s_cbranch_scc0 .LBB192_1608
; %bb.1603:
	s_min_u32 s8, s70, 15
	s_add_i32 s6, s8, 1
	s_and_b32 s9, s6, 30
	s_add_u32 s6, s2, 0xffffffe8
	s_addc_u32 s7, s3, -1
	v_mov_b32_e32 v15, 0
	v_mov_b32_e32 v17, 0
	;; [unrolled: 1-line block ×4, first 2 shown]
.LBB192_1604:                           ; =>This Inner Loop Header: Depth=1
	s_load_dwordx4 s[16:19], s[6:7], 0x1c
	s_load_dwordx2 s[10:11], s[6:7], 0x2c
	s_load_dwordx2 s[24:25], s[6:7], 0xec
	s_load_dwordx4 s[20:23], s[6:7], 0xdc
	s_add_u32 s6, s6, 24
	s_waitcnt lgkmcnt(0)
	v_mul_hi_u32 v2, s17, v1
	s_addc_u32 s7, s7, 0
	s_add_i32 s9, s9, -2
	s_cmp_lg_u32 s9, 0
	v_add_u32_e32 v2, v1, v2
	v_lshrrev_b32_e32 v2, s18, v2
	s_waitcnt vmcnt(0)
	v_mul_lo_u32 v3, v2, s16
	v_mul_hi_u32 v5, s10, v2
	v_sub_u32_e32 v3, v1, v3
	v_add_u32_e32 v1, v2, v5
	v_lshrrev_b32_e32 v1, s11, v1
	v_mul_lo_u32 v9, v1, s19
	v_mul_lo_u32 v5, v3, s20
	;; [unrolled: 1-line block ×4, first 2 shown]
	v_sub_u32_e32 v2, v2, v9
	v_mul_lo_u32 v9, v2, s23
	v_mul_lo_u32 v10, v2, s24
	;; [unrolled: 1-line block ×3, first 2 shown]
	v_add3_u32 v4, v5, v4, v9
	v_add3_u32 v17, v7, v17, v10
	v_add3_u32 v15, v3, v15, v2
	s_cbranch_scc1 .LBB192_1604
; %bb.1605:
	s_bitcmp1_b32 s8, 0
	s_cselect_b64 s[8:9], -1, 0
	s_and_b64 vcc, exec, s[8:9]
	s_cbranch_vccnz .LBB192_1609
; %bb.1606:
	s_load_dwordx2 s[8:9], s[6:7], 0x1c
	s_load_dword s16, s[6:7], 0x24
	s_load_dwordx2 s[10:11], s[6:7], 0xdc
	s_waitcnt lgkmcnt(0)
	v_mul_hi_u32 v2, s9, v1
	v_add_u32_e32 v2, v1, v2
	v_lshrrev_b32_e32 v2, s16, v2
	v_mul_lo_u32 v2, v2, s8
	s_load_dword s8, s[6:7], 0xe4
	v_sub_u32_e32 v1, v1, v2
	v_mad_u64_u32 v[4:5], s[6:7], v1, s10, v[4:5]
	v_mad_u64_u32 v[17:18], s[6:7], v1, s11, v[17:18]
	s_waitcnt lgkmcnt(0)
	v_mad_u64_u32 v[15:16], s[6:7], v1, s8, v[15:16]
	s_cbranch_execz .LBB192_1610
	s_branch .LBB192_1612
.LBB192_1607:
                                        ; implicit-def: $vgpr4
                                        ; implicit-def: $vgpr17
                                        ; implicit-def: $vgpr15
	s_branch .LBB192_1610
.LBB192_1608:
	v_mov_b32_e32 v4, 0
	v_mov_b32_e32 v17, 0
	;; [unrolled: 1-line block ×3, first 2 shown]
.LBB192_1609:
	s_cbranch_execnz .LBB192_1612
.LBB192_1610:
	s_load_dwordx4 s[8:11], s[2:3], 0x4
	s_load_dwordx4 s[16:19], s[2:3], 0xc4
	s_cmp_lt_u32 s33, 2
	s_waitcnt lgkmcnt(0)
	v_mul_hi_u32 v1, s9, v0
	v_add_u32_e32 v1, v0, v1
	v_lshrrev_b32_e32 v1, s10, v1
	v_mul_lo_u32 v2, v1, s8
	v_sub_u32_e32 v0, v0, v2
	v_mul_lo_u32 v4, v0, s16
	v_mul_lo_u32 v17, v0, s17
	;; [unrolled: 1-line block ×3, first 2 shown]
	s_cbranch_scc1 .LBB192_1612
; %bb.1611:
	s_load_dwordx4 s[8:11], s[2:3], 0x10
	s_load_dwordx4 s[16:19], s[2:3], 0xd0
	s_waitcnt lgkmcnt(0)
	v_mul_hi_u32 v0, s9, v1
	v_add_u32_e32 v0, v1, v0
	v_lshrrev_b32_e32 v0, s10, v0
	v_mul_lo_u32 v0, v0, s8
	v_sub_u32_e32 v0, v1, v0
	s_waitcnt vmcnt(0)
	v_mad_u64_u32 v[4:5], s[6:7], v0, s16, v[4:5]
	v_mad_u64_u32 v[17:18], s[6:7], v0, s17, v[17:18]
	;; [unrolled: 1-line block ×3, first 2 shown]
.LBB192_1612:
	s_and_b64 vcc, exec, s[0:1]
	v_add_u32_e32 v0, 0x100, v8
	s_cbranch_vccnz .LBB192_1618
; %bb.1613:
	s_cmp_lg_u32 s33, 0
	s_cbranch_scc0 .LBB192_1619
; %bb.1614:
	s_min_u32 s8, s70, 15
	s_add_i32 s6, s8, 1
	s_and_b32 s9, s6, 30
	s_add_u32 s6, s2, 0xffffffe8
	s_addc_u32 s7, s3, -1
	v_mov_b32_e32 v11, 0
	v_mov_b32_e32 v13, 0
	;; [unrolled: 1-line block ×4, first 2 shown]
.LBB192_1615:                           ; =>This Inner Loop Header: Depth=1
	s_load_dwordx4 s[16:19], s[6:7], 0x1c
	s_load_dwordx2 s[10:11], s[6:7], 0x2c
	s_load_dwordx2 s[24:25], s[6:7], 0xec
	s_load_dwordx4 s[20:23], s[6:7], 0xdc
	s_add_u32 s6, s6, 24
	s_waitcnt vmcnt(0) lgkmcnt(0)
	v_mul_hi_u32 v3, s17, v1
	s_addc_u32 s7, s7, 0
	s_add_i32 s9, s9, -2
	s_cmp_lg_u32 s9, 0
	v_add_u32_e32 v3, v1, v3
	v_lshrrev_b32_e32 v3, s18, v3
	v_mul_lo_u32 v5, v3, s16
	v_mul_hi_u32 v7, s10, v3
	v_sub_u32_e32 v5, v1, v5
	v_add_u32_e32 v1, v3, v7
	v_lshrrev_b32_e32 v1, s11, v1
	v_mul_lo_u32 v9, v1, s19
	v_mul_lo_u32 v7, v5, s20
	;; [unrolled: 1-line block ×4, first 2 shown]
	v_sub_u32_e32 v3, v3, v9
	v_mul_lo_u32 v9, v3, s23
	v_mul_lo_u32 v10, v3, s24
	;; [unrolled: 1-line block ×3, first 2 shown]
	v_add3_u32 v2, v7, v2, v9
	v_add3_u32 v13, v8, v13, v10
	;; [unrolled: 1-line block ×3, first 2 shown]
	s_cbranch_scc1 .LBB192_1615
; %bb.1616:
	s_bitcmp1_b32 s8, 0
	s_cselect_b64 s[8:9], -1, 0
	s_and_b64 vcc, exec, s[8:9]
	s_cbranch_vccnz .LBB192_1620
; %bb.1617:
	s_load_dwordx2 s[8:9], s[6:7], 0x1c
	s_load_dword s16, s[6:7], 0x24
	s_load_dwordx2 s[10:11], s[6:7], 0xdc
	s_waitcnt lgkmcnt(0)
	v_mul_hi_u32 v3, s9, v1
	v_add_u32_e32 v3, v1, v3
	v_lshrrev_b32_e32 v3, s16, v3
	v_mul_lo_u32 v3, v3, s8
	s_load_dword s8, s[6:7], 0xe4
	v_sub_u32_e32 v1, v1, v3
	v_mad_u64_u32 v[2:3], s[6:7], v1, s10, v[2:3]
	v_mad_u64_u32 v[13:14], s[6:7], v1, s11, v[13:14]
	s_waitcnt lgkmcnt(0)
	v_mad_u64_u32 v[11:12], s[6:7], v1, s8, v[11:12]
	s_cbranch_execz .LBB192_1621
	s_branch .LBB192_1623
.LBB192_1618:
                                        ; implicit-def: $vgpr2
                                        ; implicit-def: $vgpr13
                                        ; implicit-def: $vgpr11
	s_branch .LBB192_1621
.LBB192_1619:
	v_mov_b32_e32 v2, 0
	v_mov_b32_e32 v13, 0
	;; [unrolled: 1-line block ×3, first 2 shown]
.LBB192_1620:
	s_cbranch_execnz .LBB192_1623
.LBB192_1621:
	s_load_dwordx4 s[8:11], s[2:3], 0x4
	s_load_dwordx4 s[16:19], s[2:3], 0xc4
	s_cmp_lt_u32 s33, 2
	s_waitcnt lgkmcnt(0)
	v_mul_hi_u32 v1, s9, v0
	v_add_u32_e32 v1, v0, v1
	v_lshrrev_b32_e32 v1, s10, v1
	v_mul_lo_u32 v2, v1, s8
	v_sub_u32_e32 v0, v0, v2
	v_mul_lo_u32 v2, v0, s16
	v_mul_lo_u32 v13, v0, s17
	v_mul_lo_u32 v11, v0, s18
	s_cbranch_scc1 .LBB192_1623
; %bb.1622:
	s_load_dwordx4 s[8:11], s[2:3], 0x10
	s_load_dwordx4 s[16:19], s[2:3], 0xd0
	s_waitcnt lgkmcnt(0)
	v_mul_hi_u32 v0, s9, v1
	v_add_u32_e32 v0, v1, v0
	v_lshrrev_b32_e32 v0, s10, v0
	v_mul_lo_u32 v0, v0, s8
	v_sub_u32_e32 v0, v1, v0
	s_waitcnt vmcnt(0)
	v_mad_u64_u32 v[2:3], s[6:7], v0, s16, v[2:3]
	v_mad_u64_u32 v[13:14], s[6:7], v0, s17, v[13:14]
	;; [unrolled: 1-line block ×3, first 2 shown]
.LBB192_1623:
	s_and_b64 vcc, exec, s[0:1]
	s_cbranch_vccnz .LBB192_1629
; %bb.1624:
	s_cmp_lg_u32 s33, 0
	s_cbranch_scc0 .LBB192_1630
; %bb.1625:
	s_min_u32 s6, s70, 15
	s_add_i32 s0, s6, 1
	s_and_b32 s7, s0, 30
	s_add_u32 s0, s2, 0xffffffe8
	s_addc_u32 s1, s3, -1
	v_mov_b32_e32 v7, 0
	v_mov_b32_e32 v9, 0
	;; [unrolled: 1-line block ×4, first 2 shown]
.LBB192_1626:                           ; =>This Inner Loop Header: Depth=1
	s_load_dwordx4 s[8:11], s[0:1], 0x1c
	s_load_dwordx2 s[20:21], s[0:1], 0x2c
	s_load_dwordx2 s[22:23], s[0:1], 0xec
	s_load_dwordx4 s[16:19], s[0:1], 0xdc
	s_add_u32 s0, s0, 24
	s_waitcnt vmcnt(0) lgkmcnt(0)
	v_mul_hi_u32 v3, s9, v1
	s_addc_u32 s1, s1, 0
	s_add_i32 s7, s7, -2
	s_cmp_lg_u32 s7, 0
	v_add_u32_e32 v3, v1, v3
	v_lshrrev_b32_e32 v3, s10, v3
	v_mul_lo_u32 v5, v3, s8
	v_mul_hi_u32 v8, s20, v3
	v_sub_u32_e32 v5, v1, v5
	v_add_u32_e32 v1, v3, v8
	v_lshrrev_b32_e32 v1, s21, v1
	v_mul_lo_u32 v12, v1, s11
	v_mul_lo_u32 v8, v5, s16
	;; [unrolled: 1-line block ×4, first 2 shown]
	v_sub_u32_e32 v3, v3, v12
	v_mul_lo_u32 v12, v3, s19
	v_mul_lo_u32 v14, v3, s22
	;; [unrolled: 1-line block ×3, first 2 shown]
	v_add3_u32 v0, v8, v0, v12
	v_add3_u32 v9, v10, v9, v14
	v_add3_u32 v7, v5, v7, v3
	s_cbranch_scc1 .LBB192_1626
; %bb.1627:
	s_bitcmp1_b32 s6, 0
	s_cselect_b64 s[6:7], -1, 0
	s_and_b64 vcc, exec, s[6:7]
	s_cbranch_vccnz .LBB192_1631
; %bb.1628:
	s_load_dwordx2 s[6:7], s[0:1], 0x1c
	s_load_dword s10, s[0:1], 0x24
	s_load_dwordx2 s[8:9], s[0:1], 0xdc
	s_waitcnt lgkmcnt(0)
	v_mul_hi_u32 v3, s7, v1
	v_add_u32_e32 v3, v1, v3
	v_lshrrev_b32_e32 v3, s10, v3
	v_mul_lo_u32 v3, v3, s6
	s_load_dword s6, s[0:1], 0xe4
	v_sub_u32_e32 v3, v1, v3
	v_mad_u64_u32 v[0:1], s[0:1], v3, s8, v[0:1]
	v_mad_u64_u32 v[9:10], s[0:1], v3, s9, v[9:10]
	s_waitcnt lgkmcnt(0)
	v_mad_u64_u32 v[7:8], s[0:1], v3, s6, v[7:8]
	s_cbranch_execz .LBB192_1632
	s_branch .LBB192_1634
.LBB192_1629:
                                        ; implicit-def: $vgpr0
                                        ; implicit-def: $vgpr9
                                        ; implicit-def: $vgpr7
	s_branch .LBB192_1632
.LBB192_1630:
	v_mov_b32_e32 v0, 0
	v_mov_b32_e32 v9, 0
	;; [unrolled: 1-line block ×3, first 2 shown]
.LBB192_1631:
	s_cbranch_execnz .LBB192_1634
.LBB192_1632:
	s_load_dwordx4 s[8:11], s[2:3], 0x4
	s_load_dwordx4 s[16:19], s[2:3], 0xc4
	s_cmp_lt_u32 s33, 2
	s_waitcnt lgkmcnt(0)
	v_mul_hi_u32 v0, s9, v23
	v_add_u32_e32 v0, v23, v0
	v_lshrrev_b32_e32 v1, s10, v0
	v_mul_lo_u32 v0, v1, s8
	s_waitcnt vmcnt(0)
	v_sub_u32_e32 v3, v23, v0
	v_mul_lo_u32 v0, v3, s16
	v_mul_lo_u32 v9, v3, s17
	;; [unrolled: 1-line block ×3, first 2 shown]
	s_cbranch_scc1 .LBB192_1634
; %bb.1633:
	s_load_dwordx4 s[8:11], s[2:3], 0x10
	s_load_dwordx4 s[16:19], s[2:3], 0xd0
	s_waitcnt lgkmcnt(0)
	v_mul_hi_u32 v3, s9, v1
	v_add_u32_e32 v3, v1, v3
	v_lshrrev_b32_e32 v3, s10, v3
	v_mul_lo_u32 v3, v3, s8
	v_sub_u32_e32 v3, v1, v3
	v_mad_u64_u32 v[0:1], s[0:1], v3, s16, v[0:1]
	v_mad_u64_u32 v[9:10], s[0:1], v3, s17, v[9:10]
	;; [unrolled: 1-line block ×3, first 2 shown]
.LBB192_1634:
	s_load_dwordx4 s[8:11], s[2:3], 0x188
	s_load_dword s25, s[4:5], 0x1b0
	s_waitcnt lgkmcnt(0)
	v_mov_b32_e32 v1, s11
	s_bfe_u32 s20, s25, 0x80008
	v_add_co_u32_e32 v20, vcc, s10, v21
	s_cmp_lt_i32 s20, 11
	v_addc_co_u32_e32 v21, vcc, 0, v1, vcc
	s_cbranch_scc1 .LBB192_1641
; %bb.1635:
	s_and_b32 s21, 0xffff, s20
	s_cmp_gt_i32 s21, 25
	s_mov_b64 s[6:7], 0
	s_cbranch_scc0 .LBB192_1643
; %bb.1636:
	s_cmp_gt_i32 s21, 28
	s_cbranch_scc0 .LBB192_1644
; %bb.1637:
	s_cmp_gt_i32 s21, 43
	;; [unrolled: 3-line block ×3, first 2 shown]
	s_cbranch_scc0 .LBB192_1646
; %bb.1639:
	s_cmp_eq_u32 s21, 46
	s_mov_b64 s[4:5], 0
	s_cbranch_scc0 .LBB192_1649
; %bb.1640:
	global_load_dword v1, v[20:21], off
	s_mov_b64 s[0:1], 0
	s_mov_b64 s[16:17], -1
	s_waitcnt vmcnt(0)
	v_lshlrev_b32_e32 v1, 16, v1
	s_branch .LBB192_1650
.LBB192_1641:
	s_mov_b64 s[16:17], 0
                                        ; implicit-def: $vgpr1
	s_mov_b64 s[4:5], s[12:13]
	s_cbranch_execnz .LBB192_1713
.LBB192_1642:
	s_andn2_b64 vcc, exec, s[16:17]
	s_cbranch_vccz .LBB192_1758
	s_branch .LBB192_3101
.LBB192_1643:
	s_mov_b64 s[16:17], 0
	s_mov_b64 s[0:1], 0
                                        ; implicit-def: $vgpr1
	s_cbranch_execnz .LBB192_1678
	s_branch .LBB192_1709
.LBB192_1644:
	s_mov_b64 s[4:5], -1
	s_mov_b64 s[16:17], 0
	s_mov_b64 s[0:1], 0
                                        ; implicit-def: $vgpr1
	s_branch .LBB192_1659
.LBB192_1645:
	s_mov_b64 s[16:17], 0
	s_mov_b64 s[0:1], 0
                                        ; implicit-def: $vgpr1
	s_cbranch_execnz .LBB192_1655
	s_branch .LBB192_1658
.LBB192_1646:
	s_mov_b64 s[4:5], -1
	s_mov_b64 s[16:17], 0
	s_mov_b64 s[0:1], 0
                                        ; implicit-def: $vgpr1
	s_branch .LBB192_1650
.LBB192_1647:
	s_andn2_saveexec_b64 s[16:17], s[16:17]
	s_cbranch_execz .LBB192_1502
.LBB192_1648:
	s_mov_b32 s18, 0x46000000
	v_add_f32_e64 v0, |v3|, s18
	v_and_b32_e32 v0, 0xff, v0
	v_cmp_ne_u32_e32 vcc, 0, v0
	s_andn2_b64 s[14:15], s[14:15], exec
	s_and_b64 s[18:19], vcc, exec
	s_or_b64 s[14:15], s[14:15], s[18:19]
	s_or_b64 exec, exec, s[16:17]
	v_mov_b32_e32 v4, 0
	s_and_saveexec_b64 s[16:17], s[14:15]
	s_cbranch_execnz .LBB192_1503
	s_branch .LBB192_1504
.LBB192_1649:
	s_mov_b64 s[0:1], -1
                                        ; implicit-def: $vgpr1
	s_mov_b64 s[16:17], 0
.LBB192_1650:
	s_and_b64 vcc, exec, s[4:5]
	s_cbranch_vccz .LBB192_1653
; %bb.1651:
	s_cmp_eq_u32 s21, 44
	s_cbranch_scc0 .LBB192_1654
; %bb.1652:
	global_load_ubyte v1, v[20:21], off
	s_movk_i32 s4, 0xff
	s_waitcnt vmcnt(1)
	v_mov_b32_e32 v3, 0x7f800001
	v_mov_b32_e32 v5, 0x400000
	s_mov_b64 s[0:1], 0
	s_mov_b64 s[16:17], -1
	s_waitcnt vmcnt(0)
	v_lshlrev_b32_e32 v8, 23, v1
	v_cmp_ne_u32_e32 vcc, s4, v1
	v_cndmask_b32_e32 v3, v3, v8, vcc
	v_cmp_ne_u32_e32 vcc, 0, v1
	v_cndmask_b32_e32 v1, v5, v3, vcc
.LBB192_1653:
	s_branch .LBB192_1658
.LBB192_1654:
	s_mov_b64 s[0:1], -1
                                        ; implicit-def: $vgpr1
	s_branch .LBB192_1658
.LBB192_1655:
	s_cmp_eq_u32 s21, 29
	s_cbranch_scc0 .LBB192_1657
; %bb.1656:
	global_load_dwordx2 v[22:23], v[20:21], off
	s_mov_b64 s[0:1], 0
	s_mov_b64 s[16:17], -1
	s_mov_b64 s[4:5], 0
	s_waitcnt vmcnt(0)
	v_ffbh_u32_e32 v1, v23
	v_min_u32_e32 v1, 32, v1
	v_lshlrev_b64 v[22:23], v1, v[22:23]
	v_sub_u32_e32 v1, 32, v1
	v_min_u32_e32 v3, 1, v22
	v_or_b32_e32 v3, v23, v3
	v_cvt_f32_u32_e32 v3, v3
	v_ldexp_f32 v1, v3, v1
	s_branch .LBB192_1659
.LBB192_1657:
	s_mov_b64 s[0:1], -1
                                        ; implicit-def: $vgpr1
.LBB192_1658:
	s_mov_b64 s[4:5], 0
.LBB192_1659:
	s_and_b64 vcc, exec, s[4:5]
	s_cbranch_vccz .LBB192_1677
; %bb.1660:
	s_cmp_lt_i32 s21, 27
	s_cbranch_scc1 .LBB192_1663
; %bb.1661:
	s_cmp_gt_i32 s21, 27
	s_cbranch_scc0 .LBB192_1664
; %bb.1662:
	global_load_dword v1, v[20:21], off
	s_mov_b64 s[4:5], 0
	s_waitcnt vmcnt(0)
	v_cvt_f32_u32_e32 v1, v1
	s_branch .LBB192_1665
.LBB192_1663:
	s_mov_b64 s[4:5], -1
                                        ; implicit-def: $vgpr1
	s_branch .LBB192_1668
.LBB192_1664:
	s_mov_b64 s[4:5], -1
                                        ; implicit-def: $vgpr1
.LBB192_1665:
	s_andn2_b64 vcc, exec, s[4:5]
	s_cbranch_vccnz .LBB192_1667
; %bb.1666:
	global_load_ushort v1, v[20:21], off
	s_waitcnt vmcnt(0)
	v_cvt_f32_u32_e32 v1, v1
.LBB192_1667:
	s_mov_b64 s[4:5], 0
.LBB192_1668:
	s_andn2_b64 vcc, exec, s[4:5]
	s_cbranch_vccnz .LBB192_1676
; %bb.1669:
	global_load_ubyte v3, v[20:21], off
	s_movk_i32 s4, 0x7f
	s_waitcnt vmcnt(0)
	v_cmp_lt_i16_e32 vcc, s4, v3
	s_mov_b64 s[4:5], 0
	s_and_saveexec_b64 s[16:17], vcc
	s_xor_b64 s[16:17], exec, s[16:17]
	s_cbranch_execz .LBB192_1689
; %bb.1670:
	s_movk_i32 s4, 0x80
	v_cmp_eq_u16_e32 vcc, s4, v3
	s_mov_b64 s[4:5], -1
	s_and_saveexec_b64 s[18:19], vcc
; %bb.1671:
	s_xor_b64 s[4:5], exec, -1
; %bb.1672:
	s_or_b64 exec, exec, s[18:19]
	s_and_b64 s[4:5], s[4:5], exec
	s_or_saveexec_b64 s[16:17], s[16:17]
	v_mov_b32_e32 v1, 0x7f800001
	s_xor_b64 exec, exec, s[16:17]
	s_cbranch_execnz .LBB192_1690
.LBB192_1673:
	s_or_b64 exec, exec, s[16:17]
	s_and_saveexec_b64 s[16:17], s[4:5]
	s_cbranch_execz .LBB192_1675
.LBB192_1674:
	v_lshlrev_b32_e32 v1, 24, v3
	v_and_b32_e32 v3, 0xffff, v3
	v_and_b32_e32 v5, 7, v3
	v_ffbh_u32_e32 v10, v5
	v_min_u32_e32 v10, 32, v10
	v_subrev_u32_e32 v12, 28, v10
	v_bfe_u32 v8, v3, 3, 4
	v_lshlrev_b32_e32 v3, v12, v3
	v_sub_u32_e32 v10, 29, v10
	v_and_b32_e32 v3, 7, v3
	v_cmp_eq_u32_e32 vcc, 0, v8
	v_cndmask_b32_e32 v8, v8, v10, vcc
	v_cndmask_b32_e32 v3, v5, v3, vcc
	v_mov_b32_e32 v5, 0x3b800000
	v_lshlrev_b32_e32 v3, 20, v3
	v_and_b32_e32 v1, 0x80000000, v1
	v_lshl_add_u32 v5, v8, 23, v5
	v_or3_b32 v1, v1, v5, v3
.LBB192_1675:
	s_or_b64 exec, exec, s[16:17]
.LBB192_1676:
	s_mov_b64 s[16:17], -1
.LBB192_1677:
	s_branch .LBB192_1709
.LBB192_1678:
	s_cmp_gt_i32 s21, 22
	s_cbranch_scc0 .LBB192_1688
; %bb.1679:
	s_cmp_lt_i32 s21, 24
	s_cbranch_scc1 .LBB192_1691
; %bb.1680:
	s_cmp_gt_i32 s21, 24
	s_cbranch_scc0 .LBB192_1692
; %bb.1681:
	global_load_ubyte v3, v[20:21], off
	s_movk_i32 s4, 0x7f
	s_waitcnt vmcnt(0)
	v_cmp_lt_i16_e32 vcc, s4, v3
	s_mov_b64 s[4:5], 0
	s_and_saveexec_b64 s[6:7], vcc
	s_xor_b64 s[6:7], exec, s[6:7]
	s_cbranch_execz .LBB192_1703
; %bb.1682:
	s_movk_i32 s4, 0x80
	v_cmp_eq_u16_e32 vcc, s4, v3
	s_mov_b64 s[4:5], -1
	s_and_saveexec_b64 s[16:17], vcc
; %bb.1683:
	s_xor_b64 s[4:5], exec, -1
; %bb.1684:
	s_or_b64 exec, exec, s[16:17]
	s_and_b64 s[4:5], s[4:5], exec
	s_or_saveexec_b64 s[6:7], s[6:7]
	v_mov_b32_e32 v1, 0x7f800001
	s_xor_b64 exec, exec, s[6:7]
	s_cbranch_execnz .LBB192_1704
.LBB192_1685:
	s_or_b64 exec, exec, s[6:7]
	s_and_saveexec_b64 s[6:7], s[4:5]
	s_cbranch_execz .LBB192_1687
.LBB192_1686:
	v_lshlrev_b32_e32 v1, 24, v3
	v_and_b32_e32 v3, 0xffff, v3
	v_and_b32_e32 v5, 3, v3
	v_ffbh_u32_e32 v10, v5
	v_min_u32_e32 v10, 32, v10
	v_subrev_u32_e32 v12, 29, v10
	v_bfe_u32 v8, v3, 2, 5
	v_lshlrev_b32_e32 v3, v12, v3
	v_sub_u32_e32 v10, 30, v10
	v_and_b32_e32 v3, 3, v3
	v_cmp_eq_u32_e32 vcc, 0, v8
	v_cndmask_b32_e32 v8, v8, v10, vcc
	v_cndmask_b32_e32 v3, v5, v3, vcc
	v_mov_b32_e32 v5, 0x37800000
	v_lshlrev_b32_e32 v3, 21, v3
	v_and_b32_e32 v1, 0x80000000, v1
	v_lshl_add_u32 v5, v8, 23, v5
	v_or3_b32 v1, v1, v5, v3
.LBB192_1687:
	s_or_b64 exec, exec, s[6:7]
	s_mov_b64 s[4:5], 0
	s_branch .LBB192_1693
.LBB192_1688:
                                        ; implicit-def: $vgpr1
	s_mov_b64 s[6:7], 0
	s_branch .LBB192_1699
.LBB192_1689:
	s_or_saveexec_b64 s[16:17], s[16:17]
	v_mov_b32_e32 v1, 0x7f800001
	s_xor_b64 exec, exec, s[16:17]
	s_cbranch_execz .LBB192_1673
.LBB192_1690:
	v_cmp_ne_u16_e32 vcc, 0, v3
	s_andn2_b64 s[4:5], s[4:5], exec
	s_and_b64 s[18:19], vcc, exec
	v_mov_b32_e32 v1, 0
	s_or_b64 s[4:5], s[4:5], s[18:19]
	s_or_b64 exec, exec, s[16:17]
	s_and_saveexec_b64 s[16:17], s[4:5]
	s_cbranch_execnz .LBB192_1674
	s_branch .LBB192_1675
.LBB192_1691:
	s_mov_b64 s[4:5], -1
                                        ; implicit-def: $vgpr1
	s_branch .LBB192_1696
.LBB192_1692:
	s_mov_b64 s[4:5], -1
                                        ; implicit-def: $vgpr1
.LBB192_1693:
	s_and_b64 vcc, exec, s[4:5]
	s_cbranch_vccz .LBB192_1695
; %bb.1694:
	global_load_ubyte v1, v[20:21], off
	s_mov_b32 s4, 0x7f800000
	s_waitcnt vmcnt(0)
	v_lshlrev_b32_e32 v1, 24, v1
	v_and_b32_e32 v3, 0x7f000000, v1
	v_ffbh_u32_e32 v5, v3
	v_min_u32_e32 v5, 32, v5
	v_sub_u32_e64 v5, v5, 4 clamp
	v_lshlrev_b32_e32 v10, v5, v3
	v_lshlrev_b32_e32 v5, 23, v5
	v_lshrrev_b32_e32 v10, 4, v10
	v_add_u32_e32 v8, 0x1000000, v3
	v_sub_u32_e32 v5, v10, v5
	v_ashrrev_i32_e32 v8, 8, v8
	v_add_u32_e32 v5, 0x3c000000, v5
	v_and_or_b32 v5, v8, s4, v5
	v_cmp_ne_u32_e32 vcc, 0, v3
	v_cndmask_b32_e32 v3, 0, v5, vcc
	s_brev_b32 s4, 1
	v_and_or_b32 v1, v1, s4, v3
.LBB192_1695:
	s_mov_b64 s[4:5], 0
.LBB192_1696:
	s_andn2_b64 vcc, exec, s[4:5]
	s_cbranch_vccnz .LBB192_1698
; %bb.1697:
	global_load_ubyte v1, v[20:21], off
	s_movk_i32 s4, 0x7f00
	s_brev_b32 s5, 16
	s_waitcnt vmcnt(0)
	v_lshlrev_b16_e32 v3, 8, v1
	v_lshlrev_b32_e32 v1, 25, v1
	v_lshrrev_b32_e32 v5, 4, v1
	v_and_or_b32 v8, v3, s4, 0.5
	v_or_b32_e32 v5, 0x70000000, v5
	v_add_f32_e32 v8, -0.5, v8
	v_mul_f32_e32 v5, 0x7800000, v5
	v_cmp_gt_u32_e32 vcc, s5, v1
	v_bfe_i32 v3, v3, 0, 16
	v_cndmask_b32_e32 v1, v5, v8, vcc
	s_brev_b32 s4, 1
	v_and_or_b32 v1, v3, s4, v1
.LBB192_1698:
	s_mov_b64 s[16:17], -1
	s_mov_b64 s[6:7], 0
	s_cbranch_execnz .LBB192_1709
.LBB192_1699:
	s_cmp_gt_i32 s21, 14
	s_cbranch_scc0 .LBB192_1702
; %bb.1700:
	s_cmp_eq_u32 s21, 15
	s_cbranch_scc0 .LBB192_1705
; %bb.1701:
	global_load_ushort v1, v[20:21], off
	s_mov_b64 s[0:1], 0
	s_mov_b64 s[16:17], -1
	s_waitcnt vmcnt(0)
	v_lshlrev_b32_e32 v1, 16, v1
	s_branch .LBB192_1706
.LBB192_1702:
	s_mov_b64 s[4:5], -1
                                        ; implicit-def: $vgpr1
	s_branch .LBB192_1707
.LBB192_1703:
	s_or_saveexec_b64 s[6:7], s[6:7]
	v_mov_b32_e32 v1, 0x7f800001
	s_xor_b64 exec, exec, s[6:7]
	s_cbranch_execz .LBB192_1685
.LBB192_1704:
	v_cmp_ne_u16_e32 vcc, 0, v3
	s_andn2_b64 s[4:5], s[4:5], exec
	s_and_b64 s[16:17], vcc, exec
	v_mov_b32_e32 v1, 0
	s_or_b64 s[4:5], s[4:5], s[16:17]
	s_or_b64 exec, exec, s[6:7]
	s_and_saveexec_b64 s[6:7], s[4:5]
	s_cbranch_execnz .LBB192_1686
	s_branch .LBB192_1687
.LBB192_1705:
	s_mov_b64 s[0:1], -1
                                        ; implicit-def: $vgpr1
.LBB192_1706:
	s_mov_b64 s[4:5], 0
.LBB192_1707:
	s_and_b64 vcc, exec, s[4:5]
	s_cbranch_vccz .LBB192_1709
; %bb.1708:
	s_cmp_lg_u32 s21, 11
	s_mov_b64 s[6:7], -1
	s_cselect_b64 s[0:1], -1, 0
.LBB192_1709:
	s_and_b64 vcc, exec, s[0:1]
	s_mov_b64 s[4:5], s[12:13]
	s_cbranch_vccnz .LBB192_1770
; %bb.1710:
	s_andn2_b64 vcc, exec, s[6:7]
	s_cbranch_vccnz .LBB192_1712
.LBB192_1711:
	global_load_ubyte v1, v[20:21], off
	s_mov_b64 s[16:17], -1
	s_waitcnt vmcnt(0)
	v_cmp_ne_u16_e32 vcc, 0, v1
	v_cndmask_b32_e64 v1, 0, 1.0, vcc
.LBB192_1712:
	s_branch .LBB192_1642
.LBB192_1713:
	s_and_b32 s6, 0xffff, s20
	s_cmp_lt_i32 s6, 5
	s_cbranch_scc1 .LBB192_1718
; %bb.1714:
	s_cmp_lt_i32 s6, 8
	s_cbranch_scc1 .LBB192_1719
; %bb.1715:
	;; [unrolled: 3-line block ×3, first 2 shown]
	s_cmp_gt_i32 s6, 9
	s_cbranch_scc0 .LBB192_1721
; %bb.1717:
	global_load_dwordx2 v[22:23], v[20:21], off
	s_mov_b64 s[0:1], 0
	s_waitcnt vmcnt(0)
	v_cvt_f32_f64_e32 v1, v[22:23]
	s_branch .LBB192_1722
.LBB192_1718:
                                        ; implicit-def: $vgpr1
	s_branch .LBB192_1739
.LBB192_1719:
                                        ; implicit-def: $vgpr1
	s_branch .LBB192_1728
.LBB192_1720:
	s_mov_b64 s[0:1], -1
                                        ; implicit-def: $vgpr1
	s_branch .LBB192_1725
.LBB192_1721:
	s_mov_b64 s[0:1], -1
                                        ; implicit-def: $vgpr1
.LBB192_1722:
	s_andn2_b64 vcc, exec, s[0:1]
	s_cbranch_vccnz .LBB192_1724
; %bb.1723:
	global_load_dword v1, v[20:21], off
.LBB192_1724:
	s_mov_b64 s[0:1], 0
.LBB192_1725:
	s_andn2_b64 vcc, exec, s[0:1]
	s_cbranch_vccnz .LBB192_1727
; %bb.1726:
	global_load_dword v1, v[20:21], off
	s_waitcnt vmcnt(0)
	v_cvt_f32_f16_e32 v1, v1
.LBB192_1727:
	s_cbranch_execnz .LBB192_1738
.LBB192_1728:
	s_cmp_lt_i32 s6, 6
	s_cbranch_scc1 .LBB192_1731
; %bb.1729:
	s_cmp_gt_i32 s6, 6
	s_cbranch_scc0 .LBB192_1732
; %bb.1730:
	global_load_dwordx2 v[22:23], v[20:21], off
	s_mov_b64 s[0:1], 0
	s_waitcnt vmcnt(0)
	v_cvt_f32_f64_e32 v1, v[22:23]
	s_branch .LBB192_1733
.LBB192_1731:
	s_mov_b64 s[0:1], -1
                                        ; implicit-def: $vgpr1
	s_branch .LBB192_1736
.LBB192_1732:
	s_mov_b64 s[0:1], -1
                                        ; implicit-def: $vgpr1
.LBB192_1733:
	s_andn2_b64 vcc, exec, s[0:1]
	s_cbranch_vccnz .LBB192_1735
; %bb.1734:
	global_load_dword v1, v[20:21], off
.LBB192_1735:
	s_mov_b64 s[0:1], 0
.LBB192_1736:
	s_andn2_b64 vcc, exec, s[0:1]
	s_cbranch_vccnz .LBB192_1738
; %bb.1737:
	global_load_ushort v1, v[20:21], off
	s_waitcnt vmcnt(0)
	v_cvt_f32_f16_e32 v1, v1
.LBB192_1738:
	s_cbranch_execnz .LBB192_1757
.LBB192_1739:
	s_cmp_lt_i32 s6, 2
	s_cbranch_scc1 .LBB192_1743
; %bb.1740:
	s_cmp_lt_i32 s6, 3
	s_cbranch_scc1 .LBB192_1744
; %bb.1741:
	s_cmp_gt_i32 s6, 3
	s_cbranch_scc0 .LBB192_1745
; %bb.1742:
	global_load_dwordx2 v[22:23], v[20:21], off
	s_mov_b64 s[0:1], 0
	s_waitcnt vmcnt(0)
	v_xor_b32_e32 v3, v22, v23
	v_ffbh_i32_e32 v1, v23
	v_ashrrev_i32_e32 v3, 31, v3
	v_add_u32_e32 v1, -1, v1
	v_add_u32_e32 v3, 32, v3
	v_min_u32_e32 v1, v1, v3
	v_lshlrev_b64 v[22:23], v1, v[22:23]
	v_sub_u32_e32 v1, 32, v1
	v_min_u32_e32 v3, 1, v22
	v_or_b32_e32 v3, v23, v3
	v_cvt_f32_i32_e32 v3, v3
	v_ldexp_f32 v1, v3, v1
	s_branch .LBB192_1746
.LBB192_1743:
                                        ; implicit-def: $vgpr1
	s_branch .LBB192_1752
.LBB192_1744:
	s_mov_b64 s[0:1], -1
                                        ; implicit-def: $vgpr1
	s_branch .LBB192_1749
.LBB192_1745:
	s_mov_b64 s[0:1], -1
                                        ; implicit-def: $vgpr1
.LBB192_1746:
	s_andn2_b64 vcc, exec, s[0:1]
	s_cbranch_vccnz .LBB192_1748
; %bb.1747:
	global_load_dword v1, v[20:21], off
	s_waitcnt vmcnt(0)
	v_cvt_f32_i32_e32 v1, v1
.LBB192_1748:
	s_mov_b64 s[0:1], 0
.LBB192_1749:
	s_andn2_b64 vcc, exec, s[0:1]
	s_cbranch_vccnz .LBB192_1751
; %bb.1750:
	global_load_sshort v1, v[20:21], off
	s_waitcnt vmcnt(0)
	v_cvt_f32_i32_e32 v1, v1
.LBB192_1751:
	s_cbranch_execnz .LBB192_1757
.LBB192_1752:
	s_cmp_gt_i32 s6, 0
	s_cbranch_scc0 .LBB192_1754
; %bb.1753:
	global_load_sbyte v1, v[20:21], off
	s_mov_b64 s[0:1], 0
	s_waitcnt vmcnt(0)
	v_cvt_f32_i32_e32 v1, v1
	s_branch .LBB192_1755
.LBB192_1754:
	s_mov_b64 s[0:1], -1
                                        ; implicit-def: $vgpr1
.LBB192_1755:
	s_andn2_b64 vcc, exec, s[0:1]
	s_cbranch_vccnz .LBB192_1757
; %bb.1756:
	global_load_ubyte v1, v[20:21], off
	s_waitcnt vmcnt(0)
	v_cvt_f32_ubyte0_e32 v1, v1
.LBB192_1757:
.LBB192_1758:
	s_load_dwordx2 s[0:1], s[2:3], 0x198
	s_bfe_u32 s24, s25, 0x80010
	s_cmp_lt_i32 s24, 11
	s_waitcnt vmcnt(0) lgkmcnt(0)
	v_mov_b32_e32 v3, s1
	v_add_co_u32_e32 v18, vcc, s0, v19
	v_addc_co_u32_e32 v19, vcc, 0, v3, vcc
	s_cbranch_scc1 .LBB192_1765
; %bb.1759:
	s_and_b32 s26, 0xffff, s24
	s_cmp_gt_i32 s26, 25
	s_mov_b64 s[16:17], 0
	s_cbranch_scc0 .LBB192_1767
; %bb.1760:
	s_cmp_gt_i32 s26, 28
	s_cbranch_scc0 .LBB192_1768
; %bb.1761:
	s_cmp_gt_i32 s26, 43
	;; [unrolled: 3-line block ×3, first 2 shown]
	s_cbranch_scc0 .LBB192_1771
; %bb.1763:
	s_cmp_eq_u32 s26, 46
	s_mov_b64 s[20:21], 0
	s_cbranch_scc0 .LBB192_1774
; %bb.1764:
	global_load_dword v3, v[18:19], off
	s_mov_b64 s[6:7], 0
	s_mov_b64 s[18:19], -1
	s_waitcnt vmcnt(0)
	v_lshlrev_b32_e32 v3, 16, v3
	s_branch .LBB192_1775
.LBB192_1765:
	s_mov_b64 s[18:19], 0
                                        ; implicit-def: $vgpr3
	s_cbranch_execnz .LBB192_1840
.LBB192_1766:
	s_andn2_b64 vcc, exec, s[18:19]
	s_cbranch_vccnz .LBB192_3101
	s_branch .LBB192_1887
.LBB192_1767:
	s_mov_b64 s[18:19], 0
	s_mov_b64 s[6:7], 0
                                        ; implicit-def: $vgpr3
	s_cbranch_execnz .LBB192_1804
	s_branch .LBB192_1836
.LBB192_1768:
	s_mov_b64 s[20:21], -1
	s_mov_b64 s[18:19], 0
	s_mov_b64 s[6:7], 0
                                        ; implicit-def: $vgpr3
	s_branch .LBB192_1785
.LBB192_1769:
	s_mov_b64 s[20:21], -1
	s_mov_b64 s[18:19], 0
	s_mov_b64 s[6:7], 0
                                        ; implicit-def: $vgpr3
	s_branch .LBB192_1780
.LBB192_1770:
	s_or_b64 s[4:5], s[12:13], exec
	s_trap 2
	s_cbranch_execz .LBB192_1711
	s_branch .LBB192_1712
.LBB192_1771:
	s_mov_b64 s[20:21], -1
	s_mov_b64 s[18:19], 0
	s_mov_b64 s[6:7], 0
                                        ; implicit-def: $vgpr3
	s_branch .LBB192_1775
.LBB192_1772:
	s_andn2_saveexec_b64 s[18:19], s[18:19]
	s_cbranch_execz .LBB192_1514
.LBB192_1773:
	s_mov_b32 s21, 0x42800000
	v_add_f32_e64 v0, |v3|, s21
	v_and_b32_e32 v0, 0xff, v0
	v_cmp_ne_u32_e32 vcc, 0, v0
	s_andn2_b64 s[16:17], s[16:17], exec
	s_and_b64 s[28:29], vcc, exec
	s_or_b64 s[16:17], s[16:17], s[28:29]
	s_or_b64 exec, exec, s[18:19]
	v_mov_b32_e32 v4, 0
	s_and_saveexec_b64 s[18:19], s[16:17]
	s_cbranch_execnz .LBB192_1515
	s_branch .LBB192_1516
.LBB192_1774:
	s_mov_b64 s[6:7], -1
                                        ; implicit-def: $vgpr3
	s_mov_b64 s[18:19], 0
.LBB192_1775:
	s_and_b64 vcc, exec, s[20:21]
	s_cbranch_vccz .LBB192_1779
; %bb.1776:
	s_cmp_eq_u32 s26, 44
	s_cbranch_scc0 .LBB192_1778
; %bb.1777:
	global_load_ubyte v3, v[18:19], off
	s_movk_i32 s18, 0xff
	v_mov_b32_e32 v5, 0x7f800001
	v_mov_b32_e32 v8, 0x400000
	s_mov_b64 s[6:7], 0
	s_waitcnt vmcnt(0)
	v_lshlrev_b32_e32 v10, 23, v3
	v_cmp_ne_u32_e32 vcc, s18, v3
	v_cndmask_b32_e32 v5, v5, v10, vcc
	v_cmp_ne_u32_e32 vcc, 0, v3
	v_cndmask_b32_e32 v3, v8, v5, vcc
	s_mov_b64 s[18:19], -1
	s_branch .LBB192_1779
.LBB192_1778:
	s_mov_b64 s[6:7], -1
                                        ; implicit-def: $vgpr3
.LBB192_1779:
	s_mov_b64 s[20:21], 0
.LBB192_1780:
	s_and_b64 vcc, exec, s[20:21]
	s_cbranch_vccz .LBB192_1784
; %bb.1781:
	s_cmp_eq_u32 s26, 29
	s_cbranch_scc0 .LBB192_1783
; %bb.1782:
	global_load_dwordx2 v[20:21], v[18:19], off
	s_mov_b64 s[6:7], 0
	s_mov_b64 s[18:19], -1
	s_mov_b64 s[20:21], 0
	s_waitcnt vmcnt(0)
	v_ffbh_u32_e32 v3, v21
	v_min_u32_e32 v3, 32, v3
	v_lshlrev_b64 v[20:21], v3, v[20:21]
	v_sub_u32_e32 v3, 32, v3
	v_min_u32_e32 v5, 1, v20
	v_or_b32_e32 v5, v21, v5
	v_cvt_f32_u32_e32 v5, v5
	v_ldexp_f32 v3, v5, v3
	s_branch .LBB192_1785
.LBB192_1783:
	s_mov_b64 s[6:7], -1
                                        ; implicit-def: $vgpr3
.LBB192_1784:
	s_mov_b64 s[20:21], 0
.LBB192_1785:
	s_and_b64 vcc, exec, s[20:21]
	s_cbranch_vccz .LBB192_1803
; %bb.1786:
	s_cmp_lt_i32 s26, 27
	s_cbranch_scc1 .LBB192_1789
; %bb.1787:
	s_cmp_gt_i32 s26, 27
	s_cbranch_scc0 .LBB192_1790
; %bb.1788:
	global_load_dword v3, v[18:19], off
	s_mov_b64 s[18:19], 0
	s_waitcnt vmcnt(0)
	v_cvt_f32_u32_e32 v3, v3
	s_branch .LBB192_1791
.LBB192_1789:
	s_mov_b64 s[18:19], -1
                                        ; implicit-def: $vgpr3
	s_branch .LBB192_1794
.LBB192_1790:
	s_mov_b64 s[18:19], -1
                                        ; implicit-def: $vgpr3
.LBB192_1791:
	s_andn2_b64 vcc, exec, s[18:19]
	s_cbranch_vccnz .LBB192_1793
; %bb.1792:
	global_load_ushort v3, v[18:19], off
	s_waitcnt vmcnt(0)
	v_cvt_f32_u32_e32 v3, v3
.LBB192_1793:
	s_mov_b64 s[18:19], 0
.LBB192_1794:
	s_andn2_b64 vcc, exec, s[18:19]
	s_cbranch_vccnz .LBB192_1802
; %bb.1795:
	global_load_ubyte v5, v[18:19], off
	s_movk_i32 s18, 0x7f
	s_waitcnt vmcnt(0)
	v_cmp_lt_i16_e32 vcc, s18, v5
	s_mov_b64 s[18:19], 0
	s_and_saveexec_b64 s[20:21], vcc
	s_xor_b64 s[20:21], exec, s[20:21]
	s_cbranch_execz .LBB192_1815
; %bb.1796:
	s_movk_i32 s18, 0x80
	v_cmp_eq_u16_e32 vcc, s18, v5
	s_mov_b64 s[18:19], -1
	s_and_saveexec_b64 s[22:23], vcc
; %bb.1797:
	s_xor_b64 s[18:19], exec, -1
; %bb.1798:
	s_or_b64 exec, exec, s[22:23]
	s_and_b64 s[18:19], s[18:19], exec
	s_or_saveexec_b64 s[20:21], s[20:21]
	v_mov_b32_e32 v3, 0x7f800001
	s_xor_b64 exec, exec, s[20:21]
	s_cbranch_execnz .LBB192_1816
.LBB192_1799:
	s_or_b64 exec, exec, s[20:21]
	s_and_saveexec_b64 s[20:21], s[18:19]
	s_cbranch_execz .LBB192_1801
.LBB192_1800:
	v_lshlrev_b32_e32 v3, 24, v5
	v_and_b32_e32 v5, 0xffff, v5
	v_and_b32_e32 v8, 7, v5
	v_ffbh_u32_e32 v12, v8
	v_min_u32_e32 v12, 32, v12
	v_subrev_u32_e32 v14, 28, v12
	v_bfe_u32 v10, v5, 3, 4
	v_lshlrev_b32_e32 v5, v14, v5
	v_sub_u32_e32 v12, 29, v12
	v_and_b32_e32 v5, 7, v5
	v_cmp_eq_u32_e32 vcc, 0, v10
	v_cndmask_b32_e32 v10, v10, v12, vcc
	v_cndmask_b32_e32 v5, v8, v5, vcc
	v_mov_b32_e32 v8, 0x3b800000
	v_lshlrev_b32_e32 v5, 20, v5
	v_and_b32_e32 v3, 0x80000000, v3
	v_lshl_add_u32 v8, v10, 23, v8
	v_or3_b32 v3, v3, v8, v5
.LBB192_1801:
	s_or_b64 exec, exec, s[20:21]
.LBB192_1802:
	s_mov_b64 s[18:19], -1
.LBB192_1803:
	s_branch .LBB192_1836
.LBB192_1804:
	s_cmp_gt_i32 s26, 22
	s_cbranch_scc0 .LBB192_1814
; %bb.1805:
	s_cmp_lt_i32 s26, 24
	s_cbranch_scc1 .LBB192_1817
; %bb.1806:
	s_cmp_gt_i32 s26, 24
	s_cbranch_scc0 .LBB192_1818
; %bb.1807:
	global_load_ubyte v5, v[18:19], off
	s_movk_i32 s16, 0x7f
	s_waitcnt vmcnt(0)
	v_cmp_lt_i16_e32 vcc, s16, v5
	s_mov_b64 s[16:17], 0
	s_and_saveexec_b64 s[18:19], vcc
	s_xor_b64 s[18:19], exec, s[18:19]
	s_cbranch_execz .LBB192_1830
; %bb.1808:
	s_movk_i32 s16, 0x80
	v_cmp_eq_u16_e32 vcc, s16, v5
	s_mov_b64 s[16:17], -1
	s_and_saveexec_b64 s[20:21], vcc
; %bb.1809:
	s_xor_b64 s[16:17], exec, -1
; %bb.1810:
	s_or_b64 exec, exec, s[20:21]
	s_and_b64 s[16:17], s[16:17], exec
	s_or_saveexec_b64 s[18:19], s[18:19]
	v_mov_b32_e32 v3, 0x7f800001
	s_xor_b64 exec, exec, s[18:19]
	s_cbranch_execnz .LBB192_1831
.LBB192_1811:
	s_or_b64 exec, exec, s[18:19]
	s_and_saveexec_b64 s[18:19], s[16:17]
	s_cbranch_execz .LBB192_1813
.LBB192_1812:
	v_lshlrev_b32_e32 v3, 24, v5
	v_and_b32_e32 v5, 0xffff, v5
	v_and_b32_e32 v8, 3, v5
	v_ffbh_u32_e32 v12, v8
	v_min_u32_e32 v12, 32, v12
	v_subrev_u32_e32 v14, 29, v12
	v_bfe_u32 v10, v5, 2, 5
	v_lshlrev_b32_e32 v5, v14, v5
	v_sub_u32_e32 v12, 30, v12
	v_and_b32_e32 v5, 3, v5
	v_cmp_eq_u32_e32 vcc, 0, v10
	v_cndmask_b32_e32 v10, v10, v12, vcc
	v_cndmask_b32_e32 v5, v8, v5, vcc
	v_mov_b32_e32 v8, 0x37800000
	v_lshlrev_b32_e32 v5, 21, v5
	v_and_b32_e32 v3, 0x80000000, v3
	v_lshl_add_u32 v8, v10, 23, v8
	v_or3_b32 v3, v3, v8, v5
.LBB192_1813:
	s_or_b64 exec, exec, s[18:19]
	s_mov_b64 s[16:17], 0
	s_branch .LBB192_1819
.LBB192_1814:
	s_mov_b64 s[16:17], -1
                                        ; implicit-def: $vgpr3
	s_branch .LBB192_1825
.LBB192_1815:
	s_or_saveexec_b64 s[20:21], s[20:21]
	v_mov_b32_e32 v3, 0x7f800001
	s_xor_b64 exec, exec, s[20:21]
	s_cbranch_execz .LBB192_1799
.LBB192_1816:
	v_cmp_ne_u16_e32 vcc, 0, v5
	s_andn2_b64 s[18:19], s[18:19], exec
	s_and_b64 s[22:23], vcc, exec
	v_mov_b32_e32 v3, 0
	s_or_b64 s[18:19], s[18:19], s[22:23]
	s_or_b64 exec, exec, s[20:21]
	s_and_saveexec_b64 s[20:21], s[18:19]
	s_cbranch_execnz .LBB192_1800
	s_branch .LBB192_1801
.LBB192_1817:
	s_mov_b64 s[16:17], -1
                                        ; implicit-def: $vgpr3
	s_branch .LBB192_1822
.LBB192_1818:
	s_mov_b64 s[16:17], -1
                                        ; implicit-def: $vgpr3
.LBB192_1819:
	s_and_b64 vcc, exec, s[16:17]
	s_cbranch_vccz .LBB192_1821
; %bb.1820:
	global_load_ubyte v3, v[18:19], off
	s_mov_b32 s16, 0x7f800000
	s_waitcnt vmcnt(0)
	v_lshlrev_b32_e32 v3, 24, v3
	v_and_b32_e32 v5, 0x7f000000, v3
	v_ffbh_u32_e32 v8, v5
	v_min_u32_e32 v8, 32, v8
	v_sub_u32_e64 v8, v8, 4 clamp
	v_lshlrev_b32_e32 v12, v8, v5
	v_lshlrev_b32_e32 v8, 23, v8
	v_lshrrev_b32_e32 v12, 4, v12
	v_add_u32_e32 v10, 0x1000000, v5
	v_sub_u32_e32 v8, v12, v8
	v_ashrrev_i32_e32 v10, 8, v10
	v_add_u32_e32 v8, 0x3c000000, v8
	v_and_or_b32 v8, v10, s16, v8
	v_cmp_ne_u32_e32 vcc, 0, v5
	v_cndmask_b32_e32 v5, 0, v8, vcc
	s_brev_b32 s16, 1
	v_and_or_b32 v3, v3, s16, v5
.LBB192_1821:
	s_mov_b64 s[16:17], 0
.LBB192_1822:
	s_andn2_b64 vcc, exec, s[16:17]
	s_cbranch_vccnz .LBB192_1824
; %bb.1823:
	global_load_ubyte v3, v[18:19], off
	s_movk_i32 s16, 0x7f00
	s_brev_b32 s17, 16
	s_waitcnt vmcnt(0)
	v_lshlrev_b16_e32 v5, 8, v3
	v_lshlrev_b32_e32 v3, 25, v3
	v_lshrrev_b32_e32 v8, 4, v3
	v_and_or_b32 v10, v5, s16, 0.5
	v_or_b32_e32 v8, 0x70000000, v8
	v_add_f32_e32 v10, -0.5, v10
	v_mul_f32_e32 v8, 0x7800000, v8
	v_cmp_gt_u32_e32 vcc, s17, v3
	v_bfe_i32 v5, v5, 0, 16
	v_cndmask_b32_e32 v3, v8, v10, vcc
	s_brev_b32 s16, 1
	v_and_or_b32 v3, v5, s16, v3
.LBB192_1824:
	s_mov_b64 s[16:17], 0
	s_mov_b64 s[18:19], -1
.LBB192_1825:
	s_andn2_b64 vcc, exec, s[16:17]
	s_mov_b64 s[16:17], 0
	s_cbranch_vccnz .LBB192_1836
; %bb.1826:
	s_cmp_gt_i32 s26, 14
	s_cbranch_scc0 .LBB192_1829
; %bb.1827:
	s_cmp_eq_u32 s26, 15
	s_cbranch_scc0 .LBB192_1832
; %bb.1828:
	global_load_ushort v3, v[18:19], off
	s_mov_b64 s[6:7], 0
	s_mov_b64 s[18:19], -1
	s_waitcnt vmcnt(0)
	v_lshlrev_b32_e32 v3, 16, v3
	s_branch .LBB192_1833
.LBB192_1829:
	s_mov_b64 s[20:21], -1
                                        ; implicit-def: $vgpr3
	s_branch .LBB192_1834
.LBB192_1830:
	s_or_saveexec_b64 s[18:19], s[18:19]
	v_mov_b32_e32 v3, 0x7f800001
	s_xor_b64 exec, exec, s[18:19]
	s_cbranch_execz .LBB192_1811
.LBB192_1831:
	v_cmp_ne_u16_e32 vcc, 0, v5
	s_andn2_b64 s[16:17], s[16:17], exec
	s_and_b64 s[20:21], vcc, exec
	v_mov_b32_e32 v3, 0
	s_or_b64 s[16:17], s[16:17], s[20:21]
	s_or_b64 exec, exec, s[18:19]
	s_and_saveexec_b64 s[18:19], s[16:17]
	s_cbranch_execnz .LBB192_1812
	s_branch .LBB192_1813
.LBB192_1832:
	s_mov_b64 s[6:7], -1
                                        ; implicit-def: $vgpr3
.LBB192_1833:
	s_mov_b64 s[20:21], 0
.LBB192_1834:
	s_and_b64 vcc, exec, s[20:21]
	s_cbranch_vccz .LBB192_1836
; %bb.1835:
	s_cmp_lg_u32 s26, 11
	s_mov_b64 s[16:17], -1
	s_cselect_b64 s[6:7], -1, 0
.LBB192_1836:
	s_and_b64 vcc, exec, s[6:7]
	s_cbranch_vccnz .LBB192_1899
; %bb.1837:
	s_andn2_b64 vcc, exec, s[16:17]
	s_cbranch_vccnz .LBB192_1839
.LBB192_1838:
	global_load_ubyte v3, v[18:19], off
	s_mov_b64 s[18:19], -1
	s_waitcnt vmcnt(0)
	v_cmp_ne_u16_e32 vcc, 0, v3
	v_cndmask_b32_e64 v3, 0, 1.0, vcc
.LBB192_1839:
	s_branch .LBB192_1766
.LBB192_1840:
	s_and_b32 s16, 0xffff, s24
	s_cmp_lt_i32 s16, 5
	s_cbranch_scc1 .LBB192_1845
; %bb.1841:
	s_cmp_lt_i32 s16, 8
	s_cbranch_scc1 .LBB192_1846
; %bb.1842:
	;; [unrolled: 3-line block ×3, first 2 shown]
	s_cmp_gt_i32 s16, 9
	s_cbranch_scc0 .LBB192_1848
; %bb.1844:
	global_load_dwordx2 v[20:21], v[18:19], off
	s_mov_b64 s[6:7], 0
	s_waitcnt vmcnt(0)
	v_cvt_f32_f64_e32 v3, v[20:21]
	s_branch .LBB192_1849
.LBB192_1845:
                                        ; implicit-def: $vgpr3
	s_branch .LBB192_1867
.LBB192_1846:
	s_mov_b64 s[6:7], -1
                                        ; implicit-def: $vgpr3
	s_branch .LBB192_1855
.LBB192_1847:
	s_mov_b64 s[6:7], -1
                                        ; implicit-def: $vgpr3
	s_branch .LBB192_1852
.LBB192_1848:
	s_mov_b64 s[6:7], -1
                                        ; implicit-def: $vgpr3
.LBB192_1849:
	s_andn2_b64 vcc, exec, s[6:7]
	s_cbranch_vccnz .LBB192_1851
; %bb.1850:
	global_load_dword v3, v[18:19], off
.LBB192_1851:
	s_mov_b64 s[6:7], 0
.LBB192_1852:
	s_andn2_b64 vcc, exec, s[6:7]
	s_cbranch_vccnz .LBB192_1854
; %bb.1853:
	global_load_dword v3, v[18:19], off
	s_waitcnt vmcnt(0)
	v_cvt_f32_f16_e32 v3, v3
.LBB192_1854:
	s_mov_b64 s[6:7], 0
.LBB192_1855:
	s_andn2_b64 vcc, exec, s[6:7]
	s_cbranch_vccnz .LBB192_1866
; %bb.1856:
	s_cmp_lt_i32 s16, 6
	s_cbranch_scc1 .LBB192_1859
; %bb.1857:
	s_cmp_gt_i32 s16, 6
	s_cbranch_scc0 .LBB192_1860
; %bb.1858:
	global_load_dwordx2 v[20:21], v[18:19], off
	s_mov_b64 s[6:7], 0
	s_waitcnt vmcnt(0)
	v_cvt_f32_f64_e32 v3, v[20:21]
	s_branch .LBB192_1861
.LBB192_1859:
	s_mov_b64 s[6:7], -1
                                        ; implicit-def: $vgpr3
	s_branch .LBB192_1864
.LBB192_1860:
	s_mov_b64 s[6:7], -1
                                        ; implicit-def: $vgpr3
.LBB192_1861:
	s_andn2_b64 vcc, exec, s[6:7]
	s_cbranch_vccnz .LBB192_1863
; %bb.1862:
	global_load_dword v3, v[18:19], off
.LBB192_1863:
	s_mov_b64 s[6:7], 0
.LBB192_1864:
	s_andn2_b64 vcc, exec, s[6:7]
	s_cbranch_vccnz .LBB192_1866
; %bb.1865:
	global_load_ushort v3, v[18:19], off
	s_waitcnt vmcnt(0)
	v_cvt_f32_f16_e32 v3, v3
.LBB192_1866:
	s_cbranch_execnz .LBB192_1886
.LBB192_1867:
	s_cmp_lt_i32 s16, 2
	s_cbranch_scc1 .LBB192_1871
; %bb.1868:
	s_cmp_lt_i32 s16, 3
	s_cbranch_scc1 .LBB192_1872
; %bb.1869:
	s_cmp_gt_i32 s16, 3
	s_cbranch_scc0 .LBB192_1873
; %bb.1870:
	global_load_dwordx2 v[20:21], v[18:19], off
	s_mov_b64 s[6:7], 0
	s_waitcnt vmcnt(0)
	v_xor_b32_e32 v5, v20, v21
	v_ffbh_i32_e32 v3, v21
	v_ashrrev_i32_e32 v5, 31, v5
	v_add_u32_e32 v3, -1, v3
	v_add_u32_e32 v5, 32, v5
	v_min_u32_e32 v3, v3, v5
	v_lshlrev_b64 v[20:21], v3, v[20:21]
	v_sub_u32_e32 v3, 32, v3
	v_min_u32_e32 v5, 1, v20
	v_or_b32_e32 v5, v21, v5
	v_cvt_f32_i32_e32 v5, v5
	v_ldexp_f32 v3, v5, v3
	s_branch .LBB192_1874
.LBB192_1871:
	s_mov_b64 s[6:7], -1
                                        ; implicit-def: $vgpr3
	s_branch .LBB192_1880
.LBB192_1872:
	s_mov_b64 s[6:7], -1
                                        ; implicit-def: $vgpr3
	s_branch .LBB192_1877
.LBB192_1873:
	s_mov_b64 s[6:7], -1
                                        ; implicit-def: $vgpr3
.LBB192_1874:
	s_andn2_b64 vcc, exec, s[6:7]
	s_cbranch_vccnz .LBB192_1876
; %bb.1875:
	global_load_dword v3, v[18:19], off
	s_waitcnt vmcnt(0)
	v_cvt_f32_i32_e32 v3, v3
.LBB192_1876:
	s_mov_b64 s[6:7], 0
.LBB192_1877:
	s_andn2_b64 vcc, exec, s[6:7]
	s_cbranch_vccnz .LBB192_1879
; %bb.1878:
	global_load_sshort v3, v[18:19], off
	s_waitcnt vmcnt(0)
	v_cvt_f32_i32_e32 v3, v3
.LBB192_1879:
	s_mov_b64 s[6:7], 0
.LBB192_1880:
	s_andn2_b64 vcc, exec, s[6:7]
	s_cbranch_vccnz .LBB192_1886
; %bb.1881:
	s_cmp_gt_i32 s16, 0
	s_cbranch_scc0 .LBB192_1883
; %bb.1882:
	global_load_sbyte v3, v[18:19], off
	s_mov_b64 s[6:7], 0
	s_waitcnt vmcnt(0)
	v_cvt_f32_i32_e32 v3, v3
	s_branch .LBB192_1884
.LBB192_1883:
	s_mov_b64 s[6:7], -1
                                        ; implicit-def: $vgpr3
.LBB192_1884:
	s_andn2_b64 vcc, exec, s[6:7]
	s_cbranch_vccnz .LBB192_1886
; %bb.1885:
	global_load_ubyte v3, v[18:19], off
	s_waitcnt vmcnt(0)
	v_cvt_f32_ubyte0_e32 v3, v3
.LBB192_1886:
.LBB192_1887:
	s_lshr_b32 s6, s25, 8
	v_mov_b32_e32 v5, s11
	s_and_b32 s24, s6, 0xff
	v_add_co_u32_e32 v16, vcc, s10, v17
	s_cmp_lt_i32 s24, 11
	v_addc_co_u32_e32 v17, vcc, 0, v5, vcc
	s_cbranch_scc1 .LBB192_1894
; %bb.1888:
	s_and_b32 s26, 0xffff, s24
	s_cmp_gt_i32 s26, 25
	s_mov_b64 s[16:17], 0
	s_cbranch_scc0 .LBB192_1896
; %bb.1889:
	s_cmp_gt_i32 s26, 28
	s_cbranch_scc0 .LBB192_1897
; %bb.1890:
	s_cmp_gt_i32 s26, 43
	;; [unrolled: 3-line block ×3, first 2 shown]
	s_cbranch_scc0 .LBB192_1900
; %bb.1892:
	s_cmp_eq_u32 s26, 46
	s_mov_b64 s[20:21], 0
	s_cbranch_scc0 .LBB192_1901
; %bb.1893:
	global_load_dword v5, v[16:17], off
	s_mov_b64 s[6:7], 0
	s_mov_b64 s[18:19], -1
	s_waitcnt vmcnt(0)
	v_lshlrev_b32_e32 v18, 16, v5
	s_branch .LBB192_1902
.LBB192_1894:
	s_mov_b64 s[18:19], 0
                                        ; implicit-def: $vgpr18
	s_cbranch_execnz .LBB192_1968
.LBB192_1895:
	s_andn2_b64 vcc, exec, s[18:19]
	s_cbranch_vccnz .LBB192_3101
	s_branch .LBB192_2016
.LBB192_1896:
	s_mov_b64 s[20:21], -1
	s_mov_b64 s[18:19], 0
	s_mov_b64 s[6:7], 0
                                        ; implicit-def: $vgpr18
	s_branch .LBB192_1931
.LBB192_1897:
	s_mov_b64 s[20:21], -1
	s_mov_b64 s[18:19], 0
	s_mov_b64 s[6:7], 0
                                        ; implicit-def: $vgpr18
	s_branch .LBB192_1912
.LBB192_1898:
	s_mov_b64 s[20:21], -1
	s_mov_b64 s[18:19], 0
	s_mov_b64 s[6:7], 0
                                        ; implicit-def: $vgpr18
	s_branch .LBB192_1907
.LBB192_1899:
	s_trap 2
	s_or_b64 s[4:5], s[4:5], exec
	s_cbranch_execz .LBB192_1838
	s_branch .LBB192_1839
.LBB192_1900:
	s_mov_b64 s[20:21], -1
	s_mov_b64 s[18:19], 0
	s_mov_b64 s[6:7], 0
                                        ; implicit-def: $vgpr18
	s_branch .LBB192_1902
.LBB192_1901:
	s_mov_b64 s[6:7], -1
                                        ; implicit-def: $vgpr18
	s_mov_b64 s[18:19], 0
.LBB192_1902:
	s_and_b64 vcc, exec, s[20:21]
	s_cbranch_vccz .LBB192_1906
; %bb.1903:
	s_cmp_eq_u32 s26, 44
	s_cbranch_scc0 .LBB192_1905
; %bb.1904:
	global_load_ubyte v5, v[16:17], off
	s_movk_i32 s18, 0xff
	v_mov_b32_e32 v8, 0x7f800001
	v_mov_b32_e32 v10, 0x400000
	s_mov_b64 s[6:7], 0
	s_waitcnt vmcnt(0)
	v_lshlrev_b32_e32 v12, 23, v5
	v_cmp_ne_u32_e32 vcc, s18, v5
	v_cndmask_b32_e32 v8, v8, v12, vcc
	v_cmp_ne_u32_e32 vcc, 0, v5
	v_cndmask_b32_e32 v18, v10, v8, vcc
	s_mov_b64 s[18:19], -1
	s_branch .LBB192_1906
.LBB192_1905:
	s_mov_b64 s[6:7], -1
                                        ; implicit-def: $vgpr18
.LBB192_1906:
	s_mov_b64 s[20:21], 0
.LBB192_1907:
	s_and_b64 vcc, exec, s[20:21]
	s_cbranch_vccz .LBB192_1911
; %bb.1908:
	s_cmp_eq_u32 s26, 29
	s_cbranch_scc0 .LBB192_1910
; %bb.1909:
	global_load_dwordx2 v[18:19], v[16:17], off
	s_mov_b64 s[6:7], 0
	s_mov_b64 s[18:19], -1
	s_mov_b64 s[20:21], 0
	s_waitcnt vmcnt(0)
	v_ffbh_u32_e32 v5, v19
	v_min_u32_e32 v5, 32, v5
	v_lshlrev_b64 v[18:19], v5, v[18:19]
	v_sub_u32_e32 v5, 32, v5
	v_min_u32_e32 v8, 1, v18
	v_or_b32_e32 v8, v19, v8
	v_cvt_f32_u32_e32 v8, v8
	v_ldexp_f32 v18, v8, v5
	s_branch .LBB192_1912
.LBB192_1910:
	s_mov_b64 s[6:7], -1
                                        ; implicit-def: $vgpr18
.LBB192_1911:
	s_mov_b64 s[20:21], 0
.LBB192_1912:
	s_and_b64 vcc, exec, s[20:21]
	s_cbranch_vccz .LBB192_1930
; %bb.1913:
	s_cmp_lt_i32 s26, 27
	s_cbranch_scc1 .LBB192_1916
; %bb.1914:
	s_cmp_gt_i32 s26, 27
	s_cbranch_scc0 .LBB192_1917
; %bb.1915:
	global_load_dword v5, v[16:17], off
	s_mov_b64 s[18:19], 0
	s_waitcnt vmcnt(0)
	v_cvt_f32_u32_e32 v18, v5
	s_branch .LBB192_1918
.LBB192_1916:
	s_mov_b64 s[18:19], -1
                                        ; implicit-def: $vgpr18
	s_branch .LBB192_1921
.LBB192_1917:
	s_mov_b64 s[18:19], -1
                                        ; implicit-def: $vgpr18
.LBB192_1918:
	s_andn2_b64 vcc, exec, s[18:19]
	s_cbranch_vccnz .LBB192_1920
; %bb.1919:
	global_load_ushort v5, v[16:17], off
	s_waitcnt vmcnt(0)
	v_cvt_f32_u32_e32 v18, v5
.LBB192_1920:
	s_mov_b64 s[18:19], 0
.LBB192_1921:
	s_andn2_b64 vcc, exec, s[18:19]
	s_cbranch_vccnz .LBB192_1929
; %bb.1922:
	global_load_ubyte v5, v[16:17], off
	s_movk_i32 s18, 0x7f
	s_waitcnt vmcnt(0)
	v_cmp_lt_i16_e32 vcc, s18, v5
	s_mov_b64 s[18:19], 0
	s_and_saveexec_b64 s[20:21], vcc
	s_xor_b64 s[20:21], exec, s[20:21]
	s_cbranch_execz .LBB192_1943
; %bb.1923:
	s_movk_i32 s18, 0x80
	v_cmp_eq_u16_e32 vcc, s18, v5
	s_mov_b64 s[18:19], -1
	s_and_saveexec_b64 s[22:23], vcc
; %bb.1924:
	s_xor_b64 s[18:19], exec, -1
; %bb.1925:
	s_or_b64 exec, exec, s[22:23]
	s_and_b64 s[18:19], s[18:19], exec
	s_or_saveexec_b64 s[20:21], s[20:21]
	v_mov_b32_e32 v18, 0x7f800001
	s_xor_b64 exec, exec, s[20:21]
	s_cbranch_execnz .LBB192_1944
.LBB192_1926:
	s_or_b64 exec, exec, s[20:21]
	s_and_saveexec_b64 s[20:21], s[18:19]
	s_cbranch_execz .LBB192_1928
.LBB192_1927:
	v_lshlrev_b32_e32 v8, 24, v5
	v_and_b32_e32 v5, 0xffff, v5
	v_and_b32_e32 v10, 7, v5
	v_ffbh_u32_e32 v14, v10
	v_min_u32_e32 v14, 32, v14
	v_subrev_u32_e32 v18, 28, v14
	v_bfe_u32 v12, v5, 3, 4
	v_lshlrev_b32_e32 v5, v18, v5
	v_sub_u32_e32 v14, 29, v14
	v_and_b32_e32 v5, 7, v5
	v_cmp_eq_u32_e32 vcc, 0, v12
	v_cndmask_b32_e32 v12, v12, v14, vcc
	v_cndmask_b32_e32 v5, v10, v5, vcc
	v_mov_b32_e32 v10, 0x3b800000
	v_lshlrev_b32_e32 v5, 20, v5
	v_and_b32_e32 v8, 0x80000000, v8
	v_lshl_add_u32 v10, v12, 23, v10
	v_or3_b32 v18, v8, v10, v5
.LBB192_1928:
	s_or_b64 exec, exec, s[20:21]
.LBB192_1929:
	s_mov_b64 s[18:19], -1
.LBB192_1930:
	s_mov_b64 s[20:21], 0
.LBB192_1931:
	s_and_b64 vcc, exec, s[20:21]
	s_cbranch_vccz .LBB192_1964
; %bb.1932:
	s_cmp_gt_i32 s26, 22
	s_cbranch_scc0 .LBB192_1942
; %bb.1933:
	s_cmp_lt_i32 s26, 24
	s_cbranch_scc1 .LBB192_1945
; %bb.1934:
	s_cmp_gt_i32 s26, 24
	s_cbranch_scc0 .LBB192_1946
; %bb.1935:
	global_load_ubyte v5, v[16:17], off
	s_movk_i32 s16, 0x7f
	s_waitcnt vmcnt(0)
	v_cmp_lt_i16_e32 vcc, s16, v5
	s_mov_b64 s[16:17], 0
	s_and_saveexec_b64 s[18:19], vcc
	s_xor_b64 s[18:19], exec, s[18:19]
	s_cbranch_execz .LBB192_1958
; %bb.1936:
	s_movk_i32 s16, 0x80
	v_cmp_eq_u16_e32 vcc, s16, v5
	s_mov_b64 s[16:17], -1
	s_and_saveexec_b64 s[20:21], vcc
; %bb.1937:
	s_xor_b64 s[16:17], exec, -1
; %bb.1938:
	s_or_b64 exec, exec, s[20:21]
	s_and_b64 s[16:17], s[16:17], exec
	s_or_saveexec_b64 s[18:19], s[18:19]
	v_mov_b32_e32 v18, 0x7f800001
	s_xor_b64 exec, exec, s[18:19]
	s_cbranch_execnz .LBB192_1959
.LBB192_1939:
	s_or_b64 exec, exec, s[18:19]
	s_and_saveexec_b64 s[18:19], s[16:17]
	s_cbranch_execz .LBB192_1941
.LBB192_1940:
	v_lshlrev_b32_e32 v8, 24, v5
	v_and_b32_e32 v5, 0xffff, v5
	v_and_b32_e32 v10, 3, v5
	v_ffbh_u32_e32 v14, v10
	v_min_u32_e32 v14, 32, v14
	v_subrev_u32_e32 v18, 29, v14
	v_bfe_u32 v12, v5, 2, 5
	v_lshlrev_b32_e32 v5, v18, v5
	v_sub_u32_e32 v14, 30, v14
	v_and_b32_e32 v5, 3, v5
	v_cmp_eq_u32_e32 vcc, 0, v12
	v_cndmask_b32_e32 v12, v12, v14, vcc
	v_cndmask_b32_e32 v5, v10, v5, vcc
	v_mov_b32_e32 v10, 0x37800000
	v_lshlrev_b32_e32 v5, 21, v5
	v_and_b32_e32 v8, 0x80000000, v8
	v_lshl_add_u32 v10, v12, 23, v10
	v_or3_b32 v18, v8, v10, v5
.LBB192_1941:
	s_or_b64 exec, exec, s[18:19]
	s_mov_b64 s[16:17], 0
	s_branch .LBB192_1947
.LBB192_1942:
	s_mov_b64 s[16:17], -1
                                        ; implicit-def: $vgpr18
	s_branch .LBB192_1953
.LBB192_1943:
	s_or_saveexec_b64 s[20:21], s[20:21]
	v_mov_b32_e32 v18, 0x7f800001
	s_xor_b64 exec, exec, s[20:21]
	s_cbranch_execz .LBB192_1926
.LBB192_1944:
	v_cmp_ne_u16_e32 vcc, 0, v5
	s_andn2_b64 s[18:19], s[18:19], exec
	s_and_b64 s[22:23], vcc, exec
	v_mov_b32_e32 v18, 0
	s_or_b64 s[18:19], s[18:19], s[22:23]
	s_or_b64 exec, exec, s[20:21]
	s_and_saveexec_b64 s[20:21], s[18:19]
	s_cbranch_execnz .LBB192_1927
	s_branch .LBB192_1928
.LBB192_1945:
	s_mov_b64 s[16:17], -1
                                        ; implicit-def: $vgpr18
	s_branch .LBB192_1950
.LBB192_1946:
	s_mov_b64 s[16:17], -1
                                        ; implicit-def: $vgpr18
.LBB192_1947:
	s_and_b64 vcc, exec, s[16:17]
	s_cbranch_vccz .LBB192_1949
; %bb.1948:
	global_load_ubyte v5, v[16:17], off
	s_mov_b32 s16, 0x7f800000
	s_waitcnt vmcnt(0)
	v_lshlrev_b32_e32 v5, 24, v5
	v_and_b32_e32 v8, 0x7f000000, v5
	v_ffbh_u32_e32 v10, v8
	v_min_u32_e32 v10, 32, v10
	v_sub_u32_e64 v10, v10, 4 clamp
	v_lshlrev_b32_e32 v14, v10, v8
	v_lshlrev_b32_e32 v10, 23, v10
	v_lshrrev_b32_e32 v14, 4, v14
	v_add_u32_e32 v12, 0x1000000, v8
	v_sub_u32_e32 v10, v14, v10
	v_ashrrev_i32_e32 v12, 8, v12
	v_add_u32_e32 v10, 0x3c000000, v10
	v_and_or_b32 v10, v12, s16, v10
	v_cmp_ne_u32_e32 vcc, 0, v8
	v_cndmask_b32_e32 v8, 0, v10, vcc
	s_brev_b32 s16, 1
	v_and_or_b32 v18, v5, s16, v8
.LBB192_1949:
	s_mov_b64 s[16:17], 0
.LBB192_1950:
	s_andn2_b64 vcc, exec, s[16:17]
	s_cbranch_vccnz .LBB192_1952
; %bb.1951:
	global_load_ubyte v5, v[16:17], off
	s_movk_i32 s16, 0x7f00
	s_brev_b32 s17, 16
	s_waitcnt vmcnt(0)
	v_lshlrev_b16_e32 v8, 8, v5
	v_lshlrev_b32_e32 v5, 25, v5
	v_lshrrev_b32_e32 v10, 4, v5
	v_and_or_b32 v12, v8, s16, 0.5
	v_or_b32_e32 v10, 0x70000000, v10
	v_add_f32_e32 v12, -0.5, v12
	v_mul_f32_e32 v10, 0x7800000, v10
	v_cmp_gt_u32_e32 vcc, s17, v5
	v_bfe_i32 v8, v8, 0, 16
	v_cndmask_b32_e32 v5, v10, v12, vcc
	s_brev_b32 s16, 1
	v_and_or_b32 v18, v8, s16, v5
.LBB192_1952:
	s_mov_b64 s[16:17], 0
	s_mov_b64 s[18:19], -1
.LBB192_1953:
	s_andn2_b64 vcc, exec, s[16:17]
	s_mov_b64 s[16:17], 0
	s_cbranch_vccnz .LBB192_1964
; %bb.1954:
	s_cmp_gt_i32 s26, 14
	s_cbranch_scc0 .LBB192_1957
; %bb.1955:
	s_cmp_eq_u32 s26, 15
	s_cbranch_scc0 .LBB192_1960
; %bb.1956:
	global_load_ushort v5, v[16:17], off
	s_mov_b64 s[6:7], 0
	s_mov_b64 s[18:19], -1
	s_waitcnt vmcnt(0)
	v_lshlrev_b32_e32 v18, 16, v5
	s_branch .LBB192_1961
.LBB192_1957:
	s_mov_b64 s[20:21], -1
                                        ; implicit-def: $vgpr18
	s_branch .LBB192_1962
.LBB192_1958:
	s_or_saveexec_b64 s[18:19], s[18:19]
	v_mov_b32_e32 v18, 0x7f800001
	s_xor_b64 exec, exec, s[18:19]
	s_cbranch_execz .LBB192_1939
.LBB192_1959:
	v_cmp_ne_u16_e32 vcc, 0, v5
	s_andn2_b64 s[16:17], s[16:17], exec
	s_and_b64 s[20:21], vcc, exec
	v_mov_b32_e32 v18, 0
	s_or_b64 s[16:17], s[16:17], s[20:21]
	s_or_b64 exec, exec, s[18:19]
	s_and_saveexec_b64 s[18:19], s[16:17]
	s_cbranch_execnz .LBB192_1940
	s_branch .LBB192_1941
.LBB192_1960:
	s_mov_b64 s[6:7], -1
                                        ; implicit-def: $vgpr18
.LBB192_1961:
	s_mov_b64 s[20:21], 0
.LBB192_1962:
	s_and_b64 vcc, exec, s[20:21]
	s_cbranch_vccz .LBB192_1964
; %bb.1963:
	s_cmp_lg_u32 s26, 11
	s_mov_b64 s[16:17], -1
	s_cselect_b64 s[6:7], -1, 0
.LBB192_1964:
	s_and_b64 vcc, exec, s[6:7]
	s_cbranch_vccnz .LBB192_2027
; %bb.1965:
	s_andn2_b64 vcc, exec, s[16:17]
	s_cbranch_vccnz .LBB192_1967
.LBB192_1966:
	global_load_ubyte v5, v[16:17], off
	s_mov_b64 s[18:19], -1
	s_waitcnt vmcnt(0)
	v_cmp_ne_u16_e32 vcc, 0, v5
	v_cndmask_b32_e64 v18, 0, 1.0, vcc
.LBB192_1967:
	s_branch .LBB192_1895
.LBB192_1968:
	s_and_b32 s16, 0xffff, s24
	s_cmp_lt_i32 s16, 5
	s_cbranch_scc1 .LBB192_1973
; %bb.1969:
	s_cmp_lt_i32 s16, 8
	s_cbranch_scc1 .LBB192_1974
; %bb.1970:
	;; [unrolled: 3-line block ×3, first 2 shown]
	s_cmp_gt_i32 s16, 9
	s_cbranch_scc0 .LBB192_1976
; %bb.1972:
	global_load_dwordx2 v[18:19], v[16:17], off
	s_mov_b64 s[6:7], 0
	s_waitcnt vmcnt(0)
	v_cvt_f32_f64_e32 v18, v[18:19]
	s_branch .LBB192_1977
.LBB192_1973:
	s_mov_b64 s[6:7], -1
                                        ; implicit-def: $vgpr18
	s_branch .LBB192_1995
.LBB192_1974:
	s_mov_b64 s[6:7], -1
                                        ; implicit-def: $vgpr18
	s_branch .LBB192_1983
.LBB192_1975:
	s_mov_b64 s[6:7], -1
                                        ; implicit-def: $vgpr18
	s_branch .LBB192_1980
.LBB192_1976:
	s_mov_b64 s[6:7], -1
                                        ; implicit-def: $vgpr18
.LBB192_1977:
	s_andn2_b64 vcc, exec, s[6:7]
	s_cbranch_vccnz .LBB192_1979
; %bb.1978:
	global_load_dword v18, v[16:17], off
.LBB192_1979:
	s_mov_b64 s[6:7], 0
.LBB192_1980:
	s_andn2_b64 vcc, exec, s[6:7]
	s_cbranch_vccnz .LBB192_1982
; %bb.1981:
	global_load_dword v5, v[16:17], off
	s_waitcnt vmcnt(0)
	v_cvt_f32_f16_e32 v18, v5
.LBB192_1982:
	s_mov_b64 s[6:7], 0
.LBB192_1983:
	s_andn2_b64 vcc, exec, s[6:7]
	s_cbranch_vccnz .LBB192_1994
; %bb.1984:
	s_cmp_lt_i32 s16, 6
	s_cbranch_scc1 .LBB192_1987
; %bb.1985:
	s_cmp_gt_i32 s16, 6
	s_cbranch_scc0 .LBB192_1988
; %bb.1986:
	global_load_dwordx2 v[18:19], v[16:17], off
	s_mov_b64 s[6:7], 0
	s_waitcnt vmcnt(0)
	v_cvt_f32_f64_e32 v18, v[18:19]
	s_branch .LBB192_1989
.LBB192_1987:
	s_mov_b64 s[6:7], -1
                                        ; implicit-def: $vgpr18
	s_branch .LBB192_1992
.LBB192_1988:
	s_mov_b64 s[6:7], -1
                                        ; implicit-def: $vgpr18
.LBB192_1989:
	s_andn2_b64 vcc, exec, s[6:7]
	s_cbranch_vccnz .LBB192_1991
; %bb.1990:
	global_load_dword v18, v[16:17], off
.LBB192_1991:
	s_mov_b64 s[6:7], 0
.LBB192_1992:
	s_andn2_b64 vcc, exec, s[6:7]
	s_cbranch_vccnz .LBB192_1994
; %bb.1993:
	global_load_ushort v5, v[16:17], off
	s_waitcnt vmcnt(0)
	v_cvt_f32_f16_e32 v18, v5
.LBB192_1994:
	s_mov_b64 s[6:7], 0
.LBB192_1995:
	s_andn2_b64 vcc, exec, s[6:7]
	s_cbranch_vccnz .LBB192_2015
; %bb.1996:
	s_cmp_lt_i32 s16, 2
	s_cbranch_scc1 .LBB192_2000
; %bb.1997:
	s_cmp_lt_i32 s16, 3
	s_cbranch_scc1 .LBB192_2001
; %bb.1998:
	s_cmp_gt_i32 s16, 3
	s_cbranch_scc0 .LBB192_2002
; %bb.1999:
	global_load_dwordx2 v[18:19], v[16:17], off
	s_mov_b64 s[6:7], 0
	s_waitcnt vmcnt(0)
	v_xor_b32_e32 v8, v18, v19
	v_ffbh_i32_e32 v5, v19
	v_ashrrev_i32_e32 v8, 31, v8
	v_add_u32_e32 v5, -1, v5
	v_add_u32_e32 v8, 32, v8
	v_min_u32_e32 v5, v5, v8
	v_lshlrev_b64 v[18:19], v5, v[18:19]
	v_sub_u32_e32 v5, 32, v5
	v_min_u32_e32 v8, 1, v18
	v_or_b32_e32 v8, v19, v8
	v_cvt_f32_i32_e32 v8, v8
	v_ldexp_f32 v18, v8, v5
	s_branch .LBB192_2003
.LBB192_2000:
	s_mov_b64 s[6:7], -1
                                        ; implicit-def: $vgpr18
	s_branch .LBB192_2009
.LBB192_2001:
	s_mov_b64 s[6:7], -1
                                        ; implicit-def: $vgpr18
	s_branch .LBB192_2006
.LBB192_2002:
	s_mov_b64 s[6:7], -1
                                        ; implicit-def: $vgpr18
.LBB192_2003:
	s_andn2_b64 vcc, exec, s[6:7]
	s_cbranch_vccnz .LBB192_2005
; %bb.2004:
	global_load_dword v5, v[16:17], off
	s_waitcnt vmcnt(0)
	v_cvt_f32_i32_e32 v18, v5
.LBB192_2005:
	s_mov_b64 s[6:7], 0
.LBB192_2006:
	s_andn2_b64 vcc, exec, s[6:7]
	s_cbranch_vccnz .LBB192_2008
; %bb.2007:
	global_load_sshort v5, v[16:17], off
	s_waitcnt vmcnt(0)
	v_cvt_f32_i32_e32 v18, v5
.LBB192_2008:
	s_mov_b64 s[6:7], 0
.LBB192_2009:
	s_andn2_b64 vcc, exec, s[6:7]
	s_cbranch_vccnz .LBB192_2015
; %bb.2010:
	s_cmp_gt_i32 s16, 0
	s_cbranch_scc0 .LBB192_2012
; %bb.2011:
	global_load_sbyte v5, v[16:17], off
	s_mov_b64 s[6:7], 0
	s_waitcnt vmcnt(0)
	v_cvt_f32_i32_e32 v18, v5
	s_branch .LBB192_2013
.LBB192_2012:
	s_mov_b64 s[6:7], -1
                                        ; implicit-def: $vgpr18
.LBB192_2013:
	s_andn2_b64 vcc, exec, s[6:7]
	s_cbranch_vccnz .LBB192_2015
; %bb.2014:
	global_load_ubyte v5, v[16:17], off
	s_waitcnt vmcnt(0)
	v_cvt_f32_ubyte0_e32 v18, v5
.LBB192_2015:
.LBB192_2016:
	s_lshr_b32 s6, s25, 16
	v_mov_b32_e32 v5, s1
	s_and_b32 s25, s6, 0xff
	v_add_co_u32_e32 v14, vcc, s0, v15
	s_cmp_lt_i32 s25, 11
	v_addc_co_u32_e32 v15, vcc, 0, v5, vcc
	s_cbranch_scc1 .LBB192_2023
; %bb.2017:
	s_and_b32 s26, 0xffff, s25
	s_cmp_gt_i32 s26, 25
	s_mov_b64 s[16:17], 0
	s_cbranch_scc0 .LBB192_2024
; %bb.2018:
	s_cmp_gt_i32 s26, 28
	s_cbranch_scc0 .LBB192_2025
; %bb.2019:
	s_cmp_gt_i32 s26, 43
	s_cbranch_scc0 .LBB192_2026
; %bb.2020:
	s_cmp_gt_i32 s26, 45
	s_cbranch_scc0 .LBB192_2028
; %bb.2021:
	s_cmp_eq_u32 s26, 46
	s_mov_b64 s[20:21], 0
	s_cbranch_scc0 .LBB192_2029
; %bb.2022:
	global_load_dword v5, v[14:15], off
	s_mov_b64 s[6:7], 0
	s_mov_b64 s[18:19], -1
	s_waitcnt vmcnt(0)
	v_lshlrev_b32_e32 v16, 16, v5
	s_branch .LBB192_2030
.LBB192_2023:
	s_mov_b64 s[6:7], -1
	s_mov_b64 s[18:19], 0
                                        ; implicit-def: $vgpr16
	s_branch .LBB192_2096
.LBB192_2024:
	s_mov_b64 s[20:21], -1
	s_mov_b64 s[18:19], 0
	s_mov_b64 s[6:7], 0
                                        ; implicit-def: $vgpr16
	s_branch .LBB192_2059
.LBB192_2025:
	s_mov_b64 s[20:21], -1
	s_mov_b64 s[18:19], 0
	s_mov_b64 s[6:7], 0
                                        ; implicit-def: $vgpr16
	s_branch .LBB192_2040
.LBB192_2026:
	s_mov_b64 s[20:21], -1
	s_mov_b64 s[18:19], 0
	s_mov_b64 s[6:7], 0
                                        ; implicit-def: $vgpr16
	s_branch .LBB192_2035
.LBB192_2027:
	s_trap 2
	s_or_b64 s[4:5], s[4:5], exec
	s_cbranch_execz .LBB192_1966
	s_branch .LBB192_1967
.LBB192_2028:
	s_mov_b64 s[20:21], -1
	s_mov_b64 s[18:19], 0
	s_mov_b64 s[6:7], 0
                                        ; implicit-def: $vgpr16
	s_branch .LBB192_2030
.LBB192_2029:
	s_mov_b64 s[6:7], -1
                                        ; implicit-def: $vgpr16
	s_mov_b64 s[18:19], 0
.LBB192_2030:
	s_and_b64 vcc, exec, s[20:21]
	s_cbranch_vccz .LBB192_2034
; %bb.2031:
	s_cmp_eq_u32 s26, 44
	s_cbranch_scc0 .LBB192_2033
; %bb.2032:
	global_load_ubyte v5, v[14:15], off
	s_movk_i32 s18, 0xff
	v_mov_b32_e32 v8, 0x7f800001
	v_mov_b32_e32 v10, 0x400000
	s_mov_b64 s[6:7], 0
	s_waitcnt vmcnt(0)
	v_lshlrev_b32_e32 v12, 23, v5
	v_cmp_ne_u32_e32 vcc, s18, v5
	v_cndmask_b32_e32 v8, v8, v12, vcc
	v_cmp_ne_u32_e32 vcc, 0, v5
	v_cndmask_b32_e32 v16, v10, v8, vcc
	s_mov_b64 s[18:19], -1
	s_branch .LBB192_2034
.LBB192_2033:
	s_mov_b64 s[6:7], -1
                                        ; implicit-def: $vgpr16
.LBB192_2034:
	s_mov_b64 s[20:21], 0
.LBB192_2035:
	s_and_b64 vcc, exec, s[20:21]
	s_cbranch_vccz .LBB192_2039
; %bb.2036:
	s_cmp_eq_u32 s26, 29
	s_cbranch_scc0 .LBB192_2038
; %bb.2037:
	global_load_dwordx2 v[16:17], v[14:15], off
	s_mov_b64 s[6:7], 0
	s_mov_b64 s[18:19], -1
	s_mov_b64 s[20:21], 0
	s_waitcnt vmcnt(0)
	v_ffbh_u32_e32 v5, v17
	v_min_u32_e32 v5, 32, v5
	v_lshlrev_b64 v[16:17], v5, v[16:17]
	v_sub_u32_e32 v5, 32, v5
	v_min_u32_e32 v8, 1, v16
	v_or_b32_e32 v8, v17, v8
	v_cvt_f32_u32_e32 v8, v8
	v_ldexp_f32 v16, v8, v5
	s_branch .LBB192_2040
.LBB192_2038:
	s_mov_b64 s[6:7], -1
                                        ; implicit-def: $vgpr16
.LBB192_2039:
	s_mov_b64 s[20:21], 0
.LBB192_2040:
	s_and_b64 vcc, exec, s[20:21]
	s_cbranch_vccz .LBB192_2058
; %bb.2041:
	s_cmp_lt_i32 s26, 27
	s_cbranch_scc1 .LBB192_2044
; %bb.2042:
	s_cmp_gt_i32 s26, 27
	s_cbranch_scc0 .LBB192_2045
; %bb.2043:
	global_load_dword v5, v[14:15], off
	s_mov_b64 s[18:19], 0
	s_waitcnt vmcnt(0)
	v_cvt_f32_u32_e32 v16, v5
	s_branch .LBB192_2046
.LBB192_2044:
	s_mov_b64 s[18:19], -1
                                        ; implicit-def: $vgpr16
	s_branch .LBB192_2049
.LBB192_2045:
	s_mov_b64 s[18:19], -1
                                        ; implicit-def: $vgpr16
.LBB192_2046:
	s_andn2_b64 vcc, exec, s[18:19]
	s_cbranch_vccnz .LBB192_2048
; %bb.2047:
	global_load_ushort v5, v[14:15], off
	s_waitcnt vmcnt(0)
	v_cvt_f32_u32_e32 v16, v5
.LBB192_2048:
	s_mov_b64 s[18:19], 0
.LBB192_2049:
	s_andn2_b64 vcc, exec, s[18:19]
	s_cbranch_vccnz .LBB192_2057
; %bb.2050:
	global_load_ubyte v5, v[14:15], off
	s_movk_i32 s18, 0x7f
	s_waitcnt vmcnt(0)
	v_cmp_lt_i16_e32 vcc, s18, v5
	s_mov_b64 s[18:19], 0
	s_and_saveexec_b64 s[20:21], vcc
	s_xor_b64 s[20:21], exec, s[20:21]
	s_cbranch_execz .LBB192_2071
; %bb.2051:
	s_movk_i32 s18, 0x80
	v_cmp_eq_u16_e32 vcc, s18, v5
	s_mov_b64 s[18:19], -1
	s_and_saveexec_b64 s[22:23], vcc
; %bb.2052:
	s_xor_b64 s[18:19], exec, -1
; %bb.2053:
	s_or_b64 exec, exec, s[22:23]
	s_and_b64 s[18:19], s[18:19], exec
	s_or_saveexec_b64 s[20:21], s[20:21]
	v_mov_b32_e32 v16, 0x7f800001
	s_xor_b64 exec, exec, s[20:21]
	s_cbranch_execnz .LBB192_2072
.LBB192_2054:
	s_or_b64 exec, exec, s[20:21]
	s_and_saveexec_b64 s[20:21], s[18:19]
	s_cbranch_execz .LBB192_2056
.LBB192_2055:
	v_lshlrev_b32_e32 v8, 24, v5
	v_and_b32_e32 v5, 0xffff, v5
	v_and_b32_e32 v10, 7, v5
	v_ffbh_u32_e32 v16, v10
	v_min_u32_e32 v16, 32, v16
	v_subrev_u32_e32 v17, 28, v16
	v_bfe_u32 v12, v5, 3, 4
	v_lshlrev_b32_e32 v5, v17, v5
	v_sub_u32_e32 v16, 29, v16
	v_and_b32_e32 v5, 7, v5
	v_cmp_eq_u32_e32 vcc, 0, v12
	v_cndmask_b32_e32 v12, v12, v16, vcc
	v_cndmask_b32_e32 v5, v10, v5, vcc
	v_mov_b32_e32 v10, 0x3b800000
	v_lshlrev_b32_e32 v5, 20, v5
	v_and_b32_e32 v8, 0x80000000, v8
	v_lshl_add_u32 v10, v12, 23, v10
	v_or3_b32 v16, v8, v10, v5
.LBB192_2056:
	s_or_b64 exec, exec, s[20:21]
.LBB192_2057:
	s_mov_b64 s[18:19], -1
.LBB192_2058:
	s_mov_b64 s[20:21], 0
.LBB192_2059:
	s_and_b64 vcc, exec, s[20:21]
	s_cbranch_vccz .LBB192_2092
; %bb.2060:
	s_cmp_gt_i32 s26, 22
	s_cbranch_scc0 .LBB192_2070
; %bb.2061:
	s_cmp_lt_i32 s26, 24
	s_cbranch_scc1 .LBB192_2073
; %bb.2062:
	s_cmp_gt_i32 s26, 24
	s_cbranch_scc0 .LBB192_2074
; %bb.2063:
	global_load_ubyte v5, v[14:15], off
	s_movk_i32 s16, 0x7f
	s_waitcnt vmcnt(0)
	v_cmp_lt_i16_e32 vcc, s16, v5
	s_mov_b64 s[16:17], 0
	s_and_saveexec_b64 s[18:19], vcc
	s_xor_b64 s[18:19], exec, s[18:19]
	s_cbranch_execz .LBB192_2086
; %bb.2064:
	s_movk_i32 s16, 0x80
	v_cmp_eq_u16_e32 vcc, s16, v5
	s_mov_b64 s[16:17], -1
	s_and_saveexec_b64 s[20:21], vcc
; %bb.2065:
	s_xor_b64 s[16:17], exec, -1
; %bb.2066:
	s_or_b64 exec, exec, s[20:21]
	s_and_b64 s[16:17], s[16:17], exec
	s_or_saveexec_b64 s[18:19], s[18:19]
	v_mov_b32_e32 v16, 0x7f800001
	s_xor_b64 exec, exec, s[18:19]
	s_cbranch_execnz .LBB192_2087
.LBB192_2067:
	s_or_b64 exec, exec, s[18:19]
	s_and_saveexec_b64 s[18:19], s[16:17]
	s_cbranch_execz .LBB192_2069
.LBB192_2068:
	v_lshlrev_b32_e32 v8, 24, v5
	v_and_b32_e32 v5, 0xffff, v5
	v_and_b32_e32 v10, 3, v5
	v_ffbh_u32_e32 v16, v10
	v_min_u32_e32 v16, 32, v16
	v_subrev_u32_e32 v17, 29, v16
	v_bfe_u32 v12, v5, 2, 5
	v_lshlrev_b32_e32 v5, v17, v5
	v_sub_u32_e32 v16, 30, v16
	v_and_b32_e32 v5, 3, v5
	v_cmp_eq_u32_e32 vcc, 0, v12
	v_cndmask_b32_e32 v12, v12, v16, vcc
	v_cndmask_b32_e32 v5, v10, v5, vcc
	v_mov_b32_e32 v10, 0x37800000
	v_lshlrev_b32_e32 v5, 21, v5
	v_and_b32_e32 v8, 0x80000000, v8
	v_lshl_add_u32 v10, v12, 23, v10
	v_or3_b32 v16, v8, v10, v5
.LBB192_2069:
	s_or_b64 exec, exec, s[18:19]
	s_mov_b64 s[16:17], 0
	s_branch .LBB192_2075
.LBB192_2070:
	s_mov_b64 s[16:17], -1
                                        ; implicit-def: $vgpr16
	s_branch .LBB192_2081
.LBB192_2071:
	s_or_saveexec_b64 s[20:21], s[20:21]
	v_mov_b32_e32 v16, 0x7f800001
	s_xor_b64 exec, exec, s[20:21]
	s_cbranch_execz .LBB192_2054
.LBB192_2072:
	v_cmp_ne_u16_e32 vcc, 0, v5
	s_andn2_b64 s[18:19], s[18:19], exec
	s_and_b64 s[22:23], vcc, exec
	v_mov_b32_e32 v16, 0
	s_or_b64 s[18:19], s[18:19], s[22:23]
	s_or_b64 exec, exec, s[20:21]
	s_and_saveexec_b64 s[20:21], s[18:19]
	s_cbranch_execnz .LBB192_2055
	s_branch .LBB192_2056
.LBB192_2073:
	s_mov_b64 s[16:17], -1
                                        ; implicit-def: $vgpr16
	s_branch .LBB192_2078
.LBB192_2074:
	s_mov_b64 s[16:17], -1
                                        ; implicit-def: $vgpr16
.LBB192_2075:
	s_and_b64 vcc, exec, s[16:17]
	s_cbranch_vccz .LBB192_2077
; %bb.2076:
	global_load_ubyte v5, v[14:15], off
	s_mov_b32 s16, 0x7f800000
	s_waitcnt vmcnt(0)
	v_lshlrev_b32_e32 v5, 24, v5
	v_and_b32_e32 v8, 0x7f000000, v5
	v_ffbh_u32_e32 v10, v8
	v_min_u32_e32 v10, 32, v10
	v_sub_u32_e64 v10, v10, 4 clamp
	v_lshlrev_b32_e32 v16, v10, v8
	v_lshlrev_b32_e32 v10, 23, v10
	v_lshrrev_b32_e32 v16, 4, v16
	v_add_u32_e32 v12, 0x1000000, v8
	v_sub_u32_e32 v10, v16, v10
	v_ashrrev_i32_e32 v12, 8, v12
	v_add_u32_e32 v10, 0x3c000000, v10
	v_and_or_b32 v10, v12, s16, v10
	v_cmp_ne_u32_e32 vcc, 0, v8
	v_cndmask_b32_e32 v8, 0, v10, vcc
	s_brev_b32 s16, 1
	v_and_or_b32 v16, v5, s16, v8
.LBB192_2077:
	s_mov_b64 s[16:17], 0
.LBB192_2078:
	s_andn2_b64 vcc, exec, s[16:17]
	s_cbranch_vccnz .LBB192_2080
; %bb.2079:
	global_load_ubyte v5, v[14:15], off
	s_movk_i32 s16, 0x7f00
	s_brev_b32 s17, 16
	s_waitcnt vmcnt(0)
	v_lshlrev_b16_e32 v8, 8, v5
	v_lshlrev_b32_e32 v5, 25, v5
	v_lshrrev_b32_e32 v10, 4, v5
	v_and_or_b32 v12, v8, s16, 0.5
	v_or_b32_e32 v10, 0x70000000, v10
	v_add_f32_e32 v12, -0.5, v12
	v_mul_f32_e32 v10, 0x7800000, v10
	v_cmp_gt_u32_e32 vcc, s17, v5
	v_bfe_i32 v8, v8, 0, 16
	v_cndmask_b32_e32 v5, v10, v12, vcc
	s_brev_b32 s16, 1
	v_and_or_b32 v16, v8, s16, v5
.LBB192_2080:
	s_mov_b64 s[16:17], 0
	s_mov_b64 s[18:19], -1
.LBB192_2081:
	s_andn2_b64 vcc, exec, s[16:17]
	s_mov_b64 s[16:17], 0
	s_cbranch_vccnz .LBB192_2092
; %bb.2082:
	s_cmp_gt_i32 s26, 14
	s_cbranch_scc0 .LBB192_2085
; %bb.2083:
	s_cmp_eq_u32 s26, 15
	s_cbranch_scc0 .LBB192_2088
; %bb.2084:
	global_load_ushort v5, v[14:15], off
	s_mov_b64 s[6:7], 0
	s_mov_b64 s[18:19], -1
	s_waitcnt vmcnt(0)
	v_lshlrev_b32_e32 v16, 16, v5
	s_branch .LBB192_2089
.LBB192_2085:
	s_mov_b64 s[20:21], -1
                                        ; implicit-def: $vgpr16
	s_branch .LBB192_2090
.LBB192_2086:
	s_or_saveexec_b64 s[18:19], s[18:19]
	v_mov_b32_e32 v16, 0x7f800001
	s_xor_b64 exec, exec, s[18:19]
	s_cbranch_execz .LBB192_2067
.LBB192_2087:
	v_cmp_ne_u16_e32 vcc, 0, v5
	s_andn2_b64 s[16:17], s[16:17], exec
	s_and_b64 s[20:21], vcc, exec
	v_mov_b32_e32 v16, 0
	s_or_b64 s[16:17], s[16:17], s[20:21]
	s_or_b64 exec, exec, s[18:19]
	s_and_saveexec_b64 s[18:19], s[16:17]
	s_cbranch_execnz .LBB192_2068
	s_branch .LBB192_2069
.LBB192_2088:
	s_mov_b64 s[6:7], -1
                                        ; implicit-def: $vgpr16
.LBB192_2089:
	s_mov_b64 s[20:21], 0
.LBB192_2090:
	s_and_b64 vcc, exec, s[20:21]
	s_cbranch_vccz .LBB192_2092
; %bb.2091:
	s_cmp_lg_u32 s26, 11
	s_mov_b64 s[16:17], -1
	s_cselect_b64 s[6:7], -1, 0
.LBB192_2092:
	s_and_b64 vcc, exec, s[6:7]
	s_cbranch_vccnz .LBB192_2157
; %bb.2093:
	s_andn2_b64 vcc, exec, s[16:17]
	s_cbranch_vccnz .LBB192_2095
.LBB192_2094:
	global_load_ubyte v5, v[14:15], off
	s_mov_b64 s[18:19], -1
	s_waitcnt vmcnt(0)
	v_cmp_ne_u16_e32 vcc, 0, v5
	v_cndmask_b32_e64 v16, 0, 1.0, vcc
.LBB192_2095:
	s_mov_b64 s[6:7], 0
.LBB192_2096:
	s_and_b64 vcc, exec, s[6:7]
	s_cbranch_vccz .LBB192_2145
; %bb.2097:
	s_and_b32 s16, 0xffff, s25
	s_cmp_lt_i32 s16, 5
	s_cbranch_scc1 .LBB192_2102
; %bb.2098:
	s_cmp_lt_i32 s16, 8
	s_cbranch_scc1 .LBB192_2103
; %bb.2099:
	;; [unrolled: 3-line block ×3, first 2 shown]
	s_cmp_gt_i32 s16, 9
	s_cbranch_scc0 .LBB192_2105
; %bb.2101:
	global_load_dwordx2 v[16:17], v[14:15], off
	s_mov_b64 s[6:7], 0
	s_waitcnt vmcnt(0)
	v_cvt_f32_f64_e32 v16, v[16:17]
	s_branch .LBB192_2106
.LBB192_2102:
	s_mov_b64 s[6:7], -1
                                        ; implicit-def: $vgpr16
	s_branch .LBB192_2124
.LBB192_2103:
	s_mov_b64 s[6:7], -1
                                        ; implicit-def: $vgpr16
	s_branch .LBB192_2112
.LBB192_2104:
	s_mov_b64 s[6:7], -1
                                        ; implicit-def: $vgpr16
	s_branch .LBB192_2109
.LBB192_2105:
	s_mov_b64 s[6:7], -1
                                        ; implicit-def: $vgpr16
.LBB192_2106:
	s_andn2_b64 vcc, exec, s[6:7]
	s_cbranch_vccnz .LBB192_2108
; %bb.2107:
	global_load_dword v16, v[14:15], off
.LBB192_2108:
	s_mov_b64 s[6:7], 0
.LBB192_2109:
	s_andn2_b64 vcc, exec, s[6:7]
	s_cbranch_vccnz .LBB192_2111
; %bb.2110:
	global_load_dword v5, v[14:15], off
	s_waitcnt vmcnt(0)
	v_cvt_f32_f16_e32 v16, v5
.LBB192_2111:
	s_mov_b64 s[6:7], 0
.LBB192_2112:
	s_andn2_b64 vcc, exec, s[6:7]
	s_cbranch_vccnz .LBB192_2123
; %bb.2113:
	s_cmp_lt_i32 s16, 6
	s_cbranch_scc1 .LBB192_2116
; %bb.2114:
	s_cmp_gt_i32 s16, 6
	s_cbranch_scc0 .LBB192_2117
; %bb.2115:
	global_load_dwordx2 v[16:17], v[14:15], off
	s_mov_b64 s[6:7], 0
	s_waitcnt vmcnt(0)
	v_cvt_f32_f64_e32 v16, v[16:17]
	s_branch .LBB192_2118
.LBB192_2116:
	s_mov_b64 s[6:7], -1
                                        ; implicit-def: $vgpr16
	s_branch .LBB192_2121
.LBB192_2117:
	s_mov_b64 s[6:7], -1
                                        ; implicit-def: $vgpr16
.LBB192_2118:
	s_andn2_b64 vcc, exec, s[6:7]
	s_cbranch_vccnz .LBB192_2120
; %bb.2119:
	global_load_dword v16, v[14:15], off
.LBB192_2120:
	s_mov_b64 s[6:7], 0
.LBB192_2121:
	s_andn2_b64 vcc, exec, s[6:7]
	s_cbranch_vccnz .LBB192_2123
; %bb.2122:
	global_load_ushort v5, v[14:15], off
	s_waitcnt vmcnt(0)
	v_cvt_f32_f16_e32 v16, v5
.LBB192_2123:
	s_mov_b64 s[6:7], 0
.LBB192_2124:
	s_andn2_b64 vcc, exec, s[6:7]
	s_cbranch_vccnz .LBB192_2144
; %bb.2125:
	s_cmp_lt_i32 s16, 2
	s_cbranch_scc1 .LBB192_2129
; %bb.2126:
	s_cmp_lt_i32 s16, 3
	s_cbranch_scc1 .LBB192_2130
; %bb.2127:
	s_cmp_gt_i32 s16, 3
	s_cbranch_scc0 .LBB192_2131
; %bb.2128:
	global_load_dwordx2 v[16:17], v[14:15], off
	s_mov_b64 s[6:7], 0
	s_waitcnt vmcnt(0)
	v_xor_b32_e32 v8, v16, v17
	v_ffbh_i32_e32 v5, v17
	v_ashrrev_i32_e32 v8, 31, v8
	v_add_u32_e32 v5, -1, v5
	v_add_u32_e32 v8, 32, v8
	v_min_u32_e32 v5, v5, v8
	v_lshlrev_b64 v[16:17], v5, v[16:17]
	v_sub_u32_e32 v5, 32, v5
	v_min_u32_e32 v8, 1, v16
	v_or_b32_e32 v8, v17, v8
	v_cvt_f32_i32_e32 v8, v8
	v_ldexp_f32 v16, v8, v5
	s_branch .LBB192_2132
.LBB192_2129:
	s_mov_b64 s[6:7], -1
                                        ; implicit-def: $vgpr16
	s_branch .LBB192_2138
.LBB192_2130:
	s_mov_b64 s[6:7], -1
                                        ; implicit-def: $vgpr16
	s_branch .LBB192_2135
.LBB192_2131:
	s_mov_b64 s[6:7], -1
                                        ; implicit-def: $vgpr16
.LBB192_2132:
	s_andn2_b64 vcc, exec, s[6:7]
	s_cbranch_vccnz .LBB192_2134
; %bb.2133:
	global_load_dword v5, v[14:15], off
	s_waitcnt vmcnt(0)
	v_cvt_f32_i32_e32 v16, v5
.LBB192_2134:
	s_mov_b64 s[6:7], 0
.LBB192_2135:
	s_andn2_b64 vcc, exec, s[6:7]
	s_cbranch_vccnz .LBB192_2137
; %bb.2136:
	global_load_sshort v5, v[14:15], off
	s_waitcnt vmcnt(0)
	v_cvt_f32_i32_e32 v16, v5
.LBB192_2137:
	s_mov_b64 s[6:7], 0
.LBB192_2138:
	s_andn2_b64 vcc, exec, s[6:7]
	s_cbranch_vccnz .LBB192_2144
; %bb.2139:
	s_cmp_gt_i32 s16, 0
	s_cbranch_scc0 .LBB192_2141
; %bb.2140:
	global_load_sbyte v5, v[14:15], off
	s_mov_b64 s[6:7], 0
	s_waitcnt vmcnt(0)
	v_cvt_f32_i32_e32 v16, v5
	s_branch .LBB192_2142
.LBB192_2141:
	s_mov_b64 s[6:7], -1
                                        ; implicit-def: $vgpr16
.LBB192_2142:
	s_andn2_b64 vcc, exec, s[6:7]
	s_cbranch_vccnz .LBB192_2144
; %bb.2143:
	global_load_ubyte v5, v[14:15], off
	s_waitcnt vmcnt(0)
	v_cvt_f32_ubyte0_e32 v16, v5
.LBB192_2144:
	s_mov_b64 s[18:19], -1
.LBB192_2145:
	s_andn2_b64 vcc, exec, s[18:19]
	s_cbranch_vccnz .LBB192_3101
; %bb.2146:
	v_mov_b32_e32 v5, s11
	v_add_co_u32_e32 v12, vcc, s10, v13
	s_cmp_lt_i32 s24, 11
	v_addc_co_u32_e32 v13, vcc, 0, v5, vcc
	s_cbranch_scc1 .LBB192_2153
; %bb.2147:
	s_and_b32 s26, 0xffff, s24
	s_cmp_gt_i32 s26, 25
	s_mov_b64 s[16:17], 0
	s_cbranch_scc0 .LBB192_2154
; %bb.2148:
	s_cmp_gt_i32 s26, 28
	s_cbranch_scc0 .LBB192_2155
; %bb.2149:
	s_cmp_gt_i32 s26, 43
	;; [unrolled: 3-line block ×3, first 2 shown]
	s_cbranch_scc0 .LBB192_2158
; %bb.2151:
	s_cmp_eq_u32 s26, 46
	s_mov_b64 s[20:21], 0
	s_cbranch_scc0 .LBB192_2159
; %bb.2152:
	global_load_dword v5, v[12:13], off
	s_mov_b64 s[6:7], 0
	s_mov_b64 s[18:19], -1
	s_waitcnt vmcnt(0)
	v_lshlrev_b32_e32 v14, 16, v5
	s_branch .LBB192_2160
.LBB192_2153:
	s_mov_b64 s[6:7], -1
	s_mov_b64 s[18:19], 0
                                        ; implicit-def: $vgpr14
	s_branch .LBB192_2226
.LBB192_2154:
	s_mov_b64 s[20:21], -1
	s_mov_b64 s[18:19], 0
	s_mov_b64 s[6:7], 0
                                        ; implicit-def: $vgpr14
	s_branch .LBB192_2189
.LBB192_2155:
	s_mov_b64 s[20:21], -1
	s_mov_b64 s[18:19], 0
	s_mov_b64 s[6:7], 0
                                        ; implicit-def: $vgpr14
	s_branch .LBB192_2170
.LBB192_2156:
	s_mov_b64 s[20:21], -1
	s_mov_b64 s[18:19], 0
	s_mov_b64 s[6:7], 0
                                        ; implicit-def: $vgpr14
	s_branch .LBB192_2165
.LBB192_2157:
	s_trap 2
	s_or_b64 s[4:5], s[4:5], exec
	s_cbranch_execz .LBB192_2094
	s_branch .LBB192_2095
.LBB192_2158:
	s_mov_b64 s[20:21], -1
	s_mov_b64 s[18:19], 0
	s_mov_b64 s[6:7], 0
                                        ; implicit-def: $vgpr14
	s_branch .LBB192_2160
.LBB192_2159:
	s_mov_b64 s[6:7], -1
                                        ; implicit-def: $vgpr14
	s_mov_b64 s[18:19], 0
.LBB192_2160:
	s_and_b64 vcc, exec, s[20:21]
	s_cbranch_vccz .LBB192_2164
; %bb.2161:
	s_cmp_eq_u32 s26, 44
	s_cbranch_scc0 .LBB192_2163
; %bb.2162:
	global_load_ubyte v5, v[12:13], off
	s_movk_i32 s18, 0xff
	v_mov_b32_e32 v8, 0x7f800001
	v_mov_b32_e32 v10, 0x400000
	s_mov_b64 s[6:7], 0
	s_waitcnt vmcnt(0)
	v_lshlrev_b32_e32 v14, 23, v5
	v_cmp_ne_u32_e32 vcc, s18, v5
	v_cndmask_b32_e32 v8, v8, v14, vcc
	v_cmp_ne_u32_e32 vcc, 0, v5
	v_cndmask_b32_e32 v14, v10, v8, vcc
	s_mov_b64 s[18:19], -1
	s_branch .LBB192_2164
.LBB192_2163:
	s_mov_b64 s[6:7], -1
                                        ; implicit-def: $vgpr14
.LBB192_2164:
	s_mov_b64 s[20:21], 0
.LBB192_2165:
	s_and_b64 vcc, exec, s[20:21]
	s_cbranch_vccz .LBB192_2169
; %bb.2166:
	s_cmp_eq_u32 s26, 29
	s_cbranch_scc0 .LBB192_2168
; %bb.2167:
	global_load_dwordx2 v[14:15], v[12:13], off
	s_mov_b64 s[6:7], 0
	s_mov_b64 s[18:19], -1
	s_mov_b64 s[20:21], 0
	s_waitcnt vmcnt(0)
	v_ffbh_u32_e32 v5, v15
	v_min_u32_e32 v5, 32, v5
	v_lshlrev_b64 v[14:15], v5, v[14:15]
	v_sub_u32_e32 v5, 32, v5
	v_min_u32_e32 v8, 1, v14
	v_or_b32_e32 v8, v15, v8
	v_cvt_f32_u32_e32 v8, v8
	v_ldexp_f32 v14, v8, v5
	s_branch .LBB192_2170
.LBB192_2168:
	s_mov_b64 s[6:7], -1
                                        ; implicit-def: $vgpr14
.LBB192_2169:
	s_mov_b64 s[20:21], 0
.LBB192_2170:
	s_and_b64 vcc, exec, s[20:21]
	s_cbranch_vccz .LBB192_2188
; %bb.2171:
	s_cmp_lt_i32 s26, 27
	s_cbranch_scc1 .LBB192_2174
; %bb.2172:
	s_cmp_gt_i32 s26, 27
	s_cbranch_scc0 .LBB192_2175
; %bb.2173:
	global_load_dword v5, v[12:13], off
	s_mov_b64 s[18:19], 0
	s_waitcnt vmcnt(0)
	v_cvt_f32_u32_e32 v14, v5
	s_branch .LBB192_2176
.LBB192_2174:
	s_mov_b64 s[18:19], -1
                                        ; implicit-def: $vgpr14
	s_branch .LBB192_2179
.LBB192_2175:
	s_mov_b64 s[18:19], -1
                                        ; implicit-def: $vgpr14
.LBB192_2176:
	s_andn2_b64 vcc, exec, s[18:19]
	s_cbranch_vccnz .LBB192_2178
; %bb.2177:
	global_load_ushort v5, v[12:13], off
	s_waitcnt vmcnt(0)
	v_cvt_f32_u32_e32 v14, v5
.LBB192_2178:
	s_mov_b64 s[18:19], 0
.LBB192_2179:
	s_andn2_b64 vcc, exec, s[18:19]
	s_cbranch_vccnz .LBB192_2187
; %bb.2180:
	global_load_ubyte v5, v[12:13], off
	s_movk_i32 s18, 0x7f
	s_waitcnt vmcnt(0)
	v_cmp_lt_i16_e32 vcc, s18, v5
	s_mov_b64 s[18:19], 0
	s_and_saveexec_b64 s[20:21], vcc
	s_xor_b64 s[20:21], exec, s[20:21]
	s_cbranch_execz .LBB192_2201
; %bb.2181:
	s_movk_i32 s18, 0x80
	v_cmp_eq_u16_e32 vcc, s18, v5
	s_mov_b64 s[18:19], -1
	s_and_saveexec_b64 s[22:23], vcc
; %bb.2182:
	s_xor_b64 s[18:19], exec, -1
; %bb.2183:
	s_or_b64 exec, exec, s[22:23]
	s_and_b64 s[18:19], s[18:19], exec
	s_or_saveexec_b64 s[20:21], s[20:21]
	v_mov_b32_e32 v14, 0x7f800001
	s_xor_b64 exec, exec, s[20:21]
	s_cbranch_execnz .LBB192_2202
.LBB192_2184:
	s_or_b64 exec, exec, s[20:21]
	s_and_saveexec_b64 s[20:21], s[18:19]
	s_cbranch_execz .LBB192_2186
.LBB192_2185:
	v_lshlrev_b32_e32 v8, 24, v5
	v_and_b32_e32 v5, 0xffff, v5
	v_and_b32_e32 v10, 7, v5
	v_ffbh_u32_e32 v15, v10
	v_min_u32_e32 v15, 32, v15
	v_subrev_u32_e32 v17, 28, v15
	v_bfe_u32 v14, v5, 3, 4
	v_lshlrev_b32_e32 v5, v17, v5
	v_sub_u32_e32 v15, 29, v15
	v_and_b32_e32 v5, 7, v5
	v_cmp_eq_u32_e32 vcc, 0, v14
	v_cndmask_b32_e32 v14, v14, v15, vcc
	v_cndmask_b32_e32 v5, v10, v5, vcc
	v_mov_b32_e32 v10, 0x3b800000
	v_lshlrev_b32_e32 v5, 20, v5
	v_and_b32_e32 v8, 0x80000000, v8
	v_lshl_add_u32 v10, v14, 23, v10
	v_or3_b32 v14, v8, v10, v5
.LBB192_2186:
	s_or_b64 exec, exec, s[20:21]
.LBB192_2187:
	s_mov_b64 s[18:19], -1
.LBB192_2188:
	s_mov_b64 s[20:21], 0
.LBB192_2189:
	s_and_b64 vcc, exec, s[20:21]
	s_cbranch_vccz .LBB192_2222
; %bb.2190:
	s_cmp_gt_i32 s26, 22
	s_cbranch_scc0 .LBB192_2200
; %bb.2191:
	s_cmp_lt_i32 s26, 24
	s_cbranch_scc1 .LBB192_2203
; %bb.2192:
	s_cmp_gt_i32 s26, 24
	s_cbranch_scc0 .LBB192_2204
; %bb.2193:
	global_load_ubyte v5, v[12:13], off
	s_movk_i32 s16, 0x7f
	s_waitcnt vmcnt(0)
	v_cmp_lt_i16_e32 vcc, s16, v5
	s_mov_b64 s[16:17], 0
	s_and_saveexec_b64 s[18:19], vcc
	s_xor_b64 s[18:19], exec, s[18:19]
	s_cbranch_execz .LBB192_2216
; %bb.2194:
	s_movk_i32 s16, 0x80
	v_cmp_eq_u16_e32 vcc, s16, v5
	s_mov_b64 s[16:17], -1
	s_and_saveexec_b64 s[20:21], vcc
; %bb.2195:
	s_xor_b64 s[16:17], exec, -1
; %bb.2196:
	s_or_b64 exec, exec, s[20:21]
	s_and_b64 s[16:17], s[16:17], exec
	s_or_saveexec_b64 s[18:19], s[18:19]
	v_mov_b32_e32 v14, 0x7f800001
	s_xor_b64 exec, exec, s[18:19]
	s_cbranch_execnz .LBB192_2217
.LBB192_2197:
	s_or_b64 exec, exec, s[18:19]
	s_and_saveexec_b64 s[18:19], s[16:17]
	s_cbranch_execz .LBB192_2199
.LBB192_2198:
	v_lshlrev_b32_e32 v8, 24, v5
	v_and_b32_e32 v5, 0xffff, v5
	v_and_b32_e32 v10, 3, v5
	v_ffbh_u32_e32 v15, v10
	v_min_u32_e32 v15, 32, v15
	v_subrev_u32_e32 v17, 29, v15
	v_bfe_u32 v14, v5, 2, 5
	v_lshlrev_b32_e32 v5, v17, v5
	v_sub_u32_e32 v15, 30, v15
	v_and_b32_e32 v5, 3, v5
	v_cmp_eq_u32_e32 vcc, 0, v14
	v_cndmask_b32_e32 v14, v14, v15, vcc
	v_cndmask_b32_e32 v5, v10, v5, vcc
	v_mov_b32_e32 v10, 0x37800000
	v_lshlrev_b32_e32 v5, 21, v5
	v_and_b32_e32 v8, 0x80000000, v8
	v_lshl_add_u32 v10, v14, 23, v10
	v_or3_b32 v14, v8, v10, v5
.LBB192_2199:
	s_or_b64 exec, exec, s[18:19]
	s_mov_b64 s[16:17], 0
	s_branch .LBB192_2205
.LBB192_2200:
	s_mov_b64 s[16:17], -1
                                        ; implicit-def: $vgpr14
	s_branch .LBB192_2211
.LBB192_2201:
	s_or_saveexec_b64 s[20:21], s[20:21]
	v_mov_b32_e32 v14, 0x7f800001
	s_xor_b64 exec, exec, s[20:21]
	s_cbranch_execz .LBB192_2184
.LBB192_2202:
	v_cmp_ne_u16_e32 vcc, 0, v5
	s_andn2_b64 s[18:19], s[18:19], exec
	s_and_b64 s[22:23], vcc, exec
	v_mov_b32_e32 v14, 0
	s_or_b64 s[18:19], s[18:19], s[22:23]
	s_or_b64 exec, exec, s[20:21]
	s_and_saveexec_b64 s[20:21], s[18:19]
	s_cbranch_execnz .LBB192_2185
	s_branch .LBB192_2186
.LBB192_2203:
	s_mov_b64 s[16:17], -1
                                        ; implicit-def: $vgpr14
	s_branch .LBB192_2208
.LBB192_2204:
	s_mov_b64 s[16:17], -1
                                        ; implicit-def: $vgpr14
.LBB192_2205:
	s_and_b64 vcc, exec, s[16:17]
	s_cbranch_vccz .LBB192_2207
; %bb.2206:
	global_load_ubyte v5, v[12:13], off
	s_mov_b32 s16, 0x7f800000
	s_waitcnt vmcnt(0)
	v_lshlrev_b32_e32 v5, 24, v5
	v_and_b32_e32 v8, 0x7f000000, v5
	v_ffbh_u32_e32 v10, v8
	v_min_u32_e32 v10, 32, v10
	v_sub_u32_e64 v10, v10, 4 clamp
	v_lshlrev_b32_e32 v15, v10, v8
	v_lshlrev_b32_e32 v10, 23, v10
	v_lshrrev_b32_e32 v15, 4, v15
	v_add_u32_e32 v14, 0x1000000, v8
	v_sub_u32_e32 v10, v15, v10
	v_ashrrev_i32_e32 v14, 8, v14
	v_add_u32_e32 v10, 0x3c000000, v10
	v_and_or_b32 v10, v14, s16, v10
	v_cmp_ne_u32_e32 vcc, 0, v8
	v_cndmask_b32_e32 v8, 0, v10, vcc
	s_brev_b32 s16, 1
	v_and_or_b32 v14, v5, s16, v8
.LBB192_2207:
	s_mov_b64 s[16:17], 0
.LBB192_2208:
	s_andn2_b64 vcc, exec, s[16:17]
	s_cbranch_vccnz .LBB192_2210
; %bb.2209:
	global_load_ubyte v5, v[12:13], off
	s_movk_i32 s16, 0x7f00
	s_brev_b32 s17, 16
	s_waitcnt vmcnt(0)
	v_lshlrev_b16_e32 v8, 8, v5
	v_lshlrev_b32_e32 v5, 25, v5
	v_lshrrev_b32_e32 v10, 4, v5
	v_and_or_b32 v14, v8, s16, 0.5
	v_or_b32_e32 v10, 0x70000000, v10
	v_add_f32_e32 v14, -0.5, v14
	v_mul_f32_e32 v10, 0x7800000, v10
	v_cmp_gt_u32_e32 vcc, s17, v5
	v_bfe_i32 v8, v8, 0, 16
	v_cndmask_b32_e32 v5, v10, v14, vcc
	s_brev_b32 s16, 1
	v_and_or_b32 v14, v8, s16, v5
.LBB192_2210:
	s_mov_b64 s[16:17], 0
	s_mov_b64 s[18:19], -1
.LBB192_2211:
	s_andn2_b64 vcc, exec, s[16:17]
	s_mov_b64 s[16:17], 0
	s_cbranch_vccnz .LBB192_2222
; %bb.2212:
	s_cmp_gt_i32 s26, 14
	s_cbranch_scc0 .LBB192_2215
; %bb.2213:
	s_cmp_eq_u32 s26, 15
	s_cbranch_scc0 .LBB192_2218
; %bb.2214:
	global_load_ushort v5, v[12:13], off
	s_mov_b64 s[6:7], 0
	s_mov_b64 s[18:19], -1
	s_waitcnt vmcnt(0)
	v_lshlrev_b32_e32 v14, 16, v5
	s_branch .LBB192_2219
.LBB192_2215:
	s_mov_b64 s[20:21], -1
                                        ; implicit-def: $vgpr14
	s_branch .LBB192_2220
.LBB192_2216:
	s_or_saveexec_b64 s[18:19], s[18:19]
	v_mov_b32_e32 v14, 0x7f800001
	s_xor_b64 exec, exec, s[18:19]
	s_cbranch_execz .LBB192_2197
.LBB192_2217:
	v_cmp_ne_u16_e32 vcc, 0, v5
	s_andn2_b64 s[16:17], s[16:17], exec
	s_and_b64 s[20:21], vcc, exec
	v_mov_b32_e32 v14, 0
	s_or_b64 s[16:17], s[16:17], s[20:21]
	s_or_b64 exec, exec, s[18:19]
	s_and_saveexec_b64 s[18:19], s[16:17]
	s_cbranch_execnz .LBB192_2198
	s_branch .LBB192_2199
.LBB192_2218:
	s_mov_b64 s[6:7], -1
                                        ; implicit-def: $vgpr14
.LBB192_2219:
	s_mov_b64 s[20:21], 0
.LBB192_2220:
	s_and_b64 vcc, exec, s[20:21]
	s_cbranch_vccz .LBB192_2222
; %bb.2221:
	s_cmp_lg_u32 s26, 11
	s_mov_b64 s[16:17], -1
	s_cselect_b64 s[6:7], -1, 0
.LBB192_2222:
	s_and_b64 vcc, exec, s[6:7]
	s_cbranch_vccnz .LBB192_2287
; %bb.2223:
	s_andn2_b64 vcc, exec, s[16:17]
	s_cbranch_vccnz .LBB192_2225
.LBB192_2224:
	global_load_ubyte v5, v[12:13], off
	s_mov_b64 s[18:19], -1
	s_waitcnt vmcnt(0)
	v_cmp_ne_u16_e32 vcc, 0, v5
	v_cndmask_b32_e64 v14, 0, 1.0, vcc
.LBB192_2225:
	s_mov_b64 s[6:7], 0
.LBB192_2226:
	s_and_b64 vcc, exec, s[6:7]
	s_cbranch_vccz .LBB192_2275
; %bb.2227:
	s_and_b32 s16, 0xffff, s24
	s_cmp_lt_i32 s16, 5
	s_cbranch_scc1 .LBB192_2232
; %bb.2228:
	s_cmp_lt_i32 s16, 8
	s_cbranch_scc1 .LBB192_2233
; %bb.2229:
	;; [unrolled: 3-line block ×3, first 2 shown]
	s_cmp_gt_i32 s16, 9
	s_cbranch_scc0 .LBB192_2235
; %bb.2231:
	global_load_dwordx2 v[14:15], v[12:13], off
	s_mov_b64 s[6:7], 0
	s_waitcnt vmcnt(0)
	v_cvt_f32_f64_e32 v14, v[14:15]
	s_branch .LBB192_2236
.LBB192_2232:
	s_mov_b64 s[6:7], -1
                                        ; implicit-def: $vgpr14
	s_branch .LBB192_2254
.LBB192_2233:
	s_mov_b64 s[6:7], -1
                                        ; implicit-def: $vgpr14
	s_branch .LBB192_2242
.LBB192_2234:
	s_mov_b64 s[6:7], -1
                                        ; implicit-def: $vgpr14
	s_branch .LBB192_2239
.LBB192_2235:
	s_mov_b64 s[6:7], -1
                                        ; implicit-def: $vgpr14
.LBB192_2236:
	s_andn2_b64 vcc, exec, s[6:7]
	s_cbranch_vccnz .LBB192_2238
; %bb.2237:
	global_load_dword v14, v[12:13], off
.LBB192_2238:
	s_mov_b64 s[6:7], 0
.LBB192_2239:
	s_andn2_b64 vcc, exec, s[6:7]
	s_cbranch_vccnz .LBB192_2241
; %bb.2240:
	global_load_dword v5, v[12:13], off
	s_waitcnt vmcnt(0)
	v_cvt_f32_f16_e32 v14, v5
.LBB192_2241:
	s_mov_b64 s[6:7], 0
.LBB192_2242:
	s_andn2_b64 vcc, exec, s[6:7]
	s_cbranch_vccnz .LBB192_2253
; %bb.2243:
	s_cmp_lt_i32 s16, 6
	s_cbranch_scc1 .LBB192_2246
; %bb.2244:
	s_cmp_gt_i32 s16, 6
	s_cbranch_scc0 .LBB192_2247
; %bb.2245:
	global_load_dwordx2 v[14:15], v[12:13], off
	s_mov_b64 s[6:7], 0
	s_waitcnt vmcnt(0)
	v_cvt_f32_f64_e32 v14, v[14:15]
	s_branch .LBB192_2248
.LBB192_2246:
	s_mov_b64 s[6:7], -1
                                        ; implicit-def: $vgpr14
	s_branch .LBB192_2251
.LBB192_2247:
	s_mov_b64 s[6:7], -1
                                        ; implicit-def: $vgpr14
.LBB192_2248:
	s_andn2_b64 vcc, exec, s[6:7]
	s_cbranch_vccnz .LBB192_2250
; %bb.2249:
	global_load_dword v14, v[12:13], off
.LBB192_2250:
	s_mov_b64 s[6:7], 0
.LBB192_2251:
	s_andn2_b64 vcc, exec, s[6:7]
	s_cbranch_vccnz .LBB192_2253
; %bb.2252:
	global_load_ushort v5, v[12:13], off
	s_waitcnt vmcnt(0)
	v_cvt_f32_f16_e32 v14, v5
.LBB192_2253:
	s_mov_b64 s[6:7], 0
.LBB192_2254:
	s_andn2_b64 vcc, exec, s[6:7]
	s_cbranch_vccnz .LBB192_2274
; %bb.2255:
	s_cmp_lt_i32 s16, 2
	s_cbranch_scc1 .LBB192_2259
; %bb.2256:
	s_cmp_lt_i32 s16, 3
	s_cbranch_scc1 .LBB192_2260
; %bb.2257:
	s_cmp_gt_i32 s16, 3
	s_cbranch_scc0 .LBB192_2261
; %bb.2258:
	global_load_dwordx2 v[14:15], v[12:13], off
	s_mov_b64 s[6:7], 0
	s_waitcnt vmcnt(0)
	v_xor_b32_e32 v8, v14, v15
	v_ffbh_i32_e32 v5, v15
	v_ashrrev_i32_e32 v8, 31, v8
	v_add_u32_e32 v5, -1, v5
	v_add_u32_e32 v8, 32, v8
	v_min_u32_e32 v5, v5, v8
	v_lshlrev_b64 v[14:15], v5, v[14:15]
	v_sub_u32_e32 v5, 32, v5
	v_min_u32_e32 v8, 1, v14
	v_or_b32_e32 v8, v15, v8
	v_cvt_f32_i32_e32 v8, v8
	v_ldexp_f32 v14, v8, v5
	s_branch .LBB192_2262
.LBB192_2259:
	s_mov_b64 s[6:7], -1
                                        ; implicit-def: $vgpr14
	s_branch .LBB192_2268
.LBB192_2260:
	s_mov_b64 s[6:7], -1
                                        ; implicit-def: $vgpr14
	s_branch .LBB192_2265
.LBB192_2261:
	s_mov_b64 s[6:7], -1
                                        ; implicit-def: $vgpr14
.LBB192_2262:
	s_andn2_b64 vcc, exec, s[6:7]
	s_cbranch_vccnz .LBB192_2264
; %bb.2263:
	global_load_dword v5, v[12:13], off
	s_waitcnt vmcnt(0)
	v_cvt_f32_i32_e32 v14, v5
.LBB192_2264:
	s_mov_b64 s[6:7], 0
.LBB192_2265:
	s_andn2_b64 vcc, exec, s[6:7]
	s_cbranch_vccnz .LBB192_2267
; %bb.2266:
	global_load_sshort v5, v[12:13], off
	s_waitcnt vmcnt(0)
	v_cvt_f32_i32_e32 v14, v5
.LBB192_2267:
	s_mov_b64 s[6:7], 0
.LBB192_2268:
	s_andn2_b64 vcc, exec, s[6:7]
	s_cbranch_vccnz .LBB192_2274
; %bb.2269:
	s_cmp_gt_i32 s16, 0
	s_cbranch_scc0 .LBB192_2271
; %bb.2270:
	global_load_sbyte v5, v[12:13], off
	s_mov_b64 s[6:7], 0
	s_waitcnt vmcnt(0)
	v_cvt_f32_i32_e32 v14, v5
	s_branch .LBB192_2272
.LBB192_2271:
	s_mov_b64 s[6:7], -1
                                        ; implicit-def: $vgpr14
.LBB192_2272:
	s_andn2_b64 vcc, exec, s[6:7]
	s_cbranch_vccnz .LBB192_2274
; %bb.2273:
	global_load_ubyte v5, v[12:13], off
	s_waitcnt vmcnt(0)
	v_cvt_f32_ubyte0_e32 v14, v5
.LBB192_2274:
	s_mov_b64 s[18:19], -1
.LBB192_2275:
	s_andn2_b64 vcc, exec, s[18:19]
	s_cbranch_vccnz .LBB192_3101
; %bb.2276:
	v_mov_b32_e32 v5, s1
	v_add_co_u32_e32 v10, vcc, s0, v11
	s_cmp_lt_i32 s25, 11
	v_addc_co_u32_e32 v11, vcc, 0, v5, vcc
	s_cbranch_scc1 .LBB192_2283
; %bb.2277:
	s_and_b32 s26, 0xffff, s25
	s_cmp_gt_i32 s26, 25
	s_mov_b64 s[16:17], 0
	s_cbranch_scc0 .LBB192_2284
; %bb.2278:
	s_cmp_gt_i32 s26, 28
	s_cbranch_scc0 .LBB192_2285
; %bb.2279:
	s_cmp_gt_i32 s26, 43
	;; [unrolled: 3-line block ×3, first 2 shown]
	s_cbranch_scc0 .LBB192_2288
; %bb.2281:
	s_cmp_eq_u32 s26, 46
	s_mov_b64 s[20:21], 0
	s_cbranch_scc0 .LBB192_2291
; %bb.2282:
	global_load_dword v5, v[10:11], off
	s_mov_b64 s[6:7], 0
	s_mov_b64 s[18:19], -1
	s_waitcnt vmcnt(0)
	v_lshlrev_b32_e32 v12, 16, v5
	s_branch .LBB192_2292
.LBB192_2283:
	s_mov_b64 s[6:7], -1
	s_mov_b64 s[18:19], 0
                                        ; implicit-def: $vgpr12
	s_branch .LBB192_2358
.LBB192_2284:
	s_mov_b64 s[20:21], -1
	s_mov_b64 s[18:19], 0
	s_mov_b64 s[6:7], 0
                                        ; implicit-def: $vgpr12
	s_branch .LBB192_2321
.LBB192_2285:
	s_mov_b64 s[20:21], -1
	s_mov_b64 s[18:19], 0
	s_mov_b64 s[6:7], 0
                                        ; implicit-def: $vgpr12
	s_branch .LBB192_2302
.LBB192_2286:
	s_mov_b64 s[20:21], -1
	s_mov_b64 s[18:19], 0
	s_mov_b64 s[6:7], 0
                                        ; implicit-def: $vgpr12
	s_branch .LBB192_2297
.LBB192_2287:
	s_trap 2
	s_or_b64 s[4:5], s[4:5], exec
	s_cbranch_execz .LBB192_2224
	s_branch .LBB192_2225
.LBB192_2288:
	s_mov_b64 s[20:21], -1
	s_mov_b64 s[18:19], 0
	s_mov_b64 s[6:7], 0
                                        ; implicit-def: $vgpr12
	s_branch .LBB192_2292
.LBB192_2289:
	s_andn2_saveexec_b64 s[64:65], s[64:65]
	s_cbranch_execz .LBB192_1119
.LBB192_2290:
	s_mov_b32 s69, 0x42800000
	v_add_f32_e64 v3, |v2|, s69
	v_and_b32_e32 v3, 0xff, v3
	v_cmp_ne_u32_e32 vcc, 0, v3
	s_andn2_b64 s[62:63], s[62:63], exec
	s_and_b64 s[76:77], vcc, exec
	s_or_b64 s[62:63], s[62:63], s[76:77]
	s_or_b64 exec, exec, s[64:65]
	v_mov_b32_e32 v4, 0
	s_and_saveexec_b64 s[64:65], s[62:63]
	s_cbranch_execnz .LBB192_1120
	s_branch .LBB192_1121
.LBB192_2291:
	s_mov_b64 s[6:7], -1
                                        ; implicit-def: $vgpr12
	s_mov_b64 s[18:19], 0
.LBB192_2292:
	s_and_b64 vcc, exec, s[20:21]
	s_cbranch_vccz .LBB192_2296
; %bb.2293:
	s_cmp_eq_u32 s26, 44
	s_cbranch_scc0 .LBB192_2295
; %bb.2294:
	global_load_ubyte v5, v[10:11], off
	s_movk_i32 s18, 0xff
	v_mov_b32_e32 v8, 0x7f800001
	v_mov_b32_e32 v12, 0x400000
	s_mov_b64 s[6:7], 0
	s_waitcnt vmcnt(0)
	v_lshlrev_b32_e32 v13, 23, v5
	v_cmp_ne_u32_e32 vcc, s18, v5
	v_cndmask_b32_e32 v8, v8, v13, vcc
	v_cmp_ne_u32_e32 vcc, 0, v5
	v_cndmask_b32_e32 v12, v12, v8, vcc
	s_mov_b64 s[18:19], -1
	s_branch .LBB192_2296
.LBB192_2295:
	s_mov_b64 s[6:7], -1
                                        ; implicit-def: $vgpr12
.LBB192_2296:
	s_mov_b64 s[20:21], 0
.LBB192_2297:
	s_and_b64 vcc, exec, s[20:21]
	s_cbranch_vccz .LBB192_2301
; %bb.2298:
	s_cmp_eq_u32 s26, 29
	s_cbranch_scc0 .LBB192_2300
; %bb.2299:
	global_load_dwordx2 v[12:13], v[10:11], off
	s_mov_b64 s[6:7], 0
	s_mov_b64 s[18:19], -1
	s_mov_b64 s[20:21], 0
	s_waitcnt vmcnt(0)
	v_ffbh_u32_e32 v5, v13
	v_min_u32_e32 v5, 32, v5
	v_lshlrev_b64 v[12:13], v5, v[12:13]
	v_sub_u32_e32 v5, 32, v5
	v_min_u32_e32 v8, 1, v12
	v_or_b32_e32 v8, v13, v8
	v_cvt_f32_u32_e32 v8, v8
	v_ldexp_f32 v12, v8, v5
	s_branch .LBB192_2302
.LBB192_2300:
	s_mov_b64 s[6:7], -1
                                        ; implicit-def: $vgpr12
.LBB192_2301:
	s_mov_b64 s[20:21], 0
.LBB192_2302:
	s_and_b64 vcc, exec, s[20:21]
	s_cbranch_vccz .LBB192_2320
; %bb.2303:
	s_cmp_lt_i32 s26, 27
	s_cbranch_scc1 .LBB192_2306
; %bb.2304:
	s_cmp_gt_i32 s26, 27
	s_cbranch_scc0 .LBB192_2307
; %bb.2305:
	global_load_dword v5, v[10:11], off
	s_mov_b64 s[18:19], 0
	s_waitcnt vmcnt(0)
	v_cvt_f32_u32_e32 v12, v5
	s_branch .LBB192_2308
.LBB192_2306:
	s_mov_b64 s[18:19], -1
                                        ; implicit-def: $vgpr12
	s_branch .LBB192_2311
.LBB192_2307:
	s_mov_b64 s[18:19], -1
                                        ; implicit-def: $vgpr12
.LBB192_2308:
	s_andn2_b64 vcc, exec, s[18:19]
	s_cbranch_vccnz .LBB192_2310
; %bb.2309:
	global_load_ushort v5, v[10:11], off
	s_waitcnt vmcnt(0)
	v_cvt_f32_u32_e32 v12, v5
.LBB192_2310:
	s_mov_b64 s[18:19], 0
.LBB192_2311:
	s_andn2_b64 vcc, exec, s[18:19]
	s_cbranch_vccnz .LBB192_2319
; %bb.2312:
	global_load_ubyte v5, v[10:11], off
	s_movk_i32 s18, 0x7f
	s_waitcnt vmcnt(0)
	v_cmp_lt_i16_e32 vcc, s18, v5
	s_mov_b64 s[18:19], 0
	s_and_saveexec_b64 s[20:21], vcc
	s_xor_b64 s[20:21], exec, s[20:21]
	s_cbranch_execz .LBB192_2333
; %bb.2313:
	s_movk_i32 s18, 0x80
	v_cmp_eq_u16_e32 vcc, s18, v5
	s_mov_b64 s[18:19], -1
	s_and_saveexec_b64 s[22:23], vcc
; %bb.2314:
	s_xor_b64 s[18:19], exec, -1
; %bb.2315:
	s_or_b64 exec, exec, s[22:23]
	s_and_b64 s[18:19], s[18:19], exec
	s_or_saveexec_b64 s[20:21], s[20:21]
	v_mov_b32_e32 v12, 0x7f800001
	s_xor_b64 exec, exec, s[20:21]
	s_cbranch_execnz .LBB192_2334
.LBB192_2316:
	s_or_b64 exec, exec, s[20:21]
	s_and_saveexec_b64 s[20:21], s[18:19]
	s_cbranch_execz .LBB192_2318
.LBB192_2317:
	v_lshlrev_b32_e32 v8, 24, v5
	v_and_b32_e32 v5, 0xffff, v5
	v_and_b32_e32 v12, 7, v5
	v_ffbh_u32_e32 v15, v12
	v_min_u32_e32 v15, 32, v15
	v_subrev_u32_e32 v17, 28, v15
	v_bfe_u32 v13, v5, 3, 4
	v_lshlrev_b32_e32 v5, v17, v5
	v_sub_u32_e32 v15, 29, v15
	v_and_b32_e32 v5, 7, v5
	v_cmp_eq_u32_e32 vcc, 0, v13
	v_cndmask_b32_e32 v13, v13, v15, vcc
	v_cndmask_b32_e32 v5, v12, v5, vcc
	v_mov_b32_e32 v12, 0x3b800000
	v_lshlrev_b32_e32 v5, 20, v5
	v_and_b32_e32 v8, 0x80000000, v8
	v_lshl_add_u32 v12, v13, 23, v12
	v_or3_b32 v12, v8, v12, v5
.LBB192_2318:
	s_or_b64 exec, exec, s[20:21]
.LBB192_2319:
	s_mov_b64 s[18:19], -1
.LBB192_2320:
	s_mov_b64 s[20:21], 0
.LBB192_2321:
	s_and_b64 vcc, exec, s[20:21]
	s_cbranch_vccz .LBB192_2354
; %bb.2322:
	s_cmp_gt_i32 s26, 22
	s_cbranch_scc0 .LBB192_2332
; %bb.2323:
	s_cmp_lt_i32 s26, 24
	s_cbranch_scc1 .LBB192_2335
; %bb.2324:
	s_cmp_gt_i32 s26, 24
	s_cbranch_scc0 .LBB192_2336
; %bb.2325:
	global_load_ubyte v5, v[10:11], off
	s_movk_i32 s16, 0x7f
	s_waitcnt vmcnt(0)
	v_cmp_lt_i16_e32 vcc, s16, v5
	s_mov_b64 s[16:17], 0
	s_and_saveexec_b64 s[18:19], vcc
	s_xor_b64 s[18:19], exec, s[18:19]
	s_cbranch_execz .LBB192_2348
; %bb.2326:
	s_movk_i32 s16, 0x80
	v_cmp_eq_u16_e32 vcc, s16, v5
	s_mov_b64 s[16:17], -1
	s_and_saveexec_b64 s[20:21], vcc
; %bb.2327:
	s_xor_b64 s[16:17], exec, -1
; %bb.2328:
	s_or_b64 exec, exec, s[20:21]
	s_and_b64 s[16:17], s[16:17], exec
	s_or_saveexec_b64 s[18:19], s[18:19]
	v_mov_b32_e32 v12, 0x7f800001
	s_xor_b64 exec, exec, s[18:19]
	s_cbranch_execnz .LBB192_2349
.LBB192_2329:
	s_or_b64 exec, exec, s[18:19]
	s_and_saveexec_b64 s[18:19], s[16:17]
	s_cbranch_execz .LBB192_2331
.LBB192_2330:
	v_lshlrev_b32_e32 v8, 24, v5
	v_and_b32_e32 v5, 0xffff, v5
	v_and_b32_e32 v12, 3, v5
	v_ffbh_u32_e32 v15, v12
	v_min_u32_e32 v15, 32, v15
	v_subrev_u32_e32 v17, 29, v15
	v_bfe_u32 v13, v5, 2, 5
	v_lshlrev_b32_e32 v5, v17, v5
	v_sub_u32_e32 v15, 30, v15
	v_and_b32_e32 v5, 3, v5
	v_cmp_eq_u32_e32 vcc, 0, v13
	v_cndmask_b32_e32 v13, v13, v15, vcc
	v_cndmask_b32_e32 v5, v12, v5, vcc
	v_mov_b32_e32 v12, 0x37800000
	v_lshlrev_b32_e32 v5, 21, v5
	v_and_b32_e32 v8, 0x80000000, v8
	v_lshl_add_u32 v12, v13, 23, v12
	v_or3_b32 v12, v8, v12, v5
.LBB192_2331:
	s_or_b64 exec, exec, s[18:19]
	s_mov_b64 s[16:17], 0
	s_branch .LBB192_2337
.LBB192_2332:
	s_mov_b64 s[16:17], -1
                                        ; implicit-def: $vgpr12
	s_branch .LBB192_2343
.LBB192_2333:
	s_or_saveexec_b64 s[20:21], s[20:21]
	v_mov_b32_e32 v12, 0x7f800001
	s_xor_b64 exec, exec, s[20:21]
	s_cbranch_execz .LBB192_2316
.LBB192_2334:
	v_cmp_ne_u16_e32 vcc, 0, v5
	s_andn2_b64 s[18:19], s[18:19], exec
	s_and_b64 s[22:23], vcc, exec
	v_mov_b32_e32 v12, 0
	s_or_b64 s[18:19], s[18:19], s[22:23]
	s_or_b64 exec, exec, s[20:21]
	s_and_saveexec_b64 s[20:21], s[18:19]
	s_cbranch_execnz .LBB192_2317
	s_branch .LBB192_2318
.LBB192_2335:
	s_mov_b64 s[16:17], -1
                                        ; implicit-def: $vgpr12
	s_branch .LBB192_2340
.LBB192_2336:
	s_mov_b64 s[16:17], -1
                                        ; implicit-def: $vgpr12
.LBB192_2337:
	s_and_b64 vcc, exec, s[16:17]
	s_cbranch_vccz .LBB192_2339
; %bb.2338:
	global_load_ubyte v5, v[10:11], off
	s_mov_b32 s16, 0x7f800000
	s_waitcnt vmcnt(0)
	v_lshlrev_b32_e32 v5, 24, v5
	v_and_b32_e32 v8, 0x7f000000, v5
	v_ffbh_u32_e32 v12, v8
	v_min_u32_e32 v12, 32, v12
	v_sub_u32_e64 v12, v12, 4 clamp
	v_lshlrev_b32_e32 v15, v12, v8
	v_lshlrev_b32_e32 v12, 23, v12
	v_lshrrev_b32_e32 v15, 4, v15
	v_add_u32_e32 v13, 0x1000000, v8
	v_sub_u32_e32 v12, v15, v12
	v_ashrrev_i32_e32 v13, 8, v13
	v_add_u32_e32 v12, 0x3c000000, v12
	v_and_or_b32 v12, v13, s16, v12
	v_cmp_ne_u32_e32 vcc, 0, v8
	v_cndmask_b32_e32 v8, 0, v12, vcc
	s_brev_b32 s16, 1
	v_and_or_b32 v12, v5, s16, v8
.LBB192_2339:
	s_mov_b64 s[16:17], 0
.LBB192_2340:
	s_andn2_b64 vcc, exec, s[16:17]
	s_cbranch_vccnz .LBB192_2342
; %bb.2341:
	global_load_ubyte v5, v[10:11], off
	s_movk_i32 s16, 0x7f00
	s_brev_b32 s17, 16
	s_waitcnt vmcnt(0)
	v_lshlrev_b16_e32 v8, 8, v5
	v_lshlrev_b32_e32 v5, 25, v5
	v_lshrrev_b32_e32 v12, 4, v5
	v_and_or_b32 v13, v8, s16, 0.5
	v_or_b32_e32 v12, 0x70000000, v12
	v_add_f32_e32 v13, -0.5, v13
	v_mul_f32_e32 v12, 0x7800000, v12
	v_cmp_gt_u32_e32 vcc, s17, v5
	v_bfe_i32 v8, v8, 0, 16
	v_cndmask_b32_e32 v5, v12, v13, vcc
	s_brev_b32 s16, 1
	v_and_or_b32 v12, v8, s16, v5
.LBB192_2342:
	s_mov_b64 s[16:17], 0
	s_mov_b64 s[18:19], -1
.LBB192_2343:
	s_andn2_b64 vcc, exec, s[16:17]
	s_mov_b64 s[16:17], 0
	s_cbranch_vccnz .LBB192_2354
; %bb.2344:
	s_cmp_gt_i32 s26, 14
	s_cbranch_scc0 .LBB192_2347
; %bb.2345:
	s_cmp_eq_u32 s26, 15
	s_cbranch_scc0 .LBB192_2350
; %bb.2346:
	global_load_ushort v5, v[10:11], off
	s_mov_b64 s[6:7], 0
	s_mov_b64 s[18:19], -1
	s_waitcnt vmcnt(0)
	v_lshlrev_b32_e32 v12, 16, v5
	s_branch .LBB192_2351
.LBB192_2347:
	s_mov_b64 s[20:21], -1
                                        ; implicit-def: $vgpr12
	s_branch .LBB192_2352
.LBB192_2348:
	s_or_saveexec_b64 s[18:19], s[18:19]
	v_mov_b32_e32 v12, 0x7f800001
	s_xor_b64 exec, exec, s[18:19]
	s_cbranch_execz .LBB192_2329
.LBB192_2349:
	v_cmp_ne_u16_e32 vcc, 0, v5
	s_andn2_b64 s[16:17], s[16:17], exec
	s_and_b64 s[20:21], vcc, exec
	v_mov_b32_e32 v12, 0
	s_or_b64 s[16:17], s[16:17], s[20:21]
	s_or_b64 exec, exec, s[18:19]
	s_and_saveexec_b64 s[18:19], s[16:17]
	s_cbranch_execnz .LBB192_2330
	s_branch .LBB192_2331
.LBB192_2350:
	s_mov_b64 s[6:7], -1
                                        ; implicit-def: $vgpr12
.LBB192_2351:
	s_mov_b64 s[20:21], 0
.LBB192_2352:
	s_and_b64 vcc, exec, s[20:21]
	s_cbranch_vccz .LBB192_2354
; %bb.2353:
	s_cmp_lg_u32 s26, 11
	s_mov_b64 s[16:17], -1
	s_cselect_b64 s[6:7], -1, 0
.LBB192_2354:
	s_and_b64 vcc, exec, s[6:7]
	s_cbranch_vccnz .LBB192_2419
; %bb.2355:
	s_andn2_b64 vcc, exec, s[16:17]
	s_cbranch_vccnz .LBB192_2357
.LBB192_2356:
	global_load_ubyte v5, v[10:11], off
	s_mov_b64 s[18:19], -1
	s_waitcnt vmcnt(0)
	v_cmp_ne_u16_e32 vcc, 0, v5
	v_cndmask_b32_e64 v12, 0, 1.0, vcc
.LBB192_2357:
	s_mov_b64 s[6:7], 0
.LBB192_2358:
	s_and_b64 vcc, exec, s[6:7]
	s_cbranch_vccz .LBB192_2407
; %bb.2359:
	s_and_b32 s16, 0xffff, s25
	s_cmp_lt_i32 s16, 5
	s_cbranch_scc1 .LBB192_2364
; %bb.2360:
	s_cmp_lt_i32 s16, 8
	s_cbranch_scc1 .LBB192_2365
; %bb.2361:
	s_cmp_lt_i32 s16, 9
	s_cbranch_scc1 .LBB192_2366
; %bb.2362:
	s_cmp_gt_i32 s16, 9
	s_cbranch_scc0 .LBB192_2367
; %bb.2363:
	global_load_dwordx2 v[12:13], v[10:11], off
	s_mov_b64 s[6:7], 0
	s_waitcnt vmcnt(0)
	v_cvt_f32_f64_e32 v12, v[12:13]
	s_branch .LBB192_2368
.LBB192_2364:
	s_mov_b64 s[6:7], -1
                                        ; implicit-def: $vgpr12
	s_branch .LBB192_2386
.LBB192_2365:
	s_mov_b64 s[6:7], -1
                                        ; implicit-def: $vgpr12
	s_branch .LBB192_2374
.LBB192_2366:
	s_mov_b64 s[6:7], -1
                                        ; implicit-def: $vgpr12
	s_branch .LBB192_2371
.LBB192_2367:
	s_mov_b64 s[6:7], -1
                                        ; implicit-def: $vgpr12
.LBB192_2368:
	s_andn2_b64 vcc, exec, s[6:7]
	s_cbranch_vccnz .LBB192_2370
; %bb.2369:
	global_load_dword v12, v[10:11], off
.LBB192_2370:
	s_mov_b64 s[6:7], 0
.LBB192_2371:
	s_andn2_b64 vcc, exec, s[6:7]
	s_cbranch_vccnz .LBB192_2373
; %bb.2372:
	global_load_dword v5, v[10:11], off
	s_waitcnt vmcnt(0)
	v_cvt_f32_f16_e32 v12, v5
.LBB192_2373:
	s_mov_b64 s[6:7], 0
.LBB192_2374:
	s_andn2_b64 vcc, exec, s[6:7]
	s_cbranch_vccnz .LBB192_2385
; %bb.2375:
	s_cmp_lt_i32 s16, 6
	s_cbranch_scc1 .LBB192_2378
; %bb.2376:
	s_cmp_gt_i32 s16, 6
	s_cbranch_scc0 .LBB192_2379
; %bb.2377:
	global_load_dwordx2 v[12:13], v[10:11], off
	s_mov_b64 s[6:7], 0
	s_waitcnt vmcnt(0)
	v_cvt_f32_f64_e32 v12, v[12:13]
	s_branch .LBB192_2380
.LBB192_2378:
	s_mov_b64 s[6:7], -1
                                        ; implicit-def: $vgpr12
	s_branch .LBB192_2383
.LBB192_2379:
	s_mov_b64 s[6:7], -1
                                        ; implicit-def: $vgpr12
.LBB192_2380:
	s_andn2_b64 vcc, exec, s[6:7]
	s_cbranch_vccnz .LBB192_2382
; %bb.2381:
	global_load_dword v12, v[10:11], off
.LBB192_2382:
	s_mov_b64 s[6:7], 0
.LBB192_2383:
	s_andn2_b64 vcc, exec, s[6:7]
	s_cbranch_vccnz .LBB192_2385
; %bb.2384:
	global_load_ushort v5, v[10:11], off
	s_waitcnt vmcnt(0)
	v_cvt_f32_f16_e32 v12, v5
.LBB192_2385:
	s_mov_b64 s[6:7], 0
.LBB192_2386:
	s_andn2_b64 vcc, exec, s[6:7]
	s_cbranch_vccnz .LBB192_2406
; %bb.2387:
	s_cmp_lt_i32 s16, 2
	s_cbranch_scc1 .LBB192_2391
; %bb.2388:
	s_cmp_lt_i32 s16, 3
	s_cbranch_scc1 .LBB192_2392
; %bb.2389:
	s_cmp_gt_i32 s16, 3
	s_cbranch_scc0 .LBB192_2393
; %bb.2390:
	global_load_dwordx2 v[12:13], v[10:11], off
	s_mov_b64 s[6:7], 0
	s_waitcnt vmcnt(0)
	v_xor_b32_e32 v8, v12, v13
	v_ffbh_i32_e32 v5, v13
	v_ashrrev_i32_e32 v8, 31, v8
	v_add_u32_e32 v5, -1, v5
	v_add_u32_e32 v8, 32, v8
	v_min_u32_e32 v5, v5, v8
	v_lshlrev_b64 v[12:13], v5, v[12:13]
	v_sub_u32_e32 v5, 32, v5
	v_min_u32_e32 v8, 1, v12
	v_or_b32_e32 v8, v13, v8
	v_cvt_f32_i32_e32 v8, v8
	v_ldexp_f32 v12, v8, v5
	s_branch .LBB192_2394
.LBB192_2391:
	s_mov_b64 s[6:7], -1
                                        ; implicit-def: $vgpr12
	s_branch .LBB192_2400
.LBB192_2392:
	s_mov_b64 s[6:7], -1
                                        ; implicit-def: $vgpr12
	s_branch .LBB192_2397
.LBB192_2393:
	s_mov_b64 s[6:7], -1
                                        ; implicit-def: $vgpr12
.LBB192_2394:
	s_andn2_b64 vcc, exec, s[6:7]
	s_cbranch_vccnz .LBB192_2396
; %bb.2395:
	global_load_dword v5, v[10:11], off
	s_waitcnt vmcnt(0)
	v_cvt_f32_i32_e32 v12, v5
.LBB192_2396:
	s_mov_b64 s[6:7], 0
.LBB192_2397:
	s_andn2_b64 vcc, exec, s[6:7]
	s_cbranch_vccnz .LBB192_2399
; %bb.2398:
	global_load_sshort v5, v[10:11], off
	s_waitcnt vmcnt(0)
	v_cvt_f32_i32_e32 v12, v5
.LBB192_2399:
	s_mov_b64 s[6:7], 0
.LBB192_2400:
	s_andn2_b64 vcc, exec, s[6:7]
	s_cbranch_vccnz .LBB192_2406
; %bb.2401:
	s_cmp_gt_i32 s16, 0
	s_cbranch_scc0 .LBB192_2403
; %bb.2402:
	global_load_sbyte v5, v[10:11], off
	s_mov_b64 s[6:7], 0
	s_waitcnt vmcnt(0)
	v_cvt_f32_i32_e32 v12, v5
	s_branch .LBB192_2404
.LBB192_2403:
	s_mov_b64 s[6:7], -1
                                        ; implicit-def: $vgpr12
.LBB192_2404:
	s_andn2_b64 vcc, exec, s[6:7]
	s_cbranch_vccnz .LBB192_2406
; %bb.2405:
	global_load_ubyte v5, v[10:11], off
	s_waitcnt vmcnt(0)
	v_cvt_f32_ubyte0_e32 v12, v5
.LBB192_2406:
	s_mov_b64 s[18:19], -1
.LBB192_2407:
	s_andn2_b64 vcc, exec, s[18:19]
	s_cbranch_vccnz .LBB192_3101
; %bb.2408:
	v_mov_b32_e32 v5, s11
	v_add_co_u32_e32 v8, vcc, s10, v9
	s_cmp_lt_i32 s24, 11
	v_addc_co_u32_e32 v9, vcc, 0, v5, vcc
	s_cbranch_scc1 .LBB192_2415
; %bb.2409:
	s_and_b32 s22, 0xffff, s24
	s_cmp_gt_i32 s22, 25
	s_mov_b64 s[10:11], 0
	s_cbranch_scc0 .LBB192_2416
; %bb.2410:
	s_cmp_gt_i32 s22, 28
	s_cbranch_scc0 .LBB192_2417
; %bb.2411:
	s_cmp_gt_i32 s22, 43
	s_cbranch_scc0 .LBB192_2418
; %bb.2412:
	s_cmp_gt_i32 s22, 45
	s_cbranch_scc0 .LBB192_2420
; %bb.2413:
	s_cmp_eq_u32 s22, 46
	s_mov_b64 s[18:19], 0
	s_cbranch_scc0 .LBB192_2421
; %bb.2414:
	global_load_dword v5, v[8:9], off
	s_mov_b64 s[6:7], 0
	s_mov_b64 s[16:17], -1
	s_waitcnt vmcnt(0)
	v_lshlrev_b32_e32 v10, 16, v5
	s_branch .LBB192_2422
.LBB192_2415:
	s_mov_b64 s[6:7], -1
	s_mov_b64 s[16:17], 0
                                        ; implicit-def: $vgpr10
	s_branch .LBB192_2488
.LBB192_2416:
	s_mov_b64 s[18:19], -1
	s_mov_b64 s[16:17], 0
	s_mov_b64 s[6:7], 0
                                        ; implicit-def: $vgpr10
	s_branch .LBB192_2451
.LBB192_2417:
	s_mov_b64 s[18:19], -1
	s_mov_b64 s[16:17], 0
	s_mov_b64 s[6:7], 0
                                        ; implicit-def: $vgpr10
	s_branch .LBB192_2432
.LBB192_2418:
	s_mov_b64 s[18:19], -1
	s_mov_b64 s[16:17], 0
	s_mov_b64 s[6:7], 0
                                        ; implicit-def: $vgpr10
	s_branch .LBB192_2427
.LBB192_2419:
	s_trap 2
	s_or_b64 s[4:5], s[4:5], exec
	s_cbranch_execz .LBB192_2356
	s_branch .LBB192_2357
.LBB192_2420:
	s_mov_b64 s[18:19], -1
	s_mov_b64 s[16:17], 0
	s_mov_b64 s[6:7], 0
                                        ; implicit-def: $vgpr10
	s_branch .LBB192_2422
.LBB192_2421:
	s_mov_b64 s[6:7], -1
                                        ; implicit-def: $vgpr10
	s_mov_b64 s[16:17], 0
.LBB192_2422:
	s_and_b64 vcc, exec, s[18:19]
	s_cbranch_vccz .LBB192_2426
; %bb.2423:
	s_cmp_eq_u32 s22, 44
	s_cbranch_scc0 .LBB192_2425
; %bb.2424:
	global_load_ubyte v5, v[8:9], off
	s_movk_i32 s16, 0xff
	v_mov_b32_e32 v10, 0x7f800001
	v_mov_b32_e32 v11, 0x400000
	s_mov_b64 s[6:7], 0
	s_waitcnt vmcnt(0)
	v_lshlrev_b32_e32 v13, 23, v5
	v_cmp_ne_u32_e32 vcc, s16, v5
	v_cndmask_b32_e32 v10, v10, v13, vcc
	v_cmp_ne_u32_e32 vcc, 0, v5
	v_cndmask_b32_e32 v10, v11, v10, vcc
	s_mov_b64 s[16:17], -1
	s_branch .LBB192_2426
.LBB192_2425:
	s_mov_b64 s[6:7], -1
                                        ; implicit-def: $vgpr10
.LBB192_2426:
	s_mov_b64 s[18:19], 0
.LBB192_2427:
	s_and_b64 vcc, exec, s[18:19]
	s_cbranch_vccz .LBB192_2431
; %bb.2428:
	s_cmp_eq_u32 s22, 29
	s_cbranch_scc0 .LBB192_2430
; %bb.2429:
	global_load_dwordx2 v[10:11], v[8:9], off
	s_mov_b64 s[6:7], 0
	s_mov_b64 s[16:17], -1
	s_mov_b64 s[18:19], 0
	s_waitcnt vmcnt(0)
	v_ffbh_u32_e32 v5, v11
	v_min_u32_e32 v5, 32, v5
	v_lshlrev_b64 v[10:11], v5, v[10:11]
	v_sub_u32_e32 v5, 32, v5
	v_min_u32_e32 v10, 1, v10
	v_or_b32_e32 v10, v11, v10
	v_cvt_f32_u32_e32 v10, v10
	v_ldexp_f32 v10, v10, v5
	s_branch .LBB192_2432
.LBB192_2430:
	s_mov_b64 s[6:7], -1
                                        ; implicit-def: $vgpr10
.LBB192_2431:
	s_mov_b64 s[18:19], 0
.LBB192_2432:
	s_and_b64 vcc, exec, s[18:19]
	s_cbranch_vccz .LBB192_2450
; %bb.2433:
	s_cmp_lt_i32 s22, 27
	s_cbranch_scc1 .LBB192_2436
; %bb.2434:
	s_cmp_gt_i32 s22, 27
	s_cbranch_scc0 .LBB192_2437
; %bb.2435:
	global_load_dword v5, v[8:9], off
	s_mov_b64 s[16:17], 0
	s_waitcnt vmcnt(0)
	v_cvt_f32_u32_e32 v10, v5
	s_branch .LBB192_2438
.LBB192_2436:
	s_mov_b64 s[16:17], -1
                                        ; implicit-def: $vgpr10
	s_branch .LBB192_2441
.LBB192_2437:
	s_mov_b64 s[16:17], -1
                                        ; implicit-def: $vgpr10
.LBB192_2438:
	s_andn2_b64 vcc, exec, s[16:17]
	s_cbranch_vccnz .LBB192_2440
; %bb.2439:
	global_load_ushort v5, v[8:9], off
	s_waitcnt vmcnt(0)
	v_cvt_f32_u32_e32 v10, v5
.LBB192_2440:
	s_mov_b64 s[16:17], 0
.LBB192_2441:
	s_andn2_b64 vcc, exec, s[16:17]
	s_cbranch_vccnz .LBB192_2449
; %bb.2442:
	global_load_ubyte v5, v[8:9], off
	s_movk_i32 s16, 0x7f
	s_waitcnt vmcnt(0)
	v_cmp_lt_i16_e32 vcc, s16, v5
	s_mov_b64 s[16:17], 0
	s_and_saveexec_b64 s[18:19], vcc
	s_xor_b64 s[18:19], exec, s[18:19]
	s_cbranch_execz .LBB192_2463
; %bb.2443:
	s_movk_i32 s16, 0x80
	v_cmp_eq_u16_e32 vcc, s16, v5
	s_mov_b64 s[16:17], -1
	s_and_saveexec_b64 s[20:21], vcc
; %bb.2444:
	s_xor_b64 s[16:17], exec, -1
; %bb.2445:
	s_or_b64 exec, exec, s[20:21]
	s_and_b64 s[16:17], s[16:17], exec
	s_or_saveexec_b64 s[18:19], s[18:19]
	v_mov_b32_e32 v10, 0x7f800001
	s_xor_b64 exec, exec, s[18:19]
	s_cbranch_execnz .LBB192_2464
.LBB192_2446:
	s_or_b64 exec, exec, s[18:19]
	s_and_saveexec_b64 s[18:19], s[16:17]
	s_cbranch_execz .LBB192_2448
.LBB192_2447:
	v_lshlrev_b32_e32 v10, 24, v5
	v_and_b32_e32 v5, 0xffff, v5
	v_and_b32_e32 v11, 7, v5
	v_ffbh_u32_e32 v15, v11
	v_min_u32_e32 v15, 32, v15
	v_subrev_u32_e32 v17, 28, v15
	v_bfe_u32 v13, v5, 3, 4
	v_lshlrev_b32_e32 v5, v17, v5
	v_sub_u32_e32 v15, 29, v15
	v_and_b32_e32 v5, 7, v5
	v_cmp_eq_u32_e32 vcc, 0, v13
	v_cndmask_b32_e32 v13, v13, v15, vcc
	v_cndmask_b32_e32 v5, v11, v5, vcc
	v_mov_b32_e32 v11, 0x3b800000
	v_lshlrev_b32_e32 v5, 20, v5
	v_and_b32_e32 v10, 0x80000000, v10
	v_lshl_add_u32 v11, v13, 23, v11
	v_or3_b32 v10, v10, v11, v5
.LBB192_2448:
	s_or_b64 exec, exec, s[18:19]
.LBB192_2449:
	s_mov_b64 s[16:17], -1
.LBB192_2450:
	s_mov_b64 s[18:19], 0
.LBB192_2451:
	s_and_b64 vcc, exec, s[18:19]
	s_cbranch_vccz .LBB192_2484
; %bb.2452:
	s_cmp_gt_i32 s22, 22
	s_cbranch_scc0 .LBB192_2462
; %bb.2453:
	s_cmp_lt_i32 s22, 24
	s_cbranch_scc1 .LBB192_2465
; %bb.2454:
	s_cmp_gt_i32 s22, 24
	s_cbranch_scc0 .LBB192_2466
; %bb.2455:
	global_load_ubyte v5, v[8:9], off
	s_movk_i32 s10, 0x7f
	s_waitcnt vmcnt(0)
	v_cmp_lt_i16_e32 vcc, s10, v5
	s_mov_b64 s[10:11], 0
	s_and_saveexec_b64 s[16:17], vcc
	s_xor_b64 s[16:17], exec, s[16:17]
	s_cbranch_execz .LBB192_2478
; %bb.2456:
	s_movk_i32 s10, 0x80
	v_cmp_eq_u16_e32 vcc, s10, v5
	s_mov_b64 s[10:11], -1
	s_and_saveexec_b64 s[18:19], vcc
; %bb.2457:
	s_xor_b64 s[10:11], exec, -1
; %bb.2458:
	s_or_b64 exec, exec, s[18:19]
	s_and_b64 s[10:11], s[10:11], exec
	s_or_saveexec_b64 s[16:17], s[16:17]
	v_mov_b32_e32 v10, 0x7f800001
	s_xor_b64 exec, exec, s[16:17]
	s_cbranch_execnz .LBB192_2479
.LBB192_2459:
	s_or_b64 exec, exec, s[16:17]
	s_and_saveexec_b64 s[16:17], s[10:11]
	s_cbranch_execz .LBB192_2461
.LBB192_2460:
	v_lshlrev_b32_e32 v10, 24, v5
	v_and_b32_e32 v5, 0xffff, v5
	v_and_b32_e32 v11, 3, v5
	v_ffbh_u32_e32 v15, v11
	v_min_u32_e32 v15, 32, v15
	v_subrev_u32_e32 v17, 29, v15
	v_bfe_u32 v13, v5, 2, 5
	v_lshlrev_b32_e32 v5, v17, v5
	v_sub_u32_e32 v15, 30, v15
	v_and_b32_e32 v5, 3, v5
	v_cmp_eq_u32_e32 vcc, 0, v13
	v_cndmask_b32_e32 v13, v13, v15, vcc
	v_cndmask_b32_e32 v5, v11, v5, vcc
	v_mov_b32_e32 v11, 0x37800000
	v_lshlrev_b32_e32 v5, 21, v5
	v_and_b32_e32 v10, 0x80000000, v10
	v_lshl_add_u32 v11, v13, 23, v11
	v_or3_b32 v10, v10, v11, v5
.LBB192_2461:
	s_or_b64 exec, exec, s[16:17]
	s_mov_b64 s[10:11], 0
	s_branch .LBB192_2467
.LBB192_2462:
	s_mov_b64 s[10:11], -1
                                        ; implicit-def: $vgpr10
	s_branch .LBB192_2473
.LBB192_2463:
	s_or_saveexec_b64 s[18:19], s[18:19]
	v_mov_b32_e32 v10, 0x7f800001
	s_xor_b64 exec, exec, s[18:19]
	s_cbranch_execz .LBB192_2446
.LBB192_2464:
	v_cmp_ne_u16_e32 vcc, 0, v5
	s_andn2_b64 s[16:17], s[16:17], exec
	s_and_b64 s[20:21], vcc, exec
	v_mov_b32_e32 v10, 0
	s_or_b64 s[16:17], s[16:17], s[20:21]
	s_or_b64 exec, exec, s[18:19]
	s_and_saveexec_b64 s[18:19], s[16:17]
	s_cbranch_execnz .LBB192_2447
	s_branch .LBB192_2448
.LBB192_2465:
	s_mov_b64 s[10:11], -1
                                        ; implicit-def: $vgpr10
	s_branch .LBB192_2470
.LBB192_2466:
	s_mov_b64 s[10:11], -1
                                        ; implicit-def: $vgpr10
.LBB192_2467:
	s_and_b64 vcc, exec, s[10:11]
	s_cbranch_vccz .LBB192_2469
; %bb.2468:
	global_load_ubyte v5, v[8:9], off
	s_mov_b32 s10, 0x7f800000
	s_waitcnt vmcnt(0)
	v_lshlrev_b32_e32 v5, 24, v5
	v_and_b32_e32 v10, 0x7f000000, v5
	v_ffbh_u32_e32 v11, v10
	v_min_u32_e32 v11, 32, v11
	v_sub_u32_e64 v11, v11, 4 clamp
	v_lshlrev_b32_e32 v15, v11, v10
	v_lshlrev_b32_e32 v11, 23, v11
	v_lshrrev_b32_e32 v15, 4, v15
	v_add_u32_e32 v13, 0x1000000, v10
	v_sub_u32_e32 v11, v15, v11
	v_ashrrev_i32_e32 v13, 8, v13
	v_add_u32_e32 v11, 0x3c000000, v11
	v_and_or_b32 v11, v13, s10, v11
	v_cmp_ne_u32_e32 vcc, 0, v10
	v_cndmask_b32_e32 v10, 0, v11, vcc
	s_brev_b32 s10, 1
	v_and_or_b32 v10, v5, s10, v10
.LBB192_2469:
	s_mov_b64 s[10:11], 0
.LBB192_2470:
	s_andn2_b64 vcc, exec, s[10:11]
	s_cbranch_vccnz .LBB192_2472
; %bb.2471:
	global_load_ubyte v5, v[8:9], off
	s_movk_i32 s10, 0x7f00
	s_brev_b32 s11, 16
	s_waitcnt vmcnt(0)
	v_lshlrev_b16_e32 v10, 8, v5
	v_lshlrev_b32_e32 v5, 25, v5
	v_lshrrev_b32_e32 v11, 4, v5
	v_and_or_b32 v13, v10, s10, 0.5
	v_or_b32_e32 v11, 0x70000000, v11
	v_add_f32_e32 v13, -0.5, v13
	v_mul_f32_e32 v11, 0x7800000, v11
	v_cmp_gt_u32_e32 vcc, s11, v5
	v_bfe_i32 v10, v10, 0, 16
	v_cndmask_b32_e32 v5, v11, v13, vcc
	s_brev_b32 s10, 1
	v_and_or_b32 v10, v10, s10, v5
.LBB192_2472:
	s_mov_b64 s[10:11], 0
	s_mov_b64 s[16:17], -1
.LBB192_2473:
	s_andn2_b64 vcc, exec, s[10:11]
	s_mov_b64 s[10:11], 0
	s_cbranch_vccnz .LBB192_2484
; %bb.2474:
	s_cmp_gt_i32 s22, 14
	s_cbranch_scc0 .LBB192_2477
; %bb.2475:
	s_cmp_eq_u32 s22, 15
	s_cbranch_scc0 .LBB192_2480
; %bb.2476:
	global_load_ushort v5, v[8:9], off
	s_mov_b64 s[6:7], 0
	s_mov_b64 s[16:17], -1
	s_waitcnt vmcnt(0)
	v_lshlrev_b32_e32 v10, 16, v5
	s_branch .LBB192_2481
.LBB192_2477:
	s_mov_b64 s[18:19], -1
                                        ; implicit-def: $vgpr10
	s_branch .LBB192_2482
.LBB192_2478:
	s_or_saveexec_b64 s[16:17], s[16:17]
	v_mov_b32_e32 v10, 0x7f800001
	s_xor_b64 exec, exec, s[16:17]
	s_cbranch_execz .LBB192_2459
.LBB192_2479:
	v_cmp_ne_u16_e32 vcc, 0, v5
	s_andn2_b64 s[10:11], s[10:11], exec
	s_and_b64 s[18:19], vcc, exec
	v_mov_b32_e32 v10, 0
	s_or_b64 s[10:11], s[10:11], s[18:19]
	s_or_b64 exec, exec, s[16:17]
	s_and_saveexec_b64 s[16:17], s[10:11]
	s_cbranch_execnz .LBB192_2460
	s_branch .LBB192_2461
.LBB192_2480:
	s_mov_b64 s[6:7], -1
                                        ; implicit-def: $vgpr10
.LBB192_2481:
	s_mov_b64 s[18:19], 0
.LBB192_2482:
	s_and_b64 vcc, exec, s[18:19]
	s_cbranch_vccz .LBB192_2484
; %bb.2483:
	s_cmp_lg_u32 s22, 11
	s_mov_b64 s[10:11], -1
	s_cselect_b64 s[6:7], -1, 0
.LBB192_2484:
	s_and_b64 vcc, exec, s[6:7]
	s_cbranch_vccnz .LBB192_2549
; %bb.2485:
	s_andn2_b64 vcc, exec, s[10:11]
	s_cbranch_vccnz .LBB192_2487
.LBB192_2486:
	global_load_ubyte v5, v[8:9], off
	s_mov_b64 s[16:17], -1
	s_waitcnt vmcnt(0)
	v_cmp_ne_u16_e32 vcc, 0, v5
	v_cndmask_b32_e64 v10, 0, 1.0, vcc
.LBB192_2487:
	s_mov_b64 s[6:7], 0
.LBB192_2488:
	s_and_b64 vcc, exec, s[6:7]
	s_cbranch_vccz .LBB192_2537
; %bb.2489:
	s_and_b32 s10, 0xffff, s24
	s_cmp_lt_i32 s10, 5
	s_cbranch_scc1 .LBB192_2494
; %bb.2490:
	s_cmp_lt_i32 s10, 8
	s_cbranch_scc1 .LBB192_2495
; %bb.2491:
	;; [unrolled: 3-line block ×3, first 2 shown]
	s_cmp_gt_i32 s10, 9
	s_cbranch_scc0 .LBB192_2497
; %bb.2493:
	global_load_dwordx2 v[10:11], v[8:9], off
	s_mov_b64 s[6:7], 0
	s_waitcnt vmcnt(0)
	v_cvt_f32_f64_e32 v10, v[10:11]
	s_branch .LBB192_2498
.LBB192_2494:
	s_mov_b64 s[6:7], -1
                                        ; implicit-def: $vgpr10
	s_branch .LBB192_2516
.LBB192_2495:
	s_mov_b64 s[6:7], -1
                                        ; implicit-def: $vgpr10
	s_branch .LBB192_2504
.LBB192_2496:
	s_mov_b64 s[6:7], -1
                                        ; implicit-def: $vgpr10
	s_branch .LBB192_2501
.LBB192_2497:
	s_mov_b64 s[6:7], -1
                                        ; implicit-def: $vgpr10
.LBB192_2498:
	s_andn2_b64 vcc, exec, s[6:7]
	s_cbranch_vccnz .LBB192_2500
; %bb.2499:
	global_load_dword v10, v[8:9], off
.LBB192_2500:
	s_mov_b64 s[6:7], 0
.LBB192_2501:
	s_andn2_b64 vcc, exec, s[6:7]
	s_cbranch_vccnz .LBB192_2503
; %bb.2502:
	global_load_dword v5, v[8:9], off
	s_waitcnt vmcnt(0)
	v_cvt_f32_f16_e32 v10, v5
.LBB192_2503:
	s_mov_b64 s[6:7], 0
.LBB192_2504:
	s_andn2_b64 vcc, exec, s[6:7]
	s_cbranch_vccnz .LBB192_2515
; %bb.2505:
	s_cmp_lt_i32 s10, 6
	s_cbranch_scc1 .LBB192_2508
; %bb.2506:
	s_cmp_gt_i32 s10, 6
	s_cbranch_scc0 .LBB192_2509
; %bb.2507:
	global_load_dwordx2 v[10:11], v[8:9], off
	s_mov_b64 s[6:7], 0
	s_waitcnt vmcnt(0)
	v_cvt_f32_f64_e32 v10, v[10:11]
	s_branch .LBB192_2510
.LBB192_2508:
	s_mov_b64 s[6:7], -1
                                        ; implicit-def: $vgpr10
	s_branch .LBB192_2513
.LBB192_2509:
	s_mov_b64 s[6:7], -1
                                        ; implicit-def: $vgpr10
.LBB192_2510:
	s_andn2_b64 vcc, exec, s[6:7]
	s_cbranch_vccnz .LBB192_2512
; %bb.2511:
	global_load_dword v10, v[8:9], off
.LBB192_2512:
	s_mov_b64 s[6:7], 0
.LBB192_2513:
	s_andn2_b64 vcc, exec, s[6:7]
	s_cbranch_vccnz .LBB192_2515
; %bb.2514:
	global_load_ushort v5, v[8:9], off
	s_waitcnt vmcnt(0)
	v_cvt_f32_f16_e32 v10, v5
.LBB192_2515:
	s_mov_b64 s[6:7], 0
.LBB192_2516:
	s_andn2_b64 vcc, exec, s[6:7]
	s_cbranch_vccnz .LBB192_2536
; %bb.2517:
	s_cmp_lt_i32 s10, 2
	s_cbranch_scc1 .LBB192_2521
; %bb.2518:
	s_cmp_lt_i32 s10, 3
	s_cbranch_scc1 .LBB192_2522
; %bb.2519:
	s_cmp_gt_i32 s10, 3
	s_cbranch_scc0 .LBB192_2523
; %bb.2520:
	global_load_dwordx2 v[10:11], v[8:9], off
	s_mov_b64 s[6:7], 0
	s_waitcnt vmcnt(0)
	v_xor_b32_e32 v13, v10, v11
	v_ffbh_i32_e32 v5, v11
	v_ashrrev_i32_e32 v13, 31, v13
	v_add_u32_e32 v5, -1, v5
	v_add_u32_e32 v13, 32, v13
	v_min_u32_e32 v5, v5, v13
	v_lshlrev_b64 v[10:11], v5, v[10:11]
	v_sub_u32_e32 v5, 32, v5
	v_min_u32_e32 v10, 1, v10
	v_or_b32_e32 v10, v11, v10
	v_cvt_f32_i32_e32 v10, v10
	v_ldexp_f32 v10, v10, v5
	s_branch .LBB192_2524
.LBB192_2521:
	s_mov_b64 s[6:7], -1
                                        ; implicit-def: $vgpr10
	s_branch .LBB192_2530
.LBB192_2522:
	s_mov_b64 s[6:7], -1
                                        ; implicit-def: $vgpr10
	s_branch .LBB192_2527
.LBB192_2523:
	s_mov_b64 s[6:7], -1
                                        ; implicit-def: $vgpr10
.LBB192_2524:
	s_andn2_b64 vcc, exec, s[6:7]
	s_cbranch_vccnz .LBB192_2526
; %bb.2525:
	global_load_dword v5, v[8:9], off
	s_waitcnt vmcnt(0)
	v_cvt_f32_i32_e32 v10, v5
.LBB192_2526:
	s_mov_b64 s[6:7], 0
.LBB192_2527:
	s_andn2_b64 vcc, exec, s[6:7]
	s_cbranch_vccnz .LBB192_2529
; %bb.2528:
	global_load_sshort v5, v[8:9], off
	s_waitcnt vmcnt(0)
	v_cvt_f32_i32_e32 v10, v5
.LBB192_2529:
	s_mov_b64 s[6:7], 0
.LBB192_2530:
	s_andn2_b64 vcc, exec, s[6:7]
	s_cbranch_vccnz .LBB192_2536
; %bb.2531:
	s_cmp_gt_i32 s10, 0
	s_cbranch_scc0 .LBB192_2533
; %bb.2532:
	global_load_sbyte v5, v[8:9], off
	s_mov_b64 s[6:7], 0
	s_waitcnt vmcnt(0)
	v_cvt_f32_i32_e32 v10, v5
	s_branch .LBB192_2534
.LBB192_2533:
	s_mov_b64 s[6:7], -1
                                        ; implicit-def: $vgpr10
.LBB192_2534:
	s_andn2_b64 vcc, exec, s[6:7]
	s_cbranch_vccnz .LBB192_2536
; %bb.2535:
	global_load_ubyte v5, v[8:9], off
	s_waitcnt vmcnt(0)
	v_cvt_f32_ubyte0_e32 v10, v5
.LBB192_2536:
	s_mov_b64 s[16:17], -1
.LBB192_2537:
	s_andn2_b64 vcc, exec, s[16:17]
	s_cbranch_vccnz .LBB192_3101
; %bb.2538:
	v_mov_b32_e32 v5, s1
	v_add_co_u32_e32 v7, vcc, s0, v7
	s_cmp_lt_i32 s25, 11
	v_addc_co_u32_e32 v8, vcc, 0, v5, vcc
	s_cbranch_scc1 .LBB192_2545
; %bb.2539:
	s_and_b32 s20, 0xffff, s25
	s_cmp_gt_i32 s20, 25
	s_mov_b64 s[6:7], 0
	s_cbranch_scc0 .LBB192_2546
; %bb.2540:
	s_cmp_gt_i32 s20, 28
	s_cbranch_scc0 .LBB192_2547
; %bb.2541:
	s_cmp_gt_i32 s20, 43
	;; [unrolled: 3-line block ×3, first 2 shown]
	s_cbranch_scc0 .LBB192_2550
; %bb.2543:
	s_cmp_eq_u32 s20, 46
	s_mov_b64 s[16:17], 0
	s_cbranch_scc0 .LBB192_2551
; %bb.2544:
	global_load_dword v5, v[7:8], off
	s_mov_b64 s[0:1], 0
	s_mov_b64 s[10:11], -1
	s_waitcnt vmcnt(0)
	v_lshlrev_b32_e32 v9, 16, v5
	s_branch .LBB192_2552
.LBB192_2545:
	s_mov_b64 s[0:1], -1
	s_mov_b64 s[10:11], 0
                                        ; implicit-def: $vgpr9
	s_branch .LBB192_2618
.LBB192_2546:
	s_mov_b64 s[16:17], -1
	s_mov_b64 s[10:11], 0
	s_mov_b64 s[0:1], 0
                                        ; implicit-def: $vgpr9
	s_branch .LBB192_2581
.LBB192_2547:
	s_mov_b64 s[16:17], -1
	s_mov_b64 s[10:11], 0
	s_mov_b64 s[0:1], 0
                                        ; implicit-def: $vgpr9
	s_branch .LBB192_2562
.LBB192_2548:
	s_mov_b64 s[16:17], -1
	s_mov_b64 s[10:11], 0
	s_mov_b64 s[0:1], 0
                                        ; implicit-def: $vgpr9
	s_branch .LBB192_2557
.LBB192_2549:
	s_trap 2
	s_or_b64 s[4:5], s[4:5], exec
	s_cbranch_execz .LBB192_2486
	s_branch .LBB192_2487
.LBB192_2550:
	s_mov_b64 s[16:17], -1
	s_mov_b64 s[10:11], 0
	s_mov_b64 s[0:1], 0
                                        ; implicit-def: $vgpr9
	s_branch .LBB192_2552
.LBB192_2551:
	s_mov_b64 s[0:1], -1
                                        ; implicit-def: $vgpr9
	s_mov_b64 s[10:11], 0
.LBB192_2552:
	s_and_b64 vcc, exec, s[16:17]
	s_cbranch_vccz .LBB192_2556
; %bb.2553:
	s_cmp_eq_u32 s20, 44
	s_cbranch_scc0 .LBB192_2555
; %bb.2554:
	global_load_ubyte v5, v[7:8], off
	s_movk_i32 s10, 0xff
	v_mov_b32_e32 v9, 0x7f800001
	v_mov_b32_e32 v11, 0x400000
	s_mov_b64 s[0:1], 0
	s_waitcnt vmcnt(0)
	v_lshlrev_b32_e32 v13, 23, v5
	v_cmp_ne_u32_e32 vcc, s10, v5
	v_cndmask_b32_e32 v9, v9, v13, vcc
	v_cmp_ne_u32_e32 vcc, 0, v5
	v_cndmask_b32_e32 v9, v11, v9, vcc
	s_mov_b64 s[10:11], -1
	s_branch .LBB192_2556
.LBB192_2555:
	s_mov_b64 s[0:1], -1
                                        ; implicit-def: $vgpr9
.LBB192_2556:
	s_mov_b64 s[16:17], 0
.LBB192_2557:
	s_and_b64 vcc, exec, s[16:17]
	s_cbranch_vccz .LBB192_2561
; %bb.2558:
	s_cmp_eq_u32 s20, 29
	s_cbranch_scc0 .LBB192_2560
; %bb.2559:
	global_load_dwordx2 v[19:20], v[7:8], off
	s_mov_b64 s[0:1], 0
	s_mov_b64 s[10:11], -1
	s_mov_b64 s[16:17], 0
	s_waitcnt vmcnt(0)
	v_ffbh_u32_e32 v5, v20
	v_min_u32_e32 v5, 32, v5
	v_lshlrev_b64 v[19:20], v5, v[19:20]
	v_sub_u32_e32 v5, 32, v5
	v_min_u32_e32 v9, 1, v19
	v_or_b32_e32 v9, v20, v9
	v_cvt_f32_u32_e32 v9, v9
	v_ldexp_f32 v9, v9, v5
	s_branch .LBB192_2562
.LBB192_2560:
	s_mov_b64 s[0:1], -1
                                        ; implicit-def: $vgpr9
.LBB192_2561:
	s_mov_b64 s[16:17], 0
.LBB192_2562:
	s_and_b64 vcc, exec, s[16:17]
	s_cbranch_vccz .LBB192_2580
; %bb.2563:
	s_cmp_lt_i32 s20, 27
	s_cbranch_scc1 .LBB192_2566
; %bb.2564:
	s_cmp_gt_i32 s20, 27
	s_cbranch_scc0 .LBB192_2567
; %bb.2565:
	global_load_dword v5, v[7:8], off
	s_mov_b64 s[10:11], 0
	s_waitcnt vmcnt(0)
	v_cvt_f32_u32_e32 v9, v5
	s_branch .LBB192_2568
.LBB192_2566:
	s_mov_b64 s[10:11], -1
                                        ; implicit-def: $vgpr9
	s_branch .LBB192_2571
.LBB192_2567:
	s_mov_b64 s[10:11], -1
                                        ; implicit-def: $vgpr9
.LBB192_2568:
	s_andn2_b64 vcc, exec, s[10:11]
	s_cbranch_vccnz .LBB192_2570
; %bb.2569:
	global_load_ushort v5, v[7:8], off
	s_waitcnt vmcnt(0)
	v_cvt_f32_u32_e32 v9, v5
.LBB192_2570:
	s_mov_b64 s[10:11], 0
.LBB192_2571:
	s_andn2_b64 vcc, exec, s[10:11]
	s_cbranch_vccnz .LBB192_2579
; %bb.2572:
	global_load_ubyte v5, v[7:8], off
	s_movk_i32 s10, 0x7f
	s_waitcnt vmcnt(0)
	v_cmp_lt_i16_e32 vcc, s10, v5
	s_mov_b64 s[10:11], 0
	s_and_saveexec_b64 s[16:17], vcc
	s_xor_b64 s[16:17], exec, s[16:17]
	s_cbranch_execz .LBB192_2593
; %bb.2573:
	s_movk_i32 s10, 0x80
	v_cmp_eq_u16_e32 vcc, s10, v5
	s_mov_b64 s[10:11], -1
	s_and_saveexec_b64 s[18:19], vcc
; %bb.2574:
	s_xor_b64 s[10:11], exec, -1
; %bb.2575:
	s_or_b64 exec, exec, s[18:19]
	s_and_b64 s[10:11], s[10:11], exec
	s_or_saveexec_b64 s[16:17], s[16:17]
	v_mov_b32_e32 v9, 0x7f800001
	s_xor_b64 exec, exec, s[16:17]
	s_cbranch_execnz .LBB192_2594
.LBB192_2576:
	s_or_b64 exec, exec, s[16:17]
	s_and_saveexec_b64 s[16:17], s[10:11]
	s_cbranch_execz .LBB192_2578
.LBB192_2577:
	v_lshlrev_b32_e32 v9, 24, v5
	v_and_b32_e32 v5, 0xffff, v5
	v_and_b32_e32 v11, 7, v5
	v_ffbh_u32_e32 v15, v11
	v_min_u32_e32 v15, 32, v15
	v_subrev_u32_e32 v17, 28, v15
	v_bfe_u32 v13, v5, 3, 4
	v_lshlrev_b32_e32 v5, v17, v5
	v_sub_u32_e32 v15, 29, v15
	v_and_b32_e32 v5, 7, v5
	v_cmp_eq_u32_e32 vcc, 0, v13
	v_cndmask_b32_e32 v13, v13, v15, vcc
	v_cndmask_b32_e32 v5, v11, v5, vcc
	v_mov_b32_e32 v11, 0x3b800000
	v_lshlrev_b32_e32 v5, 20, v5
	v_and_b32_e32 v9, 0x80000000, v9
	v_lshl_add_u32 v11, v13, 23, v11
	v_or3_b32 v9, v9, v11, v5
.LBB192_2578:
	s_or_b64 exec, exec, s[16:17]
.LBB192_2579:
	s_mov_b64 s[10:11], -1
.LBB192_2580:
	s_mov_b64 s[16:17], 0
.LBB192_2581:
	s_and_b64 vcc, exec, s[16:17]
	s_cbranch_vccz .LBB192_2614
; %bb.2582:
	s_cmp_gt_i32 s20, 22
	s_cbranch_scc0 .LBB192_2592
; %bb.2583:
	s_cmp_lt_i32 s20, 24
	s_cbranch_scc1 .LBB192_2595
; %bb.2584:
	s_cmp_gt_i32 s20, 24
	s_cbranch_scc0 .LBB192_2596
; %bb.2585:
	global_load_ubyte v5, v[7:8], off
	s_movk_i32 s6, 0x7f
	s_waitcnt vmcnt(0)
	v_cmp_lt_i16_e32 vcc, s6, v5
	s_mov_b64 s[6:7], 0
	s_and_saveexec_b64 s[10:11], vcc
	s_xor_b64 s[10:11], exec, s[10:11]
	s_cbranch_execz .LBB192_2608
; %bb.2586:
	s_movk_i32 s6, 0x80
	v_cmp_eq_u16_e32 vcc, s6, v5
	s_mov_b64 s[6:7], -1
	s_and_saveexec_b64 s[16:17], vcc
; %bb.2587:
	s_xor_b64 s[6:7], exec, -1
; %bb.2588:
	s_or_b64 exec, exec, s[16:17]
	s_and_b64 s[6:7], s[6:7], exec
	s_or_saveexec_b64 s[10:11], s[10:11]
	v_mov_b32_e32 v9, 0x7f800001
	s_xor_b64 exec, exec, s[10:11]
	s_cbranch_execnz .LBB192_2609
.LBB192_2589:
	s_or_b64 exec, exec, s[10:11]
	s_and_saveexec_b64 s[10:11], s[6:7]
	s_cbranch_execz .LBB192_2591
.LBB192_2590:
	v_lshlrev_b32_e32 v9, 24, v5
	v_and_b32_e32 v5, 0xffff, v5
	v_and_b32_e32 v11, 3, v5
	v_ffbh_u32_e32 v15, v11
	v_min_u32_e32 v15, 32, v15
	v_subrev_u32_e32 v17, 29, v15
	v_bfe_u32 v13, v5, 2, 5
	v_lshlrev_b32_e32 v5, v17, v5
	v_sub_u32_e32 v15, 30, v15
	v_and_b32_e32 v5, 3, v5
	v_cmp_eq_u32_e32 vcc, 0, v13
	v_cndmask_b32_e32 v13, v13, v15, vcc
	v_cndmask_b32_e32 v5, v11, v5, vcc
	v_mov_b32_e32 v11, 0x37800000
	v_lshlrev_b32_e32 v5, 21, v5
	v_and_b32_e32 v9, 0x80000000, v9
	v_lshl_add_u32 v11, v13, 23, v11
	v_or3_b32 v9, v9, v11, v5
.LBB192_2591:
	s_or_b64 exec, exec, s[10:11]
	s_mov_b64 s[6:7], 0
	s_branch .LBB192_2597
.LBB192_2592:
	s_mov_b64 s[6:7], -1
                                        ; implicit-def: $vgpr9
	s_branch .LBB192_2603
.LBB192_2593:
	s_or_saveexec_b64 s[16:17], s[16:17]
	v_mov_b32_e32 v9, 0x7f800001
	s_xor_b64 exec, exec, s[16:17]
	s_cbranch_execz .LBB192_2576
.LBB192_2594:
	v_cmp_ne_u16_e32 vcc, 0, v5
	s_andn2_b64 s[10:11], s[10:11], exec
	s_and_b64 s[18:19], vcc, exec
	v_mov_b32_e32 v9, 0
	s_or_b64 s[10:11], s[10:11], s[18:19]
	s_or_b64 exec, exec, s[16:17]
	s_and_saveexec_b64 s[16:17], s[10:11]
	s_cbranch_execnz .LBB192_2577
	s_branch .LBB192_2578
.LBB192_2595:
	s_mov_b64 s[6:7], -1
                                        ; implicit-def: $vgpr9
	s_branch .LBB192_2600
.LBB192_2596:
	s_mov_b64 s[6:7], -1
                                        ; implicit-def: $vgpr9
.LBB192_2597:
	s_and_b64 vcc, exec, s[6:7]
	s_cbranch_vccz .LBB192_2599
; %bb.2598:
	global_load_ubyte v5, v[7:8], off
	s_mov_b32 s6, 0x7f800000
	s_waitcnt vmcnt(0)
	v_lshlrev_b32_e32 v5, 24, v5
	v_and_b32_e32 v9, 0x7f000000, v5
	v_ffbh_u32_e32 v11, v9
	v_min_u32_e32 v11, 32, v11
	v_sub_u32_e64 v11, v11, 4 clamp
	v_lshlrev_b32_e32 v15, v11, v9
	v_lshlrev_b32_e32 v11, 23, v11
	v_lshrrev_b32_e32 v15, 4, v15
	v_add_u32_e32 v13, 0x1000000, v9
	v_sub_u32_e32 v11, v15, v11
	v_ashrrev_i32_e32 v13, 8, v13
	v_add_u32_e32 v11, 0x3c000000, v11
	v_and_or_b32 v11, v13, s6, v11
	v_cmp_ne_u32_e32 vcc, 0, v9
	v_cndmask_b32_e32 v9, 0, v11, vcc
	s_brev_b32 s6, 1
	v_and_or_b32 v9, v5, s6, v9
.LBB192_2599:
	s_mov_b64 s[6:7], 0
.LBB192_2600:
	s_andn2_b64 vcc, exec, s[6:7]
	s_cbranch_vccnz .LBB192_2602
; %bb.2601:
	global_load_ubyte v5, v[7:8], off
	s_movk_i32 s6, 0x7f00
	s_brev_b32 s7, 16
	s_waitcnt vmcnt(0)
	v_lshlrev_b16_e32 v9, 8, v5
	v_lshlrev_b32_e32 v5, 25, v5
	v_lshrrev_b32_e32 v11, 4, v5
	v_and_or_b32 v13, v9, s6, 0.5
	v_or_b32_e32 v11, 0x70000000, v11
	v_add_f32_e32 v13, -0.5, v13
	v_mul_f32_e32 v11, 0x7800000, v11
	v_cmp_gt_u32_e32 vcc, s7, v5
	v_bfe_i32 v9, v9, 0, 16
	v_cndmask_b32_e32 v5, v11, v13, vcc
	s_brev_b32 s6, 1
	v_and_or_b32 v9, v9, s6, v5
.LBB192_2602:
	s_mov_b64 s[6:7], 0
	s_mov_b64 s[10:11], -1
.LBB192_2603:
	s_andn2_b64 vcc, exec, s[6:7]
	s_mov_b64 s[6:7], 0
	s_cbranch_vccnz .LBB192_2614
; %bb.2604:
	s_cmp_gt_i32 s20, 14
	s_cbranch_scc0 .LBB192_2607
; %bb.2605:
	s_cmp_eq_u32 s20, 15
	s_cbranch_scc0 .LBB192_2610
; %bb.2606:
	global_load_ushort v5, v[7:8], off
	s_mov_b64 s[0:1], 0
	s_mov_b64 s[10:11], -1
	s_waitcnt vmcnt(0)
	v_lshlrev_b32_e32 v9, 16, v5
	s_branch .LBB192_2611
.LBB192_2607:
	s_mov_b64 s[16:17], -1
                                        ; implicit-def: $vgpr9
	s_branch .LBB192_2612
.LBB192_2608:
	s_or_saveexec_b64 s[10:11], s[10:11]
	v_mov_b32_e32 v9, 0x7f800001
	s_xor_b64 exec, exec, s[10:11]
	s_cbranch_execz .LBB192_2589
.LBB192_2609:
	v_cmp_ne_u16_e32 vcc, 0, v5
	s_andn2_b64 s[6:7], s[6:7], exec
	s_and_b64 s[16:17], vcc, exec
	v_mov_b32_e32 v9, 0
	s_or_b64 s[6:7], s[6:7], s[16:17]
	s_or_b64 exec, exec, s[10:11]
	s_and_saveexec_b64 s[10:11], s[6:7]
	s_cbranch_execnz .LBB192_2590
	s_branch .LBB192_2591
.LBB192_2610:
	s_mov_b64 s[0:1], -1
                                        ; implicit-def: $vgpr9
.LBB192_2611:
	s_mov_b64 s[16:17], 0
.LBB192_2612:
	s_and_b64 vcc, exec, s[16:17]
	s_cbranch_vccz .LBB192_2614
; %bb.2613:
	s_cmp_lg_u32 s20, 11
	s_mov_b64 s[6:7], -1
	s_cselect_b64 s[0:1], -1, 0
.LBB192_2614:
	s_and_b64 vcc, exec, s[0:1]
	s_cbranch_vccnz .LBB192_3147
; %bb.2615:
	s_andn2_b64 vcc, exec, s[6:7]
	s_cbranch_vccnz .LBB192_2617
.LBB192_2616:
	global_load_ubyte v5, v[7:8], off
	s_mov_b64 s[10:11], -1
	s_waitcnt vmcnt(0)
	v_cmp_ne_u16_e32 vcc, 0, v5
	v_cndmask_b32_e64 v9, 0, 1.0, vcc
.LBB192_2617:
	s_mov_b64 s[0:1], 0
.LBB192_2618:
	s_and_b64 vcc, exec, s[0:1]
	s_cbranch_vccz .LBB192_2667
; %bb.2619:
	s_and_b32 s6, 0xffff, s25
	s_cmp_lt_i32 s6, 5
	s_cbranch_scc1 .LBB192_2624
; %bb.2620:
	s_cmp_lt_i32 s6, 8
	s_cbranch_scc1 .LBB192_2625
; %bb.2621:
	;; [unrolled: 3-line block ×3, first 2 shown]
	s_cmp_gt_i32 s6, 9
	s_cbranch_scc0 .LBB192_2627
; %bb.2623:
	global_load_dwordx2 v[19:20], v[7:8], off
	s_mov_b64 s[0:1], 0
	s_waitcnt vmcnt(0)
	v_cvt_f32_f64_e32 v9, v[19:20]
	s_branch .LBB192_2628
.LBB192_2624:
	s_mov_b64 s[0:1], -1
                                        ; implicit-def: $vgpr9
	s_branch .LBB192_2646
.LBB192_2625:
	s_mov_b64 s[0:1], -1
                                        ; implicit-def: $vgpr9
	s_branch .LBB192_2634
.LBB192_2626:
	s_mov_b64 s[0:1], -1
                                        ; implicit-def: $vgpr9
	s_branch .LBB192_2631
.LBB192_2627:
	s_mov_b64 s[0:1], -1
                                        ; implicit-def: $vgpr9
.LBB192_2628:
	s_andn2_b64 vcc, exec, s[0:1]
	s_cbranch_vccnz .LBB192_2630
; %bb.2629:
	global_load_dword v9, v[7:8], off
.LBB192_2630:
	s_mov_b64 s[0:1], 0
.LBB192_2631:
	s_andn2_b64 vcc, exec, s[0:1]
	s_cbranch_vccnz .LBB192_2633
; %bb.2632:
	global_load_dword v5, v[7:8], off
	s_waitcnt vmcnt(0)
	v_cvt_f32_f16_e32 v9, v5
.LBB192_2633:
	s_mov_b64 s[0:1], 0
.LBB192_2634:
	s_andn2_b64 vcc, exec, s[0:1]
	s_cbranch_vccnz .LBB192_2645
; %bb.2635:
	s_cmp_lt_i32 s6, 6
	s_cbranch_scc1 .LBB192_2638
; %bb.2636:
	s_cmp_gt_i32 s6, 6
	s_cbranch_scc0 .LBB192_2639
; %bb.2637:
	global_load_dwordx2 v[19:20], v[7:8], off
	s_mov_b64 s[0:1], 0
	s_waitcnt vmcnt(0)
	v_cvt_f32_f64_e32 v9, v[19:20]
	s_branch .LBB192_2640
.LBB192_2638:
	s_mov_b64 s[0:1], -1
                                        ; implicit-def: $vgpr9
	s_branch .LBB192_2643
.LBB192_2639:
	s_mov_b64 s[0:1], -1
                                        ; implicit-def: $vgpr9
.LBB192_2640:
	s_andn2_b64 vcc, exec, s[0:1]
	s_cbranch_vccnz .LBB192_2642
; %bb.2641:
	global_load_dword v9, v[7:8], off
.LBB192_2642:
	s_mov_b64 s[0:1], 0
.LBB192_2643:
	s_andn2_b64 vcc, exec, s[0:1]
	s_cbranch_vccnz .LBB192_2645
; %bb.2644:
	global_load_ushort v5, v[7:8], off
	s_waitcnt vmcnt(0)
	v_cvt_f32_f16_e32 v9, v5
.LBB192_2645:
	s_mov_b64 s[0:1], 0
.LBB192_2646:
	s_andn2_b64 vcc, exec, s[0:1]
	s_cbranch_vccnz .LBB192_2666
; %bb.2647:
	s_cmp_lt_i32 s6, 2
	s_cbranch_scc1 .LBB192_2651
; %bb.2648:
	s_cmp_lt_i32 s6, 3
	s_cbranch_scc1 .LBB192_2652
; %bb.2649:
	s_cmp_gt_i32 s6, 3
	s_cbranch_scc0 .LBB192_2653
; %bb.2650:
	global_load_dwordx2 v[19:20], v[7:8], off
	s_mov_b64 s[0:1], 0
	s_waitcnt vmcnt(0)
	v_xor_b32_e32 v9, v19, v20
	v_ffbh_i32_e32 v5, v20
	v_ashrrev_i32_e32 v9, 31, v9
	v_add_u32_e32 v5, -1, v5
	v_add_u32_e32 v9, 32, v9
	v_min_u32_e32 v5, v5, v9
	v_lshlrev_b64 v[19:20], v5, v[19:20]
	v_sub_u32_e32 v5, 32, v5
	v_min_u32_e32 v9, 1, v19
	v_or_b32_e32 v9, v20, v9
	v_cvt_f32_i32_e32 v9, v9
	v_ldexp_f32 v9, v9, v5
	s_branch .LBB192_2654
.LBB192_2651:
	s_mov_b64 s[0:1], -1
                                        ; implicit-def: $vgpr9
	s_branch .LBB192_2660
.LBB192_2652:
	s_mov_b64 s[0:1], -1
                                        ; implicit-def: $vgpr9
	s_branch .LBB192_2657
.LBB192_2653:
	s_mov_b64 s[0:1], -1
                                        ; implicit-def: $vgpr9
.LBB192_2654:
	s_andn2_b64 vcc, exec, s[0:1]
	s_cbranch_vccnz .LBB192_2656
; %bb.2655:
	global_load_dword v5, v[7:8], off
	s_waitcnt vmcnt(0)
	v_cvt_f32_i32_e32 v9, v5
.LBB192_2656:
	s_mov_b64 s[0:1], 0
.LBB192_2657:
	s_andn2_b64 vcc, exec, s[0:1]
	s_cbranch_vccnz .LBB192_2659
; %bb.2658:
	global_load_sshort v5, v[7:8], off
	s_waitcnt vmcnt(0)
	v_cvt_f32_i32_e32 v9, v5
.LBB192_2659:
	s_mov_b64 s[0:1], 0
.LBB192_2660:
	s_andn2_b64 vcc, exec, s[0:1]
	s_cbranch_vccnz .LBB192_2666
; %bb.2661:
	s_cmp_gt_i32 s6, 0
	s_cbranch_scc0 .LBB192_2663
; %bb.2662:
	global_load_sbyte v5, v[7:8], off
	s_mov_b64 s[0:1], 0
	s_waitcnt vmcnt(0)
	v_cvt_f32_i32_e32 v9, v5
	s_branch .LBB192_2664
.LBB192_2663:
	s_mov_b64 s[0:1], -1
                                        ; implicit-def: $vgpr9
.LBB192_2664:
	s_andn2_b64 vcc, exec, s[0:1]
	s_cbranch_vccnz .LBB192_2666
; %bb.2665:
	global_load_ubyte v5, v[7:8], off
	s_waitcnt vmcnt(0)
	v_cvt_f32_ubyte0_e32 v9, v5
.LBB192_2666:
	s_mov_b64 s[10:11], -1
.LBB192_2667:
	s_andn2_b64 vcc, exec, s[10:11]
	s_cbranch_vccnz .LBB192_3101
; %bb.2668:
	s_load_dword s0, s[2:3], 0x1a8
	s_load_dwordx2 s[6:7], s[2:3], 0x1a0
	v_mov_b32_e32 v8, s9
	s_waitcnt lgkmcnt(0)
	s_and_b32 s20, s0, 0xff
	v_mov_b32_e32 v5, s7
	v_cmp_nge_f32_e32 vcc, s6, v1
	s_waitcnt vmcnt(0)
	v_cndmask_b32_e32 v7, v5, v3, vcc
	v_add_co_u32_e32 v5, vcc, s8, v6
	s_cmp_lt_i32 s20, 11
	v_addc_co_u32_e32 v6, vcc, 0, v8, vcc
	s_cbranch_scc1 .LBB192_2746
; %bb.2669:
	s_and_b32 s21, 0xffff, s20
	s_mov_b64 s[16:17], -1
	s_mov_b64 s[2:3], 0
	s_cmp_gt_i32 s21, 25
	s_mov_b64 s[10:11], 0
	s_mov_b64 s[0:1], 0
	s_cbranch_scc0 .LBB192_2702
; %bb.2670:
	s_cmp_gt_i32 s21, 28
	s_cbranch_scc0 .LBB192_2685
; %bb.2671:
	s_cmp_gt_i32 s21, 43
	;; [unrolled: 3-line block ×3, first 2 shown]
	s_cbranch_scc0 .LBB192_2675
; %bb.2673:
	s_mov_b64 s[0:1], -1
	s_mov_b64 s[16:17], 0
	s_cmp_eq_u32 s21, 46
	s_cbranch_scc0 .LBB192_2675
; %bb.2674:
	v_bfe_u32 v1, v7, 16, 1
	s_movk_i32 s0, 0x7fff
	v_add3_u32 v1, v7, v1, s0
	v_cmp_o_f32_e32 vcc, v7, v7
	v_mov_b32_e32 v3, 0x7fc0
	v_cndmask_b32_sdwa v1, v3, v1, vcc dst_sel:DWORD dst_unused:UNUSED_PAD src0_sel:DWORD src1_sel:WORD_1
	global_store_dword v[5:6], v1, off
	s_mov_b64 s[0:1], 0
	s_mov_b64 s[10:11], -1
.LBB192_2675:
	s_and_b64 vcc, exec, s[16:17]
	s_cbranch_vccz .LBB192_2680
; %bb.2676:
	s_cmp_eq_u32 s21, 44
	s_mov_b64 s[0:1], -1
	s_cbranch_scc0 .LBB192_2680
; %bb.2677:
	v_bfe_u32 v1, v7, 23, 8
	s_movk_i32 s0, 0xff
	v_cmp_ne_u32_e32 vcc, s0, v1
	v_mov_b32_e32 v3, 0xff
	s_and_saveexec_b64 s[10:11], vcc
; %bb.2678:
	s_mov_b32 s0, 0x3fffff
	v_and_b32_e32 v8, 0x400000, v7
	v_and_or_b32 v1, v7, s0, v1
	v_cmp_ne_u32_e32 vcc, 0, v8
	v_cmp_ne_u32_e64 s[0:1], 0, v1
	s_and_b64 s[0:1], vcc, s[0:1]
	v_lshrrev_b32_e32 v3, 23, v7
	v_cndmask_b32_e64 v1, 0, 1, s[0:1]
	v_add_u32_e32 v3, v3, v1
; %bb.2679:
	s_or_b64 exec, exec, s[10:11]
	s_mov_b64 s[0:1], 0
	s_mov_b64 s[10:11], -1
	global_store_byte v[5:6], v3, off
.LBB192_2680:
	s_mov_b64 s[16:17], 0
.LBB192_2681:
	s_and_b64 vcc, exec, s[16:17]
	s_cbranch_vccz .LBB192_2684
; %bb.2682:
	s_cmp_eq_u32 s21, 29
	s_mov_b64 s[0:1], -1
	s_cbranch_scc0 .LBB192_2684
; %bb.2683:
	v_trunc_f32_e32 v1, v7
	v_mul_f32_e32 v3, 0x2f800000, v1
	v_floor_f32_e32 v3, v3
	v_fmac_f32_e32 v1, 0xcf800000, v3
	v_cvt_u32_f32_e32 v20, v3
	v_cvt_u32_f32_e32 v19, v1
	s_mov_b64 s[0:1], 0
	s_mov_b64 s[10:11], -1
	global_store_dwordx2 v[5:6], v[19:20], off
.LBB192_2684:
	s_mov_b64 s[16:17], 0
.LBB192_2685:
	s_and_b64 vcc, exec, s[16:17]
	s_cbranch_vccz .LBB192_2701
; %bb.2686:
	s_cmp_lt_i32 s21, 27
	s_mov_b64 s[10:11], -1
	s_cbranch_scc1 .LBB192_2692
; %bb.2687:
	v_cvt_u32_f32_e32 v1, v7
	s_cmp_gt_i32 s21, 27
	s_cbranch_scc0 .LBB192_2689
; %bb.2688:
	s_mov_b64 s[10:11], 0
	global_store_dword v[5:6], v1, off
.LBB192_2689:
	s_andn2_b64 vcc, exec, s[10:11]
	s_cbranch_vccnz .LBB192_2691
; %bb.2690:
	global_store_short v[5:6], v1, off
.LBB192_2691:
	s_mov_b64 s[10:11], 0
.LBB192_2692:
	s_andn2_b64 vcc, exec, s[10:11]
	s_cbranch_vccnz .LBB192_2700
; %bb.2693:
	v_and_b32_e32 v1, 0x7fffffff, v7
	s_mov_b32 s10, 0x43800000
	v_cmp_gt_u32_e32 vcc, s10, v1
	v_mov_b32_e32 v3, 0x80
	s_and_saveexec_b64 s[10:11], vcc
	s_cbranch_execz .LBB192_2699
; %bb.2694:
	s_mov_b32 s16, 0x3bffffff
	v_cmp_lt_u32_e32 vcc, s16, v1
	s_mov_b64 s[16:17], 0
                                        ; implicit-def: $vgpr1
	s_and_saveexec_b64 s[18:19], vcc
	s_xor_b64 s[18:19], exec, s[18:19]
	s_cbranch_execz .LBB192_3148
; %bb.2695:
	v_bfe_u32 v1, v7, 20, 1
	s_mov_b32 s22, 0x487ffff
	v_add3_u32 v1, v7, v1, s22
	s_mov_b64 s[16:17], exec
	v_lshrrev_b32_e32 v1, 20, v1
	s_andn2_saveexec_b64 s[18:19], s[18:19]
	s_cbranch_execnz .LBB192_3149
.LBB192_2696:
	s_or_b64 exec, exec, s[18:19]
	v_mov_b32_e32 v3, 0
	s_and_saveexec_b64 s[18:19], s[16:17]
.LBB192_2697:
	v_lshrrev_b32_e32 v3, 24, v7
	s_movk_i32 s16, 0x80
	v_and_or_b32 v3, v3, s16, v1
.LBB192_2698:
	s_or_b64 exec, exec, s[18:19]
.LBB192_2699:
	s_or_b64 exec, exec, s[10:11]
	global_store_byte v[5:6], v3, off
.LBB192_2700:
	s_mov_b64 s[10:11], -1
.LBB192_2701:
	s_mov_b64 s[16:17], 0
.LBB192_2702:
	s_and_b64 vcc, exec, s[16:17]
	s_cbranch_vccz .LBB192_2742
; %bb.2703:
	s_cmp_gt_i32 s21, 22
	s_mov_b64 s[2:3], -1
	s_cbranch_scc0 .LBB192_2735
; %bb.2704:
	s_cmp_lt_i32 s21, 24
	s_cbranch_scc1 .LBB192_2724
; %bb.2705:
	s_cmp_gt_i32 s21, 24
	s_cbranch_scc0 .LBB192_2713
; %bb.2706:
	v_and_b32_e32 v1, 0x7fffffff, v7
	s_mov_b32 s2, 0x47800000
	v_cmp_gt_u32_e32 vcc, s2, v1
	v_mov_b32_e32 v3, 0x80
	s_and_saveexec_b64 s[2:3], vcc
	s_cbranch_execz .LBB192_2712
; %bb.2707:
	s_mov_b32 s10, 0x37ffffff
	v_cmp_lt_u32_e32 vcc, s10, v1
	s_mov_b64 s[10:11], 0
                                        ; implicit-def: $vgpr1
	s_and_saveexec_b64 s[16:17], vcc
	s_xor_b64 s[16:17], exec, s[16:17]
	s_cbranch_execz .LBB192_3151
; %bb.2708:
	v_bfe_u32 v1, v7, 21, 1
	s_mov_b32 s18, 0x88fffff
	v_add3_u32 v1, v7, v1, s18
	s_mov_b64 s[10:11], exec
	v_lshrrev_b32_e32 v1, 21, v1
	s_andn2_saveexec_b64 s[16:17], s[16:17]
	s_cbranch_execnz .LBB192_3152
.LBB192_2709:
	s_or_b64 exec, exec, s[16:17]
	v_mov_b32_e32 v3, 0
	s_and_saveexec_b64 s[16:17], s[10:11]
.LBB192_2710:
	v_lshrrev_b32_e32 v3, 24, v7
	s_movk_i32 s10, 0x80
	v_and_or_b32 v3, v3, s10, v1
.LBB192_2711:
	s_or_b64 exec, exec, s[16:17]
.LBB192_2712:
	s_or_b64 exec, exec, s[2:3]
	s_mov_b64 s[2:3], 0
	global_store_byte v[5:6], v3, off
.LBB192_2713:
	s_and_b64 vcc, exec, s[2:3]
	s_cbranch_vccz .LBB192_2723
; %bb.2714:
	v_and_b32_e32 v3, 0x7fffffff, v7
	s_mov_b32 s2, 0x43f00000
	v_cmp_gt_u32_e32 vcc, s2, v3
                                        ; implicit-def: $vgpr1
	s_and_saveexec_b64 s[2:3], vcc
	s_xor_b64 s[2:3], exec, s[2:3]
	s_cbranch_execz .LBB192_2720
; %bb.2715:
	s_mov_b32 s10, 0x3c7fffff
	v_cmp_lt_u32_e32 vcc, s10, v3
                                        ; implicit-def: $vgpr1
	s_and_saveexec_b64 s[10:11], vcc
	s_xor_b64 s[10:11], exec, s[10:11]
; %bb.2716:
	v_bfe_u32 v1, v7, 20, 1
	s_mov_b32 s16, 0x407ffff
	v_add3_u32 v1, v7, v1, s16
	v_lshrrev_b32_e32 v3, 20, v1
	v_and_b32_e32 v1, 0xff00000, v1
	s_mov_b32 s16, 0x7f00000
	v_mov_b32_e32 v8, 0x7e
	v_cmp_ne_u32_e32 vcc, s16, v1
	v_cndmask_b32_e32 v1, v8, v3, vcc
; %bb.2717:
	s_andn2_saveexec_b64 s[10:11], s[10:11]
; %bb.2718:
	s_mov_b32 s16, 0x46800000
	v_add_f32_e64 v1, |v7|, s16
; %bb.2719:
	s_or_b64 exec, exec, s[10:11]
                                        ; implicit-def: $vgpr3
.LBB192_2720:
	s_andn2_saveexec_b64 s[2:3], s[2:3]
; %bb.2721:
	s_mov_b32 s10, 0x7f800000
	v_mov_b32_e32 v1, 0x7e
	v_mov_b32_e32 v8, 0x7f
	v_cmp_lt_u32_e32 vcc, s10, v3
	v_cndmask_b32_e32 v1, v1, v8, vcc
; %bb.2722:
	s_or_b64 exec, exec, s[2:3]
	v_lshrrev_b32_e32 v3, 24, v7
	s_movk_i32 s2, 0x80
	v_and_or_b32 v1, v3, s2, v1
	global_store_byte v[5:6], v1, off
.LBB192_2723:
	s_mov_b64 s[2:3], 0
.LBB192_2724:
	s_andn2_b64 vcc, exec, s[2:3]
	s_cbranch_vccnz .LBB192_2734
; %bb.2725:
	v_and_b32_e32 v3, 0x7fffffff, v7
	s_mov_b32 s2, 0x47800000
	v_cmp_gt_u32_e32 vcc, s2, v3
                                        ; implicit-def: $vgpr1
	s_and_saveexec_b64 s[2:3], vcc
	s_xor_b64 s[2:3], exec, s[2:3]
	s_cbranch_execz .LBB192_2731
; %bb.2726:
	s_mov_b32 s10, 0x387fffff
	v_cmp_lt_u32_e32 vcc, s10, v3
                                        ; implicit-def: $vgpr1
	s_and_saveexec_b64 s[10:11], vcc
	s_xor_b64 s[10:11], exec, s[10:11]
; %bb.2727:
	v_bfe_u32 v1, v7, 21, 1
	s_mov_b32 s16, 0x80fffff
	v_add3_u32 v1, v7, v1, s16
	v_lshrrev_b32_e32 v1, 21, v1
; %bb.2728:
	s_andn2_saveexec_b64 s[10:11], s[10:11]
; %bb.2729:
	s_mov_b32 s16, 0x43000000
	v_add_f32_e64 v1, |v7|, s16
; %bb.2730:
	s_or_b64 exec, exec, s[10:11]
                                        ; implicit-def: $vgpr3
.LBB192_2731:
	s_andn2_saveexec_b64 s[2:3], s[2:3]
; %bb.2732:
	s_mov_b32 s10, 0x7f800000
	v_mov_b32_e32 v1, 0x7c
	v_mov_b32_e32 v8, 0x7f
	v_cmp_lt_u32_e32 vcc, s10, v3
	v_cndmask_b32_e32 v1, v1, v8, vcc
; %bb.2733:
	s_or_b64 exec, exec, s[2:3]
	v_lshrrev_b32_e32 v3, 24, v7
	s_movk_i32 s2, 0x80
	v_and_or_b32 v1, v3, s2, v1
	global_store_byte v[5:6], v1, off
.LBB192_2734:
	s_mov_b64 s[2:3], 0
	s_mov_b64 s[10:11], -1
.LBB192_2735:
	s_andn2_b64 vcc, exec, s[2:3]
	s_mov_b64 s[2:3], 0
	s_cbranch_vccnz .LBB192_2742
; %bb.2736:
	s_cmp_gt_i32 s21, 14
	s_mov_b64 s[16:17], -1
	s_cbranch_scc0 .LBB192_2740
; %bb.2737:
	s_cmp_eq_u32 s21, 15
	s_mov_b64 s[0:1], -1
	s_cbranch_scc0 .LBB192_2739
; %bb.2738:
	v_bfe_u32 v1, v7, 16, 1
	s_movk_i32 s0, 0x7fff
	v_add3_u32 v1, v7, v1, s0
	v_cmp_o_f32_e32 vcc, v7, v7
	v_mov_b32_e32 v3, 0x7fc0
	v_cndmask_b32_sdwa v1, v3, v1, vcc dst_sel:DWORD dst_unused:UNUSED_PAD src0_sel:DWORD src1_sel:WORD_1
	global_store_short v[5:6], v1, off
	s_mov_b64 s[0:1], 0
	s_mov_b64 s[10:11], -1
.LBB192_2739:
	s_mov_b64 s[16:17], 0
.LBB192_2740:
	s_and_b64 vcc, exec, s[16:17]
	s_cbranch_vccz .LBB192_2742
; %bb.2741:
	s_cmp_lg_u32 s21, 11
	s_mov_b64 s[2:3], -1
	s_cselect_b64 s[0:1], -1, 0
.LBB192_2742:
	s_and_b64 vcc, exec, s[0:1]
	s_cbranch_vccnz .LBB192_3150
; %bb.2743:
	s_andn2_b64 vcc, exec, s[2:3]
	s_cbranch_vccnz .LBB192_2745
.LBB192_2744:
	v_cmp_neq_f32_e32 vcc, 0, v7
	v_cndmask_b32_e64 v1, 0, 1, vcc
	s_mov_b64 s[10:11], -1
	global_store_byte v[5:6], v1, off
.LBB192_2745:
	s_mov_b64 s[0:1], 0
	s_branch .LBB192_2747
.LBB192_2746:
	s_mov_b64 s[0:1], -1
	s_mov_b64 s[10:11], 0
.LBB192_2747:
	s_and_b64 vcc, exec, s[0:1]
	s_cbranch_vccz .LBB192_2786
; %bb.2748:
	s_and_b32 s2, 0xffff, s20
	s_cmp_lt_i32 s2, 5
	s_mov_b64 s[0:1], -1
	s_cbranch_scc1 .LBB192_2769
; %bb.2749:
	s_cmp_lt_i32 s2, 8
	s_cbranch_scc1 .LBB192_2759
; %bb.2750:
	s_cmp_lt_i32 s2, 9
	s_cbranch_scc1 .LBB192_2756
; %bb.2751:
	s_cmp_gt_i32 s2, 9
	s_cbranch_scc0 .LBB192_2753
; %bb.2752:
	v_cvt_f64_f32_e32 v[19:20], v7
	v_mov_b32_e32 v21, 0
	v_mov_b32_e32 v22, v21
	s_mov_b64 s[0:1], 0
	global_store_dwordx4 v[5:6], v[19:22], off
.LBB192_2753:
	s_andn2_b64 vcc, exec, s[0:1]
	s_cbranch_vccnz .LBB192_2755
; %bb.2754:
	v_mov_b32_e32 v8, 0
	global_store_dwordx2 v[5:6], v[7:8], off
.LBB192_2755:
	s_mov_b64 s[0:1], 0
.LBB192_2756:
	s_andn2_b64 vcc, exec, s[0:1]
	s_cbranch_vccnz .LBB192_2758
; %bb.2757:
	v_cvt_f16_f32_e32 v1, v7
	global_store_dword v[5:6], v1, off
.LBB192_2758:
	s_mov_b64 s[0:1], 0
.LBB192_2759:
	s_andn2_b64 vcc, exec, s[0:1]
	s_cbranch_vccnz .LBB192_2768
; %bb.2760:
	s_cmp_lt_i32 s2, 6
	s_mov_b64 s[0:1], -1
	s_cbranch_scc1 .LBB192_2766
; %bb.2761:
	s_cmp_gt_i32 s2, 6
	s_cbranch_scc0 .LBB192_2763
; %bb.2762:
	v_cvt_f64_f32_e32 v[19:20], v7
	s_mov_b64 s[0:1], 0
	global_store_dwordx2 v[5:6], v[19:20], off
.LBB192_2763:
	s_andn2_b64 vcc, exec, s[0:1]
	s_cbranch_vccnz .LBB192_2765
; %bb.2764:
	global_store_dword v[5:6], v7, off
.LBB192_2765:
	s_mov_b64 s[0:1], 0
.LBB192_2766:
	s_andn2_b64 vcc, exec, s[0:1]
	s_cbranch_vccnz .LBB192_2768
; %bb.2767:
	v_cvt_f16_f32_e32 v1, v7
	global_store_short v[5:6], v1, off
.LBB192_2768:
	s_mov_b64 s[0:1], 0
.LBB192_2769:
	s_andn2_b64 vcc, exec, s[0:1]
	s_cbranch_vccnz .LBB192_2785
; %bb.2770:
	s_cmp_lt_i32 s2, 2
	s_mov_b64 s[0:1], -1
	s_cbranch_scc1 .LBB192_2780
; %bb.2771:
	s_cmp_lt_i32 s2, 3
	s_cbranch_scc1 .LBB192_2777
; %bb.2772:
	s_cmp_gt_i32 s2, 3
	s_cbranch_scc0 .LBB192_2774
; %bb.2773:
	v_trunc_f32_e32 v1, v7
	s_mov_b32 s0, 0x2f800000
	v_mul_f32_e64 v3, |v1|, s0
	v_floor_f32_e32 v3, v3
	s_mov_b32 s0, 0xcf800000
	v_cvt_u32_f32_e32 v8, v3
	v_fma_f32 v3, v3, s0, |v1|
	v_cvt_u32_f32_e32 v3, v3
	v_ashrrev_i32_e32 v1, 31, v1
	v_xor_b32_e32 v8, v8, v1
	s_mov_b64 s[0:1], 0
	v_xor_b32_e32 v3, v3, v1
	v_sub_co_u32_e32 v19, vcc, v3, v1
	v_subb_co_u32_e32 v20, vcc, v8, v1, vcc
	global_store_dwordx2 v[5:6], v[19:20], off
.LBB192_2774:
	s_andn2_b64 vcc, exec, s[0:1]
	s_cbranch_vccnz .LBB192_2776
; %bb.2775:
	v_cvt_i32_f32_e32 v1, v7
	global_store_dword v[5:6], v1, off
.LBB192_2776:
	s_mov_b64 s[0:1], 0
.LBB192_2777:
	s_andn2_b64 vcc, exec, s[0:1]
	s_cbranch_vccnz .LBB192_2779
; %bb.2778:
	v_cvt_i32_f32_e32 v1, v7
	global_store_short v[5:6], v1, off
.LBB192_2779:
	s_mov_b64 s[0:1], 0
.LBB192_2780:
	s_andn2_b64 vcc, exec, s[0:1]
	s_cbranch_vccnz .LBB192_2785
; %bb.2781:
	s_cmp_gt_i32 s2, 0
	s_mov_b64 s[0:1], -1
	s_cbranch_scc0 .LBB192_2783
; %bb.2782:
	v_cvt_i32_f32_e32 v1, v7
	s_mov_b64 s[0:1], 0
	global_store_byte v[5:6], v1, off
.LBB192_2783:
	s_andn2_b64 vcc, exec, s[0:1]
	s_cbranch_vccnz .LBB192_2785
; %bb.2784:
	v_trunc_f32_e32 v1, v7
	s_mov_b32 s0, 0x2f800000
	v_mul_f32_e64 v3, |v1|, s0
	v_floor_f32_e32 v3, v3
	s_mov_b32 s0, 0xcf800000
	v_fma_f32 v3, v3, s0, |v1|
	v_cvt_u32_f32_e32 v3, v3
	v_ashrrev_i32_e32 v1, 31, v1
	v_xor_b32_e32 v3, v3, v1
	v_sub_u32_e32 v1, v3, v1
	global_store_byte v[5:6], v1, off
.LBB192_2785:
	s_mov_b64 s[10:11], -1
.LBB192_2786:
	s_andn2_b64 vcc, exec, s[10:11]
	s_cbranch_vccnz .LBB192_3101
; %bb.2787:
	v_mov_b32_e32 v1, s7
	v_cmp_nge_f32_e32 vcc, s6, v18
	v_cndmask_b32_e32 v5, v1, v16, vcc
	v_mov_b32_e32 v1, s9
	s_and_b32 s21, 0xffff, s20
	v_add_co_u32_e32 v3, vcc, s8, v4
	s_cmp_lt_i32 s21, 11
	v_addc_co_u32_e32 v4, vcc, 0, v1, vcc
	s_cbranch_scc1 .LBB192_2865
; %bb.2788:
	s_mov_b64 s[16:17], -1
	s_mov_b64 s[2:3], 0
	s_cmp_gt_i32 s21, 25
	s_mov_b64 s[10:11], 0
	s_mov_b64 s[0:1], 0
	s_cbranch_scc0 .LBB192_2821
; %bb.2789:
	s_cmp_gt_i32 s21, 28
	s_cbranch_scc0 .LBB192_2804
; %bb.2790:
	s_cmp_gt_i32 s21, 43
	;; [unrolled: 3-line block ×3, first 2 shown]
	s_cbranch_scc0 .LBB192_2794
; %bb.2792:
	s_mov_b64 s[0:1], -1
	s_mov_b64 s[16:17], 0
	s_cmp_eq_u32 s21, 46
	s_cbranch_scc0 .LBB192_2794
; %bb.2793:
	v_bfe_u32 v1, v5, 16, 1
	s_movk_i32 s0, 0x7fff
	v_add3_u32 v1, v5, v1, s0
	v_cmp_o_f32_e32 vcc, v5, v5
	v_mov_b32_e32 v6, 0x7fc0
	v_cndmask_b32_sdwa v1, v6, v1, vcc dst_sel:DWORD dst_unused:UNUSED_PAD src0_sel:DWORD src1_sel:WORD_1
	global_store_dword v[3:4], v1, off
	s_mov_b64 s[0:1], 0
	s_mov_b64 s[10:11], -1
.LBB192_2794:
	s_and_b64 vcc, exec, s[16:17]
	s_cbranch_vccz .LBB192_2799
; %bb.2795:
	s_cmp_eq_u32 s21, 44
	s_mov_b64 s[0:1], -1
	s_cbranch_scc0 .LBB192_2799
; %bb.2796:
	v_bfe_u32 v1, v5, 23, 8
	s_movk_i32 s0, 0xff
	v_cmp_ne_u32_e32 vcc, s0, v1
	v_mov_b32_e32 v6, 0xff
	s_and_saveexec_b64 s[10:11], vcc
; %bb.2797:
	s_mov_b32 s0, 0x3fffff
	v_and_b32_e32 v7, 0x400000, v5
	v_and_or_b32 v1, v5, s0, v1
	v_cmp_ne_u32_e32 vcc, 0, v7
	v_cmp_ne_u32_e64 s[0:1], 0, v1
	s_and_b64 s[0:1], vcc, s[0:1]
	v_lshrrev_b32_e32 v6, 23, v5
	v_cndmask_b32_e64 v1, 0, 1, s[0:1]
	v_add_u32_e32 v6, v6, v1
; %bb.2798:
	s_or_b64 exec, exec, s[10:11]
	s_mov_b64 s[0:1], 0
	s_mov_b64 s[10:11], -1
	global_store_byte v[3:4], v6, off
.LBB192_2799:
	s_mov_b64 s[16:17], 0
.LBB192_2800:
	s_and_b64 vcc, exec, s[16:17]
	s_cbranch_vccz .LBB192_2803
; %bb.2801:
	s_cmp_eq_u32 s21, 29
	s_mov_b64 s[0:1], -1
	s_cbranch_scc0 .LBB192_2803
; %bb.2802:
	v_trunc_f32_e32 v1, v5
	v_mul_f32_e32 v6, 0x2f800000, v1
	v_floor_f32_e32 v6, v6
	v_fmac_f32_e32 v1, 0xcf800000, v6
	v_cvt_u32_f32_e32 v7, v6
	v_cvt_u32_f32_e32 v6, v1
	s_mov_b64 s[0:1], 0
	s_mov_b64 s[10:11], -1
	global_store_dwordx2 v[3:4], v[6:7], off
.LBB192_2803:
	s_mov_b64 s[16:17], 0
.LBB192_2804:
	s_and_b64 vcc, exec, s[16:17]
	s_cbranch_vccz .LBB192_2820
; %bb.2805:
	s_cmp_lt_i32 s21, 27
	s_mov_b64 s[10:11], -1
	s_cbranch_scc1 .LBB192_2811
; %bb.2806:
	s_cmp_gt_i32 s21, 27
	s_cbranch_scc0 .LBB192_2808
; %bb.2807:
	v_cvt_u32_f32_e32 v1, v5
	s_mov_b64 s[10:11], 0
	global_store_dword v[3:4], v1, off
.LBB192_2808:
	s_andn2_b64 vcc, exec, s[10:11]
	s_cbranch_vccnz .LBB192_2810
; %bb.2809:
	v_cvt_u32_f32_e32 v1, v5
	global_store_short v[3:4], v1, off
.LBB192_2810:
	s_mov_b64 s[10:11], 0
.LBB192_2811:
	s_andn2_b64 vcc, exec, s[10:11]
	s_cbranch_vccnz .LBB192_2819
; %bb.2812:
	v_and_b32_e32 v1, 0x7fffffff, v5
	s_mov_b32 s10, 0x43800000
	v_cmp_gt_u32_e32 vcc, s10, v1
	v_mov_b32_e32 v6, 0x80
	s_and_saveexec_b64 s[10:11], vcc
	s_cbranch_execz .LBB192_2818
; %bb.2813:
	s_mov_b32 s16, 0x3bffffff
	v_cmp_lt_u32_e32 vcc, s16, v1
	s_mov_b64 s[16:17], 0
                                        ; implicit-def: $vgpr1
	s_and_saveexec_b64 s[18:19], vcc
	s_xor_b64 s[18:19], exec, s[18:19]
	s_cbranch_execz .LBB192_3153
; %bb.2814:
	v_bfe_u32 v1, v5, 20, 1
	s_mov_b32 s22, 0x487ffff
	v_add3_u32 v1, v5, v1, s22
	s_mov_b64 s[16:17], exec
	v_lshrrev_b32_e32 v1, 20, v1
	s_andn2_saveexec_b64 s[18:19], s[18:19]
	s_cbranch_execnz .LBB192_3154
.LBB192_2815:
	s_or_b64 exec, exec, s[18:19]
	v_mov_b32_e32 v6, 0
	s_and_saveexec_b64 s[18:19], s[16:17]
.LBB192_2816:
	v_lshrrev_b32_e32 v6, 24, v5
	s_movk_i32 s16, 0x80
	v_and_or_b32 v6, v6, s16, v1
.LBB192_2817:
	s_or_b64 exec, exec, s[18:19]
.LBB192_2818:
	s_or_b64 exec, exec, s[10:11]
	global_store_byte v[3:4], v6, off
.LBB192_2819:
	s_mov_b64 s[10:11], -1
.LBB192_2820:
	s_mov_b64 s[16:17], 0
.LBB192_2821:
	s_and_b64 vcc, exec, s[16:17]
	s_cbranch_vccz .LBB192_2861
; %bb.2822:
	s_cmp_gt_i32 s21, 22
	s_mov_b64 s[2:3], -1
	s_cbranch_scc0 .LBB192_2854
; %bb.2823:
	s_cmp_lt_i32 s21, 24
	s_cbranch_scc1 .LBB192_2843
; %bb.2824:
	s_cmp_gt_i32 s21, 24
	s_cbranch_scc0 .LBB192_2832
; %bb.2825:
	v_and_b32_e32 v1, 0x7fffffff, v5
	s_mov_b32 s2, 0x47800000
	v_cmp_gt_u32_e32 vcc, s2, v1
	v_mov_b32_e32 v6, 0x80
	s_and_saveexec_b64 s[2:3], vcc
	s_cbranch_execz .LBB192_2831
; %bb.2826:
	s_mov_b32 s10, 0x37ffffff
	v_cmp_lt_u32_e32 vcc, s10, v1
	s_mov_b64 s[10:11], 0
                                        ; implicit-def: $vgpr1
	s_and_saveexec_b64 s[16:17], vcc
	s_xor_b64 s[16:17], exec, s[16:17]
	s_cbranch_execz .LBB192_3156
; %bb.2827:
	v_bfe_u32 v1, v5, 21, 1
	s_mov_b32 s18, 0x88fffff
	v_add3_u32 v1, v5, v1, s18
	s_mov_b64 s[10:11], exec
	v_lshrrev_b32_e32 v1, 21, v1
	s_andn2_saveexec_b64 s[16:17], s[16:17]
	s_cbranch_execnz .LBB192_3157
.LBB192_2828:
	s_or_b64 exec, exec, s[16:17]
	v_mov_b32_e32 v6, 0
	s_and_saveexec_b64 s[16:17], s[10:11]
.LBB192_2829:
	v_lshrrev_b32_e32 v6, 24, v5
	s_movk_i32 s10, 0x80
	v_and_or_b32 v6, v6, s10, v1
.LBB192_2830:
	s_or_b64 exec, exec, s[16:17]
.LBB192_2831:
	s_or_b64 exec, exec, s[2:3]
	s_mov_b64 s[2:3], 0
	global_store_byte v[3:4], v6, off
.LBB192_2832:
	s_and_b64 vcc, exec, s[2:3]
	s_cbranch_vccz .LBB192_2842
; %bb.2833:
	v_and_b32_e32 v6, 0x7fffffff, v5
	s_mov_b32 s2, 0x43f00000
	v_cmp_gt_u32_e32 vcc, s2, v6
                                        ; implicit-def: $vgpr1
	s_and_saveexec_b64 s[2:3], vcc
	s_xor_b64 s[2:3], exec, s[2:3]
	s_cbranch_execz .LBB192_2839
; %bb.2834:
	s_mov_b32 s10, 0x3c7fffff
	v_cmp_lt_u32_e32 vcc, s10, v6
                                        ; implicit-def: $vgpr1
	s_and_saveexec_b64 s[10:11], vcc
	s_xor_b64 s[10:11], exec, s[10:11]
; %bb.2835:
	v_bfe_u32 v1, v5, 20, 1
	s_mov_b32 s16, 0x407ffff
	v_add3_u32 v1, v5, v1, s16
	v_lshrrev_b32_e32 v6, 20, v1
	v_and_b32_e32 v1, 0xff00000, v1
	s_mov_b32 s16, 0x7f00000
	v_mov_b32_e32 v7, 0x7e
	v_cmp_ne_u32_e32 vcc, s16, v1
	v_cndmask_b32_e32 v1, v7, v6, vcc
; %bb.2836:
	s_andn2_saveexec_b64 s[10:11], s[10:11]
; %bb.2837:
	s_mov_b32 s16, 0x46800000
	v_add_f32_e64 v1, |v5|, s16
; %bb.2838:
	s_or_b64 exec, exec, s[10:11]
                                        ; implicit-def: $vgpr6
.LBB192_2839:
	s_andn2_saveexec_b64 s[2:3], s[2:3]
; %bb.2840:
	s_mov_b32 s10, 0x7f800000
	v_mov_b32_e32 v1, 0x7e
	v_mov_b32_e32 v7, 0x7f
	v_cmp_lt_u32_e32 vcc, s10, v6
	v_cndmask_b32_e32 v1, v1, v7, vcc
; %bb.2841:
	s_or_b64 exec, exec, s[2:3]
	v_lshrrev_b32_e32 v6, 24, v5
	s_movk_i32 s2, 0x80
	v_and_or_b32 v1, v6, s2, v1
	global_store_byte v[3:4], v1, off
.LBB192_2842:
	s_mov_b64 s[2:3], 0
.LBB192_2843:
	s_andn2_b64 vcc, exec, s[2:3]
	s_cbranch_vccnz .LBB192_2853
; %bb.2844:
	v_and_b32_e32 v6, 0x7fffffff, v5
	s_mov_b32 s2, 0x47800000
	v_cmp_gt_u32_e32 vcc, s2, v6
                                        ; implicit-def: $vgpr1
	s_and_saveexec_b64 s[2:3], vcc
	s_xor_b64 s[2:3], exec, s[2:3]
	s_cbranch_execz .LBB192_2850
; %bb.2845:
	s_mov_b32 s10, 0x387fffff
	v_cmp_lt_u32_e32 vcc, s10, v6
                                        ; implicit-def: $vgpr1
	s_and_saveexec_b64 s[10:11], vcc
	s_xor_b64 s[10:11], exec, s[10:11]
; %bb.2846:
	v_bfe_u32 v1, v5, 21, 1
	s_mov_b32 s16, 0x80fffff
	v_add3_u32 v1, v5, v1, s16
	v_lshrrev_b32_e32 v1, 21, v1
; %bb.2847:
	s_andn2_saveexec_b64 s[10:11], s[10:11]
; %bb.2848:
	s_mov_b32 s16, 0x43000000
	v_add_f32_e64 v1, |v5|, s16
; %bb.2849:
	s_or_b64 exec, exec, s[10:11]
                                        ; implicit-def: $vgpr6
.LBB192_2850:
	s_andn2_saveexec_b64 s[2:3], s[2:3]
; %bb.2851:
	s_mov_b32 s10, 0x7f800000
	v_mov_b32_e32 v1, 0x7c
	v_mov_b32_e32 v7, 0x7f
	v_cmp_lt_u32_e32 vcc, s10, v6
	v_cndmask_b32_e32 v1, v1, v7, vcc
; %bb.2852:
	s_or_b64 exec, exec, s[2:3]
	v_lshrrev_b32_e32 v6, 24, v5
	s_movk_i32 s2, 0x80
	v_and_or_b32 v1, v6, s2, v1
	global_store_byte v[3:4], v1, off
.LBB192_2853:
	s_mov_b64 s[2:3], 0
	s_mov_b64 s[10:11], -1
.LBB192_2854:
	s_andn2_b64 vcc, exec, s[2:3]
	s_mov_b64 s[2:3], 0
	s_cbranch_vccnz .LBB192_2861
; %bb.2855:
	s_cmp_gt_i32 s21, 14
	s_mov_b64 s[16:17], -1
	s_cbranch_scc0 .LBB192_2859
; %bb.2856:
	s_cmp_eq_u32 s21, 15
	s_mov_b64 s[0:1], -1
	s_cbranch_scc0 .LBB192_2858
; %bb.2857:
	v_bfe_u32 v1, v5, 16, 1
	s_movk_i32 s0, 0x7fff
	v_add3_u32 v1, v5, v1, s0
	v_cmp_o_f32_e32 vcc, v5, v5
	v_mov_b32_e32 v6, 0x7fc0
	v_cndmask_b32_sdwa v1, v6, v1, vcc dst_sel:DWORD dst_unused:UNUSED_PAD src0_sel:DWORD src1_sel:WORD_1
	global_store_short v[3:4], v1, off
	s_mov_b64 s[0:1], 0
	s_mov_b64 s[10:11], -1
.LBB192_2858:
	s_mov_b64 s[16:17], 0
.LBB192_2859:
	s_and_b64 vcc, exec, s[16:17]
	s_cbranch_vccz .LBB192_2861
; %bb.2860:
	s_cmp_lg_u32 s21, 11
	s_mov_b64 s[2:3], -1
	s_cselect_b64 s[0:1], -1, 0
.LBB192_2861:
	s_and_b64 vcc, exec, s[0:1]
	s_cbranch_vccnz .LBB192_3155
; %bb.2862:
	s_andn2_b64 vcc, exec, s[2:3]
	s_cbranch_vccnz .LBB192_2864
.LBB192_2863:
	v_cmp_neq_f32_e32 vcc, 0, v5
	v_cndmask_b32_e64 v1, 0, 1, vcc
	s_mov_b64 s[10:11], -1
	global_store_byte v[3:4], v1, off
.LBB192_2864:
	s_mov_b64 s[0:1], 0
	s_branch .LBB192_2866
.LBB192_2865:
	s_mov_b64 s[0:1], -1
	s_mov_b64 s[10:11], 0
.LBB192_2866:
	s_and_b64 vcc, exec, s[0:1]
	s_cbranch_vccz .LBB192_2905
; %bb.2867:
	s_cmp_lt_i32 s21, 5
	s_mov_b64 s[0:1], -1
	s_cbranch_scc1 .LBB192_2888
; %bb.2868:
	s_cmp_lt_i32 s21, 8
	s_cbranch_scc1 .LBB192_2878
; %bb.2869:
	s_cmp_lt_i32 s21, 9
	s_cbranch_scc1 .LBB192_2875
; %bb.2870:
	s_cmp_gt_i32 s21, 9
	s_cbranch_scc0 .LBB192_2872
; %bb.2871:
	v_cvt_f64_f32_e32 v[15:16], v5
	v_mov_b32_e32 v17, 0
	v_mov_b32_e32 v18, v17
	s_mov_b64 s[0:1], 0
	global_store_dwordx4 v[3:4], v[15:18], off
.LBB192_2872:
	s_andn2_b64 vcc, exec, s[0:1]
	s_cbranch_vccnz .LBB192_2874
; %bb.2873:
	v_mov_b32_e32 v6, 0
	global_store_dwordx2 v[3:4], v[5:6], off
.LBB192_2874:
	s_mov_b64 s[0:1], 0
.LBB192_2875:
	s_andn2_b64 vcc, exec, s[0:1]
	s_cbranch_vccnz .LBB192_2877
; %bb.2876:
	v_cvt_f16_f32_e32 v1, v5
	global_store_dword v[3:4], v1, off
.LBB192_2877:
	s_mov_b64 s[0:1], 0
.LBB192_2878:
	s_andn2_b64 vcc, exec, s[0:1]
	s_cbranch_vccnz .LBB192_2887
; %bb.2879:
	s_cmp_lt_i32 s21, 6
	s_mov_b64 s[0:1], -1
	s_cbranch_scc1 .LBB192_2885
; %bb.2880:
	s_cmp_gt_i32 s21, 6
	s_cbranch_scc0 .LBB192_2882
; %bb.2881:
	v_cvt_f64_f32_e32 v[6:7], v5
	s_mov_b64 s[0:1], 0
	global_store_dwordx2 v[3:4], v[6:7], off
.LBB192_2882:
	s_andn2_b64 vcc, exec, s[0:1]
	s_cbranch_vccnz .LBB192_2884
; %bb.2883:
	global_store_dword v[3:4], v5, off
.LBB192_2884:
	s_mov_b64 s[0:1], 0
.LBB192_2885:
	s_andn2_b64 vcc, exec, s[0:1]
	s_cbranch_vccnz .LBB192_2887
; %bb.2886:
	v_cvt_f16_f32_e32 v1, v5
	global_store_short v[3:4], v1, off
.LBB192_2887:
	s_mov_b64 s[0:1], 0
.LBB192_2888:
	s_andn2_b64 vcc, exec, s[0:1]
	s_cbranch_vccnz .LBB192_2904
; %bb.2889:
	s_cmp_lt_i32 s21, 2
	s_mov_b64 s[0:1], -1
	s_cbranch_scc1 .LBB192_2899
; %bb.2890:
	s_cmp_lt_i32 s21, 3
	s_cbranch_scc1 .LBB192_2896
; %bb.2891:
	s_cmp_gt_i32 s21, 3
	s_cbranch_scc0 .LBB192_2893
; %bb.2892:
	v_trunc_f32_e32 v1, v5
	s_mov_b32 s0, 0x2f800000
	v_mul_f32_e64 v6, |v1|, s0
	v_floor_f32_e32 v6, v6
	s_mov_b32 s0, 0xcf800000
	v_cvt_u32_f32_e32 v7, v6
	v_fma_f32 v6, v6, s0, |v1|
	v_cvt_u32_f32_e32 v6, v6
	v_ashrrev_i32_e32 v1, 31, v1
	v_xor_b32_e32 v7, v7, v1
	s_mov_b64 s[0:1], 0
	v_xor_b32_e32 v6, v6, v1
	v_sub_co_u32_e32 v6, vcc, v6, v1
	v_subb_co_u32_e32 v7, vcc, v7, v1, vcc
	global_store_dwordx2 v[3:4], v[6:7], off
.LBB192_2893:
	s_andn2_b64 vcc, exec, s[0:1]
	s_cbranch_vccnz .LBB192_2895
; %bb.2894:
	v_cvt_i32_f32_e32 v1, v5
	global_store_dword v[3:4], v1, off
.LBB192_2895:
	s_mov_b64 s[0:1], 0
.LBB192_2896:
	s_andn2_b64 vcc, exec, s[0:1]
	s_cbranch_vccnz .LBB192_2898
; %bb.2897:
	v_cvt_i32_f32_e32 v1, v5
	global_store_short v[3:4], v1, off
.LBB192_2898:
	s_mov_b64 s[0:1], 0
.LBB192_2899:
	s_andn2_b64 vcc, exec, s[0:1]
	s_cbranch_vccnz .LBB192_2904
; %bb.2900:
	s_cmp_gt_i32 s21, 0
	s_mov_b64 s[0:1], -1
	s_cbranch_scc0 .LBB192_2902
; %bb.2901:
	v_cvt_i32_f32_e32 v1, v5
	s_mov_b64 s[0:1], 0
	global_store_byte v[3:4], v1, off
.LBB192_2902:
	s_andn2_b64 vcc, exec, s[0:1]
	s_cbranch_vccnz .LBB192_2904
; %bb.2903:
	v_trunc_f32_e32 v1, v5
	s_mov_b32 s0, 0x2f800000
	v_mul_f32_e64 v5, |v1|, s0
	v_floor_f32_e32 v5, v5
	s_mov_b32 s0, 0xcf800000
	v_fma_f32 v5, v5, s0, |v1|
	v_cvt_u32_f32_e32 v5, v5
	v_ashrrev_i32_e32 v1, 31, v1
	v_xor_b32_e32 v5, v5, v1
	v_sub_u32_e32 v1, v5, v1
	global_store_byte v[3:4], v1, off
.LBB192_2904:
	s_mov_b64 s[10:11], -1
.LBB192_2905:
	s_andn2_b64 vcc, exec, s[10:11]
	s_cbranch_vccnz .LBB192_3101
; %bb.2906:
	v_mov_b32_e32 v1, s7
	v_cmp_nge_f32_e32 vcc, s6, v14
	v_cndmask_b32_e32 v3, v1, v12, vcc
	v_mov_b32_e32 v4, s9
	v_add_co_u32_e32 v1, vcc, s8, v2
	s_cmp_lt_i32 s21, 11
	v_addc_co_u32_e32 v2, vcc, 0, v4, vcc
	s_cbranch_scc1 .LBB192_2984
; %bb.2907:
	s_mov_b64 s[16:17], -1
	s_mov_b64 s[2:3], 0
	s_cmp_gt_i32 s21, 25
	s_mov_b64 s[10:11], 0
	s_mov_b64 s[0:1], 0
	s_cbranch_scc0 .LBB192_2940
; %bb.2908:
	s_cmp_gt_i32 s21, 28
	s_cbranch_scc0 .LBB192_2923
; %bb.2909:
	s_cmp_gt_i32 s21, 43
	;; [unrolled: 3-line block ×3, first 2 shown]
	s_cbranch_scc0 .LBB192_2913
; %bb.2911:
	s_mov_b64 s[0:1], -1
	s_mov_b64 s[16:17], 0
	s_cmp_eq_u32 s21, 46
	s_cbranch_scc0 .LBB192_2913
; %bb.2912:
	v_bfe_u32 v4, v3, 16, 1
	s_movk_i32 s0, 0x7fff
	v_add3_u32 v4, v3, v4, s0
	v_cmp_o_f32_e32 vcc, v3, v3
	v_mov_b32_e32 v5, 0x7fc0
	v_cndmask_b32_sdwa v4, v5, v4, vcc dst_sel:DWORD dst_unused:UNUSED_PAD src0_sel:DWORD src1_sel:WORD_1
	global_store_dword v[1:2], v4, off
	s_mov_b64 s[0:1], 0
	s_mov_b64 s[10:11], -1
.LBB192_2913:
	s_and_b64 vcc, exec, s[16:17]
	s_cbranch_vccz .LBB192_2918
; %bb.2914:
	s_cmp_eq_u32 s21, 44
	s_mov_b64 s[0:1], -1
	s_cbranch_scc0 .LBB192_2918
; %bb.2915:
	v_bfe_u32 v4, v3, 23, 8
	s_movk_i32 s0, 0xff
	v_cmp_ne_u32_e32 vcc, s0, v4
	v_mov_b32_e32 v5, 0xff
	s_and_saveexec_b64 s[10:11], vcc
; %bb.2916:
	s_mov_b32 s0, 0x3fffff
	v_and_b32_e32 v6, 0x400000, v3
	v_and_or_b32 v4, v3, s0, v4
	v_cmp_ne_u32_e32 vcc, 0, v6
	v_cmp_ne_u32_e64 s[0:1], 0, v4
	s_and_b64 s[0:1], vcc, s[0:1]
	v_lshrrev_b32_e32 v5, 23, v3
	v_cndmask_b32_e64 v4, 0, 1, s[0:1]
	v_add_u32_e32 v5, v5, v4
; %bb.2917:
	s_or_b64 exec, exec, s[10:11]
	s_mov_b64 s[0:1], 0
	s_mov_b64 s[10:11], -1
	global_store_byte v[1:2], v5, off
.LBB192_2918:
	s_mov_b64 s[16:17], 0
.LBB192_2919:
	s_and_b64 vcc, exec, s[16:17]
	s_cbranch_vccz .LBB192_2922
; %bb.2920:
	s_cmp_eq_u32 s21, 29
	s_mov_b64 s[0:1], -1
	s_cbranch_scc0 .LBB192_2922
; %bb.2921:
	v_trunc_f32_e32 v4, v3
	v_mul_f32_e32 v5, 0x2f800000, v4
	v_floor_f32_e32 v6, v5
	v_fmac_f32_e32 v4, 0xcf800000, v6
	v_cvt_u32_f32_e32 v5, v6
	v_cvt_u32_f32_e32 v4, v4
	s_mov_b64 s[0:1], 0
	s_mov_b64 s[10:11], -1
	global_store_dwordx2 v[1:2], v[4:5], off
.LBB192_2922:
	s_mov_b64 s[16:17], 0
.LBB192_2923:
	s_and_b64 vcc, exec, s[16:17]
	s_cbranch_vccz .LBB192_2939
; %bb.2924:
	s_cmp_lt_i32 s21, 27
	s_mov_b64 s[10:11], -1
	s_cbranch_scc1 .LBB192_2930
; %bb.2925:
	s_cmp_gt_i32 s21, 27
	s_cbranch_scc0 .LBB192_2927
; %bb.2926:
	v_cvt_u32_f32_e32 v4, v3
	s_mov_b64 s[10:11], 0
	global_store_dword v[1:2], v4, off
.LBB192_2927:
	s_andn2_b64 vcc, exec, s[10:11]
	s_cbranch_vccnz .LBB192_2929
; %bb.2928:
	v_cvt_u32_f32_e32 v4, v3
	global_store_short v[1:2], v4, off
.LBB192_2929:
	s_mov_b64 s[10:11], 0
.LBB192_2930:
	s_andn2_b64 vcc, exec, s[10:11]
	s_cbranch_vccnz .LBB192_2938
; %bb.2931:
	v_and_b32_e32 v4, 0x7fffffff, v3
	s_mov_b32 s10, 0x43800000
	v_cmp_gt_u32_e32 vcc, s10, v4
	v_mov_b32_e32 v5, 0x80
	s_and_saveexec_b64 s[10:11], vcc
	s_cbranch_execz .LBB192_2937
; %bb.2932:
	s_mov_b32 s16, 0x3bffffff
	v_cmp_lt_u32_e32 vcc, s16, v4
	s_mov_b64 s[16:17], 0
                                        ; implicit-def: $vgpr4
	s_and_saveexec_b64 s[18:19], vcc
	s_xor_b64 s[18:19], exec, s[18:19]
	s_cbranch_execz .LBB192_3158
; %bb.2933:
	v_bfe_u32 v4, v3, 20, 1
	s_mov_b32 s22, 0x487ffff
	v_add3_u32 v4, v3, v4, s22
	s_mov_b64 s[16:17], exec
	v_lshrrev_b32_e32 v4, 20, v4
	s_andn2_saveexec_b64 s[18:19], s[18:19]
	s_cbranch_execnz .LBB192_3159
.LBB192_2934:
	s_or_b64 exec, exec, s[18:19]
	v_mov_b32_e32 v5, 0
	s_and_saveexec_b64 s[18:19], s[16:17]
.LBB192_2935:
	v_lshrrev_b32_e32 v5, 24, v3
	s_movk_i32 s16, 0x80
	v_and_or_b32 v5, v5, s16, v4
.LBB192_2936:
	s_or_b64 exec, exec, s[18:19]
.LBB192_2937:
	s_or_b64 exec, exec, s[10:11]
	global_store_byte v[1:2], v5, off
.LBB192_2938:
	s_mov_b64 s[10:11], -1
.LBB192_2939:
	s_mov_b64 s[16:17], 0
.LBB192_2940:
	s_and_b64 vcc, exec, s[16:17]
	s_cbranch_vccz .LBB192_2980
; %bb.2941:
	s_cmp_gt_i32 s21, 22
	s_mov_b64 s[2:3], -1
	s_cbranch_scc0 .LBB192_2973
; %bb.2942:
	s_cmp_lt_i32 s21, 24
	s_cbranch_scc1 .LBB192_2962
; %bb.2943:
	s_cmp_gt_i32 s21, 24
	s_cbranch_scc0 .LBB192_2951
; %bb.2944:
	v_and_b32_e32 v4, 0x7fffffff, v3
	s_mov_b32 s2, 0x47800000
	v_cmp_gt_u32_e32 vcc, s2, v4
	v_mov_b32_e32 v5, 0x80
	s_and_saveexec_b64 s[2:3], vcc
	s_cbranch_execz .LBB192_2950
; %bb.2945:
	s_mov_b32 s10, 0x37ffffff
	v_cmp_lt_u32_e32 vcc, s10, v4
	s_mov_b64 s[10:11], 0
                                        ; implicit-def: $vgpr4
	s_and_saveexec_b64 s[16:17], vcc
	s_xor_b64 s[16:17], exec, s[16:17]
	s_cbranch_execz .LBB192_3161
; %bb.2946:
	v_bfe_u32 v4, v3, 21, 1
	s_mov_b32 s18, 0x88fffff
	v_add3_u32 v4, v3, v4, s18
	s_mov_b64 s[10:11], exec
	v_lshrrev_b32_e32 v4, 21, v4
	s_andn2_saveexec_b64 s[16:17], s[16:17]
	s_cbranch_execnz .LBB192_3162
.LBB192_2947:
	s_or_b64 exec, exec, s[16:17]
	v_mov_b32_e32 v5, 0
	s_and_saveexec_b64 s[16:17], s[10:11]
.LBB192_2948:
	v_lshrrev_b32_e32 v5, 24, v3
	s_movk_i32 s10, 0x80
	v_and_or_b32 v5, v5, s10, v4
.LBB192_2949:
	s_or_b64 exec, exec, s[16:17]
.LBB192_2950:
	s_or_b64 exec, exec, s[2:3]
	s_mov_b64 s[2:3], 0
	global_store_byte v[1:2], v5, off
.LBB192_2951:
	s_and_b64 vcc, exec, s[2:3]
	s_cbranch_vccz .LBB192_2961
; %bb.2952:
	v_and_b32_e32 v5, 0x7fffffff, v3
	s_mov_b32 s2, 0x43f00000
	v_cmp_gt_u32_e32 vcc, s2, v5
                                        ; implicit-def: $vgpr4
	s_and_saveexec_b64 s[2:3], vcc
	s_xor_b64 s[2:3], exec, s[2:3]
	s_cbranch_execz .LBB192_2958
; %bb.2953:
	s_mov_b32 s10, 0x3c7fffff
	v_cmp_lt_u32_e32 vcc, s10, v5
                                        ; implicit-def: $vgpr4
	s_and_saveexec_b64 s[10:11], vcc
	s_xor_b64 s[10:11], exec, s[10:11]
; %bb.2954:
	v_bfe_u32 v4, v3, 20, 1
	s_mov_b32 s16, 0x407ffff
	v_add3_u32 v4, v3, v4, s16
	v_lshrrev_b32_e32 v5, 20, v4
	v_and_b32_e32 v4, 0xff00000, v4
	s_mov_b32 s16, 0x7f00000
	v_mov_b32_e32 v6, 0x7e
	v_cmp_ne_u32_e32 vcc, s16, v4
	v_cndmask_b32_e32 v4, v6, v5, vcc
; %bb.2955:
	s_andn2_saveexec_b64 s[10:11], s[10:11]
; %bb.2956:
	s_mov_b32 s16, 0x46800000
	v_add_f32_e64 v4, |v3|, s16
; %bb.2957:
	s_or_b64 exec, exec, s[10:11]
                                        ; implicit-def: $vgpr5
.LBB192_2958:
	s_andn2_saveexec_b64 s[2:3], s[2:3]
; %bb.2959:
	s_mov_b32 s10, 0x7f800000
	v_mov_b32_e32 v4, 0x7e
	v_mov_b32_e32 v6, 0x7f
	v_cmp_lt_u32_e32 vcc, s10, v5
	v_cndmask_b32_e32 v4, v4, v6, vcc
; %bb.2960:
	s_or_b64 exec, exec, s[2:3]
	v_lshrrev_b32_e32 v5, 24, v3
	s_movk_i32 s2, 0x80
	v_and_or_b32 v4, v5, s2, v4
	global_store_byte v[1:2], v4, off
.LBB192_2961:
	s_mov_b64 s[2:3], 0
.LBB192_2962:
	s_andn2_b64 vcc, exec, s[2:3]
	s_cbranch_vccnz .LBB192_2972
; %bb.2963:
	v_and_b32_e32 v5, 0x7fffffff, v3
	s_mov_b32 s2, 0x47800000
	v_cmp_gt_u32_e32 vcc, s2, v5
                                        ; implicit-def: $vgpr4
	s_and_saveexec_b64 s[2:3], vcc
	s_xor_b64 s[2:3], exec, s[2:3]
	s_cbranch_execz .LBB192_2969
; %bb.2964:
	s_mov_b32 s10, 0x387fffff
	v_cmp_lt_u32_e32 vcc, s10, v5
                                        ; implicit-def: $vgpr4
	s_and_saveexec_b64 s[10:11], vcc
	s_xor_b64 s[10:11], exec, s[10:11]
; %bb.2965:
	v_bfe_u32 v4, v3, 21, 1
	s_mov_b32 s16, 0x80fffff
	v_add3_u32 v4, v3, v4, s16
	v_lshrrev_b32_e32 v4, 21, v4
; %bb.2966:
	s_andn2_saveexec_b64 s[10:11], s[10:11]
; %bb.2967:
	s_mov_b32 s16, 0x43000000
	v_add_f32_e64 v4, |v3|, s16
; %bb.2968:
	s_or_b64 exec, exec, s[10:11]
                                        ; implicit-def: $vgpr5
.LBB192_2969:
	s_andn2_saveexec_b64 s[2:3], s[2:3]
; %bb.2970:
	s_mov_b32 s10, 0x7f800000
	v_mov_b32_e32 v4, 0x7c
	v_mov_b32_e32 v6, 0x7f
	v_cmp_lt_u32_e32 vcc, s10, v5
	v_cndmask_b32_e32 v4, v4, v6, vcc
; %bb.2971:
	s_or_b64 exec, exec, s[2:3]
	v_lshrrev_b32_e32 v5, 24, v3
	s_movk_i32 s2, 0x80
	v_and_or_b32 v4, v5, s2, v4
	global_store_byte v[1:2], v4, off
.LBB192_2972:
	s_mov_b64 s[2:3], 0
	s_mov_b64 s[10:11], -1
.LBB192_2973:
	s_andn2_b64 vcc, exec, s[2:3]
	s_mov_b64 s[2:3], 0
	s_cbranch_vccnz .LBB192_2980
; %bb.2974:
	s_cmp_gt_i32 s21, 14
	s_mov_b64 s[16:17], -1
	s_cbranch_scc0 .LBB192_2978
; %bb.2975:
	s_cmp_eq_u32 s21, 15
	s_mov_b64 s[0:1], -1
	s_cbranch_scc0 .LBB192_2977
; %bb.2976:
	v_bfe_u32 v4, v3, 16, 1
	s_movk_i32 s0, 0x7fff
	v_add3_u32 v4, v3, v4, s0
	v_cmp_o_f32_e32 vcc, v3, v3
	v_mov_b32_e32 v5, 0x7fc0
	v_cndmask_b32_sdwa v4, v5, v4, vcc dst_sel:DWORD dst_unused:UNUSED_PAD src0_sel:DWORD src1_sel:WORD_1
	global_store_short v[1:2], v4, off
	s_mov_b64 s[0:1], 0
	s_mov_b64 s[10:11], -1
.LBB192_2977:
	s_mov_b64 s[16:17], 0
.LBB192_2978:
	s_and_b64 vcc, exec, s[16:17]
	s_cbranch_vccz .LBB192_2980
; %bb.2979:
	s_cmp_lg_u32 s21, 11
	s_mov_b64 s[2:3], -1
	s_cselect_b64 s[0:1], -1, 0
.LBB192_2980:
	s_and_b64 vcc, exec, s[0:1]
	s_cbranch_vccnz .LBB192_3160
; %bb.2981:
	s_andn2_b64 vcc, exec, s[2:3]
	s_cbranch_vccnz .LBB192_2983
.LBB192_2982:
	v_cmp_neq_f32_e32 vcc, 0, v3
	v_cndmask_b32_e64 v4, 0, 1, vcc
	s_mov_b64 s[10:11], -1
	global_store_byte v[1:2], v4, off
.LBB192_2983:
	s_mov_b64 s[0:1], 0
	s_branch .LBB192_2985
.LBB192_2984:
	s_mov_b64 s[0:1], -1
	s_mov_b64 s[10:11], 0
.LBB192_2985:
	s_and_b64 vcc, exec, s[0:1]
	s_cbranch_vccz .LBB192_3024
; %bb.2986:
	s_cmp_lt_i32 s21, 5
	s_mov_b64 s[0:1], -1
	s_cbranch_scc1 .LBB192_3007
; %bb.2987:
	s_cmp_lt_i32 s21, 8
	s_cbranch_scc1 .LBB192_2997
; %bb.2988:
	s_cmp_lt_i32 s21, 9
	s_cbranch_scc1 .LBB192_2994
; %bb.2989:
	s_cmp_gt_i32 s21, 9
	s_cbranch_scc0 .LBB192_2991
; %bb.2990:
	v_cvt_f64_f32_e32 v[4:5], v3
	v_mov_b32_e32 v6, 0
	v_mov_b32_e32 v7, v6
	s_mov_b64 s[0:1], 0
	global_store_dwordx4 v[1:2], v[4:7], off
.LBB192_2991:
	s_andn2_b64 vcc, exec, s[0:1]
	s_cbranch_vccnz .LBB192_2993
; %bb.2992:
	v_mov_b32_e32 v4, 0
	global_store_dwordx2 v[1:2], v[3:4], off
.LBB192_2993:
	s_mov_b64 s[0:1], 0
.LBB192_2994:
	s_andn2_b64 vcc, exec, s[0:1]
	s_cbranch_vccnz .LBB192_2996
; %bb.2995:
	v_cvt_f16_f32_e32 v4, v3
	global_store_dword v[1:2], v4, off
.LBB192_2996:
	s_mov_b64 s[0:1], 0
.LBB192_2997:
	s_andn2_b64 vcc, exec, s[0:1]
	s_cbranch_vccnz .LBB192_3006
; %bb.2998:
	s_cmp_lt_i32 s21, 6
	s_mov_b64 s[0:1], -1
	s_cbranch_scc1 .LBB192_3004
; %bb.2999:
	s_cmp_gt_i32 s21, 6
	s_cbranch_scc0 .LBB192_3001
; %bb.3000:
	v_cvt_f64_f32_e32 v[4:5], v3
	s_mov_b64 s[0:1], 0
	global_store_dwordx2 v[1:2], v[4:5], off
.LBB192_3001:
	s_andn2_b64 vcc, exec, s[0:1]
	s_cbranch_vccnz .LBB192_3003
; %bb.3002:
	global_store_dword v[1:2], v3, off
.LBB192_3003:
	s_mov_b64 s[0:1], 0
.LBB192_3004:
	s_andn2_b64 vcc, exec, s[0:1]
	s_cbranch_vccnz .LBB192_3006
; %bb.3005:
	v_cvt_f16_f32_e32 v4, v3
	global_store_short v[1:2], v4, off
.LBB192_3006:
	s_mov_b64 s[0:1], 0
.LBB192_3007:
	s_andn2_b64 vcc, exec, s[0:1]
	s_cbranch_vccnz .LBB192_3023
; %bb.3008:
	s_cmp_lt_i32 s21, 2
	s_mov_b64 s[0:1], -1
	s_cbranch_scc1 .LBB192_3018
; %bb.3009:
	s_cmp_lt_i32 s21, 3
	s_cbranch_scc1 .LBB192_3015
; %bb.3010:
	s_cmp_gt_i32 s21, 3
	s_cbranch_scc0 .LBB192_3012
; %bb.3011:
	v_trunc_f32_e32 v4, v3
	s_mov_b32 s0, 0x2f800000
	v_mul_f32_e64 v5, |v4|, s0
	v_floor_f32_e32 v5, v5
	s_mov_b32 s0, 0xcf800000
	v_cvt_u32_f32_e32 v6, v5
	v_fma_f32 v5, v5, s0, |v4|
	v_cvt_u32_f32_e32 v5, v5
	v_ashrrev_i32_e32 v7, 31, v4
	v_xor_b32_e32 v6, v6, v7
	s_mov_b64 s[0:1], 0
	v_xor_b32_e32 v4, v5, v7
	v_sub_co_u32_e32 v4, vcc, v4, v7
	v_subb_co_u32_e32 v5, vcc, v6, v7, vcc
	global_store_dwordx2 v[1:2], v[4:5], off
.LBB192_3012:
	s_andn2_b64 vcc, exec, s[0:1]
	s_cbranch_vccnz .LBB192_3014
; %bb.3013:
	v_cvt_i32_f32_e32 v4, v3
	global_store_dword v[1:2], v4, off
.LBB192_3014:
	s_mov_b64 s[0:1], 0
.LBB192_3015:
	s_andn2_b64 vcc, exec, s[0:1]
	s_cbranch_vccnz .LBB192_3017
; %bb.3016:
	v_cvt_i32_f32_e32 v4, v3
	global_store_short v[1:2], v4, off
.LBB192_3017:
	s_mov_b64 s[0:1], 0
.LBB192_3018:
	s_andn2_b64 vcc, exec, s[0:1]
	s_cbranch_vccnz .LBB192_3023
; %bb.3019:
	s_cmp_gt_i32 s21, 0
	s_mov_b64 s[0:1], -1
	s_cbranch_scc0 .LBB192_3021
; %bb.3020:
	v_cvt_i32_f32_e32 v4, v3
	s_mov_b64 s[0:1], 0
	global_store_byte v[1:2], v4, off
.LBB192_3021:
	s_andn2_b64 vcc, exec, s[0:1]
	s_cbranch_vccnz .LBB192_3023
; %bb.3022:
	v_trunc_f32_e32 v3, v3
	s_mov_b32 s0, 0x2f800000
	v_mul_f32_e64 v4, |v3|, s0
	v_floor_f32_e32 v4, v4
	s_mov_b32 s0, 0xcf800000
	v_fma_f32 v4, v4, s0, |v3|
	v_cvt_u32_f32_e32 v4, v4
	v_ashrrev_i32_e32 v3, 31, v3
	v_xor_b32_e32 v4, v4, v3
	v_sub_u32_e32 v3, v4, v3
	global_store_byte v[1:2], v3, off
.LBB192_3023:
	s_mov_b64 s[10:11], -1
.LBB192_3024:
	s_andn2_b64 vcc, exec, s[10:11]
	s_cbranch_vccnz .LBB192_3101
; %bb.3025:
	v_mov_b32_e32 v1, s7
	v_cmp_nge_f32_e32 vcc, s6, v10
	v_cndmask_b32_e32 v2, v1, v9, vcc
	v_mov_b32_e32 v1, s9
	v_add_co_u32_e32 v0, vcc, s8, v0
	s_cmp_lt_i32 s21, 11
	v_addc_co_u32_e32 v1, vcc, 0, v1, vcc
	s_cbranch_scc1 .LBB192_3146
; %bb.3026:
	s_mov_b64 s[6:7], -1
	s_mov_b64 s[2:3], 0
	s_cmp_gt_i32 s21, 25
	s_mov_b64 s[0:1], 0
	s_cbranch_scc0 .LBB192_3059
; %bb.3027:
	s_cmp_gt_i32 s21, 28
	s_cbranch_scc0 .LBB192_3043
; %bb.3028:
	s_cmp_gt_i32 s21, 43
	;; [unrolled: 3-line block ×3, first 2 shown]
	s_cbranch_scc0 .LBB192_3033
; %bb.3030:
	s_cmp_eq_u32 s21, 46
	s_mov_b64 s[0:1], -1
	s_cbranch_scc0 .LBB192_3032
; %bb.3031:
	v_bfe_u32 v3, v2, 16, 1
	s_movk_i32 s0, 0x7fff
	v_add3_u32 v3, v2, v3, s0
	v_cmp_o_f32_e32 vcc, v2, v2
	v_mov_b32_e32 v4, 0x7fc0
	v_cndmask_b32_sdwa v3, v4, v3, vcc dst_sel:DWORD dst_unused:UNUSED_PAD src0_sel:DWORD src1_sel:WORD_1
	global_store_dword v[0:1], v3, off
	s_mov_b64 s[0:1], 0
.LBB192_3032:
	s_mov_b64 s[6:7], 0
.LBB192_3033:
	s_and_b64 vcc, exec, s[6:7]
	s_cbranch_vccz .LBB192_3038
; %bb.3034:
	s_cmp_eq_u32 s21, 44
	s_mov_b64 s[0:1], -1
	s_cbranch_scc0 .LBB192_3038
; %bb.3035:
	v_bfe_u32 v3, v2, 23, 8
	s_movk_i32 s0, 0xff
	v_cmp_ne_u32_e32 vcc, s0, v3
	v_mov_b32_e32 v4, 0xff
	s_and_saveexec_b64 s[6:7], vcc
; %bb.3036:
	s_mov_b32 s0, 0x3fffff
	v_and_b32_e32 v5, 0x400000, v2
	v_and_or_b32 v3, v2, s0, v3
	v_cmp_ne_u32_e32 vcc, 0, v5
	v_cmp_ne_u32_e64 s[0:1], 0, v3
	s_and_b64 s[0:1], vcc, s[0:1]
	v_lshrrev_b32_e32 v4, 23, v2
	v_cndmask_b32_e64 v3, 0, 1, s[0:1]
	v_add_u32_e32 v4, v4, v3
; %bb.3037:
	s_or_b64 exec, exec, s[6:7]
	s_mov_b64 s[0:1], 0
	global_store_byte v[0:1], v4, off
.LBB192_3038:
	s_mov_b64 s[6:7], 0
.LBB192_3039:
	s_and_b64 vcc, exec, s[6:7]
	s_cbranch_vccz .LBB192_3042
; %bb.3040:
	s_cmp_eq_u32 s21, 29
	s_mov_b64 s[0:1], -1
	s_cbranch_scc0 .LBB192_3042
; %bb.3041:
	v_trunc_f32_e32 v3, v2
	v_mul_f32_e32 v4, 0x2f800000, v3
	v_floor_f32_e32 v5, v4
	v_fmac_f32_e32 v3, 0xcf800000, v5
	v_cvt_u32_f32_e32 v4, v5
	v_cvt_u32_f32_e32 v3, v3
	s_mov_b64 s[0:1], 0
	global_store_dwordx2 v[0:1], v[3:4], off
.LBB192_3042:
	s_mov_b64 s[6:7], 0
.LBB192_3043:
	s_and_b64 vcc, exec, s[6:7]
	s_cbranch_vccz .LBB192_3058
; %bb.3044:
	s_cmp_lt_i32 s21, 27
	s_mov_b64 s[6:7], -1
	s_cbranch_scc1 .LBB192_3050
; %bb.3045:
	v_cvt_u32_f32_e32 v3, v2
	s_cmp_gt_i32 s21, 27
	s_cbranch_scc0 .LBB192_3047
; %bb.3046:
	global_store_dword v[0:1], v3, off
	s_mov_b64 s[6:7], 0
.LBB192_3047:
	s_andn2_b64 vcc, exec, s[6:7]
	s_cbranch_vccnz .LBB192_3049
; %bb.3048:
	global_store_short v[0:1], v3, off
.LBB192_3049:
	s_mov_b64 s[6:7], 0
.LBB192_3050:
	s_andn2_b64 vcc, exec, s[6:7]
	s_cbranch_vccnz .LBB192_3058
; %bb.3051:
	v_and_b32_e32 v3, 0x7fffffff, v2
	s_mov_b32 s6, 0x43800000
	v_cmp_gt_u32_e32 vcc, s6, v3
	v_mov_b32_e32 v4, 0x80
	s_and_saveexec_b64 s[6:7], vcc
	s_cbranch_execz .LBB192_3057
; %bb.3052:
	s_mov_b32 s8, 0x3bffffff
	v_cmp_lt_u32_e32 vcc, s8, v3
	s_mov_b64 s[8:9], 0
                                        ; implicit-def: $vgpr3
	s_and_saveexec_b64 s[10:11], vcc
	s_xor_b64 s[10:11], exec, s[10:11]
	s_cbranch_execz .LBB192_3163
; %bb.3053:
	v_bfe_u32 v3, v2, 20, 1
	s_mov_b32 s16, 0x487ffff
	v_add3_u32 v3, v2, v3, s16
	s_mov_b64 s[8:9], exec
	v_lshrrev_b32_e32 v3, 20, v3
	s_andn2_saveexec_b64 s[10:11], s[10:11]
	s_cbranch_execnz .LBB192_3164
.LBB192_3054:
	s_or_b64 exec, exec, s[10:11]
	v_mov_b32_e32 v4, 0
	s_and_saveexec_b64 s[10:11], s[8:9]
.LBB192_3055:
	v_lshrrev_b32_e32 v4, 24, v2
	s_movk_i32 s8, 0x80
	v_and_or_b32 v4, v4, s8, v3
.LBB192_3056:
	s_or_b64 exec, exec, s[10:11]
.LBB192_3057:
	s_or_b64 exec, exec, s[6:7]
	global_store_byte v[0:1], v4, off
.LBB192_3058:
	s_mov_b64 s[6:7], 0
.LBB192_3059:
	s_and_b64 vcc, exec, s[6:7]
	s_cbranch_vccz .LBB192_3099
; %bb.3060:
	s_cmp_gt_i32 s21, 22
	s_mov_b64 s[2:3], -1
	s_cbranch_scc0 .LBB192_3092
; %bb.3061:
	s_cmp_lt_i32 s21, 24
	s_cbranch_scc1 .LBB192_3081
; %bb.3062:
	s_cmp_gt_i32 s21, 24
	s_cbranch_scc0 .LBB192_3070
; %bb.3063:
	v_and_b32_e32 v3, 0x7fffffff, v2
	s_mov_b32 s2, 0x47800000
	v_cmp_gt_u32_e32 vcc, s2, v3
	v_mov_b32_e32 v4, 0x80
	s_and_saveexec_b64 s[2:3], vcc
	s_cbranch_execz .LBB192_3069
; %bb.3064:
	s_mov_b32 s6, 0x37ffffff
	v_cmp_lt_u32_e32 vcc, s6, v3
	s_mov_b64 s[6:7], 0
                                        ; implicit-def: $vgpr3
	s_and_saveexec_b64 s[8:9], vcc
	s_xor_b64 s[8:9], exec, s[8:9]
	s_cbranch_execz .LBB192_3166
; %bb.3065:
	v_bfe_u32 v3, v2, 21, 1
	s_mov_b32 s10, 0x88fffff
	v_add3_u32 v3, v2, v3, s10
	s_mov_b64 s[6:7], exec
	v_lshrrev_b32_e32 v3, 21, v3
	s_andn2_saveexec_b64 s[8:9], s[8:9]
	s_cbranch_execnz .LBB192_3167
.LBB192_3066:
	s_or_b64 exec, exec, s[8:9]
	v_mov_b32_e32 v4, 0
	s_and_saveexec_b64 s[8:9], s[6:7]
.LBB192_3067:
	v_lshrrev_b32_e32 v4, 24, v2
	s_movk_i32 s6, 0x80
	v_and_or_b32 v4, v4, s6, v3
.LBB192_3068:
	s_or_b64 exec, exec, s[8:9]
.LBB192_3069:
	s_or_b64 exec, exec, s[2:3]
	s_mov_b64 s[2:3], 0
	global_store_byte v[0:1], v4, off
.LBB192_3070:
	s_and_b64 vcc, exec, s[2:3]
	s_cbranch_vccz .LBB192_3080
; %bb.3071:
	v_and_b32_e32 v4, 0x7fffffff, v2
	s_mov_b32 s2, 0x43f00000
	v_cmp_gt_u32_e32 vcc, s2, v4
                                        ; implicit-def: $vgpr3
	s_and_saveexec_b64 s[2:3], vcc
	s_xor_b64 s[2:3], exec, s[2:3]
	s_cbranch_execz .LBB192_3077
; %bb.3072:
	s_mov_b32 s6, 0x3c7fffff
	v_cmp_lt_u32_e32 vcc, s6, v4
                                        ; implicit-def: $vgpr3
	s_and_saveexec_b64 s[6:7], vcc
	s_xor_b64 s[6:7], exec, s[6:7]
; %bb.3073:
	v_bfe_u32 v3, v2, 20, 1
	s_mov_b32 s8, 0x407ffff
	v_add3_u32 v3, v2, v3, s8
	v_lshrrev_b32_e32 v4, 20, v3
	v_and_b32_e32 v3, 0xff00000, v3
	s_mov_b32 s8, 0x7f00000
	v_mov_b32_e32 v5, 0x7e
	v_cmp_ne_u32_e32 vcc, s8, v3
	v_cndmask_b32_e32 v3, v5, v4, vcc
; %bb.3074:
	s_andn2_saveexec_b64 s[6:7], s[6:7]
; %bb.3075:
	s_mov_b32 s8, 0x46800000
	v_add_f32_e64 v3, |v2|, s8
; %bb.3076:
	s_or_b64 exec, exec, s[6:7]
                                        ; implicit-def: $vgpr4
.LBB192_3077:
	s_andn2_saveexec_b64 s[2:3], s[2:3]
; %bb.3078:
	s_mov_b32 s6, 0x7f800000
	v_mov_b32_e32 v3, 0x7e
	v_mov_b32_e32 v5, 0x7f
	v_cmp_lt_u32_e32 vcc, s6, v4
	v_cndmask_b32_e32 v3, v3, v5, vcc
; %bb.3079:
	s_or_b64 exec, exec, s[2:3]
	v_lshrrev_b32_e32 v4, 24, v2
	s_movk_i32 s2, 0x80
	v_and_or_b32 v3, v4, s2, v3
	global_store_byte v[0:1], v3, off
.LBB192_3080:
	s_mov_b64 s[2:3], 0
.LBB192_3081:
	s_andn2_b64 vcc, exec, s[2:3]
	s_cbranch_vccnz .LBB192_3091
; %bb.3082:
	v_and_b32_e32 v4, 0x7fffffff, v2
	s_mov_b32 s2, 0x47800000
	v_cmp_gt_u32_e32 vcc, s2, v4
                                        ; implicit-def: $vgpr3
	s_and_saveexec_b64 s[2:3], vcc
	s_xor_b64 s[2:3], exec, s[2:3]
	s_cbranch_execz .LBB192_3088
; %bb.3083:
	s_mov_b32 s6, 0x387fffff
	v_cmp_lt_u32_e32 vcc, s6, v4
                                        ; implicit-def: $vgpr3
	s_and_saveexec_b64 s[6:7], vcc
	s_xor_b64 s[6:7], exec, s[6:7]
; %bb.3084:
	v_bfe_u32 v3, v2, 21, 1
	s_mov_b32 s8, 0x80fffff
	v_add3_u32 v3, v2, v3, s8
	v_lshrrev_b32_e32 v3, 21, v3
; %bb.3085:
	s_andn2_saveexec_b64 s[6:7], s[6:7]
; %bb.3086:
	s_mov_b32 s8, 0x43000000
	v_add_f32_e64 v3, |v2|, s8
; %bb.3087:
	s_or_b64 exec, exec, s[6:7]
                                        ; implicit-def: $vgpr4
.LBB192_3088:
	s_andn2_saveexec_b64 s[2:3], s[2:3]
; %bb.3089:
	s_mov_b32 s6, 0x7f800000
	v_mov_b32_e32 v3, 0x7c
	v_mov_b32_e32 v5, 0x7f
	v_cmp_lt_u32_e32 vcc, s6, v4
	v_cndmask_b32_e32 v3, v3, v5, vcc
; %bb.3090:
	s_or_b64 exec, exec, s[2:3]
	v_lshrrev_b32_e32 v4, 24, v2
	s_movk_i32 s2, 0x80
	v_and_or_b32 v3, v4, s2, v3
	global_store_byte v[0:1], v3, off
.LBB192_3091:
	s_mov_b64 s[2:3], 0
.LBB192_3092:
	s_andn2_b64 vcc, exec, s[2:3]
	s_mov_b64 s[2:3], 0
	s_cbranch_vccnz .LBB192_3099
; %bb.3093:
	s_cmp_gt_i32 s21, 14
	s_mov_b64 s[6:7], -1
	s_cbranch_scc0 .LBB192_3097
; %bb.3094:
	s_cmp_eq_u32 s21, 15
	s_mov_b64 s[0:1], -1
	s_cbranch_scc0 .LBB192_3096
; %bb.3095:
	v_bfe_u32 v3, v2, 16, 1
	s_movk_i32 s0, 0x7fff
	v_add3_u32 v3, v2, v3, s0
	v_cmp_o_f32_e32 vcc, v2, v2
	v_mov_b32_e32 v4, 0x7fc0
	v_cndmask_b32_sdwa v3, v4, v3, vcc dst_sel:DWORD dst_unused:UNUSED_PAD src0_sel:DWORD src1_sel:WORD_1
	global_store_short v[0:1], v3, off
	s_mov_b64 s[0:1], 0
.LBB192_3096:
	s_mov_b64 s[6:7], 0
.LBB192_3097:
	s_and_b64 vcc, exec, s[6:7]
	s_cbranch_vccz .LBB192_3099
; %bb.3098:
	s_cmp_lg_u32 s21, 11
	s_mov_b64 s[2:3], -1
	s_cselect_b64 s[0:1], -1, 0
.LBB192_3099:
	s_and_b64 vcc, exec, s[0:1]
	s_cbranch_vccnz .LBB192_3165
.LBB192_3100:
	s_mov_b64 s[0:1], 0
	s_branch .LBB192_3102
.LBB192_3101:
	s_mov_b64 s[0:1], 0
	s_mov_b64 s[2:3], 0
                                        ; implicit-def: $vgpr0_vgpr1
                                        ; implicit-def: $sgpr20
                                        ; implicit-def: $vgpr2
.LBB192_3102:
	s_and_b64 s[6:7], s[2:3], exec
	s_andn2_b64 s[2:3], s[12:13], exec
	s_and_b64 s[4:5], s[4:5], exec
	s_and_b64 s[0:1], s[0:1], exec
	s_or_b64 s[12:13], s[2:3], s[4:5]
.LBB192_3103:
	s_or_b64 exec, exec, s[14:15]
	s_and_saveexec_b64 s[2:3], s[12:13]
	s_cbranch_execz .LBB192_3106
; %bb.3104:
	; divergent unreachable
	s_or_b64 exec, exec, s[2:3]
	s_and_saveexec_b64 s[2:3], s[6:7]
	s_xor_b64 s[2:3], exec, s[2:3]
	s_cbranch_execnz .LBB192_3107
.LBB192_3105:
	s_or_b64 exec, exec, s[2:3]
	s_and_saveexec_b64 s[2:3], s[0:1]
	s_cbranch_execnz .LBB192_3108
	s_branch .LBB192_3145
.LBB192_3106:
	s_or_b64 exec, exec, s[2:3]
	s_and_saveexec_b64 s[2:3], s[6:7]
	s_xor_b64 s[2:3], exec, s[2:3]
	s_cbranch_execz .LBB192_3105
.LBB192_3107:
	v_cmp_neq_f32_e32 vcc, 0, v2
	s_waitcnt vmcnt(0)
	v_cndmask_b32_e64 v3, 0, 1, vcc
	global_store_byte v[0:1], v3, off
	s_or_b64 exec, exec, s[2:3]
	s_and_saveexec_b64 s[2:3], s[0:1]
	s_cbranch_execz .LBB192_3145
.LBB192_3108:
	s_sext_i32_i16 s2, s20
	s_cmp_lt_i32 s2, 5
	s_mov_b64 s[0:1], -1
	s_cbranch_scc1 .LBB192_3129
; %bb.3109:
	s_cmp_lt_i32 s2, 8
	s_cbranch_scc1 .LBB192_3119
; %bb.3110:
	s_cmp_lt_i32 s2, 9
	s_cbranch_scc1 .LBB192_3116
; %bb.3111:
	s_cmp_gt_i32 s2, 9
	s_cbranch_scc0 .LBB192_3113
; %bb.3112:
	s_waitcnt vmcnt(0)
	v_cvt_f64_f32_e32 v[3:4], v2
	v_mov_b32_e32 v5, 0
	v_mov_b32_e32 v6, v5
	s_mov_b64 s[0:1], 0
	global_store_dwordx4 v[0:1], v[3:6], off
.LBB192_3113:
	s_andn2_b64 vcc, exec, s[0:1]
	s_cbranch_vccnz .LBB192_3115
; %bb.3114:
	s_waitcnt vmcnt(0)
	v_mov_b32_e32 v3, 0
	global_store_dwordx2 v[0:1], v[2:3], off
.LBB192_3115:
	s_mov_b64 s[0:1], 0
.LBB192_3116:
	s_andn2_b64 vcc, exec, s[0:1]
	s_cbranch_vccnz .LBB192_3118
; %bb.3117:
	s_waitcnt vmcnt(0)
	v_cvt_f16_f32_e32 v3, v2
	global_store_dword v[0:1], v3, off
.LBB192_3118:
	s_mov_b64 s[0:1], 0
.LBB192_3119:
	s_andn2_b64 vcc, exec, s[0:1]
	s_cbranch_vccnz .LBB192_3128
; %bb.3120:
	s_sext_i32_i16 s2, s20
	s_cmp_lt_i32 s2, 6
	s_mov_b64 s[0:1], -1
	s_cbranch_scc1 .LBB192_3126
; %bb.3121:
	s_cmp_gt_i32 s2, 6
	s_cbranch_scc0 .LBB192_3123
; %bb.3122:
	s_waitcnt vmcnt(0)
	v_cvt_f64_f32_e32 v[3:4], v2
	s_mov_b64 s[0:1], 0
	global_store_dwordx2 v[0:1], v[3:4], off
.LBB192_3123:
	s_andn2_b64 vcc, exec, s[0:1]
	s_cbranch_vccnz .LBB192_3125
; %bb.3124:
	s_waitcnt vmcnt(0)
	global_store_dword v[0:1], v2, off
.LBB192_3125:
	s_mov_b64 s[0:1], 0
.LBB192_3126:
	s_andn2_b64 vcc, exec, s[0:1]
	s_cbranch_vccnz .LBB192_3128
; %bb.3127:
	s_waitcnt vmcnt(0)
	v_cvt_f16_f32_e32 v3, v2
	global_store_short v[0:1], v3, off
.LBB192_3128:
	s_mov_b64 s[0:1], 0
.LBB192_3129:
	s_andn2_b64 vcc, exec, s[0:1]
	s_cbranch_vccnz .LBB192_3145
; %bb.3130:
	s_sext_i32_i16 s2, s20
	s_cmp_lt_i32 s2, 2
	s_mov_b64 s[0:1], -1
	s_cbranch_scc1 .LBB192_3140
; %bb.3131:
	s_cmp_lt_i32 s2, 3
	s_cbranch_scc1 .LBB192_3137
; %bb.3132:
	s_cmp_gt_i32 s2, 3
	s_cbranch_scc0 .LBB192_3134
; %bb.3133:
	s_waitcnt vmcnt(0)
	v_trunc_f32_e32 v3, v2
	s_mov_b32 s0, 0x2f800000
	v_mul_f32_e64 v4, |v3|, s0
	v_floor_f32_e32 v4, v4
	s_mov_b32 s0, 0xcf800000
	v_cvt_u32_f32_e32 v5, v4
	v_fma_f32 v4, v4, s0, |v3|
	v_cvt_u32_f32_e32 v4, v4
	v_ashrrev_i32_e32 v6, 31, v3
	v_xor_b32_e32 v5, v5, v6
	s_mov_b64 s[0:1], 0
	v_xor_b32_e32 v3, v4, v6
	v_sub_co_u32_e32 v3, vcc, v3, v6
	v_subb_co_u32_e32 v4, vcc, v5, v6, vcc
	global_store_dwordx2 v[0:1], v[3:4], off
.LBB192_3134:
	s_andn2_b64 vcc, exec, s[0:1]
	s_cbranch_vccnz .LBB192_3136
; %bb.3135:
	s_waitcnt vmcnt(0)
	v_cvt_i32_f32_e32 v3, v2
	global_store_dword v[0:1], v3, off
.LBB192_3136:
	s_mov_b64 s[0:1], 0
.LBB192_3137:
	s_andn2_b64 vcc, exec, s[0:1]
	s_cbranch_vccnz .LBB192_3139
; %bb.3138:
	s_waitcnt vmcnt(0)
	v_cvt_i32_f32_e32 v3, v2
	global_store_short v[0:1], v3, off
.LBB192_3139:
	s_mov_b64 s[0:1], 0
.LBB192_3140:
	s_andn2_b64 vcc, exec, s[0:1]
	s_cbranch_vccnz .LBB192_3145
; %bb.3141:
	s_sext_i32_i16 s0, s20
	s_cmp_gt_i32 s0, 0
	s_mov_b64 s[0:1], -1
	s_cbranch_scc0 .LBB192_3143
; %bb.3142:
	s_waitcnt vmcnt(0)
	v_cvt_i32_f32_e32 v3, v2
	s_mov_b64 s[0:1], 0
	global_store_byte v[0:1], v3, off
.LBB192_3143:
	s_andn2_b64 vcc, exec, s[0:1]
	s_cbranch_vccnz .LBB192_3145
; %bb.3144:
	v_trunc_f32_e32 v2, v2
	s_mov_b32 s0, 0x2f800000
	s_waitcnt vmcnt(0)
	v_mul_f32_e64 v3, |v2|, s0
	v_floor_f32_e32 v3, v3
	s_mov_b32 s0, 0xcf800000
	v_fma_f32 v3, v3, s0, |v2|
	v_cvt_u32_f32_e32 v3, v3
	v_ashrrev_i32_e32 v2, 31, v2
	v_xor_b32_e32 v3, v3, v2
	v_sub_u32_e32 v2, v3, v2
	global_store_byte v[0:1], v2, off
	s_endpgm
.LBB192_3145:
	s_endpgm
.LBB192_3146:
	s_mov_b64 s[2:3], 0
	s_mov_b64 s[0:1], -1
	s_branch .LBB192_3102
.LBB192_3147:
	s_trap 2
	s_or_b64 s[4:5], s[4:5], exec
	s_cbranch_execz .LBB192_2616
	s_branch .LBB192_2617
.LBB192_3148:
	s_andn2_saveexec_b64 s[18:19], s[18:19]
	s_cbranch_execz .LBB192_2696
.LBB192_3149:
	s_mov_b32 s22, 0x46000000
	v_add_f32_e64 v1, |v7|, s22
	v_and_b32_e32 v1, 0xff, v1
	v_cmp_ne_u32_e32 vcc, 0, v1
	s_andn2_b64 s[16:17], s[16:17], exec
	s_and_b64 s[22:23], vcc, exec
	s_or_b64 s[16:17], s[16:17], s[22:23]
	s_or_b64 exec, exec, s[18:19]
	v_mov_b32_e32 v3, 0
	s_and_saveexec_b64 s[18:19], s[16:17]
	s_cbranch_execnz .LBB192_2697
	s_branch .LBB192_2698
.LBB192_3150:
	s_trap 2
	s_or_b64 s[4:5], s[4:5], exec
	s_cbranch_execz .LBB192_2744
	s_branch .LBB192_2745
.LBB192_3151:
	s_andn2_saveexec_b64 s[16:17], s[16:17]
	s_cbranch_execz .LBB192_2709
.LBB192_3152:
	s_mov_b32 s18, 0x42800000
	v_add_f32_e64 v1, |v7|, s18
	v_and_b32_e32 v1, 0xff, v1
	v_cmp_ne_u32_e32 vcc, 0, v1
	s_andn2_b64 s[10:11], s[10:11], exec
	s_and_b64 s[18:19], vcc, exec
	s_or_b64 s[10:11], s[10:11], s[18:19]
	s_or_b64 exec, exec, s[16:17]
	v_mov_b32_e32 v3, 0
	s_and_saveexec_b64 s[16:17], s[10:11]
	s_cbranch_execnz .LBB192_2710
	s_branch .LBB192_2711
.LBB192_3153:
	s_andn2_saveexec_b64 s[18:19], s[18:19]
	s_cbranch_execz .LBB192_2815
.LBB192_3154:
	s_mov_b32 s22, 0x46000000
	v_add_f32_e64 v1, |v5|, s22
	v_and_b32_e32 v1, 0xff, v1
	v_cmp_ne_u32_e32 vcc, 0, v1
	s_andn2_b64 s[16:17], s[16:17], exec
	s_and_b64 s[22:23], vcc, exec
	s_or_b64 s[16:17], s[16:17], s[22:23]
	s_or_b64 exec, exec, s[18:19]
	v_mov_b32_e32 v6, 0
	s_and_saveexec_b64 s[18:19], s[16:17]
	s_cbranch_execnz .LBB192_2816
	s_branch .LBB192_2817
.LBB192_3155:
	s_trap 2
	s_or_b64 s[4:5], s[4:5], exec
	s_cbranch_execz .LBB192_2863
	s_branch .LBB192_2864
.LBB192_3156:
	s_andn2_saveexec_b64 s[16:17], s[16:17]
	s_cbranch_execz .LBB192_2828
.LBB192_3157:
	s_mov_b32 s18, 0x42800000
	v_add_f32_e64 v1, |v5|, s18
	v_and_b32_e32 v1, 0xff, v1
	v_cmp_ne_u32_e32 vcc, 0, v1
	s_andn2_b64 s[10:11], s[10:11], exec
	s_and_b64 s[18:19], vcc, exec
	s_or_b64 s[10:11], s[10:11], s[18:19]
	s_or_b64 exec, exec, s[16:17]
	v_mov_b32_e32 v6, 0
	s_and_saveexec_b64 s[16:17], s[10:11]
	s_cbranch_execnz .LBB192_2829
	s_branch .LBB192_2830
.LBB192_3158:
	s_andn2_saveexec_b64 s[18:19], s[18:19]
	s_cbranch_execz .LBB192_2934
.LBB192_3159:
	s_mov_b32 s22, 0x46000000
	v_add_f32_e64 v4, |v3|, s22
	v_and_b32_e32 v4, 0xff, v4
	v_cmp_ne_u32_e32 vcc, 0, v4
	s_andn2_b64 s[16:17], s[16:17], exec
	s_and_b64 s[22:23], vcc, exec
	s_or_b64 s[16:17], s[16:17], s[22:23]
	s_or_b64 exec, exec, s[18:19]
	v_mov_b32_e32 v5, 0
	s_and_saveexec_b64 s[18:19], s[16:17]
	s_cbranch_execnz .LBB192_2935
	s_branch .LBB192_2936
.LBB192_3160:
	s_trap 2
	s_or_b64 s[4:5], s[4:5], exec
	s_cbranch_execz .LBB192_2982
	s_branch .LBB192_2983
.LBB192_3161:
	s_andn2_saveexec_b64 s[16:17], s[16:17]
	s_cbranch_execz .LBB192_2947
.LBB192_3162:
	s_mov_b32 s18, 0x42800000
	v_add_f32_e64 v4, |v3|, s18
	v_and_b32_e32 v4, 0xff, v4
	v_cmp_ne_u32_e32 vcc, 0, v4
	s_andn2_b64 s[10:11], s[10:11], exec
	s_and_b64 s[18:19], vcc, exec
	s_or_b64 s[10:11], s[10:11], s[18:19]
	s_or_b64 exec, exec, s[16:17]
	v_mov_b32_e32 v5, 0
	s_and_saveexec_b64 s[16:17], s[10:11]
	s_cbranch_execnz .LBB192_2948
	s_branch .LBB192_2949
.LBB192_3163:
	s_andn2_saveexec_b64 s[10:11], s[10:11]
	s_cbranch_execz .LBB192_3054
.LBB192_3164:
	s_mov_b32 s16, 0x46000000
	v_add_f32_e64 v3, |v2|, s16
	v_and_b32_e32 v3, 0xff, v3
	v_cmp_ne_u32_e32 vcc, 0, v3
	s_andn2_b64 s[8:9], s[8:9], exec
	s_and_b64 s[16:17], vcc, exec
	s_or_b64 s[8:9], s[8:9], s[16:17]
	s_or_b64 exec, exec, s[10:11]
	v_mov_b32_e32 v4, 0
	s_and_saveexec_b64 s[10:11], s[8:9]
	s_cbranch_execnz .LBB192_3055
	s_branch .LBB192_3056
.LBB192_3165:
	s_mov_b64 s[2:3], 0
	s_or_b64 s[4:5], s[4:5], exec
	s_trap 2
	s_branch .LBB192_3100
.LBB192_3166:
	s_andn2_saveexec_b64 s[8:9], s[8:9]
	s_cbranch_execz .LBB192_3066
.LBB192_3167:
	s_mov_b32 s10, 0x42800000
	v_add_f32_e64 v3, |v2|, s10
	v_and_b32_e32 v3, 0xff, v3
	v_cmp_ne_u32_e32 vcc, 0, v3
	s_andn2_b64 s[6:7], s[6:7], exec
	s_and_b64 s[10:11], vcc, exec
	s_or_b64 s[6:7], s[6:7], s[10:11]
	s_or_b64 exec, exec, s[8:9]
	v_mov_b32_e32 v4, 0
	s_and_saveexec_b64 s[8:9], s[6:7]
	s_cbranch_execnz .LBB192_3067
	s_branch .LBB192_3068
	.section	.rodata,"a",@progbits
	.p2align	6, 0x0
	.amdhsa_kernel _ZN2at6native32elementwise_kernel_manual_unrollILi128ELi4EZNS0_15gpu_kernel_implINS0_13BinaryFunctorIfffZNS0_12_GLOBAL__N_121threshold_kernel_implIfEEvRNS_18TensorIteratorBaseET_S8_EUlffE_EEEEvS7_RKS8_EUlibE0_EEviT1_
		.amdhsa_group_segment_fixed_size 0
		.amdhsa_private_segment_fixed_size 0
		.amdhsa_kernarg_size 440
		.amdhsa_user_sgpr_count 6
		.amdhsa_user_sgpr_private_segment_buffer 1
		.amdhsa_user_sgpr_dispatch_ptr 0
		.amdhsa_user_sgpr_queue_ptr 0
		.amdhsa_user_sgpr_kernarg_segment_ptr 1
		.amdhsa_user_sgpr_dispatch_id 0
		.amdhsa_user_sgpr_flat_scratch_init 0
		.amdhsa_user_sgpr_private_segment_size 0
		.amdhsa_uses_dynamic_stack 0
		.amdhsa_system_sgpr_private_segment_wavefront_offset 0
		.amdhsa_system_sgpr_workgroup_id_x 1
		.amdhsa_system_sgpr_workgroup_id_y 0
		.amdhsa_system_sgpr_workgroup_id_z 0
		.amdhsa_system_sgpr_workgroup_info 0
		.amdhsa_system_vgpr_workitem_id 0
		.amdhsa_next_free_vgpr 24
		.amdhsa_next_free_sgpr 82
		.amdhsa_reserve_vcc 1
		.amdhsa_reserve_flat_scratch 0
		.amdhsa_float_round_mode_32 0
		.amdhsa_float_round_mode_16_64 0
		.amdhsa_float_denorm_mode_32 3
		.amdhsa_float_denorm_mode_16_64 3
		.amdhsa_dx10_clamp 1
		.amdhsa_ieee_mode 1
		.amdhsa_fp16_overflow 0
		.amdhsa_exception_fp_ieee_invalid_op 0
		.amdhsa_exception_fp_denorm_src 0
		.amdhsa_exception_fp_ieee_div_zero 0
		.amdhsa_exception_fp_ieee_overflow 0
		.amdhsa_exception_fp_ieee_underflow 0
		.amdhsa_exception_fp_ieee_inexact 0
		.amdhsa_exception_int_div_zero 0
	.end_amdhsa_kernel
	.section	.text._ZN2at6native32elementwise_kernel_manual_unrollILi128ELi4EZNS0_15gpu_kernel_implINS0_13BinaryFunctorIfffZNS0_12_GLOBAL__N_121threshold_kernel_implIfEEvRNS_18TensorIteratorBaseET_S8_EUlffE_EEEEvS7_RKS8_EUlibE0_EEviT1_,"axG",@progbits,_ZN2at6native32elementwise_kernel_manual_unrollILi128ELi4EZNS0_15gpu_kernel_implINS0_13BinaryFunctorIfffZNS0_12_GLOBAL__N_121threshold_kernel_implIfEEvRNS_18TensorIteratorBaseET_S8_EUlffE_EEEEvS7_RKS8_EUlibE0_EEviT1_,comdat
.Lfunc_end192:
	.size	_ZN2at6native32elementwise_kernel_manual_unrollILi128ELi4EZNS0_15gpu_kernel_implINS0_13BinaryFunctorIfffZNS0_12_GLOBAL__N_121threshold_kernel_implIfEEvRNS_18TensorIteratorBaseET_S8_EUlffE_EEEEvS7_RKS8_EUlibE0_EEviT1_, .Lfunc_end192-_ZN2at6native32elementwise_kernel_manual_unrollILi128ELi4EZNS0_15gpu_kernel_implINS0_13BinaryFunctorIfffZNS0_12_GLOBAL__N_121threshold_kernel_implIfEEvRNS_18TensorIteratorBaseET_S8_EUlffE_EEEEvS7_RKS8_EUlibE0_EEviT1_
                                        ; -- End function
	.set _ZN2at6native32elementwise_kernel_manual_unrollILi128ELi4EZNS0_15gpu_kernel_implINS0_13BinaryFunctorIfffZNS0_12_GLOBAL__N_121threshold_kernel_implIfEEvRNS_18TensorIteratorBaseET_S8_EUlffE_EEEEvS7_RKS8_EUlibE0_EEviT1_.num_vgpr, 24
	.set _ZN2at6native32elementwise_kernel_manual_unrollILi128ELi4EZNS0_15gpu_kernel_implINS0_13BinaryFunctorIfffZNS0_12_GLOBAL__N_121threshold_kernel_implIfEEvRNS_18TensorIteratorBaseET_S8_EUlffE_EEEEvS7_RKS8_EUlibE0_EEviT1_.num_agpr, 0
	.set _ZN2at6native32elementwise_kernel_manual_unrollILi128ELi4EZNS0_15gpu_kernel_implINS0_13BinaryFunctorIfffZNS0_12_GLOBAL__N_121threshold_kernel_implIfEEvRNS_18TensorIteratorBaseET_S8_EUlffE_EEEEvS7_RKS8_EUlibE0_EEviT1_.numbered_sgpr, 82
	.set _ZN2at6native32elementwise_kernel_manual_unrollILi128ELi4EZNS0_15gpu_kernel_implINS0_13BinaryFunctorIfffZNS0_12_GLOBAL__N_121threshold_kernel_implIfEEvRNS_18TensorIteratorBaseET_S8_EUlffE_EEEEvS7_RKS8_EUlibE0_EEviT1_.num_named_barrier, 0
	.set _ZN2at6native32elementwise_kernel_manual_unrollILi128ELi4EZNS0_15gpu_kernel_implINS0_13BinaryFunctorIfffZNS0_12_GLOBAL__N_121threshold_kernel_implIfEEvRNS_18TensorIteratorBaseET_S8_EUlffE_EEEEvS7_RKS8_EUlibE0_EEviT1_.private_seg_size, 0
	.set _ZN2at6native32elementwise_kernel_manual_unrollILi128ELi4EZNS0_15gpu_kernel_implINS0_13BinaryFunctorIfffZNS0_12_GLOBAL__N_121threshold_kernel_implIfEEvRNS_18TensorIteratorBaseET_S8_EUlffE_EEEEvS7_RKS8_EUlibE0_EEviT1_.uses_vcc, 1
	.set _ZN2at6native32elementwise_kernel_manual_unrollILi128ELi4EZNS0_15gpu_kernel_implINS0_13BinaryFunctorIfffZNS0_12_GLOBAL__N_121threshold_kernel_implIfEEvRNS_18TensorIteratorBaseET_S8_EUlffE_EEEEvS7_RKS8_EUlibE0_EEviT1_.uses_flat_scratch, 0
	.set _ZN2at6native32elementwise_kernel_manual_unrollILi128ELi4EZNS0_15gpu_kernel_implINS0_13BinaryFunctorIfffZNS0_12_GLOBAL__N_121threshold_kernel_implIfEEvRNS_18TensorIteratorBaseET_S8_EUlffE_EEEEvS7_RKS8_EUlibE0_EEviT1_.has_dyn_sized_stack, 0
	.set _ZN2at6native32elementwise_kernel_manual_unrollILi128ELi4EZNS0_15gpu_kernel_implINS0_13BinaryFunctorIfffZNS0_12_GLOBAL__N_121threshold_kernel_implIfEEvRNS_18TensorIteratorBaseET_S8_EUlffE_EEEEvS7_RKS8_EUlibE0_EEviT1_.has_recursion, 0
	.set _ZN2at6native32elementwise_kernel_manual_unrollILi128ELi4EZNS0_15gpu_kernel_implINS0_13BinaryFunctorIfffZNS0_12_GLOBAL__N_121threshold_kernel_implIfEEvRNS_18TensorIteratorBaseET_S8_EUlffE_EEEEvS7_RKS8_EUlibE0_EEviT1_.has_indirect_call, 0
	.section	.AMDGPU.csdata,"",@progbits
; Kernel info:
; codeLenInByte = 52320
; TotalNumSgprs: 86
; NumVgprs: 24
; ScratchSize: 0
; MemoryBound: 1
; FloatMode: 240
; IeeeMode: 1
; LDSByteSize: 0 bytes/workgroup (compile time only)
; SGPRBlocks: 10
; VGPRBlocks: 5
; NumSGPRsForWavesPerEU: 86
; NumVGPRsForWavesPerEU: 24
; Occupancy: 9
; WaveLimiterHint : 1
; COMPUTE_PGM_RSRC2:SCRATCH_EN: 0
; COMPUTE_PGM_RSRC2:USER_SGPR: 6
; COMPUTE_PGM_RSRC2:TRAP_HANDLER: 0
; COMPUTE_PGM_RSRC2:TGID_X_EN: 1
; COMPUTE_PGM_RSRC2:TGID_Y_EN: 0
; COMPUTE_PGM_RSRC2:TGID_Z_EN: 0
; COMPUTE_PGM_RSRC2:TIDIG_COMP_CNT: 0
	.section	.text._ZN2at6native29vectorized_elementwise_kernelILi16ENS0_13AUnaryFunctorIN3c104HalfES4_S4_ZNS0_12_GLOBAL__N_121threshold_kernel_implIS4_EEvRNS_18TensorIteratorBaseET_S9_EUlS4_S4_E_EESt5arrayIPcLm2EEEEviT0_T1_,"axG",@progbits,_ZN2at6native29vectorized_elementwise_kernelILi16ENS0_13AUnaryFunctorIN3c104HalfES4_S4_ZNS0_12_GLOBAL__N_121threshold_kernel_implIS4_EEvRNS_18TensorIteratorBaseET_S9_EUlS4_S4_E_EESt5arrayIPcLm2EEEEviT0_T1_,comdat
	.globl	_ZN2at6native29vectorized_elementwise_kernelILi16ENS0_13AUnaryFunctorIN3c104HalfES4_S4_ZNS0_12_GLOBAL__N_121threshold_kernel_implIS4_EEvRNS_18TensorIteratorBaseET_S9_EUlS4_S4_E_EESt5arrayIPcLm2EEEEviT0_T1_ ; -- Begin function _ZN2at6native29vectorized_elementwise_kernelILi16ENS0_13AUnaryFunctorIN3c104HalfES4_S4_ZNS0_12_GLOBAL__N_121threshold_kernel_implIS4_EEvRNS_18TensorIteratorBaseET_S9_EUlS4_S4_E_EESt5arrayIPcLm2EEEEviT0_T1_
	.p2align	8
	.type	_ZN2at6native29vectorized_elementwise_kernelILi16ENS0_13AUnaryFunctorIN3c104HalfES4_S4_ZNS0_12_GLOBAL__N_121threshold_kernel_implIS4_EEvRNS_18TensorIteratorBaseET_S9_EUlS4_S4_E_EESt5arrayIPcLm2EEEEviT0_T1_,@function
_ZN2at6native29vectorized_elementwise_kernelILi16ENS0_13AUnaryFunctorIN3c104HalfES4_S4_ZNS0_12_GLOBAL__N_121threshold_kernel_implIS4_EEvRNS_18TensorIteratorBaseET_S9_EUlS4_S4_E_EESt5arrayIPcLm2EEEEviT0_T1_: ; @_ZN2at6native29vectorized_elementwise_kernelILi16ENS0_13AUnaryFunctorIN3c104HalfES4_S4_ZNS0_12_GLOBAL__N_121threshold_kernel_implIS4_EEvRNS_18TensorIteratorBaseET_S9_EUlS4_S4_E_EESt5arrayIPcLm2EEEEviT0_T1_
; %bb.0:
	s_load_dwordx2 s[12:13], s[4:5], 0x0
	s_load_dword s7, s[4:5], 0x8
	s_load_dwordx4 s[8:11], s[4:5], 0x10
	s_lshl_b32 s2, s6, 11
	s_mov_b64 s[0:1], -1
	s_waitcnt lgkmcnt(0)
	s_sub_i32 s6, s12, s2
	s_cmpk_gt_i32 s6, 0x7ff
	s_cbranch_scc0 .LBB193_2
; %bb.1:
	s_ashr_i32 s3, s2, 31
	s_lshr_b32 s12, s13, 16
	s_lshl_b64 s[0:1], s[2:3], 1
	s_add_u32 s4, s10, s0
	s_addc_u32 s5, s11, s1
	v_lshlrev_b32_e32 v5, 4, v0
	global_load_dwordx4 v[1:4], v5, s[4:5]
	v_mov_b32_e32 v6, s13
	v_mov_b32_e32 v7, s12
	v_cmp_le_f16_e32 vcc, s7, v6
	s_mov_b32 s3, 0x5040100
	s_add_u32 s0, s8, s0
	s_addc_u32 s1, s9, s1
	s_waitcnt vmcnt(0)
	v_lshrrev_b32_e32 v8, 16, v1
	v_lshrrev_b32_e32 v9, 16, v2
	;; [unrolled: 1-line block ×4, first 2 shown]
	v_cndmask_b32_e32 v1, v1, v7, vcc
	v_cndmask_b32_e32 v2, v2, v7, vcc
	;; [unrolled: 1-line block ×8, first 2 shown]
	v_perm_b32 v4, v7, v4, s3
	v_perm_b32 v3, v9, v3, s3
	;; [unrolled: 1-line block ×4, first 2 shown]
	global_store_dwordx4 v5, v[1:4], s[0:1]
	s_mov_b64 s[0:1], 0
.LBB193_2:
	s_andn2_b64 vcc, exec, s[0:1]
	s_cbranch_vccnz .LBB193_28
; %bb.3:
	v_cmp_gt_i32_e32 vcc, s6, v0
	v_mov_b32_e32 v3, 0
	v_or_b32_e32 v1, s2, v0
	v_mov_b32_e32 v2, 0
	v_mov_b32_e32 v10, v0
	s_and_saveexec_b64 s[4:5], vcc
	s_cbranch_execz .LBB193_5
; %bb.4:
	v_mov_b32_e32 v2, 0
	v_lshlrev_b64 v[4:5], 1, v[1:2]
	v_mov_b32_e32 v2, s11
	v_add_co_u32_e64 v4, s[0:1], s10, v4
	v_addc_co_u32_e64 v5, s[0:1], v2, v5, s[0:1]
	global_load_ushort v2, v[4:5], off
	v_or_b32_e32 v10, 0x100, v0
.LBB193_5:
	s_or_b64 exec, exec, s[4:5]
	v_cmp_gt_i32_e64 s[0:1], s6, v10
	s_and_saveexec_b64 s[4:5], s[0:1]
	s_cbranch_execz .LBB193_7
; %bb.6:
	v_add_u32_e32 v3, s2, v10
	v_mov_b32_e32 v4, 0
	v_lshlrev_b64 v[3:4], 1, v[3:4]
	v_mov_b32_e32 v5, s11
	v_add_co_u32_e64 v3, s[0:1], s10, v3
	v_addc_co_u32_e64 v4, s[0:1], v5, v4, s[0:1]
	global_load_ushort v3, v[3:4], off
	v_add_u32_e32 v10, 0x100, v10
.LBB193_7:
	s_or_b64 exec, exec, s[4:5]
	v_cmp_gt_i32_e64 s[0:1], s6, v10
	v_mov_b32_e32 v4, 0
	v_mov_b32_e32 v7, 0
	s_and_saveexec_b64 s[4:5], s[0:1]
	s_cbranch_execz .LBB193_9
; %bb.8:
	v_add_u32_e32 v5, s2, v10
	v_mov_b32_e32 v6, 0
	v_lshlrev_b64 v[5:6], 1, v[5:6]
	v_mov_b32_e32 v7, s11
	v_add_co_u32_e64 v5, s[0:1], s10, v5
	v_addc_co_u32_e64 v6, s[0:1], v7, v6, s[0:1]
	global_load_ushort v7, v[5:6], off
	v_add_u32_e32 v10, 0x100, v10
.LBB193_9:
	s_or_b64 exec, exec, s[4:5]
	v_cmp_gt_i32_e64 s[0:1], s6, v10
	s_and_saveexec_b64 s[4:5], s[0:1]
	s_cbranch_execz .LBB193_11
; %bb.10:
	v_add_u32_e32 v4, s2, v10
	v_mov_b32_e32 v5, 0
	v_lshlrev_b64 v[4:5], 1, v[4:5]
	v_mov_b32_e32 v6, s11
	v_add_co_u32_e64 v4, s[0:1], s10, v4
	v_addc_co_u32_e64 v5, s[0:1], v6, v5, s[0:1]
	global_load_ushort v4, v[4:5], off
	v_add_u32_e32 v10, 0x100, v10
.LBB193_11:
	s_or_b64 exec, exec, s[4:5]
	v_cmp_gt_i32_e64 s[0:1], s6, v10
	v_mov_b32_e32 v5, 0
	v_mov_b32_e32 v8, 0
	s_and_saveexec_b64 s[4:5], s[0:1]
	s_cbranch_execz .LBB193_13
; %bb.12:
	v_add_u32_e32 v8, s2, v10
	v_mov_b32_e32 v9, 0
	v_lshlrev_b64 v[8:9], 1, v[8:9]
	v_mov_b32_e32 v6, s11
	v_add_co_u32_e64 v8, s[0:1], s10, v8
	v_addc_co_u32_e64 v9, s[0:1], v6, v9, s[0:1]
	global_load_ushort v8, v[8:9], off
	v_add_u32_e32 v10, 0x100, v10
.LBB193_13:
	;; [unrolled: 30-line block ×3, first 2 shown]
	s_or_b64 exec, exec, s[4:5]
	v_cmp_gt_i32_e64 s[0:1], s6, v10
	s_and_saveexec_b64 s[4:5], s[0:1]
	s_cbranch_execz .LBB193_19
; %bb.18:
	v_add_u32_e32 v10, s2, v10
	v_mov_b32_e32 v11, 0
	v_lshlrev_b64 v[10:11], 1, v[10:11]
	v_mov_b32_e32 v6, s11
	v_add_co_u32_e64 v10, s[0:1], s10, v10
	v_addc_co_u32_e64 v11, s[0:1], v6, v11, s[0:1]
	global_load_ushort v6, v[10:11], off
.LBB193_19:
	s_or_b64 exec, exec, s[4:5]
	v_mov_b32_e32 v10, s13
	s_lshr_b32 s3, s13, 16
	v_cmp_le_f16_e64 s[0:1], s7, v10
	s_and_saveexec_b64 s[4:5], vcc
	s_cbranch_execnz .LBB193_29
; %bb.20:
	s_or_b64 exec, exec, s[4:5]
	v_cmp_gt_i32_e32 vcc, s6, v0
	s_and_saveexec_b64 s[4:5], vcc
	s_cbranch_execnz .LBB193_30
.LBB193_21:
	s_or_b64 exec, exec, s[4:5]
	v_cmp_gt_i32_e32 vcc, s6, v0
	s_and_saveexec_b64 s[4:5], vcc
	s_cbranch_execnz .LBB193_31
.LBB193_22:
	s_or_b64 exec, exec, s[4:5]
	v_cmp_gt_i32_e32 vcc, s6, v0
	s_and_saveexec_b64 s[4:5], vcc
	s_cbranch_execnz .LBB193_32
.LBB193_23:
	s_or_b64 exec, exec, s[4:5]
	v_cmp_gt_i32_e32 vcc, s6, v0
	s_and_saveexec_b64 s[4:5], vcc
	s_cbranch_execnz .LBB193_33
.LBB193_24:
	s_or_b64 exec, exec, s[4:5]
	v_cmp_gt_i32_e32 vcc, s6, v0
	s_and_saveexec_b64 s[4:5], vcc
	s_cbranch_execnz .LBB193_34
.LBB193_25:
	s_or_b64 exec, exec, s[4:5]
	v_cmp_gt_i32_e32 vcc, s6, v0
	s_and_saveexec_b64 s[4:5], vcc
	s_cbranch_execnz .LBB193_35
.LBB193_26:
	s_or_b64 exec, exec, s[4:5]
	v_cmp_gt_i32_e32 vcc, s6, v0
	s_and_saveexec_b64 s[4:5], vcc
	s_cbranch_execz .LBB193_28
.LBB193_27:
	v_mov_b32_e32 v1, s3
	s_waitcnt vmcnt(0)
	v_cndmask_b32_e64 v2, v6, v1, s[0:1]
	v_add_u32_e32 v0, s2, v0
	v_mov_b32_e32 v1, 0
	v_lshlrev_b64 v[0:1], 1, v[0:1]
	v_mov_b32_e32 v3, s9
	v_add_co_u32_e32 v0, vcc, s8, v0
	v_addc_co_u32_e32 v1, vcc, v3, v1, vcc
	global_store_short v[0:1], v2, off
.LBB193_28:
	s_endpgm
.LBB193_29:
	v_mov_b32_e32 v10, s3
	s_waitcnt vmcnt(0)
	v_cndmask_b32_e64 v10, v2, v10, s[0:1]
	v_mov_b32_e32 v2, 0
	v_lshlrev_b64 v[1:2], 1, v[1:2]
	v_mov_b32_e32 v11, s9
	v_add_co_u32_e32 v1, vcc, s8, v1
	v_or_b32_e32 v0, 0x100, v0
	v_addc_co_u32_e32 v2, vcc, v11, v2, vcc
	global_store_short v[1:2], v10, off
	s_or_b64 exec, exec, s[4:5]
	v_cmp_gt_i32_e32 vcc, s6, v0
	s_and_saveexec_b64 s[4:5], vcc
	s_cbranch_execz .LBB193_21
.LBB193_30:
	v_mov_b32_e32 v1, s3
	s_waitcnt vmcnt(0)
	v_cndmask_b32_e64 v3, v3, v1, s[0:1]
	v_add_u32_e32 v1, s2, v0
	v_mov_b32_e32 v2, 0
	v_lshlrev_b64 v[1:2], 1, v[1:2]
	v_mov_b32_e32 v10, s9
	v_add_co_u32_e32 v1, vcc, s8, v1
	v_addc_co_u32_e32 v2, vcc, v10, v2, vcc
	v_add_u32_e32 v0, 0x100, v0
	global_store_short v[1:2], v3, off
	s_or_b64 exec, exec, s[4:5]
	v_cmp_gt_i32_e32 vcc, s6, v0
	s_and_saveexec_b64 s[4:5], vcc
	s_cbranch_execz .LBB193_22
.LBB193_31:
	v_mov_b32_e32 v1, s3
	s_waitcnt vmcnt(0)
	v_cndmask_b32_e64 v3, v7, v1, s[0:1]
	v_add_u32_e32 v1, s2, v0
	v_mov_b32_e32 v2, 0
	v_lshlrev_b64 v[1:2], 1, v[1:2]
	v_mov_b32_e32 v7, s9
	v_add_co_u32_e32 v1, vcc, s8, v1
	v_addc_co_u32_e32 v2, vcc, v7, v2, vcc
	v_add_u32_e32 v0, 0x100, v0
	global_store_short v[1:2], v3, off
	s_or_b64 exec, exec, s[4:5]
	v_cmp_gt_i32_e32 vcc, s6, v0
	s_and_saveexec_b64 s[4:5], vcc
	s_cbranch_execz .LBB193_23
.LBB193_32:
	v_mov_b32_e32 v1, s3
	s_waitcnt vmcnt(0)
	v_cndmask_b32_e64 v3, v4, v1, s[0:1]
	v_add_u32_e32 v1, s2, v0
	v_mov_b32_e32 v2, 0
	v_lshlrev_b64 v[1:2], 1, v[1:2]
	v_mov_b32_e32 v4, s9
	v_add_co_u32_e32 v1, vcc, s8, v1
	v_addc_co_u32_e32 v2, vcc, v4, v2, vcc
	v_add_u32_e32 v0, 0x100, v0
	global_store_short v[1:2], v3, off
	s_or_b64 exec, exec, s[4:5]
	v_cmp_gt_i32_e32 vcc, s6, v0
	s_and_saveexec_b64 s[4:5], vcc
	s_cbranch_execz .LBB193_24
.LBB193_33:
	v_mov_b32_e32 v1, s3
	s_waitcnt vmcnt(0)
	v_cndmask_b32_e64 v3, v8, v1, s[0:1]
	v_add_u32_e32 v1, s2, v0
	v_mov_b32_e32 v2, 0
	v_lshlrev_b64 v[1:2], 1, v[1:2]
	v_mov_b32_e32 v4, s9
	v_add_co_u32_e32 v1, vcc, s8, v1
	v_addc_co_u32_e32 v2, vcc, v4, v2, vcc
	v_add_u32_e32 v0, 0x100, v0
	global_store_short v[1:2], v3, off
	s_or_b64 exec, exec, s[4:5]
	v_cmp_gt_i32_e32 vcc, s6, v0
	s_and_saveexec_b64 s[4:5], vcc
	s_cbranch_execz .LBB193_25
.LBB193_34:
	v_mov_b32_e32 v1, s3
	s_waitcnt vmcnt(0)
	v_cndmask_b32_e64 v3, v5, v1, s[0:1]
	v_add_u32_e32 v1, s2, v0
	v_mov_b32_e32 v2, 0
	v_lshlrev_b64 v[1:2], 1, v[1:2]
	v_mov_b32_e32 v4, s9
	v_add_co_u32_e32 v1, vcc, s8, v1
	v_addc_co_u32_e32 v2, vcc, v4, v2, vcc
	v_add_u32_e32 v0, 0x100, v0
	global_store_short v[1:2], v3, off
	s_or_b64 exec, exec, s[4:5]
	v_cmp_gt_i32_e32 vcc, s6, v0
	s_and_saveexec_b64 s[4:5], vcc
	s_cbranch_execz .LBB193_26
.LBB193_35:
	v_mov_b32_e32 v1, s3
	s_waitcnt vmcnt(0)
	v_cndmask_b32_e64 v3, v9, v1, s[0:1]
	v_add_u32_e32 v1, s2, v0
	v_mov_b32_e32 v2, 0
	v_lshlrev_b64 v[1:2], 1, v[1:2]
	v_mov_b32_e32 v4, s9
	v_add_co_u32_e32 v1, vcc, s8, v1
	v_addc_co_u32_e32 v2, vcc, v4, v2, vcc
	v_add_u32_e32 v0, 0x100, v0
	global_store_short v[1:2], v3, off
	s_or_b64 exec, exec, s[4:5]
	v_cmp_gt_i32_e32 vcc, s6, v0
	s_and_saveexec_b64 s[4:5], vcc
	s_cbranch_execnz .LBB193_27
	s_branch .LBB193_28
	.section	.rodata,"a",@progbits
	.p2align	6, 0x0
	.amdhsa_kernel _ZN2at6native29vectorized_elementwise_kernelILi16ENS0_13AUnaryFunctorIN3c104HalfES4_S4_ZNS0_12_GLOBAL__N_121threshold_kernel_implIS4_EEvRNS_18TensorIteratorBaseET_S9_EUlS4_S4_E_EESt5arrayIPcLm2EEEEviT0_T1_
		.amdhsa_group_segment_fixed_size 0
		.amdhsa_private_segment_fixed_size 0
		.amdhsa_kernarg_size 32
		.amdhsa_user_sgpr_count 6
		.amdhsa_user_sgpr_private_segment_buffer 1
		.amdhsa_user_sgpr_dispatch_ptr 0
		.amdhsa_user_sgpr_queue_ptr 0
		.amdhsa_user_sgpr_kernarg_segment_ptr 1
		.amdhsa_user_sgpr_dispatch_id 0
		.amdhsa_user_sgpr_flat_scratch_init 0
		.amdhsa_user_sgpr_private_segment_size 0
		.amdhsa_uses_dynamic_stack 0
		.amdhsa_system_sgpr_private_segment_wavefront_offset 0
		.amdhsa_system_sgpr_workgroup_id_x 1
		.amdhsa_system_sgpr_workgroup_id_y 0
		.amdhsa_system_sgpr_workgroup_id_z 0
		.amdhsa_system_sgpr_workgroup_info 0
		.amdhsa_system_vgpr_workitem_id 0
		.amdhsa_next_free_vgpr 13
		.amdhsa_next_free_sgpr 14
		.amdhsa_reserve_vcc 1
		.amdhsa_reserve_flat_scratch 0
		.amdhsa_float_round_mode_32 0
		.amdhsa_float_round_mode_16_64 0
		.amdhsa_float_denorm_mode_32 3
		.amdhsa_float_denorm_mode_16_64 3
		.amdhsa_dx10_clamp 1
		.amdhsa_ieee_mode 1
		.amdhsa_fp16_overflow 0
		.amdhsa_exception_fp_ieee_invalid_op 0
		.amdhsa_exception_fp_denorm_src 0
		.amdhsa_exception_fp_ieee_div_zero 0
		.amdhsa_exception_fp_ieee_overflow 0
		.amdhsa_exception_fp_ieee_underflow 0
		.amdhsa_exception_fp_ieee_inexact 0
		.amdhsa_exception_int_div_zero 0
	.end_amdhsa_kernel
	.section	.text._ZN2at6native29vectorized_elementwise_kernelILi16ENS0_13AUnaryFunctorIN3c104HalfES4_S4_ZNS0_12_GLOBAL__N_121threshold_kernel_implIS4_EEvRNS_18TensorIteratorBaseET_S9_EUlS4_S4_E_EESt5arrayIPcLm2EEEEviT0_T1_,"axG",@progbits,_ZN2at6native29vectorized_elementwise_kernelILi16ENS0_13AUnaryFunctorIN3c104HalfES4_S4_ZNS0_12_GLOBAL__N_121threshold_kernel_implIS4_EEvRNS_18TensorIteratorBaseET_S9_EUlS4_S4_E_EESt5arrayIPcLm2EEEEviT0_T1_,comdat
.Lfunc_end193:
	.size	_ZN2at6native29vectorized_elementwise_kernelILi16ENS0_13AUnaryFunctorIN3c104HalfES4_S4_ZNS0_12_GLOBAL__N_121threshold_kernel_implIS4_EEvRNS_18TensorIteratorBaseET_S9_EUlS4_S4_E_EESt5arrayIPcLm2EEEEviT0_T1_, .Lfunc_end193-_ZN2at6native29vectorized_elementwise_kernelILi16ENS0_13AUnaryFunctorIN3c104HalfES4_S4_ZNS0_12_GLOBAL__N_121threshold_kernel_implIS4_EEvRNS_18TensorIteratorBaseET_S9_EUlS4_S4_E_EESt5arrayIPcLm2EEEEviT0_T1_
                                        ; -- End function
	.set _ZN2at6native29vectorized_elementwise_kernelILi16ENS0_13AUnaryFunctorIN3c104HalfES4_S4_ZNS0_12_GLOBAL__N_121threshold_kernel_implIS4_EEvRNS_18TensorIteratorBaseET_S9_EUlS4_S4_E_EESt5arrayIPcLm2EEEEviT0_T1_.num_vgpr, 13
	.set _ZN2at6native29vectorized_elementwise_kernelILi16ENS0_13AUnaryFunctorIN3c104HalfES4_S4_ZNS0_12_GLOBAL__N_121threshold_kernel_implIS4_EEvRNS_18TensorIteratorBaseET_S9_EUlS4_S4_E_EESt5arrayIPcLm2EEEEviT0_T1_.num_agpr, 0
	.set _ZN2at6native29vectorized_elementwise_kernelILi16ENS0_13AUnaryFunctorIN3c104HalfES4_S4_ZNS0_12_GLOBAL__N_121threshold_kernel_implIS4_EEvRNS_18TensorIteratorBaseET_S9_EUlS4_S4_E_EESt5arrayIPcLm2EEEEviT0_T1_.numbered_sgpr, 14
	.set _ZN2at6native29vectorized_elementwise_kernelILi16ENS0_13AUnaryFunctorIN3c104HalfES4_S4_ZNS0_12_GLOBAL__N_121threshold_kernel_implIS4_EEvRNS_18TensorIteratorBaseET_S9_EUlS4_S4_E_EESt5arrayIPcLm2EEEEviT0_T1_.num_named_barrier, 0
	.set _ZN2at6native29vectorized_elementwise_kernelILi16ENS0_13AUnaryFunctorIN3c104HalfES4_S4_ZNS0_12_GLOBAL__N_121threshold_kernel_implIS4_EEvRNS_18TensorIteratorBaseET_S9_EUlS4_S4_E_EESt5arrayIPcLm2EEEEviT0_T1_.private_seg_size, 0
	.set _ZN2at6native29vectorized_elementwise_kernelILi16ENS0_13AUnaryFunctorIN3c104HalfES4_S4_ZNS0_12_GLOBAL__N_121threshold_kernel_implIS4_EEvRNS_18TensorIteratorBaseET_S9_EUlS4_S4_E_EESt5arrayIPcLm2EEEEviT0_T1_.uses_vcc, 1
	.set _ZN2at6native29vectorized_elementwise_kernelILi16ENS0_13AUnaryFunctorIN3c104HalfES4_S4_ZNS0_12_GLOBAL__N_121threshold_kernel_implIS4_EEvRNS_18TensorIteratorBaseET_S9_EUlS4_S4_E_EESt5arrayIPcLm2EEEEviT0_T1_.uses_flat_scratch, 0
	.set _ZN2at6native29vectorized_elementwise_kernelILi16ENS0_13AUnaryFunctorIN3c104HalfES4_S4_ZNS0_12_GLOBAL__N_121threshold_kernel_implIS4_EEvRNS_18TensorIteratorBaseET_S9_EUlS4_S4_E_EESt5arrayIPcLm2EEEEviT0_T1_.has_dyn_sized_stack, 0
	.set _ZN2at6native29vectorized_elementwise_kernelILi16ENS0_13AUnaryFunctorIN3c104HalfES4_S4_ZNS0_12_GLOBAL__N_121threshold_kernel_implIS4_EEvRNS_18TensorIteratorBaseET_S9_EUlS4_S4_E_EESt5arrayIPcLm2EEEEviT0_T1_.has_recursion, 0
	.set _ZN2at6native29vectorized_elementwise_kernelILi16ENS0_13AUnaryFunctorIN3c104HalfES4_S4_ZNS0_12_GLOBAL__N_121threshold_kernel_implIS4_EEvRNS_18TensorIteratorBaseET_S9_EUlS4_S4_E_EESt5arrayIPcLm2EEEEviT0_T1_.has_indirect_call, 0
	.section	.AMDGPU.csdata,"",@progbits
; Kernel info:
; codeLenInByte = 1536
; TotalNumSgprs: 18
; NumVgprs: 13
; ScratchSize: 0
; MemoryBound: 0
; FloatMode: 240
; IeeeMode: 1
; LDSByteSize: 0 bytes/workgroup (compile time only)
; SGPRBlocks: 2
; VGPRBlocks: 3
; NumSGPRsForWavesPerEU: 18
; NumVGPRsForWavesPerEU: 13
; Occupancy: 10
; WaveLimiterHint : 0
; COMPUTE_PGM_RSRC2:SCRATCH_EN: 0
; COMPUTE_PGM_RSRC2:USER_SGPR: 6
; COMPUTE_PGM_RSRC2:TRAP_HANDLER: 0
; COMPUTE_PGM_RSRC2:TGID_X_EN: 1
; COMPUTE_PGM_RSRC2:TGID_Y_EN: 0
; COMPUTE_PGM_RSRC2:TGID_Z_EN: 0
; COMPUTE_PGM_RSRC2:TIDIG_COMP_CNT: 0
	.section	.text._ZN2at6native29vectorized_elementwise_kernelILi8ENS0_13AUnaryFunctorIN3c104HalfES4_S4_ZNS0_12_GLOBAL__N_121threshold_kernel_implIS4_EEvRNS_18TensorIteratorBaseET_S9_EUlS4_S4_E_EESt5arrayIPcLm2EEEEviT0_T1_,"axG",@progbits,_ZN2at6native29vectorized_elementwise_kernelILi8ENS0_13AUnaryFunctorIN3c104HalfES4_S4_ZNS0_12_GLOBAL__N_121threshold_kernel_implIS4_EEvRNS_18TensorIteratorBaseET_S9_EUlS4_S4_E_EESt5arrayIPcLm2EEEEviT0_T1_,comdat
	.globl	_ZN2at6native29vectorized_elementwise_kernelILi8ENS0_13AUnaryFunctorIN3c104HalfES4_S4_ZNS0_12_GLOBAL__N_121threshold_kernel_implIS4_EEvRNS_18TensorIteratorBaseET_S9_EUlS4_S4_E_EESt5arrayIPcLm2EEEEviT0_T1_ ; -- Begin function _ZN2at6native29vectorized_elementwise_kernelILi8ENS0_13AUnaryFunctorIN3c104HalfES4_S4_ZNS0_12_GLOBAL__N_121threshold_kernel_implIS4_EEvRNS_18TensorIteratorBaseET_S9_EUlS4_S4_E_EESt5arrayIPcLm2EEEEviT0_T1_
	.p2align	8
	.type	_ZN2at6native29vectorized_elementwise_kernelILi8ENS0_13AUnaryFunctorIN3c104HalfES4_S4_ZNS0_12_GLOBAL__N_121threshold_kernel_implIS4_EEvRNS_18TensorIteratorBaseET_S9_EUlS4_S4_E_EESt5arrayIPcLm2EEEEviT0_T1_,@function
_ZN2at6native29vectorized_elementwise_kernelILi8ENS0_13AUnaryFunctorIN3c104HalfES4_S4_ZNS0_12_GLOBAL__N_121threshold_kernel_implIS4_EEvRNS_18TensorIteratorBaseET_S9_EUlS4_S4_E_EESt5arrayIPcLm2EEEEviT0_T1_: ; @_ZN2at6native29vectorized_elementwise_kernelILi8ENS0_13AUnaryFunctorIN3c104HalfES4_S4_ZNS0_12_GLOBAL__N_121threshold_kernel_implIS4_EEvRNS_18TensorIteratorBaseET_S9_EUlS4_S4_E_EESt5arrayIPcLm2EEEEviT0_T1_
; %bb.0:
	s_load_dwordx2 s[12:13], s[4:5], 0x0
	s_load_dword s7, s[4:5], 0x8
	s_load_dwordx4 s[8:11], s[4:5], 0x10
	s_lshl_b32 s2, s6, 11
	s_mov_b64 s[0:1], -1
	s_waitcnt lgkmcnt(0)
	s_sub_i32 s6, s12, s2
	s_cmpk_gt_i32 s6, 0x7ff
	s_cbranch_scc0 .LBB194_2
; %bb.1:
	s_ashr_i32 s3, s2, 31
	s_lshr_b32 s12, s13, 16
	s_lshl_b64 s[0:1], s[2:3], 1
	s_add_u32 s4, s10, s0
	s_addc_u32 s5, s11, s1
	v_lshlrev_b32_e32 v5, 4, v0
	global_load_dwordx4 v[1:4], v5, s[4:5]
	v_mov_b32_e32 v6, s13
	v_mov_b32_e32 v7, s12
	v_cmp_le_f16_e32 vcc, s7, v6
	s_mov_b32 s3, 0x5040100
	s_add_u32 s0, s8, s0
	s_addc_u32 s1, s9, s1
	s_waitcnt vmcnt(0)
	v_lshrrev_b32_e32 v8, 16, v1
	v_lshrrev_b32_e32 v9, 16, v2
	;; [unrolled: 1-line block ×4, first 2 shown]
	v_cndmask_b32_e32 v1, v1, v7, vcc
	v_cndmask_b32_e32 v2, v2, v7, vcc
	;; [unrolled: 1-line block ×8, first 2 shown]
	v_perm_b32 v4, v7, v4, s3
	v_perm_b32 v3, v9, v3, s3
	;; [unrolled: 1-line block ×4, first 2 shown]
	global_store_dwordx4 v5, v[1:4], s[0:1]
	s_mov_b64 s[0:1], 0
.LBB194_2:
	s_andn2_b64 vcc, exec, s[0:1]
	s_cbranch_vccnz .LBB194_28
; %bb.3:
	v_cmp_gt_i32_e32 vcc, s6, v0
	v_mov_b32_e32 v3, 0
	v_or_b32_e32 v1, s2, v0
	v_mov_b32_e32 v2, 0
	v_mov_b32_e32 v10, v0
	s_and_saveexec_b64 s[4:5], vcc
	s_cbranch_execz .LBB194_5
; %bb.4:
	v_mov_b32_e32 v2, 0
	v_lshlrev_b64 v[4:5], 1, v[1:2]
	v_mov_b32_e32 v2, s11
	v_add_co_u32_e64 v4, s[0:1], s10, v4
	v_addc_co_u32_e64 v5, s[0:1], v2, v5, s[0:1]
	global_load_ushort v2, v[4:5], off
	v_or_b32_e32 v10, 0x100, v0
.LBB194_5:
	s_or_b64 exec, exec, s[4:5]
	v_cmp_gt_i32_e64 s[0:1], s6, v10
	s_and_saveexec_b64 s[4:5], s[0:1]
	s_cbranch_execz .LBB194_7
; %bb.6:
	v_add_u32_e32 v3, s2, v10
	v_mov_b32_e32 v4, 0
	v_lshlrev_b64 v[3:4], 1, v[3:4]
	v_mov_b32_e32 v5, s11
	v_add_co_u32_e64 v3, s[0:1], s10, v3
	v_addc_co_u32_e64 v4, s[0:1], v5, v4, s[0:1]
	global_load_ushort v3, v[3:4], off
	v_add_u32_e32 v10, 0x100, v10
.LBB194_7:
	s_or_b64 exec, exec, s[4:5]
	v_cmp_gt_i32_e64 s[0:1], s6, v10
	v_mov_b32_e32 v4, 0
	v_mov_b32_e32 v7, 0
	s_and_saveexec_b64 s[4:5], s[0:1]
	s_cbranch_execz .LBB194_9
; %bb.8:
	v_add_u32_e32 v5, s2, v10
	v_mov_b32_e32 v6, 0
	v_lshlrev_b64 v[5:6], 1, v[5:6]
	v_mov_b32_e32 v7, s11
	v_add_co_u32_e64 v5, s[0:1], s10, v5
	v_addc_co_u32_e64 v6, s[0:1], v7, v6, s[0:1]
	global_load_ushort v7, v[5:6], off
	v_add_u32_e32 v10, 0x100, v10
.LBB194_9:
	s_or_b64 exec, exec, s[4:5]
	v_cmp_gt_i32_e64 s[0:1], s6, v10
	s_and_saveexec_b64 s[4:5], s[0:1]
	s_cbranch_execz .LBB194_11
; %bb.10:
	v_add_u32_e32 v4, s2, v10
	v_mov_b32_e32 v5, 0
	v_lshlrev_b64 v[4:5], 1, v[4:5]
	v_mov_b32_e32 v6, s11
	v_add_co_u32_e64 v4, s[0:1], s10, v4
	v_addc_co_u32_e64 v5, s[0:1], v6, v5, s[0:1]
	global_load_ushort v4, v[4:5], off
	v_add_u32_e32 v10, 0x100, v10
.LBB194_11:
	s_or_b64 exec, exec, s[4:5]
	v_cmp_gt_i32_e64 s[0:1], s6, v10
	v_mov_b32_e32 v5, 0
	v_mov_b32_e32 v8, 0
	s_and_saveexec_b64 s[4:5], s[0:1]
	s_cbranch_execz .LBB194_13
; %bb.12:
	v_add_u32_e32 v8, s2, v10
	v_mov_b32_e32 v9, 0
	v_lshlrev_b64 v[8:9], 1, v[8:9]
	v_mov_b32_e32 v6, s11
	v_add_co_u32_e64 v8, s[0:1], s10, v8
	v_addc_co_u32_e64 v9, s[0:1], v6, v9, s[0:1]
	global_load_ushort v8, v[8:9], off
	v_add_u32_e32 v10, 0x100, v10
.LBB194_13:
	;; [unrolled: 30-line block ×3, first 2 shown]
	s_or_b64 exec, exec, s[4:5]
	v_cmp_gt_i32_e64 s[0:1], s6, v10
	s_and_saveexec_b64 s[4:5], s[0:1]
	s_cbranch_execz .LBB194_19
; %bb.18:
	v_add_u32_e32 v10, s2, v10
	v_mov_b32_e32 v11, 0
	v_lshlrev_b64 v[10:11], 1, v[10:11]
	v_mov_b32_e32 v6, s11
	v_add_co_u32_e64 v10, s[0:1], s10, v10
	v_addc_co_u32_e64 v11, s[0:1], v6, v11, s[0:1]
	global_load_ushort v6, v[10:11], off
.LBB194_19:
	s_or_b64 exec, exec, s[4:5]
	v_mov_b32_e32 v10, s13
	s_lshr_b32 s3, s13, 16
	v_cmp_le_f16_e64 s[0:1], s7, v10
	s_and_saveexec_b64 s[4:5], vcc
	s_cbranch_execnz .LBB194_29
; %bb.20:
	s_or_b64 exec, exec, s[4:5]
	v_cmp_gt_i32_e32 vcc, s6, v0
	s_and_saveexec_b64 s[4:5], vcc
	s_cbranch_execnz .LBB194_30
.LBB194_21:
	s_or_b64 exec, exec, s[4:5]
	v_cmp_gt_i32_e32 vcc, s6, v0
	s_and_saveexec_b64 s[4:5], vcc
	s_cbranch_execnz .LBB194_31
.LBB194_22:
	s_or_b64 exec, exec, s[4:5]
	v_cmp_gt_i32_e32 vcc, s6, v0
	s_and_saveexec_b64 s[4:5], vcc
	s_cbranch_execnz .LBB194_32
.LBB194_23:
	s_or_b64 exec, exec, s[4:5]
	v_cmp_gt_i32_e32 vcc, s6, v0
	s_and_saveexec_b64 s[4:5], vcc
	s_cbranch_execnz .LBB194_33
.LBB194_24:
	s_or_b64 exec, exec, s[4:5]
	v_cmp_gt_i32_e32 vcc, s6, v0
	s_and_saveexec_b64 s[4:5], vcc
	s_cbranch_execnz .LBB194_34
.LBB194_25:
	s_or_b64 exec, exec, s[4:5]
	v_cmp_gt_i32_e32 vcc, s6, v0
	s_and_saveexec_b64 s[4:5], vcc
	s_cbranch_execnz .LBB194_35
.LBB194_26:
	s_or_b64 exec, exec, s[4:5]
	v_cmp_gt_i32_e32 vcc, s6, v0
	s_and_saveexec_b64 s[4:5], vcc
	s_cbranch_execz .LBB194_28
.LBB194_27:
	v_mov_b32_e32 v1, s3
	s_waitcnt vmcnt(0)
	v_cndmask_b32_e64 v2, v6, v1, s[0:1]
	v_add_u32_e32 v0, s2, v0
	v_mov_b32_e32 v1, 0
	v_lshlrev_b64 v[0:1], 1, v[0:1]
	v_mov_b32_e32 v3, s9
	v_add_co_u32_e32 v0, vcc, s8, v0
	v_addc_co_u32_e32 v1, vcc, v3, v1, vcc
	global_store_short v[0:1], v2, off
.LBB194_28:
	s_endpgm
.LBB194_29:
	v_mov_b32_e32 v10, s3
	s_waitcnt vmcnt(0)
	v_cndmask_b32_e64 v10, v2, v10, s[0:1]
	v_mov_b32_e32 v2, 0
	v_lshlrev_b64 v[1:2], 1, v[1:2]
	v_mov_b32_e32 v11, s9
	v_add_co_u32_e32 v1, vcc, s8, v1
	v_or_b32_e32 v0, 0x100, v0
	v_addc_co_u32_e32 v2, vcc, v11, v2, vcc
	global_store_short v[1:2], v10, off
	s_or_b64 exec, exec, s[4:5]
	v_cmp_gt_i32_e32 vcc, s6, v0
	s_and_saveexec_b64 s[4:5], vcc
	s_cbranch_execz .LBB194_21
.LBB194_30:
	v_mov_b32_e32 v1, s3
	s_waitcnt vmcnt(0)
	v_cndmask_b32_e64 v3, v3, v1, s[0:1]
	v_add_u32_e32 v1, s2, v0
	v_mov_b32_e32 v2, 0
	v_lshlrev_b64 v[1:2], 1, v[1:2]
	v_mov_b32_e32 v10, s9
	v_add_co_u32_e32 v1, vcc, s8, v1
	v_addc_co_u32_e32 v2, vcc, v10, v2, vcc
	v_add_u32_e32 v0, 0x100, v0
	global_store_short v[1:2], v3, off
	s_or_b64 exec, exec, s[4:5]
	v_cmp_gt_i32_e32 vcc, s6, v0
	s_and_saveexec_b64 s[4:5], vcc
	s_cbranch_execz .LBB194_22
.LBB194_31:
	v_mov_b32_e32 v1, s3
	s_waitcnt vmcnt(0)
	v_cndmask_b32_e64 v3, v7, v1, s[0:1]
	v_add_u32_e32 v1, s2, v0
	v_mov_b32_e32 v2, 0
	v_lshlrev_b64 v[1:2], 1, v[1:2]
	v_mov_b32_e32 v7, s9
	v_add_co_u32_e32 v1, vcc, s8, v1
	v_addc_co_u32_e32 v2, vcc, v7, v2, vcc
	v_add_u32_e32 v0, 0x100, v0
	global_store_short v[1:2], v3, off
	s_or_b64 exec, exec, s[4:5]
	v_cmp_gt_i32_e32 vcc, s6, v0
	s_and_saveexec_b64 s[4:5], vcc
	s_cbranch_execz .LBB194_23
.LBB194_32:
	v_mov_b32_e32 v1, s3
	s_waitcnt vmcnt(0)
	v_cndmask_b32_e64 v3, v4, v1, s[0:1]
	v_add_u32_e32 v1, s2, v0
	v_mov_b32_e32 v2, 0
	v_lshlrev_b64 v[1:2], 1, v[1:2]
	v_mov_b32_e32 v4, s9
	v_add_co_u32_e32 v1, vcc, s8, v1
	v_addc_co_u32_e32 v2, vcc, v4, v2, vcc
	v_add_u32_e32 v0, 0x100, v0
	global_store_short v[1:2], v3, off
	s_or_b64 exec, exec, s[4:5]
	v_cmp_gt_i32_e32 vcc, s6, v0
	s_and_saveexec_b64 s[4:5], vcc
	s_cbranch_execz .LBB194_24
.LBB194_33:
	v_mov_b32_e32 v1, s3
	s_waitcnt vmcnt(0)
	v_cndmask_b32_e64 v3, v8, v1, s[0:1]
	v_add_u32_e32 v1, s2, v0
	v_mov_b32_e32 v2, 0
	v_lshlrev_b64 v[1:2], 1, v[1:2]
	v_mov_b32_e32 v4, s9
	v_add_co_u32_e32 v1, vcc, s8, v1
	v_addc_co_u32_e32 v2, vcc, v4, v2, vcc
	v_add_u32_e32 v0, 0x100, v0
	global_store_short v[1:2], v3, off
	s_or_b64 exec, exec, s[4:5]
	v_cmp_gt_i32_e32 vcc, s6, v0
	s_and_saveexec_b64 s[4:5], vcc
	s_cbranch_execz .LBB194_25
.LBB194_34:
	v_mov_b32_e32 v1, s3
	s_waitcnt vmcnt(0)
	v_cndmask_b32_e64 v3, v5, v1, s[0:1]
	v_add_u32_e32 v1, s2, v0
	v_mov_b32_e32 v2, 0
	v_lshlrev_b64 v[1:2], 1, v[1:2]
	v_mov_b32_e32 v4, s9
	v_add_co_u32_e32 v1, vcc, s8, v1
	v_addc_co_u32_e32 v2, vcc, v4, v2, vcc
	v_add_u32_e32 v0, 0x100, v0
	global_store_short v[1:2], v3, off
	s_or_b64 exec, exec, s[4:5]
	v_cmp_gt_i32_e32 vcc, s6, v0
	s_and_saveexec_b64 s[4:5], vcc
	s_cbranch_execz .LBB194_26
.LBB194_35:
	v_mov_b32_e32 v1, s3
	s_waitcnt vmcnt(0)
	v_cndmask_b32_e64 v3, v9, v1, s[0:1]
	v_add_u32_e32 v1, s2, v0
	v_mov_b32_e32 v2, 0
	v_lshlrev_b64 v[1:2], 1, v[1:2]
	v_mov_b32_e32 v4, s9
	v_add_co_u32_e32 v1, vcc, s8, v1
	v_addc_co_u32_e32 v2, vcc, v4, v2, vcc
	v_add_u32_e32 v0, 0x100, v0
	global_store_short v[1:2], v3, off
	s_or_b64 exec, exec, s[4:5]
	v_cmp_gt_i32_e32 vcc, s6, v0
	s_and_saveexec_b64 s[4:5], vcc
	s_cbranch_execnz .LBB194_27
	s_branch .LBB194_28
	.section	.rodata,"a",@progbits
	.p2align	6, 0x0
	.amdhsa_kernel _ZN2at6native29vectorized_elementwise_kernelILi8ENS0_13AUnaryFunctorIN3c104HalfES4_S4_ZNS0_12_GLOBAL__N_121threshold_kernel_implIS4_EEvRNS_18TensorIteratorBaseET_S9_EUlS4_S4_E_EESt5arrayIPcLm2EEEEviT0_T1_
		.amdhsa_group_segment_fixed_size 0
		.amdhsa_private_segment_fixed_size 0
		.amdhsa_kernarg_size 32
		.amdhsa_user_sgpr_count 6
		.amdhsa_user_sgpr_private_segment_buffer 1
		.amdhsa_user_sgpr_dispatch_ptr 0
		.amdhsa_user_sgpr_queue_ptr 0
		.amdhsa_user_sgpr_kernarg_segment_ptr 1
		.amdhsa_user_sgpr_dispatch_id 0
		.amdhsa_user_sgpr_flat_scratch_init 0
		.amdhsa_user_sgpr_private_segment_size 0
		.amdhsa_uses_dynamic_stack 0
		.amdhsa_system_sgpr_private_segment_wavefront_offset 0
		.amdhsa_system_sgpr_workgroup_id_x 1
		.amdhsa_system_sgpr_workgroup_id_y 0
		.amdhsa_system_sgpr_workgroup_id_z 0
		.amdhsa_system_sgpr_workgroup_info 0
		.amdhsa_system_vgpr_workitem_id 0
		.amdhsa_next_free_vgpr 13
		.amdhsa_next_free_sgpr 14
		.amdhsa_reserve_vcc 1
		.amdhsa_reserve_flat_scratch 0
		.amdhsa_float_round_mode_32 0
		.amdhsa_float_round_mode_16_64 0
		.amdhsa_float_denorm_mode_32 3
		.amdhsa_float_denorm_mode_16_64 3
		.amdhsa_dx10_clamp 1
		.amdhsa_ieee_mode 1
		.amdhsa_fp16_overflow 0
		.amdhsa_exception_fp_ieee_invalid_op 0
		.amdhsa_exception_fp_denorm_src 0
		.amdhsa_exception_fp_ieee_div_zero 0
		.amdhsa_exception_fp_ieee_overflow 0
		.amdhsa_exception_fp_ieee_underflow 0
		.amdhsa_exception_fp_ieee_inexact 0
		.amdhsa_exception_int_div_zero 0
	.end_amdhsa_kernel
	.section	.text._ZN2at6native29vectorized_elementwise_kernelILi8ENS0_13AUnaryFunctorIN3c104HalfES4_S4_ZNS0_12_GLOBAL__N_121threshold_kernel_implIS4_EEvRNS_18TensorIteratorBaseET_S9_EUlS4_S4_E_EESt5arrayIPcLm2EEEEviT0_T1_,"axG",@progbits,_ZN2at6native29vectorized_elementwise_kernelILi8ENS0_13AUnaryFunctorIN3c104HalfES4_S4_ZNS0_12_GLOBAL__N_121threshold_kernel_implIS4_EEvRNS_18TensorIteratorBaseET_S9_EUlS4_S4_E_EESt5arrayIPcLm2EEEEviT0_T1_,comdat
.Lfunc_end194:
	.size	_ZN2at6native29vectorized_elementwise_kernelILi8ENS0_13AUnaryFunctorIN3c104HalfES4_S4_ZNS0_12_GLOBAL__N_121threshold_kernel_implIS4_EEvRNS_18TensorIteratorBaseET_S9_EUlS4_S4_E_EESt5arrayIPcLm2EEEEviT0_T1_, .Lfunc_end194-_ZN2at6native29vectorized_elementwise_kernelILi8ENS0_13AUnaryFunctorIN3c104HalfES4_S4_ZNS0_12_GLOBAL__N_121threshold_kernel_implIS4_EEvRNS_18TensorIteratorBaseET_S9_EUlS4_S4_E_EESt5arrayIPcLm2EEEEviT0_T1_
                                        ; -- End function
	.set _ZN2at6native29vectorized_elementwise_kernelILi8ENS0_13AUnaryFunctorIN3c104HalfES4_S4_ZNS0_12_GLOBAL__N_121threshold_kernel_implIS4_EEvRNS_18TensorIteratorBaseET_S9_EUlS4_S4_E_EESt5arrayIPcLm2EEEEviT0_T1_.num_vgpr, 13
	.set _ZN2at6native29vectorized_elementwise_kernelILi8ENS0_13AUnaryFunctorIN3c104HalfES4_S4_ZNS0_12_GLOBAL__N_121threshold_kernel_implIS4_EEvRNS_18TensorIteratorBaseET_S9_EUlS4_S4_E_EESt5arrayIPcLm2EEEEviT0_T1_.num_agpr, 0
	.set _ZN2at6native29vectorized_elementwise_kernelILi8ENS0_13AUnaryFunctorIN3c104HalfES4_S4_ZNS0_12_GLOBAL__N_121threshold_kernel_implIS4_EEvRNS_18TensorIteratorBaseET_S9_EUlS4_S4_E_EESt5arrayIPcLm2EEEEviT0_T1_.numbered_sgpr, 14
	.set _ZN2at6native29vectorized_elementwise_kernelILi8ENS0_13AUnaryFunctorIN3c104HalfES4_S4_ZNS0_12_GLOBAL__N_121threshold_kernel_implIS4_EEvRNS_18TensorIteratorBaseET_S9_EUlS4_S4_E_EESt5arrayIPcLm2EEEEviT0_T1_.num_named_barrier, 0
	.set _ZN2at6native29vectorized_elementwise_kernelILi8ENS0_13AUnaryFunctorIN3c104HalfES4_S4_ZNS0_12_GLOBAL__N_121threshold_kernel_implIS4_EEvRNS_18TensorIteratorBaseET_S9_EUlS4_S4_E_EESt5arrayIPcLm2EEEEviT0_T1_.private_seg_size, 0
	.set _ZN2at6native29vectorized_elementwise_kernelILi8ENS0_13AUnaryFunctorIN3c104HalfES4_S4_ZNS0_12_GLOBAL__N_121threshold_kernel_implIS4_EEvRNS_18TensorIteratorBaseET_S9_EUlS4_S4_E_EESt5arrayIPcLm2EEEEviT0_T1_.uses_vcc, 1
	.set _ZN2at6native29vectorized_elementwise_kernelILi8ENS0_13AUnaryFunctorIN3c104HalfES4_S4_ZNS0_12_GLOBAL__N_121threshold_kernel_implIS4_EEvRNS_18TensorIteratorBaseET_S9_EUlS4_S4_E_EESt5arrayIPcLm2EEEEviT0_T1_.uses_flat_scratch, 0
	.set _ZN2at6native29vectorized_elementwise_kernelILi8ENS0_13AUnaryFunctorIN3c104HalfES4_S4_ZNS0_12_GLOBAL__N_121threshold_kernel_implIS4_EEvRNS_18TensorIteratorBaseET_S9_EUlS4_S4_E_EESt5arrayIPcLm2EEEEviT0_T1_.has_dyn_sized_stack, 0
	.set _ZN2at6native29vectorized_elementwise_kernelILi8ENS0_13AUnaryFunctorIN3c104HalfES4_S4_ZNS0_12_GLOBAL__N_121threshold_kernel_implIS4_EEvRNS_18TensorIteratorBaseET_S9_EUlS4_S4_E_EESt5arrayIPcLm2EEEEviT0_T1_.has_recursion, 0
	.set _ZN2at6native29vectorized_elementwise_kernelILi8ENS0_13AUnaryFunctorIN3c104HalfES4_S4_ZNS0_12_GLOBAL__N_121threshold_kernel_implIS4_EEvRNS_18TensorIteratorBaseET_S9_EUlS4_S4_E_EESt5arrayIPcLm2EEEEviT0_T1_.has_indirect_call, 0
	.section	.AMDGPU.csdata,"",@progbits
; Kernel info:
; codeLenInByte = 1536
; TotalNumSgprs: 18
; NumVgprs: 13
; ScratchSize: 0
; MemoryBound: 0
; FloatMode: 240
; IeeeMode: 1
; LDSByteSize: 0 bytes/workgroup (compile time only)
; SGPRBlocks: 2
; VGPRBlocks: 3
; NumSGPRsForWavesPerEU: 18
; NumVGPRsForWavesPerEU: 13
; Occupancy: 10
; WaveLimiterHint : 0
; COMPUTE_PGM_RSRC2:SCRATCH_EN: 0
; COMPUTE_PGM_RSRC2:USER_SGPR: 6
; COMPUTE_PGM_RSRC2:TRAP_HANDLER: 0
; COMPUTE_PGM_RSRC2:TGID_X_EN: 1
; COMPUTE_PGM_RSRC2:TGID_Y_EN: 0
; COMPUTE_PGM_RSRC2:TGID_Z_EN: 0
; COMPUTE_PGM_RSRC2:TIDIG_COMP_CNT: 0
	.section	.text._ZN2at6native29vectorized_elementwise_kernelILi4ENS0_13AUnaryFunctorIN3c104HalfES4_S4_ZNS0_12_GLOBAL__N_121threshold_kernel_implIS4_EEvRNS_18TensorIteratorBaseET_S9_EUlS4_S4_E_EESt5arrayIPcLm2EEEEviT0_T1_,"axG",@progbits,_ZN2at6native29vectorized_elementwise_kernelILi4ENS0_13AUnaryFunctorIN3c104HalfES4_S4_ZNS0_12_GLOBAL__N_121threshold_kernel_implIS4_EEvRNS_18TensorIteratorBaseET_S9_EUlS4_S4_E_EESt5arrayIPcLm2EEEEviT0_T1_,comdat
	.globl	_ZN2at6native29vectorized_elementwise_kernelILi4ENS0_13AUnaryFunctorIN3c104HalfES4_S4_ZNS0_12_GLOBAL__N_121threshold_kernel_implIS4_EEvRNS_18TensorIteratorBaseET_S9_EUlS4_S4_E_EESt5arrayIPcLm2EEEEviT0_T1_ ; -- Begin function _ZN2at6native29vectorized_elementwise_kernelILi4ENS0_13AUnaryFunctorIN3c104HalfES4_S4_ZNS0_12_GLOBAL__N_121threshold_kernel_implIS4_EEvRNS_18TensorIteratorBaseET_S9_EUlS4_S4_E_EESt5arrayIPcLm2EEEEviT0_T1_
	.p2align	8
	.type	_ZN2at6native29vectorized_elementwise_kernelILi4ENS0_13AUnaryFunctorIN3c104HalfES4_S4_ZNS0_12_GLOBAL__N_121threshold_kernel_implIS4_EEvRNS_18TensorIteratorBaseET_S9_EUlS4_S4_E_EESt5arrayIPcLm2EEEEviT0_T1_,@function
_ZN2at6native29vectorized_elementwise_kernelILi4ENS0_13AUnaryFunctorIN3c104HalfES4_S4_ZNS0_12_GLOBAL__N_121threshold_kernel_implIS4_EEvRNS_18TensorIteratorBaseET_S9_EUlS4_S4_E_EESt5arrayIPcLm2EEEEviT0_T1_: ; @_ZN2at6native29vectorized_elementwise_kernelILi4ENS0_13AUnaryFunctorIN3c104HalfES4_S4_ZNS0_12_GLOBAL__N_121threshold_kernel_implIS4_EEvRNS_18TensorIteratorBaseET_S9_EUlS4_S4_E_EESt5arrayIPcLm2EEEEviT0_T1_
; %bb.0:
	s_load_dwordx2 s[12:13], s[4:5], 0x0
	s_load_dword s7, s[4:5], 0x8
	s_load_dwordx4 s[8:11], s[4:5], 0x10
	s_lshl_b32 s2, s6, 11
	s_mov_b64 s[0:1], -1
	s_waitcnt lgkmcnt(0)
	s_sub_i32 s6, s12, s2
	s_cmpk_gt_i32 s6, 0x7ff
	s_cbranch_scc0 .LBB195_2
; %bb.1:
	s_ashr_i32 s3, s2, 31
	s_lshr_b32 s12, s13, 16
	s_lshl_b64 s[0:1], s[2:3], 1
	s_add_u32 s4, s10, s0
	s_addc_u32 s5, s11, s1
	v_lshlrev_b32_e32 v5, 3, v0
	global_load_dwordx2 v[1:2], v5, s[4:5]
	global_load_dwordx2 v[3:4], v5, s[4:5] offset:2048
	v_mov_b32_e32 v6, s13
	v_mov_b32_e32 v7, s12
	v_cmp_le_f16_e32 vcc, s7, v6
	s_add_u32 s0, s8, s0
	s_addc_u32 s1, s9, s1
	s_waitcnt vmcnt(1)
	v_cndmask_b32_e32 v6, v1, v7, vcc
	v_lshrrev_b32_e32 v1, 16, v1
	v_cndmask_b32_e32 v8, v2, v7, vcc
	v_lshrrev_b32_e32 v2, 16, v2
	s_waitcnt vmcnt(0)
	v_cndmask_b32_e32 v9, v3, v7, vcc
	v_lshrrev_b32_e32 v3, 16, v3
	v_cndmask_b32_e32 v1, v1, v7, vcc
	v_cndmask_b32_e32 v10, v4, v7, vcc
	v_lshrrev_b32_e32 v4, 16, v4
	v_and_b32_e32 v6, 0xffff, v6
	v_cndmask_b32_e32 v2, v2, v7, vcc
	v_cndmask_b32_e32 v3, v3, v7, vcc
	v_lshlrev_b32_e32 v1, 16, v1
	v_and_b32_e32 v8, 0xffff, v8
	v_and_b32_e32 v9, 0xffff, v9
	v_cndmask_b32_e32 v4, v4, v7, vcc
	v_lshlrev_b32_e32 v2, 16, v2
	v_lshlrev_b32_e32 v3, 16, v3
	v_or_b32_e32 v1, v1, v6
	v_and_b32_e32 v10, 0xffff, v10
	v_lshlrev_b32_e32 v4, 16, v4
	v_or3_b32 v2, 0, v8, v2
	v_or_b32_e32 v3, v3, v9
	v_or3_b32 v1, v1, 0, 0
	v_or3_b32 v4, 0, v10, v4
	;; [unrolled: 1-line block ×3, first 2 shown]
	global_store_dwordx2 v5, v[1:2], s[0:1]
	global_store_dwordx2 v5, v[3:4], s[0:1] offset:2048
	s_mov_b64 s[0:1], 0
.LBB195_2:
	s_andn2_b64 vcc, exec, s[0:1]
	s_cbranch_vccnz .LBB195_28
; %bb.3:
	v_cmp_gt_i32_e32 vcc, s6, v0
	v_mov_b32_e32 v3, 0
	v_or_b32_e32 v1, s2, v0
	v_mov_b32_e32 v2, 0
	v_mov_b32_e32 v10, v0
	s_and_saveexec_b64 s[4:5], vcc
	s_cbranch_execz .LBB195_5
; %bb.4:
	v_mov_b32_e32 v2, 0
	v_lshlrev_b64 v[4:5], 1, v[1:2]
	v_mov_b32_e32 v2, s11
	v_add_co_u32_e64 v4, s[0:1], s10, v4
	v_addc_co_u32_e64 v5, s[0:1], v2, v5, s[0:1]
	global_load_ushort v2, v[4:5], off
	v_or_b32_e32 v10, 0x100, v0
.LBB195_5:
	s_or_b64 exec, exec, s[4:5]
	v_cmp_gt_i32_e64 s[0:1], s6, v10
	s_and_saveexec_b64 s[4:5], s[0:1]
	s_cbranch_execz .LBB195_7
; %bb.6:
	v_add_u32_e32 v3, s2, v10
	v_mov_b32_e32 v4, 0
	v_lshlrev_b64 v[3:4], 1, v[3:4]
	v_mov_b32_e32 v5, s11
	v_add_co_u32_e64 v3, s[0:1], s10, v3
	v_addc_co_u32_e64 v4, s[0:1], v5, v4, s[0:1]
	global_load_ushort v3, v[3:4], off
	v_add_u32_e32 v10, 0x100, v10
.LBB195_7:
	s_or_b64 exec, exec, s[4:5]
	v_cmp_gt_i32_e64 s[0:1], s6, v10
	v_mov_b32_e32 v4, 0
	v_mov_b32_e32 v7, 0
	s_and_saveexec_b64 s[4:5], s[0:1]
	s_cbranch_execz .LBB195_9
; %bb.8:
	v_add_u32_e32 v5, s2, v10
	v_mov_b32_e32 v6, 0
	v_lshlrev_b64 v[5:6], 1, v[5:6]
	v_mov_b32_e32 v7, s11
	v_add_co_u32_e64 v5, s[0:1], s10, v5
	v_addc_co_u32_e64 v6, s[0:1], v7, v6, s[0:1]
	global_load_ushort v7, v[5:6], off
	v_add_u32_e32 v10, 0x100, v10
.LBB195_9:
	s_or_b64 exec, exec, s[4:5]
	v_cmp_gt_i32_e64 s[0:1], s6, v10
	s_and_saveexec_b64 s[4:5], s[0:1]
	s_cbranch_execz .LBB195_11
; %bb.10:
	v_add_u32_e32 v4, s2, v10
	v_mov_b32_e32 v5, 0
	v_lshlrev_b64 v[4:5], 1, v[4:5]
	v_mov_b32_e32 v6, s11
	v_add_co_u32_e64 v4, s[0:1], s10, v4
	v_addc_co_u32_e64 v5, s[0:1], v6, v5, s[0:1]
	global_load_ushort v4, v[4:5], off
	v_add_u32_e32 v10, 0x100, v10
.LBB195_11:
	s_or_b64 exec, exec, s[4:5]
	v_cmp_gt_i32_e64 s[0:1], s6, v10
	v_mov_b32_e32 v5, 0
	v_mov_b32_e32 v8, 0
	s_and_saveexec_b64 s[4:5], s[0:1]
	s_cbranch_execz .LBB195_13
; %bb.12:
	v_add_u32_e32 v8, s2, v10
	v_mov_b32_e32 v9, 0
	v_lshlrev_b64 v[8:9], 1, v[8:9]
	v_mov_b32_e32 v6, s11
	v_add_co_u32_e64 v8, s[0:1], s10, v8
	v_addc_co_u32_e64 v9, s[0:1], v6, v9, s[0:1]
	global_load_ushort v8, v[8:9], off
	v_add_u32_e32 v10, 0x100, v10
.LBB195_13:
	;; [unrolled: 30-line block ×3, first 2 shown]
	s_or_b64 exec, exec, s[4:5]
	v_cmp_gt_i32_e64 s[0:1], s6, v10
	s_and_saveexec_b64 s[4:5], s[0:1]
	s_cbranch_execz .LBB195_19
; %bb.18:
	v_add_u32_e32 v10, s2, v10
	v_mov_b32_e32 v11, 0
	v_lshlrev_b64 v[10:11], 1, v[10:11]
	v_mov_b32_e32 v6, s11
	v_add_co_u32_e64 v10, s[0:1], s10, v10
	v_addc_co_u32_e64 v11, s[0:1], v6, v11, s[0:1]
	global_load_ushort v6, v[10:11], off
.LBB195_19:
	s_or_b64 exec, exec, s[4:5]
	v_mov_b32_e32 v10, s13
	s_lshr_b32 s3, s13, 16
	v_cmp_le_f16_e64 s[0:1], s7, v10
	s_and_saveexec_b64 s[4:5], vcc
	s_cbranch_execnz .LBB195_29
; %bb.20:
	s_or_b64 exec, exec, s[4:5]
	v_cmp_gt_i32_e32 vcc, s6, v0
	s_and_saveexec_b64 s[4:5], vcc
	s_cbranch_execnz .LBB195_30
.LBB195_21:
	s_or_b64 exec, exec, s[4:5]
	v_cmp_gt_i32_e32 vcc, s6, v0
	s_and_saveexec_b64 s[4:5], vcc
	s_cbranch_execnz .LBB195_31
.LBB195_22:
	s_or_b64 exec, exec, s[4:5]
	v_cmp_gt_i32_e32 vcc, s6, v0
	s_and_saveexec_b64 s[4:5], vcc
	s_cbranch_execnz .LBB195_32
.LBB195_23:
	s_or_b64 exec, exec, s[4:5]
	v_cmp_gt_i32_e32 vcc, s6, v0
	s_and_saveexec_b64 s[4:5], vcc
	s_cbranch_execnz .LBB195_33
.LBB195_24:
	s_or_b64 exec, exec, s[4:5]
	v_cmp_gt_i32_e32 vcc, s6, v0
	s_and_saveexec_b64 s[4:5], vcc
	s_cbranch_execnz .LBB195_34
.LBB195_25:
	s_or_b64 exec, exec, s[4:5]
	v_cmp_gt_i32_e32 vcc, s6, v0
	s_and_saveexec_b64 s[4:5], vcc
	s_cbranch_execnz .LBB195_35
.LBB195_26:
	s_or_b64 exec, exec, s[4:5]
	v_cmp_gt_i32_e32 vcc, s6, v0
	s_and_saveexec_b64 s[4:5], vcc
	s_cbranch_execz .LBB195_28
.LBB195_27:
	v_mov_b32_e32 v1, s3
	s_waitcnt vmcnt(0)
	v_cndmask_b32_e64 v2, v6, v1, s[0:1]
	v_add_u32_e32 v0, s2, v0
	v_mov_b32_e32 v1, 0
	v_lshlrev_b64 v[0:1], 1, v[0:1]
	v_mov_b32_e32 v3, s9
	v_add_co_u32_e32 v0, vcc, s8, v0
	v_addc_co_u32_e32 v1, vcc, v3, v1, vcc
	global_store_short v[0:1], v2, off
.LBB195_28:
	s_endpgm
.LBB195_29:
	v_mov_b32_e32 v10, s3
	s_waitcnt vmcnt(0)
	v_cndmask_b32_e64 v10, v2, v10, s[0:1]
	v_mov_b32_e32 v2, 0
	v_lshlrev_b64 v[1:2], 1, v[1:2]
	v_mov_b32_e32 v11, s9
	v_add_co_u32_e32 v1, vcc, s8, v1
	v_or_b32_e32 v0, 0x100, v0
	v_addc_co_u32_e32 v2, vcc, v11, v2, vcc
	global_store_short v[1:2], v10, off
	s_or_b64 exec, exec, s[4:5]
	v_cmp_gt_i32_e32 vcc, s6, v0
	s_and_saveexec_b64 s[4:5], vcc
	s_cbranch_execz .LBB195_21
.LBB195_30:
	v_mov_b32_e32 v1, s3
	s_waitcnt vmcnt(0)
	v_cndmask_b32_e64 v3, v3, v1, s[0:1]
	v_add_u32_e32 v1, s2, v0
	v_mov_b32_e32 v2, 0
	v_lshlrev_b64 v[1:2], 1, v[1:2]
	v_mov_b32_e32 v10, s9
	v_add_co_u32_e32 v1, vcc, s8, v1
	v_addc_co_u32_e32 v2, vcc, v10, v2, vcc
	v_add_u32_e32 v0, 0x100, v0
	global_store_short v[1:2], v3, off
	s_or_b64 exec, exec, s[4:5]
	v_cmp_gt_i32_e32 vcc, s6, v0
	s_and_saveexec_b64 s[4:5], vcc
	s_cbranch_execz .LBB195_22
.LBB195_31:
	v_mov_b32_e32 v1, s3
	s_waitcnt vmcnt(0)
	v_cndmask_b32_e64 v3, v7, v1, s[0:1]
	v_add_u32_e32 v1, s2, v0
	v_mov_b32_e32 v2, 0
	v_lshlrev_b64 v[1:2], 1, v[1:2]
	v_mov_b32_e32 v7, s9
	v_add_co_u32_e32 v1, vcc, s8, v1
	v_addc_co_u32_e32 v2, vcc, v7, v2, vcc
	v_add_u32_e32 v0, 0x100, v0
	global_store_short v[1:2], v3, off
	s_or_b64 exec, exec, s[4:5]
	v_cmp_gt_i32_e32 vcc, s6, v0
	s_and_saveexec_b64 s[4:5], vcc
	s_cbranch_execz .LBB195_23
.LBB195_32:
	v_mov_b32_e32 v1, s3
	s_waitcnt vmcnt(0)
	v_cndmask_b32_e64 v3, v4, v1, s[0:1]
	v_add_u32_e32 v1, s2, v0
	v_mov_b32_e32 v2, 0
	v_lshlrev_b64 v[1:2], 1, v[1:2]
	v_mov_b32_e32 v4, s9
	v_add_co_u32_e32 v1, vcc, s8, v1
	v_addc_co_u32_e32 v2, vcc, v4, v2, vcc
	v_add_u32_e32 v0, 0x100, v0
	global_store_short v[1:2], v3, off
	s_or_b64 exec, exec, s[4:5]
	v_cmp_gt_i32_e32 vcc, s6, v0
	s_and_saveexec_b64 s[4:5], vcc
	s_cbranch_execz .LBB195_24
.LBB195_33:
	v_mov_b32_e32 v1, s3
	s_waitcnt vmcnt(0)
	v_cndmask_b32_e64 v3, v8, v1, s[0:1]
	v_add_u32_e32 v1, s2, v0
	v_mov_b32_e32 v2, 0
	v_lshlrev_b64 v[1:2], 1, v[1:2]
	v_mov_b32_e32 v4, s9
	v_add_co_u32_e32 v1, vcc, s8, v1
	v_addc_co_u32_e32 v2, vcc, v4, v2, vcc
	v_add_u32_e32 v0, 0x100, v0
	global_store_short v[1:2], v3, off
	s_or_b64 exec, exec, s[4:5]
	v_cmp_gt_i32_e32 vcc, s6, v0
	s_and_saveexec_b64 s[4:5], vcc
	s_cbranch_execz .LBB195_25
.LBB195_34:
	v_mov_b32_e32 v1, s3
	s_waitcnt vmcnt(0)
	v_cndmask_b32_e64 v3, v5, v1, s[0:1]
	v_add_u32_e32 v1, s2, v0
	v_mov_b32_e32 v2, 0
	v_lshlrev_b64 v[1:2], 1, v[1:2]
	v_mov_b32_e32 v4, s9
	v_add_co_u32_e32 v1, vcc, s8, v1
	v_addc_co_u32_e32 v2, vcc, v4, v2, vcc
	v_add_u32_e32 v0, 0x100, v0
	global_store_short v[1:2], v3, off
	s_or_b64 exec, exec, s[4:5]
	v_cmp_gt_i32_e32 vcc, s6, v0
	s_and_saveexec_b64 s[4:5], vcc
	s_cbranch_execz .LBB195_26
.LBB195_35:
	v_mov_b32_e32 v1, s3
	s_waitcnt vmcnt(0)
	v_cndmask_b32_e64 v3, v9, v1, s[0:1]
	v_add_u32_e32 v1, s2, v0
	v_mov_b32_e32 v2, 0
	v_lshlrev_b64 v[1:2], 1, v[1:2]
	v_mov_b32_e32 v4, s9
	v_add_co_u32_e32 v1, vcc, s8, v1
	v_addc_co_u32_e32 v2, vcc, v4, v2, vcc
	v_add_u32_e32 v0, 0x100, v0
	global_store_short v[1:2], v3, off
	s_or_b64 exec, exec, s[4:5]
	v_cmp_gt_i32_e32 vcc, s6, v0
	s_and_saveexec_b64 s[4:5], vcc
	s_cbranch_execnz .LBB195_27
	s_branch .LBB195_28
	.section	.rodata,"a",@progbits
	.p2align	6, 0x0
	.amdhsa_kernel _ZN2at6native29vectorized_elementwise_kernelILi4ENS0_13AUnaryFunctorIN3c104HalfES4_S4_ZNS0_12_GLOBAL__N_121threshold_kernel_implIS4_EEvRNS_18TensorIteratorBaseET_S9_EUlS4_S4_E_EESt5arrayIPcLm2EEEEviT0_T1_
		.amdhsa_group_segment_fixed_size 0
		.amdhsa_private_segment_fixed_size 0
		.amdhsa_kernarg_size 32
		.amdhsa_user_sgpr_count 6
		.amdhsa_user_sgpr_private_segment_buffer 1
		.amdhsa_user_sgpr_dispatch_ptr 0
		.amdhsa_user_sgpr_queue_ptr 0
		.amdhsa_user_sgpr_kernarg_segment_ptr 1
		.amdhsa_user_sgpr_dispatch_id 0
		.amdhsa_user_sgpr_flat_scratch_init 0
		.amdhsa_user_sgpr_private_segment_size 0
		.amdhsa_uses_dynamic_stack 0
		.amdhsa_system_sgpr_private_segment_wavefront_offset 0
		.amdhsa_system_sgpr_workgroup_id_x 1
		.amdhsa_system_sgpr_workgroup_id_y 0
		.amdhsa_system_sgpr_workgroup_id_z 0
		.amdhsa_system_sgpr_workgroup_info 0
		.amdhsa_system_vgpr_workitem_id 0
		.amdhsa_next_free_vgpr 13
		.amdhsa_next_free_sgpr 14
		.amdhsa_reserve_vcc 1
		.amdhsa_reserve_flat_scratch 0
		.amdhsa_float_round_mode_32 0
		.amdhsa_float_round_mode_16_64 0
		.amdhsa_float_denorm_mode_32 3
		.amdhsa_float_denorm_mode_16_64 3
		.amdhsa_dx10_clamp 1
		.amdhsa_ieee_mode 1
		.amdhsa_fp16_overflow 0
		.amdhsa_exception_fp_ieee_invalid_op 0
		.amdhsa_exception_fp_denorm_src 0
		.amdhsa_exception_fp_ieee_div_zero 0
		.amdhsa_exception_fp_ieee_overflow 0
		.amdhsa_exception_fp_ieee_underflow 0
		.amdhsa_exception_fp_ieee_inexact 0
		.amdhsa_exception_int_div_zero 0
	.end_amdhsa_kernel
	.section	.text._ZN2at6native29vectorized_elementwise_kernelILi4ENS0_13AUnaryFunctorIN3c104HalfES4_S4_ZNS0_12_GLOBAL__N_121threshold_kernel_implIS4_EEvRNS_18TensorIteratorBaseET_S9_EUlS4_S4_E_EESt5arrayIPcLm2EEEEviT0_T1_,"axG",@progbits,_ZN2at6native29vectorized_elementwise_kernelILi4ENS0_13AUnaryFunctorIN3c104HalfES4_S4_ZNS0_12_GLOBAL__N_121threshold_kernel_implIS4_EEvRNS_18TensorIteratorBaseET_S9_EUlS4_S4_E_EESt5arrayIPcLm2EEEEviT0_T1_,comdat
.Lfunc_end195:
	.size	_ZN2at6native29vectorized_elementwise_kernelILi4ENS0_13AUnaryFunctorIN3c104HalfES4_S4_ZNS0_12_GLOBAL__N_121threshold_kernel_implIS4_EEvRNS_18TensorIteratorBaseET_S9_EUlS4_S4_E_EESt5arrayIPcLm2EEEEviT0_T1_, .Lfunc_end195-_ZN2at6native29vectorized_elementwise_kernelILi4ENS0_13AUnaryFunctorIN3c104HalfES4_S4_ZNS0_12_GLOBAL__N_121threshold_kernel_implIS4_EEvRNS_18TensorIteratorBaseET_S9_EUlS4_S4_E_EESt5arrayIPcLm2EEEEviT0_T1_
                                        ; -- End function
	.set _ZN2at6native29vectorized_elementwise_kernelILi4ENS0_13AUnaryFunctorIN3c104HalfES4_S4_ZNS0_12_GLOBAL__N_121threshold_kernel_implIS4_EEvRNS_18TensorIteratorBaseET_S9_EUlS4_S4_E_EESt5arrayIPcLm2EEEEviT0_T1_.num_vgpr, 13
	.set _ZN2at6native29vectorized_elementwise_kernelILi4ENS0_13AUnaryFunctorIN3c104HalfES4_S4_ZNS0_12_GLOBAL__N_121threshold_kernel_implIS4_EEvRNS_18TensorIteratorBaseET_S9_EUlS4_S4_E_EESt5arrayIPcLm2EEEEviT0_T1_.num_agpr, 0
	.set _ZN2at6native29vectorized_elementwise_kernelILi4ENS0_13AUnaryFunctorIN3c104HalfES4_S4_ZNS0_12_GLOBAL__N_121threshold_kernel_implIS4_EEvRNS_18TensorIteratorBaseET_S9_EUlS4_S4_E_EESt5arrayIPcLm2EEEEviT0_T1_.numbered_sgpr, 14
	.set _ZN2at6native29vectorized_elementwise_kernelILi4ENS0_13AUnaryFunctorIN3c104HalfES4_S4_ZNS0_12_GLOBAL__N_121threshold_kernel_implIS4_EEvRNS_18TensorIteratorBaseET_S9_EUlS4_S4_E_EESt5arrayIPcLm2EEEEviT0_T1_.num_named_barrier, 0
	.set _ZN2at6native29vectorized_elementwise_kernelILi4ENS0_13AUnaryFunctorIN3c104HalfES4_S4_ZNS0_12_GLOBAL__N_121threshold_kernel_implIS4_EEvRNS_18TensorIteratorBaseET_S9_EUlS4_S4_E_EESt5arrayIPcLm2EEEEviT0_T1_.private_seg_size, 0
	.set _ZN2at6native29vectorized_elementwise_kernelILi4ENS0_13AUnaryFunctorIN3c104HalfES4_S4_ZNS0_12_GLOBAL__N_121threshold_kernel_implIS4_EEvRNS_18TensorIteratorBaseET_S9_EUlS4_S4_E_EESt5arrayIPcLm2EEEEviT0_T1_.uses_vcc, 1
	.set _ZN2at6native29vectorized_elementwise_kernelILi4ENS0_13AUnaryFunctorIN3c104HalfES4_S4_ZNS0_12_GLOBAL__N_121threshold_kernel_implIS4_EEvRNS_18TensorIteratorBaseET_S9_EUlS4_S4_E_EESt5arrayIPcLm2EEEEviT0_T1_.uses_flat_scratch, 0
	.set _ZN2at6native29vectorized_elementwise_kernelILi4ENS0_13AUnaryFunctorIN3c104HalfES4_S4_ZNS0_12_GLOBAL__N_121threshold_kernel_implIS4_EEvRNS_18TensorIteratorBaseET_S9_EUlS4_S4_E_EESt5arrayIPcLm2EEEEviT0_T1_.has_dyn_sized_stack, 0
	.set _ZN2at6native29vectorized_elementwise_kernelILi4ENS0_13AUnaryFunctorIN3c104HalfES4_S4_ZNS0_12_GLOBAL__N_121threshold_kernel_implIS4_EEvRNS_18TensorIteratorBaseET_S9_EUlS4_S4_E_EESt5arrayIPcLm2EEEEviT0_T1_.has_recursion, 0
	.set _ZN2at6native29vectorized_elementwise_kernelILi4ENS0_13AUnaryFunctorIN3c104HalfES4_S4_ZNS0_12_GLOBAL__N_121threshold_kernel_implIS4_EEvRNS_18TensorIteratorBaseET_S9_EUlS4_S4_E_EESt5arrayIPcLm2EEEEviT0_T1_.has_indirect_call, 0
	.section	.AMDGPU.csdata,"",@progbits
; Kernel info:
; codeLenInByte = 1604
; TotalNumSgprs: 18
; NumVgprs: 13
; ScratchSize: 0
; MemoryBound: 0
; FloatMode: 240
; IeeeMode: 1
; LDSByteSize: 0 bytes/workgroup (compile time only)
; SGPRBlocks: 2
; VGPRBlocks: 3
; NumSGPRsForWavesPerEU: 18
; NumVGPRsForWavesPerEU: 13
; Occupancy: 10
; WaveLimiterHint : 1
; COMPUTE_PGM_RSRC2:SCRATCH_EN: 0
; COMPUTE_PGM_RSRC2:USER_SGPR: 6
; COMPUTE_PGM_RSRC2:TRAP_HANDLER: 0
; COMPUTE_PGM_RSRC2:TGID_X_EN: 1
; COMPUTE_PGM_RSRC2:TGID_Y_EN: 0
; COMPUTE_PGM_RSRC2:TGID_Z_EN: 0
; COMPUTE_PGM_RSRC2:TIDIG_COMP_CNT: 0
	.section	.text._ZN2at6native29vectorized_elementwise_kernelILi2ENS0_13AUnaryFunctorIN3c104HalfES4_S4_ZNS0_12_GLOBAL__N_121threshold_kernel_implIS4_EEvRNS_18TensorIteratorBaseET_S9_EUlS4_S4_E_EESt5arrayIPcLm2EEEEviT0_T1_,"axG",@progbits,_ZN2at6native29vectorized_elementwise_kernelILi2ENS0_13AUnaryFunctorIN3c104HalfES4_S4_ZNS0_12_GLOBAL__N_121threshold_kernel_implIS4_EEvRNS_18TensorIteratorBaseET_S9_EUlS4_S4_E_EESt5arrayIPcLm2EEEEviT0_T1_,comdat
	.globl	_ZN2at6native29vectorized_elementwise_kernelILi2ENS0_13AUnaryFunctorIN3c104HalfES4_S4_ZNS0_12_GLOBAL__N_121threshold_kernel_implIS4_EEvRNS_18TensorIteratorBaseET_S9_EUlS4_S4_E_EESt5arrayIPcLm2EEEEviT0_T1_ ; -- Begin function _ZN2at6native29vectorized_elementwise_kernelILi2ENS0_13AUnaryFunctorIN3c104HalfES4_S4_ZNS0_12_GLOBAL__N_121threshold_kernel_implIS4_EEvRNS_18TensorIteratorBaseET_S9_EUlS4_S4_E_EESt5arrayIPcLm2EEEEviT0_T1_
	.p2align	8
	.type	_ZN2at6native29vectorized_elementwise_kernelILi2ENS0_13AUnaryFunctorIN3c104HalfES4_S4_ZNS0_12_GLOBAL__N_121threshold_kernel_implIS4_EEvRNS_18TensorIteratorBaseET_S9_EUlS4_S4_E_EESt5arrayIPcLm2EEEEviT0_T1_,@function
_ZN2at6native29vectorized_elementwise_kernelILi2ENS0_13AUnaryFunctorIN3c104HalfES4_S4_ZNS0_12_GLOBAL__N_121threshold_kernel_implIS4_EEvRNS_18TensorIteratorBaseET_S9_EUlS4_S4_E_EESt5arrayIPcLm2EEEEviT0_T1_: ; @_ZN2at6native29vectorized_elementwise_kernelILi2ENS0_13AUnaryFunctorIN3c104HalfES4_S4_ZNS0_12_GLOBAL__N_121threshold_kernel_implIS4_EEvRNS_18TensorIteratorBaseET_S9_EUlS4_S4_E_EESt5arrayIPcLm2EEEEviT0_T1_
; %bb.0:
	s_load_dwordx2 s[12:13], s[4:5], 0x0
	s_load_dword s7, s[4:5], 0x8
	s_load_dwordx4 s[8:11], s[4:5], 0x10
	s_lshl_b32 s2, s6, 11
	s_mov_b64 s[0:1], -1
	s_waitcnt lgkmcnt(0)
	s_sub_i32 s6, s12, s2
	s_cmpk_gt_i32 s6, 0x7ff
	s_cbranch_scc0 .LBB196_2
; %bb.1:
	s_ashr_i32 s3, s2, 31
	s_lshr_b32 s12, s13, 16
	s_lshl_b64 s[0:1], s[2:3], 1
	s_add_u32 s4, s10, s0
	s_addc_u32 s5, s11, s1
	v_lshlrev_b32_e32 v1, 2, v0
	global_load_dword v2, v1, s[4:5]
	global_load_dword v3, v1, s[4:5] offset:1024
	global_load_dword v4, v1, s[4:5] offset:2048
	;; [unrolled: 1-line block ×3, first 2 shown]
	v_mov_b32_e32 v6, s13
	v_mov_b32_e32 v7, s12
	v_cmp_le_f16_e32 vcc, s7, v6
	s_add_u32 s0, s8, s0
	s_addc_u32 s1, s9, s1
	s_waitcnt vmcnt(3)
	v_and_b32_e32 v8, 0xffff, v2
	v_lshrrev_b32_e32 v2, 16, v2
	s_waitcnt vmcnt(2)
	v_and_b32_e32 v9, 0xffff, v3
	v_lshrrev_b32_e32 v3, 16, v3
	;; [unrolled: 3-line block ×4, first 2 shown]
	v_cndmask_b32_e32 v6, v8, v7, vcc
	v_cndmask_b32_e32 v2, v2, v7, vcc
	v_cndmask_b32_e32 v8, v9, v7, vcc
	v_cndmask_b32_e32 v3, v3, v7, vcc
	v_cndmask_b32_e32 v9, v10, v7, vcc
	v_cndmask_b32_e32 v4, v4, v7, vcc
	v_cndmask_b32_e32 v10, v11, v7, vcc
	v_cndmask_b32_e32 v5, v5, v7, vcc
	v_lshl_or_b32 v2, v2, 16, v6
	v_lshl_or_b32 v3, v3, 16, v8
	;; [unrolled: 1-line block ×4, first 2 shown]
	global_store_dword v1, v2, s[0:1]
	global_store_dword v1, v3, s[0:1] offset:1024
	global_store_dword v1, v4, s[0:1] offset:2048
	;; [unrolled: 1-line block ×3, first 2 shown]
	s_mov_b64 s[0:1], 0
.LBB196_2:
	s_andn2_b64 vcc, exec, s[0:1]
	s_cbranch_vccnz .LBB196_28
; %bb.3:
	v_cmp_gt_i32_e32 vcc, s6, v0
	v_mov_b32_e32 v3, 0
	v_or_b32_e32 v1, s2, v0
	v_mov_b32_e32 v2, 0
	v_mov_b32_e32 v10, v0
	s_and_saveexec_b64 s[4:5], vcc
	s_cbranch_execz .LBB196_5
; %bb.4:
	v_mov_b32_e32 v2, 0
	v_lshlrev_b64 v[4:5], 1, v[1:2]
	v_mov_b32_e32 v2, s11
	v_add_co_u32_e64 v4, s[0:1], s10, v4
	v_addc_co_u32_e64 v5, s[0:1], v2, v5, s[0:1]
	global_load_ushort v2, v[4:5], off
	v_or_b32_e32 v10, 0x100, v0
.LBB196_5:
	s_or_b64 exec, exec, s[4:5]
	v_cmp_gt_i32_e64 s[0:1], s6, v10
	s_and_saveexec_b64 s[4:5], s[0:1]
	s_cbranch_execz .LBB196_7
; %bb.6:
	v_add_u32_e32 v3, s2, v10
	v_mov_b32_e32 v4, 0
	v_lshlrev_b64 v[3:4], 1, v[3:4]
	v_mov_b32_e32 v5, s11
	v_add_co_u32_e64 v3, s[0:1], s10, v3
	v_addc_co_u32_e64 v4, s[0:1], v5, v4, s[0:1]
	global_load_ushort v3, v[3:4], off
	v_add_u32_e32 v10, 0x100, v10
.LBB196_7:
	s_or_b64 exec, exec, s[4:5]
	v_cmp_gt_i32_e64 s[0:1], s6, v10
	v_mov_b32_e32 v4, 0
	v_mov_b32_e32 v7, 0
	s_and_saveexec_b64 s[4:5], s[0:1]
	s_cbranch_execz .LBB196_9
; %bb.8:
	v_add_u32_e32 v5, s2, v10
	v_mov_b32_e32 v6, 0
	v_lshlrev_b64 v[5:6], 1, v[5:6]
	v_mov_b32_e32 v7, s11
	v_add_co_u32_e64 v5, s[0:1], s10, v5
	v_addc_co_u32_e64 v6, s[0:1], v7, v6, s[0:1]
	global_load_ushort v7, v[5:6], off
	v_add_u32_e32 v10, 0x100, v10
.LBB196_9:
	s_or_b64 exec, exec, s[4:5]
	v_cmp_gt_i32_e64 s[0:1], s6, v10
	s_and_saveexec_b64 s[4:5], s[0:1]
	s_cbranch_execz .LBB196_11
; %bb.10:
	v_add_u32_e32 v4, s2, v10
	v_mov_b32_e32 v5, 0
	v_lshlrev_b64 v[4:5], 1, v[4:5]
	v_mov_b32_e32 v6, s11
	v_add_co_u32_e64 v4, s[0:1], s10, v4
	v_addc_co_u32_e64 v5, s[0:1], v6, v5, s[0:1]
	global_load_ushort v4, v[4:5], off
	v_add_u32_e32 v10, 0x100, v10
.LBB196_11:
	s_or_b64 exec, exec, s[4:5]
	v_cmp_gt_i32_e64 s[0:1], s6, v10
	v_mov_b32_e32 v5, 0
	v_mov_b32_e32 v8, 0
	s_and_saveexec_b64 s[4:5], s[0:1]
	s_cbranch_execz .LBB196_13
; %bb.12:
	v_add_u32_e32 v8, s2, v10
	v_mov_b32_e32 v9, 0
	v_lshlrev_b64 v[8:9], 1, v[8:9]
	v_mov_b32_e32 v6, s11
	v_add_co_u32_e64 v8, s[0:1], s10, v8
	v_addc_co_u32_e64 v9, s[0:1], v6, v9, s[0:1]
	global_load_ushort v8, v[8:9], off
	v_add_u32_e32 v10, 0x100, v10
.LBB196_13:
	;; [unrolled: 30-line block ×3, first 2 shown]
	s_or_b64 exec, exec, s[4:5]
	v_cmp_gt_i32_e64 s[0:1], s6, v10
	s_and_saveexec_b64 s[4:5], s[0:1]
	s_cbranch_execz .LBB196_19
; %bb.18:
	v_add_u32_e32 v10, s2, v10
	v_mov_b32_e32 v11, 0
	v_lshlrev_b64 v[10:11], 1, v[10:11]
	v_mov_b32_e32 v6, s11
	v_add_co_u32_e64 v10, s[0:1], s10, v10
	v_addc_co_u32_e64 v11, s[0:1], v6, v11, s[0:1]
	global_load_ushort v6, v[10:11], off
.LBB196_19:
	s_or_b64 exec, exec, s[4:5]
	v_mov_b32_e32 v10, s13
	s_lshr_b32 s3, s13, 16
	v_cmp_le_f16_e64 s[0:1], s7, v10
	s_and_saveexec_b64 s[4:5], vcc
	s_cbranch_execnz .LBB196_29
; %bb.20:
	s_or_b64 exec, exec, s[4:5]
	v_cmp_gt_i32_e32 vcc, s6, v0
	s_and_saveexec_b64 s[4:5], vcc
	s_cbranch_execnz .LBB196_30
.LBB196_21:
	s_or_b64 exec, exec, s[4:5]
	v_cmp_gt_i32_e32 vcc, s6, v0
	s_and_saveexec_b64 s[4:5], vcc
	s_cbranch_execnz .LBB196_31
.LBB196_22:
	s_or_b64 exec, exec, s[4:5]
	v_cmp_gt_i32_e32 vcc, s6, v0
	s_and_saveexec_b64 s[4:5], vcc
	s_cbranch_execnz .LBB196_32
.LBB196_23:
	s_or_b64 exec, exec, s[4:5]
	v_cmp_gt_i32_e32 vcc, s6, v0
	s_and_saveexec_b64 s[4:5], vcc
	s_cbranch_execnz .LBB196_33
.LBB196_24:
	s_or_b64 exec, exec, s[4:5]
	v_cmp_gt_i32_e32 vcc, s6, v0
	s_and_saveexec_b64 s[4:5], vcc
	s_cbranch_execnz .LBB196_34
.LBB196_25:
	s_or_b64 exec, exec, s[4:5]
	v_cmp_gt_i32_e32 vcc, s6, v0
	s_and_saveexec_b64 s[4:5], vcc
	s_cbranch_execnz .LBB196_35
.LBB196_26:
	s_or_b64 exec, exec, s[4:5]
	v_cmp_gt_i32_e32 vcc, s6, v0
	s_and_saveexec_b64 s[4:5], vcc
	s_cbranch_execz .LBB196_28
.LBB196_27:
	v_mov_b32_e32 v1, s3
	s_waitcnt vmcnt(0)
	v_cndmask_b32_e64 v2, v6, v1, s[0:1]
	v_add_u32_e32 v0, s2, v0
	v_mov_b32_e32 v1, 0
	v_lshlrev_b64 v[0:1], 1, v[0:1]
	v_mov_b32_e32 v3, s9
	v_add_co_u32_e32 v0, vcc, s8, v0
	v_addc_co_u32_e32 v1, vcc, v3, v1, vcc
	global_store_short v[0:1], v2, off
.LBB196_28:
	s_endpgm
.LBB196_29:
	v_mov_b32_e32 v10, s3
	s_waitcnt vmcnt(0)
	v_cndmask_b32_e64 v10, v2, v10, s[0:1]
	v_mov_b32_e32 v2, 0
	v_lshlrev_b64 v[1:2], 1, v[1:2]
	v_mov_b32_e32 v11, s9
	v_add_co_u32_e32 v1, vcc, s8, v1
	v_or_b32_e32 v0, 0x100, v0
	v_addc_co_u32_e32 v2, vcc, v11, v2, vcc
	global_store_short v[1:2], v10, off
	s_or_b64 exec, exec, s[4:5]
	v_cmp_gt_i32_e32 vcc, s6, v0
	s_and_saveexec_b64 s[4:5], vcc
	s_cbranch_execz .LBB196_21
.LBB196_30:
	v_mov_b32_e32 v1, s3
	s_waitcnt vmcnt(0)
	v_cndmask_b32_e64 v3, v3, v1, s[0:1]
	v_add_u32_e32 v1, s2, v0
	v_mov_b32_e32 v2, 0
	v_lshlrev_b64 v[1:2], 1, v[1:2]
	v_mov_b32_e32 v10, s9
	v_add_co_u32_e32 v1, vcc, s8, v1
	v_addc_co_u32_e32 v2, vcc, v10, v2, vcc
	v_add_u32_e32 v0, 0x100, v0
	global_store_short v[1:2], v3, off
	s_or_b64 exec, exec, s[4:5]
	v_cmp_gt_i32_e32 vcc, s6, v0
	s_and_saveexec_b64 s[4:5], vcc
	s_cbranch_execz .LBB196_22
.LBB196_31:
	v_mov_b32_e32 v1, s3
	s_waitcnt vmcnt(0)
	v_cndmask_b32_e64 v3, v7, v1, s[0:1]
	v_add_u32_e32 v1, s2, v0
	v_mov_b32_e32 v2, 0
	v_lshlrev_b64 v[1:2], 1, v[1:2]
	v_mov_b32_e32 v7, s9
	v_add_co_u32_e32 v1, vcc, s8, v1
	v_addc_co_u32_e32 v2, vcc, v7, v2, vcc
	v_add_u32_e32 v0, 0x100, v0
	global_store_short v[1:2], v3, off
	s_or_b64 exec, exec, s[4:5]
	v_cmp_gt_i32_e32 vcc, s6, v0
	s_and_saveexec_b64 s[4:5], vcc
	s_cbranch_execz .LBB196_23
.LBB196_32:
	v_mov_b32_e32 v1, s3
	s_waitcnt vmcnt(0)
	v_cndmask_b32_e64 v3, v4, v1, s[0:1]
	v_add_u32_e32 v1, s2, v0
	v_mov_b32_e32 v2, 0
	v_lshlrev_b64 v[1:2], 1, v[1:2]
	v_mov_b32_e32 v4, s9
	v_add_co_u32_e32 v1, vcc, s8, v1
	v_addc_co_u32_e32 v2, vcc, v4, v2, vcc
	v_add_u32_e32 v0, 0x100, v0
	global_store_short v[1:2], v3, off
	s_or_b64 exec, exec, s[4:5]
	v_cmp_gt_i32_e32 vcc, s6, v0
	s_and_saveexec_b64 s[4:5], vcc
	s_cbranch_execz .LBB196_24
.LBB196_33:
	v_mov_b32_e32 v1, s3
	s_waitcnt vmcnt(0)
	v_cndmask_b32_e64 v3, v8, v1, s[0:1]
	v_add_u32_e32 v1, s2, v0
	v_mov_b32_e32 v2, 0
	v_lshlrev_b64 v[1:2], 1, v[1:2]
	v_mov_b32_e32 v4, s9
	v_add_co_u32_e32 v1, vcc, s8, v1
	v_addc_co_u32_e32 v2, vcc, v4, v2, vcc
	v_add_u32_e32 v0, 0x100, v0
	global_store_short v[1:2], v3, off
	s_or_b64 exec, exec, s[4:5]
	v_cmp_gt_i32_e32 vcc, s6, v0
	s_and_saveexec_b64 s[4:5], vcc
	s_cbranch_execz .LBB196_25
.LBB196_34:
	v_mov_b32_e32 v1, s3
	s_waitcnt vmcnt(0)
	v_cndmask_b32_e64 v3, v5, v1, s[0:1]
	v_add_u32_e32 v1, s2, v0
	v_mov_b32_e32 v2, 0
	v_lshlrev_b64 v[1:2], 1, v[1:2]
	v_mov_b32_e32 v4, s9
	v_add_co_u32_e32 v1, vcc, s8, v1
	v_addc_co_u32_e32 v2, vcc, v4, v2, vcc
	v_add_u32_e32 v0, 0x100, v0
	global_store_short v[1:2], v3, off
	s_or_b64 exec, exec, s[4:5]
	v_cmp_gt_i32_e32 vcc, s6, v0
	s_and_saveexec_b64 s[4:5], vcc
	s_cbranch_execz .LBB196_26
.LBB196_35:
	v_mov_b32_e32 v1, s3
	s_waitcnt vmcnt(0)
	v_cndmask_b32_e64 v3, v9, v1, s[0:1]
	v_add_u32_e32 v1, s2, v0
	v_mov_b32_e32 v2, 0
	v_lshlrev_b64 v[1:2], 1, v[1:2]
	v_mov_b32_e32 v4, s9
	v_add_co_u32_e32 v1, vcc, s8, v1
	v_addc_co_u32_e32 v2, vcc, v4, v2, vcc
	v_add_u32_e32 v0, 0x100, v0
	global_store_short v[1:2], v3, off
	s_or_b64 exec, exec, s[4:5]
	v_cmp_gt_i32_e32 vcc, s6, v0
	s_and_saveexec_b64 s[4:5], vcc
	s_cbranch_execnz .LBB196_27
	s_branch .LBB196_28
	.section	.rodata,"a",@progbits
	.p2align	6, 0x0
	.amdhsa_kernel _ZN2at6native29vectorized_elementwise_kernelILi2ENS0_13AUnaryFunctorIN3c104HalfES4_S4_ZNS0_12_GLOBAL__N_121threshold_kernel_implIS4_EEvRNS_18TensorIteratorBaseET_S9_EUlS4_S4_E_EESt5arrayIPcLm2EEEEviT0_T1_
		.amdhsa_group_segment_fixed_size 0
		.amdhsa_private_segment_fixed_size 0
		.amdhsa_kernarg_size 32
		.amdhsa_user_sgpr_count 6
		.amdhsa_user_sgpr_private_segment_buffer 1
		.amdhsa_user_sgpr_dispatch_ptr 0
		.amdhsa_user_sgpr_queue_ptr 0
		.amdhsa_user_sgpr_kernarg_segment_ptr 1
		.amdhsa_user_sgpr_dispatch_id 0
		.amdhsa_user_sgpr_flat_scratch_init 0
		.amdhsa_user_sgpr_private_segment_size 0
		.amdhsa_uses_dynamic_stack 0
		.amdhsa_system_sgpr_private_segment_wavefront_offset 0
		.amdhsa_system_sgpr_workgroup_id_x 1
		.amdhsa_system_sgpr_workgroup_id_y 0
		.amdhsa_system_sgpr_workgroup_id_z 0
		.amdhsa_system_sgpr_workgroup_info 0
		.amdhsa_system_vgpr_workitem_id 0
		.amdhsa_next_free_vgpr 13
		.amdhsa_next_free_sgpr 14
		.amdhsa_reserve_vcc 1
		.amdhsa_reserve_flat_scratch 0
		.amdhsa_float_round_mode_32 0
		.amdhsa_float_round_mode_16_64 0
		.amdhsa_float_denorm_mode_32 3
		.amdhsa_float_denorm_mode_16_64 3
		.amdhsa_dx10_clamp 1
		.amdhsa_ieee_mode 1
		.amdhsa_fp16_overflow 0
		.amdhsa_exception_fp_ieee_invalid_op 0
		.amdhsa_exception_fp_denorm_src 0
		.amdhsa_exception_fp_ieee_div_zero 0
		.amdhsa_exception_fp_ieee_overflow 0
		.amdhsa_exception_fp_ieee_underflow 0
		.amdhsa_exception_fp_ieee_inexact 0
		.amdhsa_exception_int_div_zero 0
	.end_amdhsa_kernel
	.section	.text._ZN2at6native29vectorized_elementwise_kernelILi2ENS0_13AUnaryFunctorIN3c104HalfES4_S4_ZNS0_12_GLOBAL__N_121threshold_kernel_implIS4_EEvRNS_18TensorIteratorBaseET_S9_EUlS4_S4_E_EESt5arrayIPcLm2EEEEviT0_T1_,"axG",@progbits,_ZN2at6native29vectorized_elementwise_kernelILi2ENS0_13AUnaryFunctorIN3c104HalfES4_S4_ZNS0_12_GLOBAL__N_121threshold_kernel_implIS4_EEvRNS_18TensorIteratorBaseET_S9_EUlS4_S4_E_EESt5arrayIPcLm2EEEEviT0_T1_,comdat
.Lfunc_end196:
	.size	_ZN2at6native29vectorized_elementwise_kernelILi2ENS0_13AUnaryFunctorIN3c104HalfES4_S4_ZNS0_12_GLOBAL__N_121threshold_kernel_implIS4_EEvRNS_18TensorIteratorBaseET_S9_EUlS4_S4_E_EESt5arrayIPcLm2EEEEviT0_T1_, .Lfunc_end196-_ZN2at6native29vectorized_elementwise_kernelILi2ENS0_13AUnaryFunctorIN3c104HalfES4_S4_ZNS0_12_GLOBAL__N_121threshold_kernel_implIS4_EEvRNS_18TensorIteratorBaseET_S9_EUlS4_S4_E_EESt5arrayIPcLm2EEEEviT0_T1_
                                        ; -- End function
	.set _ZN2at6native29vectorized_elementwise_kernelILi2ENS0_13AUnaryFunctorIN3c104HalfES4_S4_ZNS0_12_GLOBAL__N_121threshold_kernel_implIS4_EEvRNS_18TensorIteratorBaseET_S9_EUlS4_S4_E_EESt5arrayIPcLm2EEEEviT0_T1_.num_vgpr, 13
	.set _ZN2at6native29vectorized_elementwise_kernelILi2ENS0_13AUnaryFunctorIN3c104HalfES4_S4_ZNS0_12_GLOBAL__N_121threshold_kernel_implIS4_EEvRNS_18TensorIteratorBaseET_S9_EUlS4_S4_E_EESt5arrayIPcLm2EEEEviT0_T1_.num_agpr, 0
	.set _ZN2at6native29vectorized_elementwise_kernelILi2ENS0_13AUnaryFunctorIN3c104HalfES4_S4_ZNS0_12_GLOBAL__N_121threshold_kernel_implIS4_EEvRNS_18TensorIteratorBaseET_S9_EUlS4_S4_E_EESt5arrayIPcLm2EEEEviT0_T1_.numbered_sgpr, 14
	.set _ZN2at6native29vectorized_elementwise_kernelILi2ENS0_13AUnaryFunctorIN3c104HalfES4_S4_ZNS0_12_GLOBAL__N_121threshold_kernel_implIS4_EEvRNS_18TensorIteratorBaseET_S9_EUlS4_S4_E_EESt5arrayIPcLm2EEEEviT0_T1_.num_named_barrier, 0
	.set _ZN2at6native29vectorized_elementwise_kernelILi2ENS0_13AUnaryFunctorIN3c104HalfES4_S4_ZNS0_12_GLOBAL__N_121threshold_kernel_implIS4_EEvRNS_18TensorIteratorBaseET_S9_EUlS4_S4_E_EESt5arrayIPcLm2EEEEviT0_T1_.private_seg_size, 0
	.set _ZN2at6native29vectorized_elementwise_kernelILi2ENS0_13AUnaryFunctorIN3c104HalfES4_S4_ZNS0_12_GLOBAL__N_121threshold_kernel_implIS4_EEvRNS_18TensorIteratorBaseET_S9_EUlS4_S4_E_EESt5arrayIPcLm2EEEEviT0_T1_.uses_vcc, 1
	.set _ZN2at6native29vectorized_elementwise_kernelILi2ENS0_13AUnaryFunctorIN3c104HalfES4_S4_ZNS0_12_GLOBAL__N_121threshold_kernel_implIS4_EEvRNS_18TensorIteratorBaseET_S9_EUlS4_S4_E_EESt5arrayIPcLm2EEEEviT0_T1_.uses_flat_scratch, 0
	.set _ZN2at6native29vectorized_elementwise_kernelILi2ENS0_13AUnaryFunctorIN3c104HalfES4_S4_ZNS0_12_GLOBAL__N_121threshold_kernel_implIS4_EEvRNS_18TensorIteratorBaseET_S9_EUlS4_S4_E_EESt5arrayIPcLm2EEEEviT0_T1_.has_dyn_sized_stack, 0
	.set _ZN2at6native29vectorized_elementwise_kernelILi2ENS0_13AUnaryFunctorIN3c104HalfES4_S4_ZNS0_12_GLOBAL__N_121threshold_kernel_implIS4_EEvRNS_18TensorIteratorBaseET_S9_EUlS4_S4_E_EESt5arrayIPcLm2EEEEviT0_T1_.has_recursion, 0
	.set _ZN2at6native29vectorized_elementwise_kernelILi2ENS0_13AUnaryFunctorIN3c104HalfES4_S4_ZNS0_12_GLOBAL__N_121threshold_kernel_implIS4_EEvRNS_18TensorIteratorBaseET_S9_EUlS4_S4_E_EESt5arrayIPcLm2EEEEviT0_T1_.has_indirect_call, 0
	.section	.AMDGPU.csdata,"",@progbits
; Kernel info:
; codeLenInByte = 1620
; TotalNumSgprs: 18
; NumVgprs: 13
; ScratchSize: 0
; MemoryBound: 0
; FloatMode: 240
; IeeeMode: 1
; LDSByteSize: 0 bytes/workgroup (compile time only)
; SGPRBlocks: 2
; VGPRBlocks: 3
; NumSGPRsForWavesPerEU: 18
; NumVGPRsForWavesPerEU: 13
; Occupancy: 10
; WaveLimiterHint : 1
; COMPUTE_PGM_RSRC2:SCRATCH_EN: 0
; COMPUTE_PGM_RSRC2:USER_SGPR: 6
; COMPUTE_PGM_RSRC2:TRAP_HANDLER: 0
; COMPUTE_PGM_RSRC2:TGID_X_EN: 1
; COMPUTE_PGM_RSRC2:TGID_Y_EN: 0
; COMPUTE_PGM_RSRC2:TGID_Z_EN: 0
; COMPUTE_PGM_RSRC2:TIDIG_COMP_CNT: 0
	.section	.text._ZN2at6native27unrolled_elementwise_kernelINS0_13AUnaryFunctorIN3c104HalfES4_S4_ZNS0_12_GLOBAL__N_121threshold_kernel_implIS4_EEvRNS_18TensorIteratorBaseET_S9_EUlS4_S4_E_EESt5arrayIPcLm2EELi4E23TrivialOffsetCalculatorILi1EjESG_NS0_6memory15LoadWithoutCastENSH_16StoreWithoutCastEEEviS9_T0_T2_T3_T4_T5_,"axG",@progbits,_ZN2at6native27unrolled_elementwise_kernelINS0_13AUnaryFunctorIN3c104HalfES4_S4_ZNS0_12_GLOBAL__N_121threshold_kernel_implIS4_EEvRNS_18TensorIteratorBaseET_S9_EUlS4_S4_E_EESt5arrayIPcLm2EELi4E23TrivialOffsetCalculatorILi1EjESG_NS0_6memory15LoadWithoutCastENSH_16StoreWithoutCastEEEviS9_T0_T2_T3_T4_T5_,comdat
	.globl	_ZN2at6native27unrolled_elementwise_kernelINS0_13AUnaryFunctorIN3c104HalfES4_S4_ZNS0_12_GLOBAL__N_121threshold_kernel_implIS4_EEvRNS_18TensorIteratorBaseET_S9_EUlS4_S4_E_EESt5arrayIPcLm2EELi4E23TrivialOffsetCalculatorILi1EjESG_NS0_6memory15LoadWithoutCastENSH_16StoreWithoutCastEEEviS9_T0_T2_T3_T4_T5_ ; -- Begin function _ZN2at6native27unrolled_elementwise_kernelINS0_13AUnaryFunctorIN3c104HalfES4_S4_ZNS0_12_GLOBAL__N_121threshold_kernel_implIS4_EEvRNS_18TensorIteratorBaseET_S9_EUlS4_S4_E_EESt5arrayIPcLm2EELi4E23TrivialOffsetCalculatorILi1EjESG_NS0_6memory15LoadWithoutCastENSH_16StoreWithoutCastEEEviS9_T0_T2_T3_T4_T5_
	.p2align	8
	.type	_ZN2at6native27unrolled_elementwise_kernelINS0_13AUnaryFunctorIN3c104HalfES4_S4_ZNS0_12_GLOBAL__N_121threshold_kernel_implIS4_EEvRNS_18TensorIteratorBaseET_S9_EUlS4_S4_E_EESt5arrayIPcLm2EELi4E23TrivialOffsetCalculatorILi1EjESG_NS0_6memory15LoadWithoutCastENSH_16StoreWithoutCastEEEviS9_T0_T2_T3_T4_T5_,@function
_ZN2at6native27unrolled_elementwise_kernelINS0_13AUnaryFunctorIN3c104HalfES4_S4_ZNS0_12_GLOBAL__N_121threshold_kernel_implIS4_EEvRNS_18TensorIteratorBaseET_S9_EUlS4_S4_E_EESt5arrayIPcLm2EELi4E23TrivialOffsetCalculatorILi1EjESG_NS0_6memory15LoadWithoutCastENSH_16StoreWithoutCastEEEviS9_T0_T2_T3_T4_T5_: ; @_ZN2at6native27unrolled_elementwise_kernelINS0_13AUnaryFunctorIN3c104HalfES4_S4_ZNS0_12_GLOBAL__N_121threshold_kernel_implIS4_EEvRNS_18TensorIteratorBaseET_S9_EUlS4_S4_E_EESt5arrayIPcLm2EELi4E23TrivialOffsetCalculatorILi1EjESG_NS0_6memory15LoadWithoutCastENSH_16StoreWithoutCastEEEviS9_T0_T2_T3_T4_T5_
; %bb.0:
	s_load_dwordx2 s[2:3], s[4:5], 0x0
	s_load_dwordx4 s[8:11], s[4:5], 0x10
	s_lshl_b32 s12, s6, 10
	v_mov_b32_e32 v3, 0
	v_or_b32_e32 v1, s12, v0
	s_waitcnt lgkmcnt(0)
	s_sub_i32 s13, s2, s12
	v_cmp_gt_i32_e32 vcc, s13, v0
	v_mov_b32_e32 v5, 0
	v_mov_b32_e32 v2, v0
	s_and_saveexec_b64 s[6:7], vcc
	s_cbranch_execz .LBB197_2
; %bb.1:
	v_mov_b32_e32 v2, 0
	v_lshlrev_b64 v[4:5], 1, v[1:2]
	v_mov_b32_e32 v2, s11
	v_add_co_u32_e64 v4, s[0:1], s10, v4
	v_addc_co_u32_e64 v5, s[0:1], v2, v5, s[0:1]
	global_load_ushort v5, v[4:5], off
	v_or_b32_e32 v2, 0x100, v0
.LBB197_2:
	s_or_b64 exec, exec, s[6:7]
	v_cmp_gt_i32_e64 s[0:1], s13, v2
	s_and_saveexec_b64 s[6:7], s[0:1]
	s_cbranch_execz .LBB197_4
; %bb.3:
	v_add_u32_e32 v3, s12, v2
	v_mov_b32_e32 v4, 0
	v_lshlrev_b64 v[3:4], 1, v[3:4]
	v_mov_b32_e32 v6, s11
	v_add_co_u32_e64 v3, s[0:1], s10, v3
	v_addc_co_u32_e64 v4, s[0:1], v6, v4, s[0:1]
	global_load_ushort v3, v[3:4], off
	v_add_u32_e32 v2, 0x100, v2
.LBB197_4:
	s_or_b64 exec, exec, s[6:7]
	v_cmp_gt_i32_e64 s[0:1], s13, v2
	v_mov_b32_e32 v4, 0
	v_mov_b32_e32 v6, 0
	s_and_saveexec_b64 s[6:7], s[0:1]
	s_cbranch_execz .LBB197_6
; %bb.5:
	v_add_u32_e32 v6, s12, v2
	v_mov_b32_e32 v7, 0
	v_lshlrev_b64 v[6:7], 1, v[6:7]
	v_mov_b32_e32 v8, s11
	v_add_co_u32_e64 v6, s[0:1], s10, v6
	v_addc_co_u32_e64 v7, s[0:1], v8, v7, s[0:1]
	global_load_ushort v6, v[6:7], off
	v_add_u32_e32 v2, 0x100, v2
.LBB197_6:
	s_or_b64 exec, exec, s[6:7]
	s_load_dword s2, s[4:5], 0x8
	v_cmp_gt_i32_e64 s[0:1], s13, v2
	s_and_saveexec_b64 s[4:5], s[0:1]
	s_cbranch_execz .LBB197_8
; %bb.7:
	v_add_u32_e32 v7, s12, v2
	v_mov_b32_e32 v8, 0
	v_lshlrev_b64 v[7:8], 1, v[7:8]
	v_mov_b32_e32 v2, s11
	v_add_co_u32_e64 v7, s[0:1], s10, v7
	v_addc_co_u32_e64 v8, s[0:1], v2, v8, s[0:1]
	global_load_ushort v4, v[7:8], off
.LBB197_8:
	s_or_b64 exec, exec, s[4:5]
	v_mov_b32_e32 v2, s3
	s_lshr_b32 s4, s3, 16
	s_waitcnt lgkmcnt(0)
	v_cmp_le_f16_e64 s[0:1], s2, v2
	s_and_saveexec_b64 s[2:3], vcc
	s_cbranch_execnz .LBB197_13
; %bb.9:
	s_or_b64 exec, exec, s[2:3]
	v_cmp_gt_i32_e32 vcc, s13, v0
	s_and_saveexec_b64 s[2:3], vcc
	s_cbranch_execnz .LBB197_14
.LBB197_10:
	s_or_b64 exec, exec, s[2:3]
	v_cmp_gt_i32_e32 vcc, s13, v0
	s_and_saveexec_b64 s[2:3], vcc
	s_cbranch_execnz .LBB197_15
.LBB197_11:
	s_or_b64 exec, exec, s[2:3]
	v_cmp_gt_i32_e32 vcc, s13, v0
	s_and_saveexec_b64 s[2:3], vcc
	s_cbranch_execnz .LBB197_16
.LBB197_12:
	s_endpgm
.LBB197_13:
	v_mov_b32_e32 v2, 0
	v_lshlrev_b64 v[1:2], 1, v[1:2]
	v_mov_b32_e32 v7, s9
	v_add_co_u32_e32 v1, vcc, s8, v1
	v_addc_co_u32_e32 v2, vcc, v7, v2, vcc
	v_mov_b32_e32 v7, s4
	v_or_b32_e32 v0, 0x100, v0
	s_waitcnt vmcnt(0)
	v_cndmask_b32_e64 v5, v5, v7, s[0:1]
	global_store_short v[1:2], v5, off
	s_or_b64 exec, exec, s[2:3]
	v_cmp_gt_i32_e32 vcc, s13, v0
	s_and_saveexec_b64 s[2:3], vcc
	s_cbranch_execz .LBB197_10
.LBB197_14:
	v_mov_b32_e32 v1, s4
	s_waitcnt vmcnt(0)
	v_cndmask_b32_e64 v2, v3, v1, s[0:1]
	v_add_u32_e32 v3, 0x100, v0
	v_add_u32_e32 v0, s12, v0
	v_mov_b32_e32 v1, 0
	v_lshlrev_b64 v[0:1], 1, v[0:1]
	v_mov_b32_e32 v5, s9
	v_add_co_u32_e32 v0, vcc, s8, v0
	v_addc_co_u32_e32 v1, vcc, v5, v1, vcc
	global_store_short v[0:1], v2, off
	v_mov_b32_e32 v0, v3
	s_or_b64 exec, exec, s[2:3]
	v_cmp_gt_i32_e32 vcc, s13, v0
	s_and_saveexec_b64 s[2:3], vcc
	s_cbranch_execz .LBB197_11
.LBB197_15:
	v_mov_b32_e32 v1, s4
	s_waitcnt vmcnt(0)
	v_cndmask_b32_e64 v2, v6, v1, s[0:1]
	v_add_u32_e32 v3, 0x100, v0
	v_add_u32_e32 v0, s12, v0
	v_mov_b32_e32 v1, 0
	v_lshlrev_b64 v[0:1], 1, v[0:1]
	v_mov_b32_e32 v5, s9
	v_add_co_u32_e32 v0, vcc, s8, v0
	v_addc_co_u32_e32 v1, vcc, v5, v1, vcc
	global_store_short v[0:1], v2, off
	v_mov_b32_e32 v0, v3
	s_or_b64 exec, exec, s[2:3]
	v_cmp_gt_i32_e32 vcc, s13, v0
	s_and_saveexec_b64 s[2:3], vcc
	s_cbranch_execz .LBB197_12
.LBB197_16:
	v_mov_b32_e32 v1, s4
	s_waitcnt vmcnt(0)
	v_cndmask_b32_e64 v2, v4, v1, s[0:1]
	v_add_u32_e32 v0, s12, v0
	v_mov_b32_e32 v1, 0
	v_lshlrev_b64 v[0:1], 1, v[0:1]
	v_mov_b32_e32 v3, s9
	v_add_co_u32_e32 v0, vcc, s8, v0
	v_addc_co_u32_e32 v1, vcc, v3, v1, vcc
	global_store_short v[0:1], v2, off
	s_endpgm
	.section	.rodata,"a",@progbits
	.p2align	6, 0x0
	.amdhsa_kernel _ZN2at6native27unrolled_elementwise_kernelINS0_13AUnaryFunctorIN3c104HalfES4_S4_ZNS0_12_GLOBAL__N_121threshold_kernel_implIS4_EEvRNS_18TensorIteratorBaseET_S9_EUlS4_S4_E_EESt5arrayIPcLm2EELi4E23TrivialOffsetCalculatorILi1EjESG_NS0_6memory15LoadWithoutCastENSH_16StoreWithoutCastEEEviS9_T0_T2_T3_T4_T5_
		.amdhsa_group_segment_fixed_size 0
		.amdhsa_private_segment_fixed_size 0
		.amdhsa_kernarg_size 36
		.amdhsa_user_sgpr_count 6
		.amdhsa_user_sgpr_private_segment_buffer 1
		.amdhsa_user_sgpr_dispatch_ptr 0
		.amdhsa_user_sgpr_queue_ptr 0
		.amdhsa_user_sgpr_kernarg_segment_ptr 1
		.amdhsa_user_sgpr_dispatch_id 0
		.amdhsa_user_sgpr_flat_scratch_init 0
		.amdhsa_user_sgpr_private_segment_size 0
		.amdhsa_uses_dynamic_stack 0
		.amdhsa_system_sgpr_private_segment_wavefront_offset 0
		.amdhsa_system_sgpr_workgroup_id_x 1
		.amdhsa_system_sgpr_workgroup_id_y 0
		.amdhsa_system_sgpr_workgroup_id_z 0
		.amdhsa_system_sgpr_workgroup_info 0
		.amdhsa_system_vgpr_workitem_id 0
		.amdhsa_next_free_vgpr 9
		.amdhsa_next_free_sgpr 14
		.amdhsa_reserve_vcc 1
		.amdhsa_reserve_flat_scratch 0
		.amdhsa_float_round_mode_32 0
		.amdhsa_float_round_mode_16_64 0
		.amdhsa_float_denorm_mode_32 3
		.amdhsa_float_denorm_mode_16_64 3
		.amdhsa_dx10_clamp 1
		.amdhsa_ieee_mode 1
		.amdhsa_fp16_overflow 0
		.amdhsa_exception_fp_ieee_invalid_op 0
		.amdhsa_exception_fp_denorm_src 0
		.amdhsa_exception_fp_ieee_div_zero 0
		.amdhsa_exception_fp_ieee_overflow 0
		.amdhsa_exception_fp_ieee_underflow 0
		.amdhsa_exception_fp_ieee_inexact 0
		.amdhsa_exception_int_div_zero 0
	.end_amdhsa_kernel
	.section	.text._ZN2at6native27unrolled_elementwise_kernelINS0_13AUnaryFunctorIN3c104HalfES4_S4_ZNS0_12_GLOBAL__N_121threshold_kernel_implIS4_EEvRNS_18TensorIteratorBaseET_S9_EUlS4_S4_E_EESt5arrayIPcLm2EELi4E23TrivialOffsetCalculatorILi1EjESG_NS0_6memory15LoadWithoutCastENSH_16StoreWithoutCastEEEviS9_T0_T2_T3_T4_T5_,"axG",@progbits,_ZN2at6native27unrolled_elementwise_kernelINS0_13AUnaryFunctorIN3c104HalfES4_S4_ZNS0_12_GLOBAL__N_121threshold_kernel_implIS4_EEvRNS_18TensorIteratorBaseET_S9_EUlS4_S4_E_EESt5arrayIPcLm2EELi4E23TrivialOffsetCalculatorILi1EjESG_NS0_6memory15LoadWithoutCastENSH_16StoreWithoutCastEEEviS9_T0_T2_T3_T4_T5_,comdat
.Lfunc_end197:
	.size	_ZN2at6native27unrolled_elementwise_kernelINS0_13AUnaryFunctorIN3c104HalfES4_S4_ZNS0_12_GLOBAL__N_121threshold_kernel_implIS4_EEvRNS_18TensorIteratorBaseET_S9_EUlS4_S4_E_EESt5arrayIPcLm2EELi4E23TrivialOffsetCalculatorILi1EjESG_NS0_6memory15LoadWithoutCastENSH_16StoreWithoutCastEEEviS9_T0_T2_T3_T4_T5_, .Lfunc_end197-_ZN2at6native27unrolled_elementwise_kernelINS0_13AUnaryFunctorIN3c104HalfES4_S4_ZNS0_12_GLOBAL__N_121threshold_kernel_implIS4_EEvRNS_18TensorIteratorBaseET_S9_EUlS4_S4_E_EESt5arrayIPcLm2EELi4E23TrivialOffsetCalculatorILi1EjESG_NS0_6memory15LoadWithoutCastENSH_16StoreWithoutCastEEEviS9_T0_T2_T3_T4_T5_
                                        ; -- End function
	.set _ZN2at6native27unrolled_elementwise_kernelINS0_13AUnaryFunctorIN3c104HalfES4_S4_ZNS0_12_GLOBAL__N_121threshold_kernel_implIS4_EEvRNS_18TensorIteratorBaseET_S9_EUlS4_S4_E_EESt5arrayIPcLm2EELi4E23TrivialOffsetCalculatorILi1EjESG_NS0_6memory15LoadWithoutCastENSH_16StoreWithoutCastEEEviS9_T0_T2_T3_T4_T5_.num_vgpr, 9
	.set _ZN2at6native27unrolled_elementwise_kernelINS0_13AUnaryFunctorIN3c104HalfES4_S4_ZNS0_12_GLOBAL__N_121threshold_kernel_implIS4_EEvRNS_18TensorIteratorBaseET_S9_EUlS4_S4_E_EESt5arrayIPcLm2EELi4E23TrivialOffsetCalculatorILi1EjESG_NS0_6memory15LoadWithoutCastENSH_16StoreWithoutCastEEEviS9_T0_T2_T3_T4_T5_.num_agpr, 0
	.set _ZN2at6native27unrolled_elementwise_kernelINS0_13AUnaryFunctorIN3c104HalfES4_S4_ZNS0_12_GLOBAL__N_121threshold_kernel_implIS4_EEvRNS_18TensorIteratorBaseET_S9_EUlS4_S4_E_EESt5arrayIPcLm2EELi4E23TrivialOffsetCalculatorILi1EjESG_NS0_6memory15LoadWithoutCastENSH_16StoreWithoutCastEEEviS9_T0_T2_T3_T4_T5_.numbered_sgpr, 14
	.set _ZN2at6native27unrolled_elementwise_kernelINS0_13AUnaryFunctorIN3c104HalfES4_S4_ZNS0_12_GLOBAL__N_121threshold_kernel_implIS4_EEvRNS_18TensorIteratorBaseET_S9_EUlS4_S4_E_EESt5arrayIPcLm2EELi4E23TrivialOffsetCalculatorILi1EjESG_NS0_6memory15LoadWithoutCastENSH_16StoreWithoutCastEEEviS9_T0_T2_T3_T4_T5_.num_named_barrier, 0
	.set _ZN2at6native27unrolled_elementwise_kernelINS0_13AUnaryFunctorIN3c104HalfES4_S4_ZNS0_12_GLOBAL__N_121threshold_kernel_implIS4_EEvRNS_18TensorIteratorBaseET_S9_EUlS4_S4_E_EESt5arrayIPcLm2EELi4E23TrivialOffsetCalculatorILi1EjESG_NS0_6memory15LoadWithoutCastENSH_16StoreWithoutCastEEEviS9_T0_T2_T3_T4_T5_.private_seg_size, 0
	.set _ZN2at6native27unrolled_elementwise_kernelINS0_13AUnaryFunctorIN3c104HalfES4_S4_ZNS0_12_GLOBAL__N_121threshold_kernel_implIS4_EEvRNS_18TensorIteratorBaseET_S9_EUlS4_S4_E_EESt5arrayIPcLm2EELi4E23TrivialOffsetCalculatorILi1EjESG_NS0_6memory15LoadWithoutCastENSH_16StoreWithoutCastEEEviS9_T0_T2_T3_T4_T5_.uses_vcc, 1
	.set _ZN2at6native27unrolled_elementwise_kernelINS0_13AUnaryFunctorIN3c104HalfES4_S4_ZNS0_12_GLOBAL__N_121threshold_kernel_implIS4_EEvRNS_18TensorIteratorBaseET_S9_EUlS4_S4_E_EESt5arrayIPcLm2EELi4E23TrivialOffsetCalculatorILi1EjESG_NS0_6memory15LoadWithoutCastENSH_16StoreWithoutCastEEEviS9_T0_T2_T3_T4_T5_.uses_flat_scratch, 0
	.set _ZN2at6native27unrolled_elementwise_kernelINS0_13AUnaryFunctorIN3c104HalfES4_S4_ZNS0_12_GLOBAL__N_121threshold_kernel_implIS4_EEvRNS_18TensorIteratorBaseET_S9_EUlS4_S4_E_EESt5arrayIPcLm2EELi4E23TrivialOffsetCalculatorILi1EjESG_NS0_6memory15LoadWithoutCastENSH_16StoreWithoutCastEEEviS9_T0_T2_T3_T4_T5_.has_dyn_sized_stack, 0
	.set _ZN2at6native27unrolled_elementwise_kernelINS0_13AUnaryFunctorIN3c104HalfES4_S4_ZNS0_12_GLOBAL__N_121threshold_kernel_implIS4_EEvRNS_18TensorIteratorBaseET_S9_EUlS4_S4_E_EESt5arrayIPcLm2EELi4E23TrivialOffsetCalculatorILi1EjESG_NS0_6memory15LoadWithoutCastENSH_16StoreWithoutCastEEEviS9_T0_T2_T3_T4_T5_.has_recursion, 0
	.set _ZN2at6native27unrolled_elementwise_kernelINS0_13AUnaryFunctorIN3c104HalfES4_S4_ZNS0_12_GLOBAL__N_121threshold_kernel_implIS4_EEvRNS_18TensorIteratorBaseET_S9_EUlS4_S4_E_EESt5arrayIPcLm2EELi4E23TrivialOffsetCalculatorILi1EjESG_NS0_6memory15LoadWithoutCastENSH_16StoreWithoutCastEEEviS9_T0_T2_T3_T4_T5_.has_indirect_call, 0
	.section	.AMDGPU.csdata,"",@progbits
; Kernel info:
; codeLenInByte = 700
; TotalNumSgprs: 18
; NumVgprs: 9
; ScratchSize: 0
; MemoryBound: 0
; FloatMode: 240
; IeeeMode: 1
; LDSByteSize: 0 bytes/workgroup (compile time only)
; SGPRBlocks: 2
; VGPRBlocks: 2
; NumSGPRsForWavesPerEU: 18
; NumVGPRsForWavesPerEU: 9
; Occupancy: 10
; WaveLimiterHint : 0
; COMPUTE_PGM_RSRC2:SCRATCH_EN: 0
; COMPUTE_PGM_RSRC2:USER_SGPR: 6
; COMPUTE_PGM_RSRC2:TRAP_HANDLER: 0
; COMPUTE_PGM_RSRC2:TGID_X_EN: 1
; COMPUTE_PGM_RSRC2:TGID_Y_EN: 0
; COMPUTE_PGM_RSRC2:TGID_Z_EN: 0
; COMPUTE_PGM_RSRC2:TIDIG_COMP_CNT: 0
	.section	.text._ZN2at6native32elementwise_kernel_manual_unrollILi128ELi8EZNS0_22gpu_kernel_impl_nocastINS0_13AUnaryFunctorIN3c104HalfES5_S5_ZNS0_12_GLOBAL__N_121threshold_kernel_implIS5_EEvRNS_18TensorIteratorBaseET_SA_EUlS5_S5_E_EEEEvS9_RKSA_EUlibE_EEviT1_,"axG",@progbits,_ZN2at6native32elementwise_kernel_manual_unrollILi128ELi8EZNS0_22gpu_kernel_impl_nocastINS0_13AUnaryFunctorIN3c104HalfES5_S5_ZNS0_12_GLOBAL__N_121threshold_kernel_implIS5_EEvRNS_18TensorIteratorBaseET_SA_EUlS5_S5_E_EEEEvS9_RKSA_EUlibE_EEviT1_,comdat
	.globl	_ZN2at6native32elementwise_kernel_manual_unrollILi128ELi8EZNS0_22gpu_kernel_impl_nocastINS0_13AUnaryFunctorIN3c104HalfES5_S5_ZNS0_12_GLOBAL__N_121threshold_kernel_implIS5_EEvRNS_18TensorIteratorBaseET_SA_EUlS5_S5_E_EEEEvS9_RKSA_EUlibE_EEviT1_ ; -- Begin function _ZN2at6native32elementwise_kernel_manual_unrollILi128ELi8EZNS0_22gpu_kernel_impl_nocastINS0_13AUnaryFunctorIN3c104HalfES5_S5_ZNS0_12_GLOBAL__N_121threshold_kernel_implIS5_EEvRNS_18TensorIteratorBaseET_SA_EUlS5_S5_E_EEEEvS9_RKSA_EUlibE_EEviT1_
	.p2align	8
	.type	_ZN2at6native32elementwise_kernel_manual_unrollILi128ELi8EZNS0_22gpu_kernel_impl_nocastINS0_13AUnaryFunctorIN3c104HalfES5_S5_ZNS0_12_GLOBAL__N_121threshold_kernel_implIS5_EEvRNS_18TensorIteratorBaseET_SA_EUlS5_S5_E_EEEEvS9_RKSA_EUlibE_EEviT1_,@function
_ZN2at6native32elementwise_kernel_manual_unrollILi128ELi8EZNS0_22gpu_kernel_impl_nocastINS0_13AUnaryFunctorIN3c104HalfES5_S5_ZNS0_12_GLOBAL__N_121threshold_kernel_implIS5_EEvRNS_18TensorIteratorBaseET_SA_EUlS5_S5_E_EEEEvS9_RKSA_EUlibE_EEviT1_: ; @_ZN2at6native32elementwise_kernel_manual_unrollILi128ELi8EZNS0_22gpu_kernel_impl_nocastINS0_13AUnaryFunctorIN3c104HalfES5_S5_ZNS0_12_GLOBAL__N_121threshold_kernel_implIS5_EEvRNS_18TensorIteratorBaseET_SA_EUlS5_S5_E_EEEEvS9_RKSA_EUlibE_EEviT1_
; %bb.0:
	s_load_dword s58, s[4:5], 0x0
	s_load_dword s33, s[4:5], 0x8
	s_add_u32 s34, s4, 8
	s_addc_u32 s35, s5, 0
	v_lshl_or_b32 v19, s6, 10, v0
	v_or_b32_e32 v25, 0x380, v19
	s_waitcnt lgkmcnt(0)
	s_add_i32 s56, s33, -1
	s_cmp_gt_u32 s56, 1
	v_cmp_le_i32_e32 vcc, s58, v25
	s_cselect_b64 s[2:3], -1, 0
	s_and_saveexec_b64 s[0:1], vcc
	s_xor_b64 s[40:41], exec, s[0:1]
	s_cbranch_execz .LBB198_7
; %bb.1:
	s_load_dwordx4 s[24:27], s[34:35], 0x4
	s_load_dwordx2 s[42:43], s[34:35], 0x14
	s_load_dwordx2 s[0:1], s[34:35], 0x158
	s_cmp_lg_u32 s33, 0
	s_load_dwordx4 s[28:31], s[34:35], 0xc4
	s_load_dwordx4 s[20:23], s[34:35], 0x148
	s_cselect_b64 s[48:49], -1, 0
	s_add_u32 s46, s34, 0xc4
	s_addc_u32 s47, s35, 0
	s_min_u32 s59, s56, 15
	s_cmp_gt_u32 s33, 1
	s_waitcnt lgkmcnt(0)
	v_mov_b32_e32 v0, s0
	s_cselect_b64 s[44:45], -1, 0
	s_lshr_b32 s57, s0, 16
	v_cmp_le_f16_e64 s[0:1], s1, v0
	v_cmp_gt_i32_e32 vcc, s58, v19
	s_and_saveexec_b64 s[50:51], vcc
	s_cbranch_execz .LBB198_14
; %bb.2:
	s_andn2_b64 vcc, exec, s[2:3]
	s_cbranch_vccnz .LBB198_21
; %bb.3:
	s_andn2_b64 vcc, exec, s[48:49]
	s_cbranch_vccnz .LBB198_129
; %bb.4:
	s_add_i32 s61, s59, 1
	s_cmp_eq_u32 s56, 2
	s_cbranch_scc1 .LBB198_131
; %bb.5:
	s_and_b32 s60, s61, 28
	v_mov_b32_e32 v2, 0
	s_mov_b32 s62, 0
	s_mov_b64 s[52:53], s[34:35]
	s_mov_b64 s[54:55], s[46:47]
	v_mov_b32_e32 v0, 0
	v_mov_b32_e32 v1, v19
.LBB198_6:                              ; =>This Inner Loop Header: Depth=1
	s_load_dwordx8 s[12:19], s[52:53], 0x4
	s_load_dwordx4 s[36:39], s[52:53], 0x24
	s_load_dwordx8 s[4:11], s[54:55], 0x0
	s_add_u32 s52, s52, 48
	s_addc_u32 s53, s53, 0
	s_waitcnt lgkmcnt(0)
	v_mul_hi_u32 v3, s13, v1
	s_add_i32 s62, s62, 4
	s_add_u32 s54, s54, 32
	s_addc_u32 s55, s55, 0
	v_add_u32_e32 v3, v1, v3
	v_lshrrev_b32_e32 v3, s14, v3
	v_mul_lo_u32 v4, v3, s12
	v_mul_hi_u32 v5, s16, v3
	s_cmp_lg_u32 s60, s62
	v_sub_u32_e32 v1, v1, v4
	v_add_u32_e32 v4, v3, v5
	v_mul_lo_u32 v5, v1, s4
	v_mul_lo_u32 v6, v1, s5
	v_lshrrev_b32_e32 v1, s17, v4
	v_mul_lo_u32 v4, v1, s15
	v_mul_hi_u32 v7, s19, v1
	v_sub_u32_e32 v3, v3, v4
	v_add_u32_e32 v4, v1, v7
	v_lshrrev_b32_e32 v4, s36, v4
	v_mul_hi_u32 v8, s38, v4
	v_mul_lo_u32 v9, v4, s18
	v_mul_lo_u32 v7, v3, s6
	;; [unrolled: 1-line block ×3, first 2 shown]
	v_sub_u32_e32 v9, v1, v9
	v_add_u32_e32 v1, v4, v8
	v_lshrrev_b32_e32 v1, s39, v1
	v_mul_lo_u32 v8, v1, s37
	v_mul_lo_u32 v10, v9, s8
	;; [unrolled: 1-line block ×3, first 2 shown]
	v_add3_u32 v0, v5, v0, v7
	v_sub_u32_e32 v4, v4, v8
	v_mul_lo_u32 v8, v4, s10
	v_mul_lo_u32 v4, v4, s11
	v_add3_u32 v2, v6, v2, v3
	v_add3_u32 v0, v10, v0, v8
	;; [unrolled: 1-line block ×3, first 2 shown]
	s_cbranch_scc1 .LBB198_6
	s_branch .LBB198_132
.LBB198_7:
	s_andn2_saveexec_b64 s[0:1], s[40:41]
	s_cbranch_execz .LBB198_221
.LBB198_8:
	v_cndmask_b32_e64 v0, 0, 1, s[2:3]
	v_cmp_ne_u32_e64 s[0:1], 1, v0
	s_andn2_b64 vcc, exec, s[2:3]
	s_cbranch_vccnz .LBB198_20
; %bb.9:
	s_cmp_lg_u32 s33, 0
	s_mov_b32 s26, 0
	s_cbranch_scc0 .LBB198_23
; %bb.10:
	s_min_u32 s27, s56, 15
	s_add_i32 s27, s27, 1
	s_cmp_eq_u32 s56, 2
	s_cbranch_scc1 .LBB198_24
; %bb.11:
	s_and_b32 s26, s27, 28
	s_add_u32 s2, s34, 0xc4
	s_addc_u32 s3, s35, 0
	v_mov_b32_e32 v2, 0
	s_mov_b32 s28, 0
	s_mov_b64 s[24:25], s[34:35]
	v_mov_b32_e32 v0, 0
	v_mov_b32_e32 v1, v19
.LBB198_12:                             ; =>This Inner Loop Header: Depth=1
	s_load_dwordx8 s[12:19], s[24:25], 0x4
	s_load_dwordx4 s[20:23], s[24:25], 0x24
	s_load_dwordx8 s[4:11], s[2:3], 0x0
	s_add_u32 s24, s24, 48
	s_addc_u32 s25, s25, 0
	s_waitcnt lgkmcnt(0)
	v_mul_hi_u32 v3, s13, v1
	s_add_i32 s28, s28, 4
	s_add_u32 s2, s2, 32
	s_addc_u32 s3, s3, 0
	v_add_u32_e32 v3, v1, v3
	v_lshrrev_b32_e32 v3, s14, v3
	v_mul_lo_u32 v4, v3, s12
	v_mul_hi_u32 v5, s16, v3
	s_cmp_lg_u32 s26, s28
	v_sub_u32_e32 v1, v1, v4
	v_add_u32_e32 v4, v3, v5
	v_mul_lo_u32 v5, v1, s4
	v_mul_lo_u32 v6, v1, s5
	v_lshrrev_b32_e32 v1, s17, v4
	v_mul_lo_u32 v4, v1, s15
	v_mul_hi_u32 v7, s19, v1
	v_sub_u32_e32 v3, v3, v4
	v_add_u32_e32 v4, v1, v7
	v_lshrrev_b32_e32 v4, s20, v4
	v_mul_hi_u32 v8, s22, v4
	v_mul_lo_u32 v9, v4, s18
	v_mul_lo_u32 v7, v3, s6
	;; [unrolled: 1-line block ×3, first 2 shown]
	v_sub_u32_e32 v9, v1, v9
	v_add_u32_e32 v1, v4, v8
	v_lshrrev_b32_e32 v1, s23, v1
	v_mul_lo_u32 v8, v1, s21
	v_mul_lo_u32 v10, v9, s8
	;; [unrolled: 1-line block ×3, first 2 shown]
	v_add3_u32 v0, v5, v0, v7
	v_sub_u32_e32 v4, v4, v8
	v_mul_lo_u32 v8, v4, s10
	v_mul_lo_u32 v4, v4, s11
	v_add3_u32 v2, v6, v2, v3
	v_add3_u32 v0, v10, v0, v8
	v_add3_u32 v2, v9, v2, v4
	s_cbranch_scc1 .LBB198_12
; %bb.13:
	s_and_b32 s6, s27, 3
	s_cmp_eq_u32 s6, 0
	s_cbranch_scc0 .LBB198_25
	s_branch .LBB198_27
.LBB198_14:
	s_or_b64 exec, exec, s[50:51]
	v_cmp_gt_i32_e32 vcc, s58, v19
	s_and_saveexec_b64 s[50:51], vcc
	s_cbranch_execz .LBB198_139
.LBB198_15:
	s_andn2_b64 vcc, exec, s[2:3]
	s_cbranch_vccnz .LBB198_22
; %bb.16:
	s_andn2_b64 vcc, exec, s[48:49]
	s_cbranch_vccnz .LBB198_130
; %bb.17:
	s_add_i32 s61, s59, 1
	s_cmp_eq_u32 s56, 2
	s_cbranch_scc1 .LBB198_147
; %bb.18:
	s_and_b32 s60, s61, 28
	v_mov_b32_e32 v2, 0
	s_mov_b32 s62, 0
	s_mov_b64 s[52:53], s[34:35]
	s_mov_b64 s[54:55], s[46:47]
	v_mov_b32_e32 v0, 0
	v_mov_b32_e32 v1, v19
.LBB198_19:                             ; =>This Inner Loop Header: Depth=1
	s_load_dwordx8 s[12:19], s[52:53], 0x4
	s_load_dwordx4 s[36:39], s[52:53], 0x24
	s_load_dwordx8 s[4:11], s[54:55], 0x0
	s_add_u32 s52, s52, 48
	s_addc_u32 s53, s53, 0
	s_waitcnt lgkmcnt(0)
	v_mul_hi_u32 v3, s13, v1
	s_add_i32 s62, s62, 4
	s_add_u32 s54, s54, 32
	s_addc_u32 s55, s55, 0
	v_add_u32_e32 v3, v1, v3
	v_lshrrev_b32_e32 v3, s14, v3
	v_mul_lo_u32 v4, v3, s12
	v_mul_hi_u32 v5, s16, v3
	s_cmp_eq_u32 s60, s62
	v_sub_u32_e32 v1, v1, v4
	v_add_u32_e32 v4, v3, v5
	v_mul_lo_u32 v5, v1, s4
	v_mul_lo_u32 v6, v1, s5
	v_lshrrev_b32_e32 v1, s17, v4
	v_mul_lo_u32 v4, v1, s15
	v_mul_hi_u32 v7, s19, v1
	v_sub_u32_e32 v3, v3, v4
	v_add_u32_e32 v4, v1, v7
	v_lshrrev_b32_e32 v4, s36, v4
	v_mul_hi_u32 v8, s38, v4
	v_mul_lo_u32 v9, v4, s18
	v_mul_lo_u32 v7, v3, s6
	;; [unrolled: 1-line block ×3, first 2 shown]
	v_sub_u32_e32 v9, v1, v9
	v_add_u32_e32 v1, v4, v8
	v_lshrrev_b32_e32 v1, s39, v1
	v_mul_lo_u32 v8, v1, s37
	v_mul_lo_u32 v10, v9, s8
	;; [unrolled: 1-line block ×3, first 2 shown]
	v_add3_u32 v0, v5, v0, v7
	v_sub_u32_e32 v4, v4, v8
	v_mul_lo_u32 v8, v4, s10
	v_mul_lo_u32 v4, v4, s11
	v_add3_u32 v2, v6, v2, v3
	v_add3_u32 v0, v10, v0, v8
	;; [unrolled: 1-line block ×3, first 2 shown]
	s_cbranch_scc0 .LBB198_19
	s_branch .LBB198_148
.LBB198_20:
                                        ; implicit-def: $vgpr0
                                        ; implicit-def: $vgpr2
	s_branch .LBB198_28
.LBB198_21:
                                        ; implicit-def: $vgpr0
                                        ; implicit-def: $vgpr2
	s_branch .LBB198_136
.LBB198_22:
                                        ; implicit-def: $vgpr0
                                        ; implicit-def: $vgpr2
	s_branch .LBB198_152
.LBB198_23:
	v_mov_b32_e32 v0, 0
	v_mov_b32_e32 v2, 0
	s_branch .LBB198_27
.LBB198_24:
	v_mov_b32_e32 v0, 0
	v_mov_b32_e32 v2, 0
	;; [unrolled: 1-line block ×3, first 2 shown]
	s_and_b32 s6, s27, 3
	s_cmp_eq_u32 s6, 0
	s_cbranch_scc1 .LBB198_27
.LBB198_25:
	s_lshl_b32 s2, s26, 3
	s_add_u32 s2, s34, s2
	s_addc_u32 s3, s35, 0
	s_add_u32 s2, s2, 0xc4
	s_addc_u32 s3, s3, 0
	s_mul_i32 s4, s26, 12
	s_add_u32 s4, s34, s4
	s_addc_u32 s5, s35, 0
.LBB198_26:                             ; =>This Inner Loop Header: Depth=1
	s_load_dwordx2 s[8:9], s[4:5], 0x4
	s_load_dword s7, s[4:5], 0xc
	s_load_dwordx2 s[10:11], s[2:3], 0x0
	s_add_u32 s4, s4, 12
	s_addc_u32 s5, s5, 0
	s_waitcnt lgkmcnt(0)
	v_mul_hi_u32 v4, s9, v1
	s_add_u32 s2, s2, 8
	s_addc_u32 s3, s3, 0
	s_add_i32 s6, s6, -1
	v_add_u32_e32 v4, v1, v4
	v_lshrrev_b32_e32 v4, s7, v4
	v_mul_lo_u32 v5, v4, s8
	s_cmp_lg_u32 s6, 0
	v_sub_u32_e32 v5, v1, v5
	v_mad_u64_u32 v[0:1], s[8:9], v5, s10, v[0:1]
	v_mad_u64_u32 v[2:3], s[8:9], v5, s11, v[2:3]
	v_mov_b32_e32 v1, v4
	s_cbranch_scc1 .LBB198_26
.LBB198_27:
	s_cbranch_execnz .LBB198_30
.LBB198_28:
	s_load_dwordx4 s[4:7], s[34:35], 0x4
	s_load_dwordx2 s[2:3], s[34:35], 0xc4
	s_cmp_lt_u32 s33, 2
	s_waitcnt lgkmcnt(0)
	v_mul_hi_u32 v0, s5, v19
	v_add_u32_e32 v0, v19, v0
	v_lshrrev_b32_e32 v1, s6, v0
	v_mul_lo_u32 v0, v1, s4
	v_sub_u32_e32 v2, v19, v0
	v_mul_lo_u32 v0, v2, s2
	v_mul_lo_u32 v2, v2, s3
	s_cbranch_scc1 .LBB198_30
; %bb.29:
	s_load_dwordx4 s[4:7], s[34:35], 0x10
	s_load_dwordx2 s[2:3], s[34:35], 0xcc
	s_waitcnt lgkmcnt(0)
	v_mul_hi_u32 v3, s5, v1
	v_add_u32_e32 v3, v1, v3
	v_lshrrev_b32_e32 v3, s6, v3
	v_mul_lo_u32 v3, v3, s4
	v_sub_u32_e32 v3, v1, v3
	v_mad_u64_u32 v[0:1], s[4:5], v3, s2, v[0:1]
	v_mad_u64_u32 v[2:3], s[2:3], v3, s3, v[2:3]
.LBB198_30:
	s_and_b64 vcc, exec, s[0:1]
	v_add_u32_e32 v1, 0x80, v19
	s_cbranch_vccnz .LBB198_36
; %bb.31:
	s_cmp_lg_u32 s33, 0
	s_mov_b32 s26, 0
	s_cbranch_scc0 .LBB198_37
; %bb.32:
	s_min_u32 s27, s56, 15
	s_add_i32 s27, s27, 1
	s_cmp_eq_u32 s56, 2
	s_cbranch_scc1 .LBB198_38
; %bb.33:
	s_and_b32 s26, s27, 28
	s_add_u32 s2, s34, 0xc4
	s_addc_u32 s3, s35, 0
	v_mov_b32_e32 v5, 0
	s_mov_b32 s28, 0
	s_mov_b64 s[24:25], s[34:35]
	v_mov_b32_e32 v3, 0
	v_mov_b32_e32 v4, v1
.LBB198_34:                             ; =>This Inner Loop Header: Depth=1
	s_load_dwordx8 s[12:19], s[24:25], 0x4
	s_load_dwordx4 s[20:23], s[24:25], 0x24
	s_load_dwordx8 s[4:11], s[2:3], 0x0
	s_add_u32 s24, s24, 48
	s_addc_u32 s25, s25, 0
	s_waitcnt lgkmcnt(0)
	v_mul_hi_u32 v6, s13, v4
	s_add_i32 s28, s28, 4
	s_add_u32 s2, s2, 32
	s_addc_u32 s3, s3, 0
	v_add_u32_e32 v6, v4, v6
	v_lshrrev_b32_e32 v6, s14, v6
	v_mul_lo_u32 v7, v6, s12
	v_mul_hi_u32 v8, s16, v6
	s_cmp_lg_u32 s26, s28
	v_sub_u32_e32 v4, v4, v7
	v_add_u32_e32 v7, v6, v8
	v_mul_lo_u32 v8, v4, s4
	v_mul_lo_u32 v9, v4, s5
	v_lshrrev_b32_e32 v4, s17, v7
	v_mul_lo_u32 v7, v4, s15
	v_mul_hi_u32 v10, s19, v4
	v_sub_u32_e32 v6, v6, v7
	v_add_u32_e32 v7, v4, v10
	v_lshrrev_b32_e32 v7, s20, v7
	v_mul_hi_u32 v11, s22, v7
	v_mul_lo_u32 v12, v7, s18
	v_mul_lo_u32 v10, v6, s6
	;; [unrolled: 1-line block ×3, first 2 shown]
	v_sub_u32_e32 v12, v4, v12
	v_add_u32_e32 v4, v7, v11
	v_lshrrev_b32_e32 v4, s23, v4
	v_mul_lo_u32 v11, v4, s21
	v_mul_lo_u32 v13, v12, s8
	;; [unrolled: 1-line block ×3, first 2 shown]
	v_add3_u32 v3, v8, v3, v10
	v_sub_u32_e32 v7, v7, v11
	v_mul_lo_u32 v11, v7, s10
	v_mul_lo_u32 v7, v7, s11
	v_add3_u32 v5, v9, v5, v6
	v_add3_u32 v3, v13, v3, v11
	;; [unrolled: 1-line block ×3, first 2 shown]
	s_cbranch_scc1 .LBB198_34
; %bb.35:
	s_and_b32 s6, s27, 3
	s_cmp_eq_u32 s6, 0
	s_cbranch_scc0 .LBB198_39
	s_branch .LBB198_41
.LBB198_36:
                                        ; implicit-def: $vgpr3
                                        ; implicit-def: $vgpr5
	s_branch .LBB198_42
.LBB198_37:
	v_mov_b32_e32 v3, 0
	v_mov_b32_e32 v5, 0
	s_branch .LBB198_41
.LBB198_38:
	v_mov_b32_e32 v3, 0
	v_mov_b32_e32 v5, 0
	v_mov_b32_e32 v4, v1
	s_and_b32 s6, s27, 3
	s_cmp_eq_u32 s6, 0
	s_cbranch_scc1 .LBB198_41
.LBB198_39:
	s_lshl_b32 s2, s26, 3
	s_add_u32 s2, s34, s2
	s_addc_u32 s3, s35, 0
	s_add_u32 s2, s2, 0xc4
	s_addc_u32 s3, s3, 0
	s_mul_i32 s4, s26, 12
	s_add_u32 s4, s34, s4
	s_addc_u32 s5, s35, 0
.LBB198_40:                             ; =>This Inner Loop Header: Depth=1
	s_load_dwordx2 s[8:9], s[4:5], 0x4
	s_load_dword s7, s[4:5], 0xc
	s_load_dwordx2 s[10:11], s[2:3], 0x0
	s_add_u32 s4, s4, 12
	s_addc_u32 s5, s5, 0
	s_waitcnt lgkmcnt(0)
	v_mul_hi_u32 v7, s9, v4
	s_add_u32 s2, s2, 8
	s_addc_u32 s3, s3, 0
	s_add_i32 s6, s6, -1
	v_add_u32_e32 v7, v4, v7
	v_lshrrev_b32_e32 v7, s7, v7
	v_mul_lo_u32 v8, v7, s8
	s_cmp_lg_u32 s6, 0
	v_sub_u32_e32 v8, v4, v8
	v_mad_u64_u32 v[3:4], s[8:9], v8, s10, v[3:4]
	v_mad_u64_u32 v[5:6], s[8:9], v8, s11, v[5:6]
	v_mov_b32_e32 v4, v7
	s_cbranch_scc1 .LBB198_40
.LBB198_41:
	s_cbranch_execnz .LBB198_44
.LBB198_42:
	s_load_dwordx4 s[4:7], s[34:35], 0x4
	s_load_dwordx2 s[2:3], s[34:35], 0xc4
	s_cmp_lt_u32 s33, 2
	s_waitcnt lgkmcnt(0)
	v_mul_hi_u32 v3, s5, v1
	v_add_u32_e32 v3, v1, v3
	v_lshrrev_b32_e32 v4, s6, v3
	v_mul_lo_u32 v3, v4, s4
	v_sub_u32_e32 v1, v1, v3
	v_mul_lo_u32 v3, v1, s2
	v_mul_lo_u32 v5, v1, s3
	s_cbranch_scc1 .LBB198_44
; %bb.43:
	s_load_dwordx4 s[4:7], s[34:35], 0x10
	s_load_dwordx2 s[2:3], s[34:35], 0xcc
	s_waitcnt lgkmcnt(0)
	v_mul_hi_u32 v1, s5, v4
	v_add_u32_e32 v1, v4, v1
	v_lshrrev_b32_e32 v1, s6, v1
	v_mul_lo_u32 v1, v1, s4
	v_sub_u32_e32 v1, v4, v1
	v_mad_u64_u32 v[3:4], s[4:5], v1, s2, v[3:4]
	v_mad_u64_u32 v[5:6], s[2:3], v1, s3, v[5:6]
.LBB198_44:
	s_and_b64 vcc, exec, s[0:1]
	v_add_u32_e32 v1, 0x100, v19
	s_cbranch_vccnz .LBB198_50
; %bb.45:
	s_cmp_lg_u32 s33, 0
	s_mov_b32 s26, 0
	s_cbranch_scc0 .LBB198_51
; %bb.46:
	s_min_u32 s27, s56, 15
	s_add_i32 s27, s27, 1
	s_cmp_eq_u32 s56, 2
	s_cbranch_scc1 .LBB198_52
; %bb.47:
	s_and_b32 s26, s27, 28
	s_add_u32 s2, s34, 0xc4
	s_addc_u32 s3, s35, 0
	v_mov_b32_e32 v8, 0
	s_mov_b32 s28, 0
	s_mov_b64 s[24:25], s[34:35]
	v_mov_b32_e32 v6, 0
	v_mov_b32_e32 v4, v1
.LBB198_48:                             ; =>This Inner Loop Header: Depth=1
	s_load_dwordx8 s[12:19], s[24:25], 0x4
	s_load_dwordx4 s[20:23], s[24:25], 0x24
	s_load_dwordx8 s[4:11], s[2:3], 0x0
	s_add_u32 s24, s24, 48
	s_addc_u32 s25, s25, 0
	s_waitcnt lgkmcnt(0)
	v_mul_hi_u32 v7, s13, v4
	s_add_i32 s28, s28, 4
	s_add_u32 s2, s2, 32
	s_addc_u32 s3, s3, 0
	v_add_u32_e32 v7, v4, v7
	v_lshrrev_b32_e32 v7, s14, v7
	v_mul_lo_u32 v9, v7, s12
	v_mul_hi_u32 v10, s16, v7
	s_cmp_lg_u32 s26, s28
	v_sub_u32_e32 v4, v4, v9
	v_add_u32_e32 v9, v7, v10
	v_mul_lo_u32 v10, v4, s4
	v_mul_lo_u32 v11, v4, s5
	v_lshrrev_b32_e32 v4, s17, v9
	v_mul_lo_u32 v9, v4, s15
	v_mul_hi_u32 v12, s19, v4
	v_sub_u32_e32 v7, v7, v9
	v_add_u32_e32 v9, v4, v12
	v_lshrrev_b32_e32 v9, s20, v9
	v_mul_hi_u32 v13, s22, v9
	v_mul_lo_u32 v14, v9, s18
	v_mul_lo_u32 v12, v7, s6
	;; [unrolled: 1-line block ×3, first 2 shown]
	v_sub_u32_e32 v14, v4, v14
	v_add_u32_e32 v4, v9, v13
	v_lshrrev_b32_e32 v4, s23, v4
	v_mul_lo_u32 v13, v4, s21
	v_mul_lo_u32 v15, v14, s8
	;; [unrolled: 1-line block ×3, first 2 shown]
	v_add3_u32 v6, v10, v6, v12
	v_sub_u32_e32 v9, v9, v13
	v_mul_lo_u32 v13, v9, s10
	v_mul_lo_u32 v9, v9, s11
	v_add3_u32 v7, v11, v8, v7
	v_add3_u32 v6, v15, v6, v13
	;; [unrolled: 1-line block ×3, first 2 shown]
	s_cbranch_scc1 .LBB198_48
; %bb.49:
	s_and_b32 s6, s27, 3
	s_cmp_eq_u32 s6, 0
	s_cbranch_scc0 .LBB198_53
	s_branch .LBB198_55
.LBB198_50:
                                        ; implicit-def: $vgpr6
                                        ; implicit-def: $vgpr8
	s_branch .LBB198_56
.LBB198_51:
	v_mov_b32_e32 v6, 0
	v_mov_b32_e32 v8, 0
	s_branch .LBB198_55
.LBB198_52:
	v_mov_b32_e32 v6, 0
	v_mov_b32_e32 v8, 0
	;; [unrolled: 1-line block ×3, first 2 shown]
	s_and_b32 s6, s27, 3
	s_cmp_eq_u32 s6, 0
	s_cbranch_scc1 .LBB198_55
.LBB198_53:
	s_lshl_b32 s2, s26, 3
	s_add_u32 s2, s34, s2
	s_addc_u32 s3, s35, 0
	s_add_u32 s2, s2, 0xc4
	s_addc_u32 s3, s3, 0
	s_mul_i32 s4, s26, 12
	s_add_u32 s4, s34, s4
	s_addc_u32 s5, s35, 0
.LBB198_54:                             ; =>This Inner Loop Header: Depth=1
	s_load_dwordx2 s[8:9], s[4:5], 0x4
	s_load_dword s7, s[4:5], 0xc
	s_load_dwordx2 s[10:11], s[2:3], 0x0
	s_add_u32 s4, s4, 12
	s_addc_u32 s5, s5, 0
	s_waitcnt lgkmcnt(0)
	v_mul_hi_u32 v7, s9, v4
	s_add_u32 s2, s2, 8
	s_addc_u32 s3, s3, 0
	s_add_i32 s6, s6, -1
	v_add_u32_e32 v7, v4, v7
	v_lshrrev_b32_e32 v10, s7, v7
	v_mul_lo_u32 v7, v10, s8
	s_cmp_lg_u32 s6, 0
	v_sub_u32_e32 v4, v4, v7
	v_mad_u64_u32 v[6:7], s[8:9], v4, s10, v[6:7]
	v_mad_u64_u32 v[8:9], s[8:9], v4, s11, v[8:9]
	v_mov_b32_e32 v4, v10
	s_cbranch_scc1 .LBB198_54
.LBB198_55:
	s_cbranch_execnz .LBB198_58
.LBB198_56:
	s_load_dwordx4 s[4:7], s[34:35], 0x4
	s_load_dwordx2 s[2:3], s[34:35], 0xc4
	s_cmp_lt_u32 s33, 2
	s_waitcnt lgkmcnt(0)
	v_mul_hi_u32 v4, s5, v1
	v_add_u32_e32 v4, v1, v4
	v_lshrrev_b32_e32 v4, s6, v4
	v_mul_lo_u32 v6, v4, s4
	v_sub_u32_e32 v1, v1, v6
	v_mul_lo_u32 v6, v1, s2
	v_mul_lo_u32 v8, v1, s3
	s_cbranch_scc1 .LBB198_58
; %bb.57:
	s_load_dwordx4 s[4:7], s[34:35], 0x10
	s_load_dwordx2 s[2:3], s[34:35], 0xcc
	s_waitcnt lgkmcnt(0)
	v_mul_hi_u32 v1, s5, v4
	v_add_u32_e32 v1, v4, v1
	v_lshrrev_b32_e32 v1, s6, v1
	v_mul_lo_u32 v1, v1, s4
	v_sub_u32_e32 v1, v4, v1
	v_mad_u64_u32 v[6:7], s[4:5], v1, s2, v[6:7]
	v_mad_u64_u32 v[8:9], s[2:3], v1, s3, v[8:9]
.LBB198_58:
	s_and_b64 vcc, exec, s[0:1]
	v_add_u32_e32 v1, 0x180, v19
	s_cbranch_vccnz .LBB198_64
; %bb.59:
	s_cmp_lg_u32 s33, 0
	s_mov_b32 s26, 0
	s_cbranch_scc0 .LBB198_65
; %bb.60:
	s_min_u32 s27, s56, 15
	s_add_i32 s27, s27, 1
	s_cmp_eq_u32 s56, 2
	s_cbranch_scc1 .LBB198_66
; %bb.61:
	s_and_b32 s26, s27, 28
	s_add_u32 s2, s34, 0xc4
	s_addc_u32 s3, s35, 0
	v_mov_b32_e32 v11, 0
	s_mov_b32 s28, 0
	s_mov_b64 s[24:25], s[34:35]
	v_mov_b32_e32 v9, 0
	v_mov_b32_e32 v4, v1
.LBB198_62:                             ; =>This Inner Loop Header: Depth=1
	s_load_dwordx8 s[12:19], s[24:25], 0x4
	s_load_dwordx4 s[20:23], s[24:25], 0x24
	s_load_dwordx8 s[4:11], s[2:3], 0x0
	s_add_u32 s24, s24, 48
	s_addc_u32 s25, s25, 0
	s_waitcnt lgkmcnt(0)
	v_mul_hi_u32 v7, s13, v4
	s_add_i32 s28, s28, 4
	s_add_u32 s2, s2, 32
	s_addc_u32 s3, s3, 0
	v_add_u32_e32 v7, v4, v7
	v_lshrrev_b32_e32 v7, s14, v7
	v_mul_lo_u32 v10, v7, s12
	v_mul_hi_u32 v12, s16, v7
	s_cmp_lg_u32 s26, s28
	v_sub_u32_e32 v4, v4, v10
	v_add_u32_e32 v10, v7, v12
	v_mul_lo_u32 v12, v4, s4
	v_mul_lo_u32 v13, v4, s5
	v_lshrrev_b32_e32 v4, s17, v10
	v_mul_lo_u32 v10, v4, s15
	v_mul_hi_u32 v14, s19, v4
	v_sub_u32_e32 v7, v7, v10
	v_add_u32_e32 v10, v4, v14
	v_lshrrev_b32_e32 v10, s20, v10
	v_mul_hi_u32 v15, s22, v10
	v_mul_lo_u32 v16, v10, s18
	v_mul_lo_u32 v14, v7, s6
	;; [unrolled: 1-line block ×3, first 2 shown]
	v_sub_u32_e32 v16, v4, v16
	v_add_u32_e32 v4, v10, v15
	v_lshrrev_b32_e32 v4, s23, v4
	v_mul_lo_u32 v15, v4, s21
	v_mul_lo_u32 v17, v16, s8
	;; [unrolled: 1-line block ×3, first 2 shown]
	v_add3_u32 v9, v12, v9, v14
	v_sub_u32_e32 v10, v10, v15
	v_mul_lo_u32 v15, v10, s10
	v_mul_lo_u32 v10, v10, s11
	v_add3_u32 v7, v13, v11, v7
	v_add3_u32 v9, v17, v9, v15
	;; [unrolled: 1-line block ×3, first 2 shown]
	s_cbranch_scc1 .LBB198_62
; %bb.63:
	s_and_b32 s6, s27, 3
	s_cmp_eq_u32 s6, 0
	s_cbranch_scc0 .LBB198_67
	s_branch .LBB198_69
.LBB198_64:
                                        ; implicit-def: $vgpr9
                                        ; implicit-def: $vgpr11
	s_branch .LBB198_70
.LBB198_65:
	v_mov_b32_e32 v9, 0
	v_mov_b32_e32 v11, 0
	s_branch .LBB198_69
.LBB198_66:
	v_mov_b32_e32 v9, 0
	v_mov_b32_e32 v11, 0
	;; [unrolled: 1-line block ×3, first 2 shown]
	s_and_b32 s6, s27, 3
	s_cmp_eq_u32 s6, 0
	s_cbranch_scc1 .LBB198_69
.LBB198_67:
	s_lshl_b32 s2, s26, 3
	s_add_u32 s2, s34, s2
	s_addc_u32 s3, s35, 0
	s_add_u32 s2, s2, 0xc4
	s_addc_u32 s3, s3, 0
	s_mul_i32 s4, s26, 12
	s_add_u32 s4, s34, s4
	s_addc_u32 s5, s35, 0
.LBB198_68:                             ; =>This Inner Loop Header: Depth=1
	s_load_dwordx2 s[8:9], s[4:5], 0x4
	s_load_dword s7, s[4:5], 0xc
	s_load_dwordx2 s[10:11], s[2:3], 0x0
	s_add_u32 s4, s4, 12
	s_addc_u32 s5, s5, 0
	s_waitcnt lgkmcnt(0)
	v_mul_hi_u32 v7, s9, v4
	s_add_u32 s2, s2, 8
	s_addc_u32 s3, s3, 0
	s_add_i32 s6, s6, -1
	v_add_u32_e32 v7, v4, v7
	v_lshrrev_b32_e32 v7, s7, v7
	v_mul_lo_u32 v10, v7, s8
	s_cmp_lg_u32 s6, 0
	v_sub_u32_e32 v4, v4, v10
	v_mad_u64_u32 v[9:10], s[8:9], v4, s10, v[9:10]
	v_mad_u64_u32 v[11:12], s[8:9], v4, s11, v[11:12]
	v_mov_b32_e32 v4, v7
	s_cbranch_scc1 .LBB198_68
.LBB198_69:
	s_cbranch_execnz .LBB198_72
.LBB198_70:
	s_load_dwordx4 s[4:7], s[34:35], 0x4
	s_load_dwordx2 s[2:3], s[34:35], 0xc4
	s_cmp_lt_u32 s33, 2
	s_waitcnt lgkmcnt(0)
	v_mul_hi_u32 v4, s5, v1
	v_add_u32_e32 v4, v1, v4
	v_lshrrev_b32_e32 v4, s6, v4
	v_mul_lo_u32 v7, v4, s4
	v_sub_u32_e32 v1, v1, v7
	v_mul_lo_u32 v9, v1, s2
	v_mul_lo_u32 v11, v1, s3
	s_cbranch_scc1 .LBB198_72
; %bb.71:
	s_load_dwordx4 s[4:7], s[34:35], 0x10
	s_load_dwordx2 s[2:3], s[34:35], 0xcc
	s_waitcnt lgkmcnt(0)
	v_mul_hi_u32 v1, s5, v4
	v_add_u32_e32 v1, v4, v1
	v_lshrrev_b32_e32 v1, s6, v1
	v_mul_lo_u32 v1, v1, s4
	v_sub_u32_e32 v1, v4, v1
	v_mad_u64_u32 v[9:10], s[4:5], v1, s2, v[9:10]
	v_mad_u64_u32 v[11:12], s[2:3], v1, s3, v[11:12]
.LBB198_72:
	s_and_b64 vcc, exec, s[0:1]
	v_add_u32_e32 v1, 0x200, v19
	s_cbranch_vccnz .LBB198_78
; %bb.73:
	s_cmp_lg_u32 s33, 0
	s_mov_b32 s26, 0
	s_cbranch_scc0 .LBB198_79
; %bb.74:
	s_min_u32 s27, s56, 15
	s_add_i32 s27, s27, 1
	s_cmp_eq_u32 s56, 2
	s_cbranch_scc1 .LBB198_80
; %bb.75:
	s_and_b32 s26, s27, 28
	s_add_u32 s2, s34, 0xc4
	s_addc_u32 s3, s35, 0
	v_mov_b32_e32 v14, 0
	s_mov_b32 s28, 0
	s_mov_b64 s[24:25], s[34:35]
	v_mov_b32_e32 v12, 0
	v_mov_b32_e32 v4, v1
.LBB198_76:                             ; =>This Inner Loop Header: Depth=1
	s_load_dwordx8 s[12:19], s[24:25], 0x4
	s_load_dwordx4 s[20:23], s[24:25], 0x24
	s_load_dwordx8 s[4:11], s[2:3], 0x0
	s_add_u32 s24, s24, 48
	s_addc_u32 s25, s25, 0
	s_waitcnt lgkmcnt(0)
	v_mul_hi_u32 v7, s13, v4
	s_add_i32 s28, s28, 4
	s_add_u32 s2, s2, 32
	s_addc_u32 s3, s3, 0
	v_add_u32_e32 v7, v4, v7
	v_lshrrev_b32_e32 v7, s14, v7
	v_mul_lo_u32 v10, v7, s12
	v_mul_hi_u32 v13, s16, v7
	s_cmp_lg_u32 s26, s28
	v_sub_u32_e32 v4, v4, v10
	v_add_u32_e32 v10, v7, v13
	v_mul_lo_u32 v13, v4, s4
	v_mul_lo_u32 v15, v4, s5
	v_lshrrev_b32_e32 v4, s17, v10
	v_mul_lo_u32 v10, v4, s15
	v_mul_hi_u32 v16, s19, v4
	v_sub_u32_e32 v7, v7, v10
	v_add_u32_e32 v10, v4, v16
	v_lshrrev_b32_e32 v10, s20, v10
	v_mul_hi_u32 v17, s22, v10
	v_mul_lo_u32 v18, v10, s18
	v_mul_lo_u32 v16, v7, s6
	;; [unrolled: 1-line block ×3, first 2 shown]
	v_sub_u32_e32 v18, v4, v18
	v_add_u32_e32 v4, v10, v17
	v_lshrrev_b32_e32 v4, s23, v4
	v_mul_lo_u32 v17, v4, s21
	v_mul_lo_u32 v20, v18, s8
	;; [unrolled: 1-line block ×3, first 2 shown]
	v_add3_u32 v12, v13, v12, v16
	v_sub_u32_e32 v10, v10, v17
	v_mul_lo_u32 v17, v10, s10
	v_mul_lo_u32 v10, v10, s11
	v_add3_u32 v7, v15, v14, v7
	v_add3_u32 v12, v20, v12, v17
	;; [unrolled: 1-line block ×3, first 2 shown]
	s_cbranch_scc1 .LBB198_76
; %bb.77:
	s_and_b32 s6, s27, 3
	s_cmp_eq_u32 s6, 0
	s_cbranch_scc0 .LBB198_81
	s_branch .LBB198_83
.LBB198_78:
                                        ; implicit-def: $vgpr12
                                        ; implicit-def: $vgpr14
	s_branch .LBB198_84
.LBB198_79:
	v_mov_b32_e32 v12, 0
	v_mov_b32_e32 v14, 0
	s_branch .LBB198_83
.LBB198_80:
	v_mov_b32_e32 v12, 0
	v_mov_b32_e32 v14, 0
	;; [unrolled: 1-line block ×3, first 2 shown]
	s_and_b32 s6, s27, 3
	s_cmp_eq_u32 s6, 0
	s_cbranch_scc1 .LBB198_83
.LBB198_81:
	s_lshl_b32 s2, s26, 3
	s_add_u32 s2, s34, s2
	s_addc_u32 s3, s35, 0
	s_add_u32 s2, s2, 0xc4
	s_addc_u32 s3, s3, 0
	s_mul_i32 s4, s26, 12
	s_add_u32 s4, s34, s4
	s_addc_u32 s5, s35, 0
.LBB198_82:                             ; =>This Inner Loop Header: Depth=1
	s_load_dwordx2 s[8:9], s[4:5], 0x4
	s_load_dword s7, s[4:5], 0xc
	s_load_dwordx2 s[10:11], s[2:3], 0x0
	s_add_u32 s4, s4, 12
	s_addc_u32 s5, s5, 0
	s_waitcnt lgkmcnt(0)
	v_mul_hi_u32 v7, s9, v4
	s_add_u32 s2, s2, 8
	s_addc_u32 s3, s3, 0
	s_add_i32 s6, s6, -1
	v_add_u32_e32 v7, v4, v7
	v_lshrrev_b32_e32 v7, s7, v7
	v_mul_lo_u32 v10, v7, s8
	s_cmp_lg_u32 s6, 0
	v_sub_u32_e32 v4, v4, v10
	v_mad_u64_u32 v[12:13], s[8:9], v4, s10, v[12:13]
	v_mad_u64_u32 v[14:15], s[8:9], v4, s11, v[14:15]
	v_mov_b32_e32 v4, v7
	s_cbranch_scc1 .LBB198_82
.LBB198_83:
	s_cbranch_execnz .LBB198_86
.LBB198_84:
	s_load_dwordx4 s[4:7], s[34:35], 0x4
	s_load_dwordx2 s[2:3], s[34:35], 0xc4
	s_cmp_lt_u32 s33, 2
	s_waitcnt lgkmcnt(0)
	v_mul_hi_u32 v4, s5, v1
	v_add_u32_e32 v4, v1, v4
	v_lshrrev_b32_e32 v4, s6, v4
	v_mul_lo_u32 v7, v4, s4
	v_sub_u32_e32 v1, v1, v7
	v_mul_lo_u32 v12, v1, s2
	v_mul_lo_u32 v14, v1, s3
	s_cbranch_scc1 .LBB198_86
; %bb.85:
	s_load_dwordx4 s[4:7], s[34:35], 0x10
	s_load_dwordx2 s[2:3], s[34:35], 0xcc
	s_waitcnt lgkmcnt(0)
	v_mul_hi_u32 v1, s5, v4
	v_add_u32_e32 v1, v4, v1
	v_lshrrev_b32_e32 v1, s6, v1
	v_mul_lo_u32 v1, v1, s4
	v_sub_u32_e32 v1, v4, v1
	v_mad_u64_u32 v[12:13], s[4:5], v1, s2, v[12:13]
	v_mad_u64_u32 v[14:15], s[2:3], v1, s3, v[14:15]
.LBB198_86:
	s_and_b64 vcc, exec, s[0:1]
	v_add_u32_e32 v1, 0x280, v19
	s_cbranch_vccnz .LBB198_92
; %bb.87:
	s_cmp_lg_u32 s33, 0
	s_mov_b32 s26, 0
	s_cbranch_scc0 .LBB198_93
; %bb.88:
	s_min_u32 s27, s56, 15
	s_add_i32 s27, s27, 1
	s_cmp_eq_u32 s56, 2
	s_cbranch_scc1 .LBB198_94
; %bb.89:
	s_and_b32 s26, s27, 28
	s_add_u32 s2, s34, 0xc4
	s_addc_u32 s3, s35, 0
	v_mov_b32_e32 v17, 0
	s_mov_b32 s28, 0
	s_mov_b64 s[24:25], s[34:35]
	v_mov_b32_e32 v15, 0
	v_mov_b32_e32 v4, v1
.LBB198_90:                             ; =>This Inner Loop Header: Depth=1
	s_load_dwordx8 s[12:19], s[24:25], 0x4
	s_load_dwordx4 s[20:23], s[24:25], 0x24
	s_load_dwordx8 s[4:11], s[2:3], 0x0
	s_add_u32 s24, s24, 48
	s_addc_u32 s25, s25, 0
	s_waitcnt lgkmcnt(0)
	v_mul_hi_u32 v7, s13, v4
	s_add_i32 s28, s28, 4
	s_add_u32 s2, s2, 32
	s_addc_u32 s3, s3, 0
	v_add_u32_e32 v7, v4, v7
	v_lshrrev_b32_e32 v7, s14, v7
	v_mul_lo_u32 v10, v7, s12
	v_mul_hi_u32 v13, s16, v7
	s_cmp_lg_u32 s26, s28
	v_sub_u32_e32 v4, v4, v10
	v_add_u32_e32 v10, v7, v13
	v_mul_lo_u32 v13, v4, s4
	v_mul_lo_u32 v16, v4, s5
	v_lshrrev_b32_e32 v4, s17, v10
	v_mul_lo_u32 v10, v4, s15
	v_mul_hi_u32 v18, s19, v4
	v_sub_u32_e32 v7, v7, v10
	v_add_u32_e32 v10, v4, v18
	v_lshrrev_b32_e32 v10, s20, v10
	v_mul_hi_u32 v20, s22, v10
	v_mul_lo_u32 v21, v10, s18
	v_mul_lo_u32 v18, v7, s6
	;; [unrolled: 1-line block ×3, first 2 shown]
	v_sub_u32_e32 v21, v4, v21
	v_add_u32_e32 v4, v10, v20
	v_lshrrev_b32_e32 v4, s23, v4
	v_mul_lo_u32 v20, v4, s21
	v_mul_lo_u32 v22, v21, s8
	;; [unrolled: 1-line block ×3, first 2 shown]
	v_add3_u32 v13, v13, v15, v18
	v_sub_u32_e32 v10, v10, v20
	v_mul_lo_u32 v20, v10, s10
	v_mul_lo_u32 v10, v10, s11
	v_add3_u32 v7, v16, v17, v7
	v_add3_u32 v15, v22, v13, v20
	;; [unrolled: 1-line block ×3, first 2 shown]
	s_cbranch_scc1 .LBB198_90
; %bb.91:
	s_and_b32 s6, s27, 3
	s_cmp_eq_u32 s6, 0
	s_cbranch_scc0 .LBB198_95
	s_branch .LBB198_97
.LBB198_92:
                                        ; implicit-def: $vgpr15
                                        ; implicit-def: $vgpr17
	s_branch .LBB198_98
.LBB198_93:
	v_mov_b32_e32 v15, 0
	v_mov_b32_e32 v17, 0
	s_branch .LBB198_97
.LBB198_94:
	v_mov_b32_e32 v15, 0
	v_mov_b32_e32 v17, 0
	;; [unrolled: 1-line block ×3, first 2 shown]
	s_and_b32 s6, s27, 3
	s_cmp_eq_u32 s6, 0
	s_cbranch_scc1 .LBB198_97
.LBB198_95:
	s_lshl_b32 s2, s26, 3
	s_add_u32 s2, s34, s2
	s_addc_u32 s3, s35, 0
	s_add_u32 s2, s2, 0xc4
	s_addc_u32 s3, s3, 0
	s_mul_i32 s4, s26, 12
	s_add_u32 s4, s34, s4
	s_addc_u32 s5, s35, 0
.LBB198_96:                             ; =>This Inner Loop Header: Depth=1
	s_load_dwordx2 s[8:9], s[4:5], 0x4
	s_load_dword s7, s[4:5], 0xc
	s_load_dwordx2 s[10:11], s[2:3], 0x0
	s_add_u32 s4, s4, 12
	s_addc_u32 s5, s5, 0
	s_waitcnt lgkmcnt(0)
	v_mul_hi_u32 v7, s9, v4
	s_add_u32 s2, s2, 8
	s_addc_u32 s3, s3, 0
	s_add_i32 s6, s6, -1
	v_add_u32_e32 v7, v4, v7
	v_lshrrev_b32_e32 v7, s7, v7
	v_mul_lo_u32 v10, v7, s8
	s_cmp_lg_u32 s6, 0
	v_sub_u32_e32 v4, v4, v10
	v_mad_u64_u32 v[15:16], s[8:9], v4, s10, v[15:16]
	v_mad_u64_u32 v[17:18], s[8:9], v4, s11, v[17:18]
	v_mov_b32_e32 v4, v7
	s_cbranch_scc1 .LBB198_96
.LBB198_97:
	s_cbranch_execnz .LBB198_100
.LBB198_98:
	s_load_dwordx4 s[4:7], s[34:35], 0x4
	s_load_dwordx2 s[2:3], s[34:35], 0xc4
	s_cmp_lt_u32 s33, 2
	s_waitcnt lgkmcnt(0)
	v_mul_hi_u32 v4, s5, v1
	v_add_u32_e32 v4, v1, v4
	v_lshrrev_b32_e32 v4, s6, v4
	v_mul_lo_u32 v7, v4, s4
	v_sub_u32_e32 v1, v1, v7
	v_mul_lo_u32 v15, v1, s2
	v_mul_lo_u32 v17, v1, s3
	s_cbranch_scc1 .LBB198_100
; %bb.99:
	s_load_dwordx4 s[4:7], s[34:35], 0x10
	s_load_dwordx2 s[2:3], s[34:35], 0xcc
	s_waitcnt lgkmcnt(0)
	v_mul_hi_u32 v1, s5, v4
	v_add_u32_e32 v1, v4, v1
	v_lshrrev_b32_e32 v1, s6, v1
	v_mul_lo_u32 v1, v1, s4
	v_sub_u32_e32 v1, v4, v1
	v_mad_u64_u32 v[15:16], s[4:5], v1, s2, v[15:16]
	v_mad_u64_u32 v[17:18], s[2:3], v1, s3, v[17:18]
.LBB198_100:
	s_and_b64 vcc, exec, s[0:1]
	v_add_u32_e32 v1, 0x300, v19
	s_cbranch_vccnz .LBB198_106
; %bb.101:
	s_cmp_lg_u32 s33, 0
	s_mov_b32 s26, 0
	s_cbranch_scc0 .LBB198_107
; %bb.102:
	s_min_u32 s27, s56, 15
	s_add_i32 s27, s27, 1
	s_cmp_eq_u32 s56, 2
	s_cbranch_scc1 .LBB198_108
; %bb.103:
	s_and_b32 s26, s27, 28
	s_add_u32 s2, s34, 0xc4
	s_addc_u32 s3, s35, 0
	v_mov_b32_e32 v20, 0
	s_mov_b32 s28, 0
	s_mov_b64 s[24:25], s[34:35]
	v_mov_b32_e32 v18, 0
	v_mov_b32_e32 v4, v1
.LBB198_104:                            ; =>This Inner Loop Header: Depth=1
	s_load_dwordx8 s[12:19], s[24:25], 0x4
	s_load_dwordx4 s[20:23], s[24:25], 0x24
	s_load_dwordx8 s[4:11], s[2:3], 0x0
	s_add_u32 s24, s24, 48
	s_addc_u32 s25, s25, 0
	s_waitcnt lgkmcnt(0)
	v_mul_hi_u32 v7, s13, v4
	s_add_i32 s28, s28, 4
	s_add_u32 s2, s2, 32
	s_addc_u32 s3, s3, 0
	v_add_u32_e32 v7, v4, v7
	v_lshrrev_b32_e32 v7, s14, v7
	v_mul_lo_u32 v10, v7, s12
	v_mul_hi_u32 v13, s16, v7
	s_cmp_lg_u32 s26, s28
	v_sub_u32_e32 v4, v4, v10
	v_add_u32_e32 v10, v7, v13
	v_mul_lo_u32 v13, v4, s4
	v_mul_lo_u32 v16, v4, s5
	v_lshrrev_b32_e32 v4, s17, v10
	v_mul_lo_u32 v10, v4, s15
	v_mul_hi_u32 v19, s19, v4
	v_sub_u32_e32 v7, v7, v10
	v_add_u32_e32 v10, v4, v19
	v_lshrrev_b32_e32 v10, s20, v10
	v_mul_hi_u32 v21, s22, v10
	v_mul_lo_u32 v22, v10, s18
	v_mul_lo_u32 v19, v7, s6
	;; [unrolled: 1-line block ×3, first 2 shown]
	v_sub_u32_e32 v22, v4, v22
	v_add_u32_e32 v4, v10, v21
	v_lshrrev_b32_e32 v4, s23, v4
	v_mul_lo_u32 v21, v4, s21
	v_mul_lo_u32 v23, v22, s8
	;; [unrolled: 1-line block ×3, first 2 shown]
	v_add3_u32 v13, v13, v18, v19
	v_sub_u32_e32 v10, v10, v21
	v_mul_lo_u32 v21, v10, s10
	v_mul_lo_u32 v10, v10, s11
	v_add3_u32 v7, v16, v20, v7
	v_add3_u32 v18, v23, v13, v21
	;; [unrolled: 1-line block ×3, first 2 shown]
	s_cbranch_scc1 .LBB198_104
; %bb.105:
	s_and_b32 s6, s27, 3
	s_cmp_eq_u32 s6, 0
	s_cbranch_scc0 .LBB198_109
	s_branch .LBB198_111
.LBB198_106:
                                        ; implicit-def: $vgpr18
                                        ; implicit-def: $vgpr20
	s_branch .LBB198_112
.LBB198_107:
	v_mov_b32_e32 v18, 0
	v_mov_b32_e32 v20, 0
	s_branch .LBB198_111
.LBB198_108:
	v_mov_b32_e32 v18, 0
	v_mov_b32_e32 v20, 0
	;; [unrolled: 1-line block ×3, first 2 shown]
	s_and_b32 s6, s27, 3
	s_cmp_eq_u32 s6, 0
	s_cbranch_scc1 .LBB198_111
.LBB198_109:
	s_lshl_b32 s2, s26, 3
	s_add_u32 s2, s34, s2
	s_addc_u32 s3, s35, 0
	s_add_u32 s2, s2, 0xc4
	s_addc_u32 s3, s3, 0
	s_mul_i32 s4, s26, 12
	s_add_u32 s4, s34, s4
	s_addc_u32 s5, s35, 0
.LBB198_110:                            ; =>This Inner Loop Header: Depth=1
	s_load_dwordx2 s[8:9], s[4:5], 0x4
	s_load_dword s7, s[4:5], 0xc
	s_load_dwordx2 s[10:11], s[2:3], 0x0
	s_add_u32 s4, s4, 12
	s_addc_u32 s5, s5, 0
	s_waitcnt lgkmcnt(0)
	v_mul_hi_u32 v7, s9, v4
	s_add_u32 s2, s2, 8
	s_addc_u32 s3, s3, 0
	s_add_i32 s6, s6, -1
	v_add_u32_e32 v7, v4, v7
	v_lshrrev_b32_e32 v7, s7, v7
	v_mul_lo_u32 v10, v7, s8
	s_cmp_lg_u32 s6, 0
	v_sub_u32_e32 v4, v4, v10
	v_mad_u64_u32 v[18:19], s[8:9], v4, s10, v[18:19]
	v_mad_u64_u32 v[20:21], s[8:9], v4, s11, v[20:21]
	v_mov_b32_e32 v4, v7
	s_cbranch_scc1 .LBB198_110
.LBB198_111:
	s_cbranch_execnz .LBB198_114
.LBB198_112:
	s_load_dwordx4 s[4:7], s[34:35], 0x4
	s_load_dwordx2 s[2:3], s[34:35], 0xc4
	s_cmp_lt_u32 s33, 2
	s_waitcnt lgkmcnt(0)
	v_mul_hi_u32 v4, s5, v1
	v_add_u32_e32 v4, v1, v4
	v_lshrrev_b32_e32 v4, s6, v4
	v_mul_lo_u32 v7, v4, s4
	v_sub_u32_e32 v1, v1, v7
	v_mul_lo_u32 v18, v1, s2
	v_mul_lo_u32 v20, v1, s3
	s_cbranch_scc1 .LBB198_114
; %bb.113:
	s_load_dwordx4 s[4:7], s[34:35], 0x10
	s_load_dwordx2 s[2:3], s[34:35], 0xcc
	s_waitcnt lgkmcnt(0)
	v_mul_hi_u32 v1, s5, v4
	v_add_u32_e32 v1, v4, v1
	v_lshrrev_b32_e32 v1, s6, v1
	v_mul_lo_u32 v1, v1, s4
	v_sub_u32_e32 v1, v4, v1
	v_mad_u64_u32 v[18:19], s[4:5], v1, s2, v[18:19]
	v_mad_u64_u32 v[20:21], s[2:3], v1, s3, v[20:21]
.LBB198_114:
	s_and_b64 vcc, exec, s[0:1]
	s_cbranch_vccnz .LBB198_120
; %bb.115:
	s_cmp_lg_u32 s33, 0
	s_mov_b32 s24, 0
	s_cbranch_scc0 .LBB198_121
; %bb.116:
	s_min_u32 s25, s56, 15
	s_add_i32 s25, s25, 1
	s_cmp_eq_u32 s56, 2
	s_cbranch_scc1 .LBB198_122
; %bb.117:
	s_and_b32 s24, s25, 28
	s_add_u32 s20, s34, 0xc4
	s_addc_u32 s21, s35, 0
	v_mov_b32_e32 v23, 0
	s_mov_b32 s26, 0
	s_mov_b64 s[22:23], s[34:35]
	v_mov_b32_e32 v21, 0
	v_mov_b32_e32 v1, v25
.LBB198_118:                            ; =>This Inner Loop Header: Depth=1
	s_load_dwordx8 s[8:15], s[22:23], 0x4
	s_load_dwordx4 s[16:19], s[22:23], 0x24
	s_load_dwordx8 s[0:7], s[20:21], 0x0
	s_add_u32 s22, s22, 48
	s_addc_u32 s23, s23, 0
	s_waitcnt lgkmcnt(0)
	v_mul_hi_u32 v4, s9, v1
	s_add_i32 s26, s26, 4
	s_add_u32 s20, s20, 32
	s_addc_u32 s21, s21, 0
	v_add_u32_e32 v4, v1, v4
	v_lshrrev_b32_e32 v4, s10, v4
	v_mul_lo_u32 v7, v4, s8
	v_mul_hi_u32 v10, s12, v4
	s_cmp_lg_u32 s24, s26
	v_sub_u32_e32 v1, v1, v7
	v_add_u32_e32 v7, v4, v10
	v_mul_lo_u32 v10, v1, s0
	v_mul_lo_u32 v13, v1, s1
	v_lshrrev_b32_e32 v1, s13, v7
	v_mul_lo_u32 v7, v1, s11
	v_mul_hi_u32 v16, s15, v1
	v_sub_u32_e32 v4, v4, v7
	v_add_u32_e32 v7, v1, v16
	v_lshrrev_b32_e32 v7, s16, v7
	v_mul_hi_u32 v19, s18, v7
	v_mul_lo_u32 v22, v7, s14
	v_mul_lo_u32 v16, v4, s2
	;; [unrolled: 1-line block ×3, first 2 shown]
	v_sub_u32_e32 v22, v1, v22
	v_add_u32_e32 v1, v7, v19
	v_lshrrev_b32_e32 v1, s19, v1
	v_mul_lo_u32 v19, v1, s17
	v_mul_lo_u32 v24, v22, s4
	v_mul_lo_u32 v22, v22, s5
	v_add3_u32 v10, v10, v21, v16
	v_sub_u32_e32 v7, v7, v19
	v_mul_lo_u32 v19, v7, s6
	v_mul_lo_u32 v7, v7, s7
	v_add3_u32 v4, v13, v23, v4
	v_add3_u32 v21, v24, v10, v19
	;; [unrolled: 1-line block ×3, first 2 shown]
	s_cbranch_scc1 .LBB198_118
; %bb.119:
	s_and_b32 s4, s25, 3
	s_cmp_eq_u32 s4, 0
	s_cbranch_scc0 .LBB198_123
	s_branch .LBB198_125
.LBB198_120:
                                        ; implicit-def: $vgpr21
                                        ; implicit-def: $vgpr23
	s_branch .LBB198_126
.LBB198_121:
	v_mov_b32_e32 v21, 0
	v_mov_b32_e32 v23, 0
	s_branch .LBB198_125
.LBB198_122:
	v_mov_b32_e32 v21, 0
	v_mov_b32_e32 v23, 0
	;; [unrolled: 1-line block ×3, first 2 shown]
	s_and_b32 s4, s25, 3
	s_cmp_eq_u32 s4, 0
	s_cbranch_scc1 .LBB198_125
.LBB198_123:
	s_lshl_b32 s0, s24, 3
	s_add_u32 s0, s34, s0
	s_addc_u32 s1, s35, 0
	s_add_u32 s0, s0, 0xc4
	s_addc_u32 s1, s1, 0
	s_mul_i32 s2, s24, 12
	s_add_u32 s2, s34, s2
	s_addc_u32 s3, s35, 0
.LBB198_124:                            ; =>This Inner Loop Header: Depth=1
	s_load_dwordx2 s[6:7], s[2:3], 0x4
	s_load_dword s5, s[2:3], 0xc
	s_load_dwordx2 s[8:9], s[0:1], 0x0
	s_add_u32 s2, s2, 12
	s_addc_u32 s3, s3, 0
	s_waitcnt lgkmcnt(0)
	v_mul_hi_u32 v4, s7, v1
	s_add_u32 s0, s0, 8
	s_addc_u32 s1, s1, 0
	s_add_i32 s4, s4, -1
	v_add_u32_e32 v4, v1, v4
	v_lshrrev_b32_e32 v4, s5, v4
	v_mul_lo_u32 v7, v4, s6
	s_cmp_lg_u32 s4, 0
	v_sub_u32_e32 v1, v1, v7
	v_mad_u64_u32 v[21:22], s[6:7], v1, s8, v[21:22]
	v_mad_u64_u32 v[23:24], s[6:7], v1, s9, v[23:24]
	v_mov_b32_e32 v1, v4
	s_cbranch_scc1 .LBB198_124
.LBB198_125:
	s_cbranch_execnz .LBB198_128
.LBB198_126:
	s_load_dwordx4 s[0:3], s[34:35], 0x4
	s_load_dwordx2 s[4:5], s[34:35], 0xc4
	s_cmp_lt_u32 s33, 2
	s_waitcnt lgkmcnt(0)
	v_mul_hi_u32 v1, s1, v25
	v_add_u32_e32 v1, v25, v1
	v_lshrrev_b32_e32 v1, s2, v1
	v_mul_lo_u32 v4, v1, s0
	v_sub_u32_e32 v4, v25, v4
	v_mul_lo_u32 v21, v4, s4
	v_mul_lo_u32 v23, v4, s5
	s_cbranch_scc1 .LBB198_128
; %bb.127:
	s_load_dwordx4 s[0:3], s[34:35], 0x10
	s_load_dwordx2 s[4:5], s[34:35], 0xcc
	s_waitcnt lgkmcnt(0)
	v_mul_hi_u32 v4, s1, v1
	v_add_u32_e32 v4, v1, v4
	v_lshrrev_b32_e32 v4, s2, v4
	v_mul_lo_u32 v4, v4, s0
	v_sub_u32_e32 v1, v1, v4
	v_mad_u64_u32 v[21:22], s[0:1], v1, s4, v[21:22]
	v_mad_u64_u32 v[23:24], s[0:1], v1, s5, v[23:24]
.LBB198_128:
	s_load_dwordx4 s[0:3], s[34:35], 0x148
	s_load_dwordx2 s[4:5], s[34:35], 0x158
	s_waitcnt lgkmcnt(0)
	global_load_ushort v1, v2, s[2:3]
	global_load_ushort v4, v5, s[2:3]
	global_load_ushort v7, v8, s[2:3]
	global_load_ushort v10, v11, s[2:3]
	global_load_ushort v13, v14, s[2:3]
	global_load_ushort v16, v17, s[2:3]
	global_load_ushort v19, v20, s[2:3]
	global_load_ushort v22, v23, s[2:3]
	s_lshr_b32 s2, s4, 16
	v_mov_b32_e32 v2, s4
	v_mov_b32_e32 v5, s2
	v_cmp_le_f16_e32 vcc, s5, v2
	s_waitcnt vmcnt(7)
	v_cndmask_b32_e32 v1, v1, v5, vcc
	s_waitcnt vmcnt(6)
	v_cndmask_b32_e32 v2, v4, v5, vcc
	;; [unrolled: 2-line block ×8, first 2 shown]
	global_store_short v0, v1, s[0:1]
	global_store_short v3, v2, s[0:1]
	;; [unrolled: 1-line block ×8, first 2 shown]
	s_endpgm
.LBB198_129:
	v_mov_b32_e32 v0, 0
	v_mov_b32_e32 v2, 0
	s_branch .LBB198_135
.LBB198_130:
	v_mov_b32_e32 v0, 0
	v_mov_b32_e32 v2, 0
	s_branch .LBB198_151
.LBB198_131:
	s_mov_b32 s60, 0
	v_mov_b32_e32 v0, 0
	v_mov_b32_e32 v2, 0
	;; [unrolled: 1-line block ×3, first 2 shown]
.LBB198_132:
	s_and_b32 s8, s61, 3
	s_cmp_eq_u32 s8, 0
	s_cbranch_scc1 .LBB198_135
; %bb.133:
	s_lshl_b32 s4, s60, 3
	s_add_u32 s4, s34, s4
	s_addc_u32 s5, s35, 0
	s_add_u32 s4, s4, 0xc4
	s_addc_u32 s5, s5, 0
	s_mul_i32 s6, s60, 12
	s_add_u32 s6, s34, s6
	s_addc_u32 s7, s35, 0
.LBB198_134:                            ; =>This Inner Loop Header: Depth=1
	s_load_dwordx2 s[10:11], s[6:7], 0x4
	s_load_dword s9, s[6:7], 0xc
	s_load_dwordx2 s[12:13], s[4:5], 0x0
	s_add_u32 s6, s6, 12
	s_addc_u32 s7, s7, 0
	s_waitcnt lgkmcnt(0)
	v_mul_hi_u32 v3, s11, v1
	s_add_u32 s4, s4, 8
	s_addc_u32 s5, s5, 0
	s_add_i32 s8, s8, -1
	v_add_u32_e32 v3, v1, v3
	v_lshrrev_b32_e32 v4, s9, v3
	v_mul_lo_u32 v3, v4, s10
	s_cmp_lg_u32 s8, 0
	v_sub_u32_e32 v3, v1, v3
	v_mad_u64_u32 v[0:1], s[10:11], v3, s12, v[0:1]
	v_mad_u64_u32 v[2:3], s[10:11], v3, s13, v[2:3]
	v_mov_b32_e32 v1, v4
	s_cbranch_scc1 .LBB198_134
.LBB198_135:
	s_cbranch_execnz .LBB198_138
.LBB198_136:
	v_mul_hi_u32 v0, s25, v19
	s_andn2_b64 vcc, exec, s[44:45]
	v_add_u32_e32 v0, v19, v0
	v_lshrrev_b32_e32 v1, s26, v0
	v_mul_lo_u32 v0, v1, s24
	v_sub_u32_e32 v2, v19, v0
	v_mul_lo_u32 v0, v2, s28
	v_mul_lo_u32 v2, v2, s29
	s_cbranch_vccnz .LBB198_138
; %bb.137:
	v_mul_hi_u32 v3, s42, v1
	v_add_u32_e32 v3, v1, v3
	v_lshrrev_b32_e32 v3, s43, v3
	v_mul_lo_u32 v3, v3, s27
	v_sub_u32_e32 v3, v1, v3
	v_mad_u64_u32 v[0:1], s[4:5], v3, s30, v[0:1]
	v_mad_u64_u32 v[2:3], s[4:5], v3, s31, v[2:3]
.LBB198_138:
	global_load_ushort v1, v2, s[22:23]
	v_mov_b32_e32 v2, s57
	v_add_u32_e32 v19, 0x80, v19
	s_waitcnt vmcnt(0)
	v_cndmask_b32_e64 v1, v1, v2, s[0:1]
	global_store_short v0, v1, s[20:21]
	s_or_b64 exec, exec, s[50:51]
	v_cmp_gt_i32_e32 vcc, s58, v19
	s_and_saveexec_b64 s[50:51], vcc
	s_cbranch_execnz .LBB198_15
.LBB198_139:
	s_or_b64 exec, exec, s[50:51]
	v_cmp_gt_i32_e32 vcc, s58, v19
	s_and_saveexec_b64 s[50:51], vcc
	s_cbranch_execz .LBB198_155
.LBB198_140:
	s_andn2_b64 vcc, exec, s[2:3]
	s_cbranch_vccnz .LBB198_145
; %bb.141:
	s_andn2_b64 vcc, exec, s[48:49]
	s_cbranch_vccnz .LBB198_146
; %bb.142:
	s_add_i32 s61, s59, 1
	s_cmp_eq_u32 s56, 2
	s_cbranch_scc1 .LBB198_163
; %bb.143:
	s_and_b32 s60, s61, 28
	v_mov_b32_e32 v2, 0
	s_mov_b32 s62, 0
	s_mov_b64 s[52:53], s[34:35]
	s_mov_b64 s[54:55], s[46:47]
	v_mov_b32_e32 v0, 0
	v_mov_b32_e32 v1, v19
.LBB198_144:                            ; =>This Inner Loop Header: Depth=1
	s_load_dwordx8 s[12:19], s[52:53], 0x4
	s_load_dwordx4 s[36:39], s[52:53], 0x24
	s_load_dwordx8 s[4:11], s[54:55], 0x0
	s_add_u32 s52, s52, 48
	s_addc_u32 s53, s53, 0
	s_waitcnt lgkmcnt(0)
	v_mul_hi_u32 v3, s13, v1
	s_add_i32 s62, s62, 4
	s_add_u32 s54, s54, 32
	s_addc_u32 s55, s55, 0
	v_add_u32_e32 v3, v1, v3
	v_lshrrev_b32_e32 v3, s14, v3
	v_mul_lo_u32 v4, v3, s12
	v_mul_hi_u32 v5, s16, v3
	s_cmp_eq_u32 s60, s62
	v_sub_u32_e32 v1, v1, v4
	v_add_u32_e32 v4, v3, v5
	v_mul_lo_u32 v5, v1, s4
	v_mul_lo_u32 v6, v1, s5
	v_lshrrev_b32_e32 v1, s17, v4
	v_mul_lo_u32 v4, v1, s15
	v_mul_hi_u32 v7, s19, v1
	v_sub_u32_e32 v3, v3, v4
	v_add_u32_e32 v4, v1, v7
	v_lshrrev_b32_e32 v4, s36, v4
	v_mul_hi_u32 v8, s38, v4
	v_mul_lo_u32 v9, v4, s18
	v_mul_lo_u32 v7, v3, s6
	;; [unrolled: 1-line block ×3, first 2 shown]
	v_sub_u32_e32 v9, v1, v9
	v_add_u32_e32 v1, v4, v8
	v_lshrrev_b32_e32 v1, s39, v1
	v_mul_lo_u32 v8, v1, s37
	v_mul_lo_u32 v10, v9, s8
	;; [unrolled: 1-line block ×3, first 2 shown]
	v_add3_u32 v0, v5, v0, v7
	v_sub_u32_e32 v4, v4, v8
	v_mul_lo_u32 v8, v4, s10
	v_mul_lo_u32 v4, v4, s11
	v_add3_u32 v2, v6, v2, v3
	v_add3_u32 v0, v10, v0, v8
	;; [unrolled: 1-line block ×3, first 2 shown]
	s_cbranch_scc0 .LBB198_144
	s_branch .LBB198_164
.LBB198_145:
                                        ; implicit-def: $vgpr0
                                        ; implicit-def: $vgpr2
	s_branch .LBB198_168
.LBB198_146:
	v_mov_b32_e32 v0, 0
	v_mov_b32_e32 v2, 0
	s_branch .LBB198_167
.LBB198_147:
	s_mov_b32 s60, 0
	v_mov_b32_e32 v0, 0
	v_mov_b32_e32 v2, 0
	;; [unrolled: 1-line block ×3, first 2 shown]
.LBB198_148:
	s_and_b32 s8, s61, 3
	s_cmp_eq_u32 s8, 0
	s_cbranch_scc1 .LBB198_151
; %bb.149:
	s_lshl_b32 s4, s60, 3
	s_add_u32 s4, s34, s4
	s_addc_u32 s5, s35, 0
	s_add_u32 s4, s4, 0xc4
	s_addc_u32 s5, s5, 0
	s_mul_i32 s6, s60, 12
	s_add_u32 s6, s34, s6
	s_addc_u32 s7, s35, 0
.LBB198_150:                            ; =>This Inner Loop Header: Depth=1
	s_load_dwordx2 s[10:11], s[6:7], 0x4
	s_load_dword s9, s[6:7], 0xc
	s_load_dwordx2 s[12:13], s[4:5], 0x0
	s_add_u32 s6, s6, 12
	s_addc_u32 s7, s7, 0
	s_waitcnt lgkmcnt(0)
	v_mul_hi_u32 v3, s11, v1
	s_add_u32 s4, s4, 8
	s_addc_u32 s5, s5, 0
	s_add_i32 s8, s8, -1
	v_add_u32_e32 v3, v1, v3
	v_lshrrev_b32_e32 v4, s9, v3
	v_mul_lo_u32 v3, v4, s10
	s_cmp_lg_u32 s8, 0
	v_sub_u32_e32 v3, v1, v3
	v_mad_u64_u32 v[0:1], s[10:11], v3, s12, v[0:1]
	v_mad_u64_u32 v[2:3], s[10:11], v3, s13, v[2:3]
	v_mov_b32_e32 v1, v4
	s_cbranch_scc1 .LBB198_150
.LBB198_151:
	s_cbranch_execnz .LBB198_154
.LBB198_152:
	v_mul_hi_u32 v0, s25, v19
	s_andn2_b64 vcc, exec, s[44:45]
	v_add_u32_e32 v0, v19, v0
	v_lshrrev_b32_e32 v1, s26, v0
	v_mul_lo_u32 v0, v1, s24
	v_sub_u32_e32 v2, v19, v0
	v_mul_lo_u32 v0, v2, s28
	v_mul_lo_u32 v2, v2, s29
	s_cbranch_vccnz .LBB198_154
; %bb.153:
	v_mul_hi_u32 v3, s42, v1
	v_add_u32_e32 v3, v1, v3
	v_lshrrev_b32_e32 v3, s43, v3
	v_mul_lo_u32 v3, v3, s27
	v_sub_u32_e32 v3, v1, v3
	v_mad_u64_u32 v[0:1], s[4:5], v3, s30, v[0:1]
	v_mad_u64_u32 v[2:3], s[4:5], v3, s31, v[2:3]
.LBB198_154:
	global_load_ushort v1, v2, s[22:23]
	v_mov_b32_e32 v2, s57
	v_add_u32_e32 v19, 0x80, v19
	s_waitcnt vmcnt(0)
	v_cndmask_b32_e64 v1, v1, v2, s[0:1]
	global_store_short v0, v1, s[20:21]
	s_or_b64 exec, exec, s[50:51]
	v_cmp_gt_i32_e32 vcc, s58, v19
	s_and_saveexec_b64 s[50:51], vcc
	s_cbranch_execnz .LBB198_140
.LBB198_155:
	s_or_b64 exec, exec, s[50:51]
	v_cmp_gt_i32_e32 vcc, s58, v19
	s_and_saveexec_b64 s[50:51], vcc
	s_cbranch_execz .LBB198_171
.LBB198_156:
	s_andn2_b64 vcc, exec, s[2:3]
	s_cbranch_vccnz .LBB198_161
; %bb.157:
	s_andn2_b64 vcc, exec, s[48:49]
	s_cbranch_vccnz .LBB198_162
; %bb.158:
	s_add_i32 s61, s59, 1
	s_cmp_eq_u32 s56, 2
	s_cbranch_scc1 .LBB198_179
; %bb.159:
	s_and_b32 s60, s61, 28
	v_mov_b32_e32 v2, 0
	s_mov_b32 s62, 0
	s_mov_b64 s[52:53], s[34:35]
	s_mov_b64 s[54:55], s[46:47]
	v_mov_b32_e32 v0, 0
	v_mov_b32_e32 v1, v19
.LBB198_160:                            ; =>This Inner Loop Header: Depth=1
	s_load_dwordx8 s[12:19], s[52:53], 0x4
	s_load_dwordx4 s[36:39], s[52:53], 0x24
	s_load_dwordx8 s[4:11], s[54:55], 0x0
	s_add_u32 s52, s52, 48
	s_addc_u32 s53, s53, 0
	s_waitcnt lgkmcnt(0)
	v_mul_hi_u32 v3, s13, v1
	s_add_i32 s62, s62, 4
	s_add_u32 s54, s54, 32
	s_addc_u32 s55, s55, 0
	v_add_u32_e32 v3, v1, v3
	v_lshrrev_b32_e32 v3, s14, v3
	v_mul_lo_u32 v4, v3, s12
	v_mul_hi_u32 v5, s16, v3
	s_cmp_eq_u32 s60, s62
	v_sub_u32_e32 v1, v1, v4
	v_add_u32_e32 v4, v3, v5
	v_mul_lo_u32 v5, v1, s4
	v_mul_lo_u32 v6, v1, s5
	v_lshrrev_b32_e32 v1, s17, v4
	v_mul_lo_u32 v4, v1, s15
	v_mul_hi_u32 v7, s19, v1
	v_sub_u32_e32 v3, v3, v4
	v_add_u32_e32 v4, v1, v7
	v_lshrrev_b32_e32 v4, s36, v4
	v_mul_hi_u32 v8, s38, v4
	v_mul_lo_u32 v9, v4, s18
	v_mul_lo_u32 v7, v3, s6
	v_mul_lo_u32 v3, v3, s7
	v_sub_u32_e32 v9, v1, v9
	v_add_u32_e32 v1, v4, v8
	v_lshrrev_b32_e32 v1, s39, v1
	v_mul_lo_u32 v8, v1, s37
	v_mul_lo_u32 v10, v9, s8
	;; [unrolled: 1-line block ×3, first 2 shown]
	v_add3_u32 v0, v5, v0, v7
	v_sub_u32_e32 v4, v4, v8
	v_mul_lo_u32 v8, v4, s10
	v_mul_lo_u32 v4, v4, s11
	v_add3_u32 v2, v6, v2, v3
	v_add3_u32 v0, v10, v0, v8
	v_add3_u32 v2, v9, v2, v4
	s_cbranch_scc0 .LBB198_160
	s_branch .LBB198_180
.LBB198_161:
                                        ; implicit-def: $vgpr0
                                        ; implicit-def: $vgpr2
	s_branch .LBB198_184
.LBB198_162:
	v_mov_b32_e32 v0, 0
	v_mov_b32_e32 v2, 0
	s_branch .LBB198_183
.LBB198_163:
	s_mov_b32 s60, 0
	v_mov_b32_e32 v0, 0
	v_mov_b32_e32 v2, 0
	;; [unrolled: 1-line block ×3, first 2 shown]
.LBB198_164:
	s_and_b32 s8, s61, 3
	s_cmp_eq_u32 s8, 0
	s_cbranch_scc1 .LBB198_167
; %bb.165:
	s_lshl_b32 s4, s60, 3
	s_add_u32 s4, s34, s4
	s_addc_u32 s5, s35, 0
	s_add_u32 s4, s4, 0xc4
	s_addc_u32 s5, s5, 0
	s_mul_i32 s6, s60, 12
	s_add_u32 s6, s34, s6
	s_addc_u32 s7, s35, 0
.LBB198_166:                            ; =>This Inner Loop Header: Depth=1
	s_load_dwordx2 s[10:11], s[6:7], 0x4
	s_load_dword s9, s[6:7], 0xc
	s_load_dwordx2 s[12:13], s[4:5], 0x0
	s_add_u32 s6, s6, 12
	s_addc_u32 s7, s7, 0
	s_waitcnt lgkmcnt(0)
	v_mul_hi_u32 v3, s11, v1
	s_add_u32 s4, s4, 8
	s_addc_u32 s5, s5, 0
	s_add_i32 s8, s8, -1
	v_add_u32_e32 v3, v1, v3
	v_lshrrev_b32_e32 v4, s9, v3
	v_mul_lo_u32 v3, v4, s10
	s_cmp_lg_u32 s8, 0
	v_sub_u32_e32 v3, v1, v3
	v_mad_u64_u32 v[0:1], s[10:11], v3, s12, v[0:1]
	v_mad_u64_u32 v[2:3], s[10:11], v3, s13, v[2:3]
	v_mov_b32_e32 v1, v4
	s_cbranch_scc1 .LBB198_166
.LBB198_167:
	s_cbranch_execnz .LBB198_170
.LBB198_168:
	v_mul_hi_u32 v0, s25, v19
	s_andn2_b64 vcc, exec, s[44:45]
	v_add_u32_e32 v0, v19, v0
	v_lshrrev_b32_e32 v1, s26, v0
	v_mul_lo_u32 v0, v1, s24
	v_sub_u32_e32 v2, v19, v0
	v_mul_lo_u32 v0, v2, s28
	v_mul_lo_u32 v2, v2, s29
	s_cbranch_vccnz .LBB198_170
; %bb.169:
	v_mul_hi_u32 v3, s42, v1
	v_add_u32_e32 v3, v1, v3
	v_lshrrev_b32_e32 v3, s43, v3
	v_mul_lo_u32 v3, v3, s27
	v_sub_u32_e32 v3, v1, v3
	v_mad_u64_u32 v[0:1], s[4:5], v3, s30, v[0:1]
	v_mad_u64_u32 v[2:3], s[4:5], v3, s31, v[2:3]
.LBB198_170:
	global_load_ushort v1, v2, s[22:23]
	v_mov_b32_e32 v2, s57
	v_add_u32_e32 v19, 0x80, v19
	s_waitcnt vmcnt(0)
	v_cndmask_b32_e64 v1, v1, v2, s[0:1]
	global_store_short v0, v1, s[20:21]
	s_or_b64 exec, exec, s[50:51]
	v_cmp_gt_i32_e32 vcc, s58, v19
	s_and_saveexec_b64 s[50:51], vcc
	s_cbranch_execnz .LBB198_156
.LBB198_171:
	s_or_b64 exec, exec, s[50:51]
	v_cmp_gt_i32_e32 vcc, s58, v19
	s_and_saveexec_b64 s[50:51], vcc
	s_cbranch_execz .LBB198_187
.LBB198_172:
	s_andn2_b64 vcc, exec, s[2:3]
	s_cbranch_vccnz .LBB198_177
; %bb.173:
	s_andn2_b64 vcc, exec, s[48:49]
	s_cbranch_vccnz .LBB198_178
; %bb.174:
	s_add_i32 s61, s59, 1
	s_cmp_eq_u32 s56, 2
	s_cbranch_scc1 .LBB198_195
; %bb.175:
	s_and_b32 s60, s61, 28
	v_mov_b32_e32 v2, 0
	s_mov_b32 s62, 0
	s_mov_b64 s[52:53], s[34:35]
	s_mov_b64 s[54:55], s[46:47]
	v_mov_b32_e32 v0, 0
	v_mov_b32_e32 v1, v19
.LBB198_176:                            ; =>This Inner Loop Header: Depth=1
	s_load_dwordx8 s[12:19], s[52:53], 0x4
	s_load_dwordx4 s[36:39], s[52:53], 0x24
	s_load_dwordx8 s[4:11], s[54:55], 0x0
	s_add_u32 s52, s52, 48
	s_addc_u32 s53, s53, 0
	s_waitcnt lgkmcnt(0)
	v_mul_hi_u32 v3, s13, v1
	s_add_i32 s62, s62, 4
	s_add_u32 s54, s54, 32
	s_addc_u32 s55, s55, 0
	v_add_u32_e32 v3, v1, v3
	v_lshrrev_b32_e32 v3, s14, v3
	v_mul_lo_u32 v4, v3, s12
	v_mul_hi_u32 v5, s16, v3
	s_cmp_eq_u32 s60, s62
	v_sub_u32_e32 v1, v1, v4
	v_add_u32_e32 v4, v3, v5
	v_mul_lo_u32 v5, v1, s4
	v_mul_lo_u32 v6, v1, s5
	v_lshrrev_b32_e32 v1, s17, v4
	v_mul_lo_u32 v4, v1, s15
	v_mul_hi_u32 v7, s19, v1
	v_sub_u32_e32 v3, v3, v4
	v_add_u32_e32 v4, v1, v7
	v_lshrrev_b32_e32 v4, s36, v4
	v_mul_hi_u32 v8, s38, v4
	v_mul_lo_u32 v9, v4, s18
	v_mul_lo_u32 v7, v3, s6
	;; [unrolled: 1-line block ×3, first 2 shown]
	v_sub_u32_e32 v9, v1, v9
	v_add_u32_e32 v1, v4, v8
	v_lshrrev_b32_e32 v1, s39, v1
	v_mul_lo_u32 v8, v1, s37
	v_mul_lo_u32 v10, v9, s8
	;; [unrolled: 1-line block ×3, first 2 shown]
	v_add3_u32 v0, v5, v0, v7
	v_sub_u32_e32 v4, v4, v8
	v_mul_lo_u32 v8, v4, s10
	v_mul_lo_u32 v4, v4, s11
	v_add3_u32 v2, v6, v2, v3
	v_add3_u32 v0, v10, v0, v8
	v_add3_u32 v2, v9, v2, v4
	s_cbranch_scc0 .LBB198_176
	s_branch .LBB198_196
.LBB198_177:
                                        ; implicit-def: $vgpr0
                                        ; implicit-def: $vgpr2
	s_branch .LBB198_200
.LBB198_178:
	v_mov_b32_e32 v0, 0
	v_mov_b32_e32 v2, 0
	s_branch .LBB198_199
.LBB198_179:
	s_mov_b32 s60, 0
	v_mov_b32_e32 v0, 0
	v_mov_b32_e32 v2, 0
	v_mov_b32_e32 v1, v19
.LBB198_180:
	s_and_b32 s8, s61, 3
	s_cmp_eq_u32 s8, 0
	s_cbranch_scc1 .LBB198_183
; %bb.181:
	s_lshl_b32 s4, s60, 3
	s_add_u32 s4, s34, s4
	s_addc_u32 s5, s35, 0
	s_add_u32 s4, s4, 0xc4
	s_addc_u32 s5, s5, 0
	s_mul_i32 s6, s60, 12
	s_add_u32 s6, s34, s6
	s_addc_u32 s7, s35, 0
.LBB198_182:                            ; =>This Inner Loop Header: Depth=1
	s_load_dwordx2 s[10:11], s[6:7], 0x4
	s_load_dword s9, s[6:7], 0xc
	s_load_dwordx2 s[12:13], s[4:5], 0x0
	s_add_u32 s6, s6, 12
	s_addc_u32 s7, s7, 0
	s_waitcnt lgkmcnt(0)
	v_mul_hi_u32 v3, s11, v1
	s_add_u32 s4, s4, 8
	s_addc_u32 s5, s5, 0
	s_add_i32 s8, s8, -1
	v_add_u32_e32 v3, v1, v3
	v_lshrrev_b32_e32 v4, s9, v3
	v_mul_lo_u32 v3, v4, s10
	s_cmp_lg_u32 s8, 0
	v_sub_u32_e32 v3, v1, v3
	v_mad_u64_u32 v[0:1], s[10:11], v3, s12, v[0:1]
	v_mad_u64_u32 v[2:3], s[10:11], v3, s13, v[2:3]
	v_mov_b32_e32 v1, v4
	s_cbranch_scc1 .LBB198_182
.LBB198_183:
	s_cbranch_execnz .LBB198_186
.LBB198_184:
	v_mul_hi_u32 v0, s25, v19
	s_andn2_b64 vcc, exec, s[44:45]
	v_add_u32_e32 v0, v19, v0
	v_lshrrev_b32_e32 v1, s26, v0
	v_mul_lo_u32 v0, v1, s24
	v_sub_u32_e32 v2, v19, v0
	v_mul_lo_u32 v0, v2, s28
	v_mul_lo_u32 v2, v2, s29
	s_cbranch_vccnz .LBB198_186
; %bb.185:
	v_mul_hi_u32 v3, s42, v1
	v_add_u32_e32 v3, v1, v3
	v_lshrrev_b32_e32 v3, s43, v3
	v_mul_lo_u32 v3, v3, s27
	v_sub_u32_e32 v3, v1, v3
	v_mad_u64_u32 v[0:1], s[4:5], v3, s30, v[0:1]
	v_mad_u64_u32 v[2:3], s[4:5], v3, s31, v[2:3]
.LBB198_186:
	global_load_ushort v1, v2, s[22:23]
	v_mov_b32_e32 v2, s57
	v_add_u32_e32 v19, 0x80, v19
	s_waitcnt vmcnt(0)
	v_cndmask_b32_e64 v1, v1, v2, s[0:1]
	global_store_short v0, v1, s[20:21]
	s_or_b64 exec, exec, s[50:51]
	v_cmp_gt_i32_e32 vcc, s58, v19
	s_and_saveexec_b64 s[50:51], vcc
	s_cbranch_execnz .LBB198_172
.LBB198_187:
	s_or_b64 exec, exec, s[50:51]
	v_cmp_gt_i32_e32 vcc, s58, v19
	s_and_saveexec_b64 s[50:51], vcc
	s_cbranch_execz .LBB198_203
.LBB198_188:
	s_andn2_b64 vcc, exec, s[2:3]
	s_cbranch_vccnz .LBB198_193
; %bb.189:
	s_andn2_b64 vcc, exec, s[48:49]
	s_cbranch_vccnz .LBB198_194
; %bb.190:
	s_add_i32 s61, s59, 1
	s_cmp_eq_u32 s56, 2
	s_cbranch_scc1 .LBB198_211
; %bb.191:
	s_and_b32 s60, s61, 28
	v_mov_b32_e32 v2, 0
	s_mov_b32 s62, 0
	s_mov_b64 s[52:53], s[34:35]
	s_mov_b64 s[54:55], s[46:47]
	v_mov_b32_e32 v0, 0
	v_mov_b32_e32 v1, v19
.LBB198_192:                            ; =>This Inner Loop Header: Depth=1
	s_load_dwordx8 s[12:19], s[52:53], 0x4
	s_load_dwordx4 s[36:39], s[52:53], 0x24
	s_load_dwordx8 s[4:11], s[54:55], 0x0
	s_add_u32 s52, s52, 48
	s_addc_u32 s53, s53, 0
	s_waitcnt lgkmcnt(0)
	v_mul_hi_u32 v3, s13, v1
	s_add_i32 s62, s62, 4
	s_add_u32 s54, s54, 32
	s_addc_u32 s55, s55, 0
	v_add_u32_e32 v3, v1, v3
	v_lshrrev_b32_e32 v3, s14, v3
	v_mul_lo_u32 v4, v3, s12
	v_mul_hi_u32 v5, s16, v3
	s_cmp_eq_u32 s60, s62
	v_sub_u32_e32 v1, v1, v4
	v_add_u32_e32 v4, v3, v5
	v_mul_lo_u32 v5, v1, s4
	v_mul_lo_u32 v6, v1, s5
	v_lshrrev_b32_e32 v1, s17, v4
	v_mul_lo_u32 v4, v1, s15
	v_mul_hi_u32 v7, s19, v1
	v_sub_u32_e32 v3, v3, v4
	v_add_u32_e32 v4, v1, v7
	v_lshrrev_b32_e32 v4, s36, v4
	v_mul_hi_u32 v8, s38, v4
	v_mul_lo_u32 v9, v4, s18
	v_mul_lo_u32 v7, v3, s6
	;; [unrolled: 1-line block ×3, first 2 shown]
	v_sub_u32_e32 v9, v1, v9
	v_add_u32_e32 v1, v4, v8
	v_lshrrev_b32_e32 v1, s39, v1
	v_mul_lo_u32 v8, v1, s37
	v_mul_lo_u32 v10, v9, s8
	;; [unrolled: 1-line block ×3, first 2 shown]
	v_add3_u32 v0, v5, v0, v7
	v_sub_u32_e32 v4, v4, v8
	v_mul_lo_u32 v8, v4, s10
	v_mul_lo_u32 v4, v4, s11
	v_add3_u32 v2, v6, v2, v3
	v_add3_u32 v0, v10, v0, v8
	;; [unrolled: 1-line block ×3, first 2 shown]
	s_cbranch_scc0 .LBB198_192
	s_branch .LBB198_212
.LBB198_193:
                                        ; implicit-def: $vgpr0
                                        ; implicit-def: $vgpr2
	s_branch .LBB198_216
.LBB198_194:
	v_mov_b32_e32 v0, 0
	v_mov_b32_e32 v2, 0
	s_branch .LBB198_215
.LBB198_195:
	s_mov_b32 s60, 0
	v_mov_b32_e32 v0, 0
	v_mov_b32_e32 v2, 0
	;; [unrolled: 1-line block ×3, first 2 shown]
.LBB198_196:
	s_and_b32 s8, s61, 3
	s_cmp_eq_u32 s8, 0
	s_cbranch_scc1 .LBB198_199
; %bb.197:
	s_lshl_b32 s4, s60, 3
	s_add_u32 s4, s34, s4
	s_addc_u32 s5, s35, 0
	s_add_u32 s4, s4, 0xc4
	s_addc_u32 s5, s5, 0
	s_mul_i32 s6, s60, 12
	s_add_u32 s6, s34, s6
	s_addc_u32 s7, s35, 0
.LBB198_198:                            ; =>This Inner Loop Header: Depth=1
	s_load_dwordx2 s[10:11], s[6:7], 0x4
	s_load_dword s9, s[6:7], 0xc
	s_load_dwordx2 s[12:13], s[4:5], 0x0
	s_add_u32 s6, s6, 12
	s_addc_u32 s7, s7, 0
	s_waitcnt lgkmcnt(0)
	v_mul_hi_u32 v3, s11, v1
	s_add_u32 s4, s4, 8
	s_addc_u32 s5, s5, 0
	s_add_i32 s8, s8, -1
	v_add_u32_e32 v3, v1, v3
	v_lshrrev_b32_e32 v4, s9, v3
	v_mul_lo_u32 v3, v4, s10
	s_cmp_lg_u32 s8, 0
	v_sub_u32_e32 v3, v1, v3
	v_mad_u64_u32 v[0:1], s[10:11], v3, s12, v[0:1]
	v_mad_u64_u32 v[2:3], s[10:11], v3, s13, v[2:3]
	v_mov_b32_e32 v1, v4
	s_cbranch_scc1 .LBB198_198
.LBB198_199:
	s_cbranch_execnz .LBB198_202
.LBB198_200:
	v_mul_hi_u32 v0, s25, v19
	s_andn2_b64 vcc, exec, s[44:45]
	v_add_u32_e32 v0, v19, v0
	v_lshrrev_b32_e32 v1, s26, v0
	v_mul_lo_u32 v0, v1, s24
	v_sub_u32_e32 v2, v19, v0
	v_mul_lo_u32 v0, v2, s28
	v_mul_lo_u32 v2, v2, s29
	s_cbranch_vccnz .LBB198_202
; %bb.201:
	v_mul_hi_u32 v3, s42, v1
	v_add_u32_e32 v3, v1, v3
	v_lshrrev_b32_e32 v3, s43, v3
	v_mul_lo_u32 v3, v3, s27
	v_sub_u32_e32 v3, v1, v3
	v_mad_u64_u32 v[0:1], s[4:5], v3, s30, v[0:1]
	v_mad_u64_u32 v[2:3], s[4:5], v3, s31, v[2:3]
.LBB198_202:
	global_load_ushort v1, v2, s[22:23]
	v_mov_b32_e32 v2, s57
	v_add_u32_e32 v19, 0x80, v19
	s_waitcnt vmcnt(0)
	v_cndmask_b32_e64 v1, v1, v2, s[0:1]
	global_store_short v0, v1, s[20:21]
	s_or_b64 exec, exec, s[50:51]
	v_cmp_gt_i32_e32 vcc, s58, v19
	s_and_saveexec_b64 s[50:51], vcc
	s_cbranch_execnz .LBB198_188
.LBB198_203:
	s_or_b64 exec, exec, s[50:51]
	v_cmp_gt_i32_e32 vcc, s58, v19
	s_and_saveexec_b64 s[50:51], vcc
	s_cbranch_execz .LBB198_219
.LBB198_204:
	s_andn2_b64 vcc, exec, s[2:3]
	s_cbranch_vccnz .LBB198_209
; %bb.205:
	s_andn2_b64 vcc, exec, s[48:49]
	s_cbranch_vccnz .LBB198_210
; %bb.206:
	s_add_i32 s61, s59, 1
	s_cmp_eq_u32 s56, 2
	s_cbranch_scc1 .LBB198_222
; %bb.207:
	s_and_b32 s60, s61, 28
	v_mov_b32_e32 v2, 0
	s_mov_b32 s62, 0
	s_mov_b64 s[52:53], s[34:35]
	s_mov_b64 s[54:55], s[46:47]
	v_mov_b32_e32 v0, 0
	v_mov_b32_e32 v1, v19
.LBB198_208:                            ; =>This Inner Loop Header: Depth=1
	s_load_dwordx8 s[12:19], s[52:53], 0x4
	s_load_dwordx4 s[36:39], s[52:53], 0x24
	s_load_dwordx8 s[4:11], s[54:55], 0x0
	s_add_u32 s52, s52, 48
	s_addc_u32 s53, s53, 0
	s_waitcnt lgkmcnt(0)
	v_mul_hi_u32 v3, s13, v1
	s_add_i32 s62, s62, 4
	s_add_u32 s54, s54, 32
	s_addc_u32 s55, s55, 0
	v_add_u32_e32 v3, v1, v3
	v_lshrrev_b32_e32 v3, s14, v3
	v_mul_lo_u32 v4, v3, s12
	v_mul_hi_u32 v5, s16, v3
	s_cmp_eq_u32 s60, s62
	v_sub_u32_e32 v1, v1, v4
	v_add_u32_e32 v4, v3, v5
	v_mul_lo_u32 v5, v1, s4
	v_mul_lo_u32 v6, v1, s5
	v_lshrrev_b32_e32 v1, s17, v4
	v_mul_lo_u32 v4, v1, s15
	v_mul_hi_u32 v7, s19, v1
	v_sub_u32_e32 v3, v3, v4
	v_add_u32_e32 v4, v1, v7
	v_lshrrev_b32_e32 v4, s36, v4
	v_mul_hi_u32 v8, s38, v4
	v_mul_lo_u32 v9, v4, s18
	v_mul_lo_u32 v7, v3, s6
	;; [unrolled: 1-line block ×3, first 2 shown]
	v_sub_u32_e32 v9, v1, v9
	v_add_u32_e32 v1, v4, v8
	v_lshrrev_b32_e32 v1, s39, v1
	v_mul_lo_u32 v8, v1, s37
	v_mul_lo_u32 v10, v9, s8
	;; [unrolled: 1-line block ×3, first 2 shown]
	v_add3_u32 v0, v5, v0, v7
	v_sub_u32_e32 v4, v4, v8
	v_mul_lo_u32 v8, v4, s10
	v_mul_lo_u32 v4, v4, s11
	v_add3_u32 v2, v6, v2, v3
	v_add3_u32 v0, v10, v0, v8
	;; [unrolled: 1-line block ×3, first 2 shown]
	s_cbranch_scc0 .LBB198_208
	s_branch .LBB198_223
.LBB198_209:
                                        ; implicit-def: $vgpr0
                                        ; implicit-def: $vgpr2
	s_branch .LBB198_227
.LBB198_210:
	v_mov_b32_e32 v0, 0
	v_mov_b32_e32 v2, 0
	s_branch .LBB198_226
.LBB198_211:
	s_mov_b32 s60, 0
	v_mov_b32_e32 v0, 0
	v_mov_b32_e32 v2, 0
	;; [unrolled: 1-line block ×3, first 2 shown]
.LBB198_212:
	s_and_b32 s8, s61, 3
	s_cmp_eq_u32 s8, 0
	s_cbranch_scc1 .LBB198_215
; %bb.213:
	s_lshl_b32 s4, s60, 3
	s_add_u32 s4, s34, s4
	s_addc_u32 s5, s35, 0
	s_add_u32 s4, s4, 0xc4
	s_addc_u32 s5, s5, 0
	s_mul_i32 s6, s60, 12
	s_add_u32 s6, s34, s6
	s_addc_u32 s7, s35, 0
.LBB198_214:                            ; =>This Inner Loop Header: Depth=1
	s_load_dwordx2 s[10:11], s[6:7], 0x4
	s_load_dword s9, s[6:7], 0xc
	s_load_dwordx2 s[12:13], s[4:5], 0x0
	s_add_u32 s6, s6, 12
	s_addc_u32 s7, s7, 0
	s_waitcnt lgkmcnt(0)
	v_mul_hi_u32 v3, s11, v1
	s_add_u32 s4, s4, 8
	s_addc_u32 s5, s5, 0
	s_add_i32 s8, s8, -1
	v_add_u32_e32 v3, v1, v3
	v_lshrrev_b32_e32 v4, s9, v3
	v_mul_lo_u32 v3, v4, s10
	s_cmp_lg_u32 s8, 0
	v_sub_u32_e32 v3, v1, v3
	v_mad_u64_u32 v[0:1], s[10:11], v3, s12, v[0:1]
	v_mad_u64_u32 v[2:3], s[10:11], v3, s13, v[2:3]
	v_mov_b32_e32 v1, v4
	s_cbranch_scc1 .LBB198_214
.LBB198_215:
	s_cbranch_execnz .LBB198_218
.LBB198_216:
	v_mul_hi_u32 v0, s25, v19
	s_andn2_b64 vcc, exec, s[44:45]
	v_add_u32_e32 v0, v19, v0
	v_lshrrev_b32_e32 v1, s26, v0
	v_mul_lo_u32 v0, v1, s24
	v_sub_u32_e32 v2, v19, v0
	v_mul_lo_u32 v0, v2, s28
	v_mul_lo_u32 v2, v2, s29
	s_cbranch_vccnz .LBB198_218
; %bb.217:
	v_mul_hi_u32 v3, s42, v1
	v_add_u32_e32 v3, v1, v3
	v_lshrrev_b32_e32 v3, s43, v3
	v_mul_lo_u32 v3, v3, s27
	v_sub_u32_e32 v3, v1, v3
	v_mad_u64_u32 v[0:1], s[4:5], v3, s30, v[0:1]
	v_mad_u64_u32 v[2:3], s[4:5], v3, s31, v[2:3]
.LBB198_218:
	global_load_ushort v1, v2, s[22:23]
	v_mov_b32_e32 v2, s57
	v_add_u32_e32 v19, 0x80, v19
	s_waitcnt vmcnt(0)
	v_cndmask_b32_e64 v1, v1, v2, s[0:1]
	global_store_short v0, v1, s[20:21]
	s_or_b64 exec, exec, s[50:51]
	v_cmp_gt_i32_e32 vcc, s58, v19
	s_and_saveexec_b64 s[50:51], vcc
	s_cbranch_execnz .LBB198_204
.LBB198_219:
	s_or_b64 exec, exec, s[50:51]
	v_cmp_gt_i32_e32 vcc, s58, v19
	s_and_saveexec_b64 s[50:51], vcc
	s_cbranch_execnz .LBB198_230
.LBB198_220:
	s_or_b64 exec, exec, s[50:51]
                                        ; implicit-def: $vgpr25
                                        ; implicit-def: $vgpr19
	s_andn2_saveexec_b64 s[0:1], s[40:41]
	s_cbranch_execnz .LBB198_8
.LBB198_221:
	s_endpgm
.LBB198_222:
	s_mov_b32 s60, 0
	v_mov_b32_e32 v0, 0
	v_mov_b32_e32 v2, 0
	v_mov_b32_e32 v1, v19
.LBB198_223:
	s_and_b32 s8, s61, 3
	s_cmp_eq_u32 s8, 0
	s_cbranch_scc1 .LBB198_226
; %bb.224:
	s_lshl_b32 s4, s60, 3
	s_add_u32 s4, s34, s4
	s_addc_u32 s5, s35, 0
	s_add_u32 s4, s4, 0xc4
	s_addc_u32 s5, s5, 0
	s_mul_i32 s6, s60, 12
	s_add_u32 s6, s34, s6
	s_addc_u32 s7, s35, 0
.LBB198_225:                            ; =>This Inner Loop Header: Depth=1
	s_load_dwordx2 s[10:11], s[6:7], 0x4
	s_load_dword s9, s[6:7], 0xc
	s_load_dwordx2 s[12:13], s[4:5], 0x0
	s_add_u32 s6, s6, 12
	s_addc_u32 s7, s7, 0
	s_waitcnt lgkmcnt(0)
	v_mul_hi_u32 v3, s11, v1
	s_add_u32 s4, s4, 8
	s_addc_u32 s5, s5, 0
	s_add_i32 s8, s8, -1
	v_add_u32_e32 v3, v1, v3
	v_lshrrev_b32_e32 v4, s9, v3
	v_mul_lo_u32 v3, v4, s10
	s_cmp_lg_u32 s8, 0
	v_sub_u32_e32 v3, v1, v3
	v_mad_u64_u32 v[0:1], s[10:11], v3, s12, v[0:1]
	v_mad_u64_u32 v[2:3], s[10:11], v3, s13, v[2:3]
	v_mov_b32_e32 v1, v4
	s_cbranch_scc1 .LBB198_225
.LBB198_226:
	s_cbranch_execnz .LBB198_229
.LBB198_227:
	v_mul_hi_u32 v0, s25, v19
	s_andn2_b64 vcc, exec, s[44:45]
	v_add_u32_e32 v0, v19, v0
	v_lshrrev_b32_e32 v1, s26, v0
	v_mul_lo_u32 v0, v1, s24
	v_sub_u32_e32 v2, v19, v0
	v_mul_lo_u32 v0, v2, s28
	v_mul_lo_u32 v2, v2, s29
	s_cbranch_vccnz .LBB198_229
; %bb.228:
	v_mul_hi_u32 v3, s42, v1
	v_add_u32_e32 v3, v1, v3
	v_lshrrev_b32_e32 v3, s43, v3
	v_mul_lo_u32 v3, v3, s27
	v_sub_u32_e32 v3, v1, v3
	v_mad_u64_u32 v[0:1], s[4:5], v3, s30, v[0:1]
	v_mad_u64_u32 v[2:3], s[4:5], v3, s31, v[2:3]
.LBB198_229:
	global_load_ushort v1, v2, s[22:23]
	v_mov_b32_e32 v2, s57
	v_add_u32_e32 v19, 0x80, v19
	s_waitcnt vmcnt(0)
	v_cndmask_b32_e64 v1, v1, v2, s[0:1]
	global_store_short v0, v1, s[20:21]
	s_or_b64 exec, exec, s[50:51]
	v_cmp_gt_i32_e32 vcc, s58, v19
	s_and_saveexec_b64 s[50:51], vcc
	s_cbranch_execz .LBB198_220
.LBB198_230:
	s_andn2_b64 vcc, exec, s[2:3]
	s_cbranch_vccnz .LBB198_235
; %bb.231:
	s_andn2_b64 vcc, exec, s[48:49]
	s_cbranch_vccnz .LBB198_236
; %bb.232:
	s_add_i32 s59, s59, 1
	s_cmp_eq_u32 s56, 2
	s_cbranch_scc1 .LBB198_237
; %bb.233:
	s_and_b32 s52, s59, 28
	v_mov_b32_e32 v2, 0
	s_mov_b32 s53, 0
	s_mov_b64 s[48:49], s[34:35]
	v_mov_b32_e32 v0, 0
	v_mov_b32_e32 v1, v19
.LBB198_234:                            ; =>This Inner Loop Header: Depth=1
	s_load_dwordx8 s[12:19], s[48:49], 0x4
	s_load_dwordx4 s[36:39], s[48:49], 0x24
	s_load_dwordx8 s[4:11], s[46:47], 0x0
	s_add_u32 s48, s48, 48
	s_addc_u32 s49, s49, 0
	s_waitcnt lgkmcnt(0)
	v_mul_hi_u32 v3, s13, v1
	s_add_i32 s53, s53, 4
	s_add_u32 s46, s46, 32
	s_addc_u32 s47, s47, 0
	v_add_u32_e32 v3, v1, v3
	v_lshrrev_b32_e32 v3, s14, v3
	v_mul_lo_u32 v4, v3, s12
	v_mul_hi_u32 v5, s16, v3
	s_cmp_eq_u32 s52, s53
	v_sub_u32_e32 v1, v1, v4
	v_add_u32_e32 v4, v3, v5
	v_mul_lo_u32 v5, v1, s4
	v_mul_lo_u32 v6, v1, s5
	v_lshrrev_b32_e32 v1, s17, v4
	v_mul_lo_u32 v4, v1, s15
	v_mul_hi_u32 v7, s19, v1
	v_sub_u32_e32 v3, v3, v4
	v_add_u32_e32 v4, v1, v7
	v_lshrrev_b32_e32 v4, s36, v4
	v_mul_hi_u32 v8, s38, v4
	v_mul_lo_u32 v9, v4, s18
	v_mul_lo_u32 v7, v3, s6
	v_mul_lo_u32 v3, v3, s7
	v_sub_u32_e32 v9, v1, v9
	v_add_u32_e32 v1, v4, v8
	v_lshrrev_b32_e32 v1, s39, v1
	v_mul_lo_u32 v8, v1, s37
	v_mul_lo_u32 v10, v9, s8
	;; [unrolled: 1-line block ×3, first 2 shown]
	v_add3_u32 v0, v5, v0, v7
	v_sub_u32_e32 v4, v4, v8
	v_mul_lo_u32 v8, v4, s10
	v_mul_lo_u32 v4, v4, s11
	v_add3_u32 v2, v6, v2, v3
	v_add3_u32 v0, v10, v0, v8
	;; [unrolled: 1-line block ×3, first 2 shown]
	s_cbranch_scc0 .LBB198_234
	s_branch .LBB198_238
.LBB198_235:
                                        ; implicit-def: $vgpr0
                                        ; implicit-def: $vgpr2
	s_branch .LBB198_242
.LBB198_236:
	v_mov_b32_e32 v0, 0
	v_mov_b32_e32 v2, 0
	s_branch .LBB198_241
.LBB198_237:
	s_mov_b32 s52, 0
	v_mov_b32_e32 v0, 0
	v_mov_b32_e32 v2, 0
	;; [unrolled: 1-line block ×3, first 2 shown]
.LBB198_238:
	s_and_b32 s8, s59, 3
	s_cmp_eq_u32 s8, 0
	s_cbranch_scc1 .LBB198_241
; %bb.239:
	s_lshl_b32 s4, s52, 3
	s_add_u32 s4, s34, s4
	s_addc_u32 s5, s35, 0
	s_add_u32 s4, s4, 0xc4
	s_addc_u32 s5, s5, 0
	s_mul_i32 s6, s52, 12
	s_add_u32 s6, s34, s6
	s_addc_u32 s7, s35, 0
.LBB198_240:                            ; =>This Inner Loop Header: Depth=1
	s_load_dwordx2 s[10:11], s[6:7], 0x4
	s_load_dword s9, s[6:7], 0xc
	s_load_dwordx2 s[12:13], s[4:5], 0x0
	s_add_u32 s6, s6, 12
	s_addc_u32 s7, s7, 0
	s_waitcnt lgkmcnt(0)
	v_mul_hi_u32 v3, s11, v1
	s_add_u32 s4, s4, 8
	s_addc_u32 s5, s5, 0
	s_add_i32 s8, s8, -1
	v_add_u32_e32 v3, v1, v3
	v_lshrrev_b32_e32 v4, s9, v3
	v_mul_lo_u32 v3, v4, s10
	s_cmp_lg_u32 s8, 0
	v_sub_u32_e32 v3, v1, v3
	v_mad_u64_u32 v[0:1], s[10:11], v3, s12, v[0:1]
	v_mad_u64_u32 v[2:3], s[10:11], v3, s13, v[2:3]
	v_mov_b32_e32 v1, v4
	s_cbranch_scc1 .LBB198_240
.LBB198_241:
	s_cbranch_execnz .LBB198_244
.LBB198_242:
	v_mul_hi_u32 v0, s25, v19
	s_andn2_b64 vcc, exec, s[44:45]
	v_add_u32_e32 v0, v19, v0
	v_lshrrev_b32_e32 v1, s26, v0
	v_mul_lo_u32 v0, v1, s24
	v_sub_u32_e32 v2, v19, v0
	v_mul_lo_u32 v0, v2, s28
	v_mul_lo_u32 v2, v2, s29
	s_cbranch_vccnz .LBB198_244
; %bb.243:
	v_mul_hi_u32 v3, s42, v1
	v_add_u32_e32 v3, v1, v3
	v_lshrrev_b32_e32 v3, s43, v3
	v_mul_lo_u32 v3, v3, s27
	v_sub_u32_e32 v3, v1, v3
	v_mad_u64_u32 v[0:1], s[4:5], v3, s30, v[0:1]
	v_mad_u64_u32 v[2:3], s[4:5], v3, s31, v[2:3]
.LBB198_244:
	global_load_ushort v1, v2, s[22:23]
	v_mov_b32_e32 v2, s57
	s_waitcnt vmcnt(0)
	v_cndmask_b32_e64 v1, v1, v2, s[0:1]
	global_store_short v0, v1, s[20:21]
	s_or_b64 exec, exec, s[50:51]
                                        ; implicit-def: $vgpr25
                                        ; implicit-def: $vgpr19
	s_andn2_saveexec_b64 s[0:1], s[40:41]
	s_cbranch_execz .LBB198_221
	s_branch .LBB198_8
	.section	.rodata,"a",@progbits
	.p2align	6, 0x0
	.amdhsa_kernel _ZN2at6native32elementwise_kernel_manual_unrollILi128ELi8EZNS0_22gpu_kernel_impl_nocastINS0_13AUnaryFunctorIN3c104HalfES5_S5_ZNS0_12_GLOBAL__N_121threshold_kernel_implIS5_EEvRNS_18TensorIteratorBaseET_SA_EUlS5_S5_E_EEEEvS9_RKSA_EUlibE_EEviT1_
		.amdhsa_group_segment_fixed_size 0
		.amdhsa_private_segment_fixed_size 0
		.amdhsa_kernarg_size 360
		.amdhsa_user_sgpr_count 6
		.amdhsa_user_sgpr_private_segment_buffer 1
		.amdhsa_user_sgpr_dispatch_ptr 0
		.amdhsa_user_sgpr_queue_ptr 0
		.amdhsa_user_sgpr_kernarg_segment_ptr 1
		.amdhsa_user_sgpr_dispatch_id 0
		.amdhsa_user_sgpr_flat_scratch_init 0
		.amdhsa_user_sgpr_private_segment_size 0
		.amdhsa_uses_dynamic_stack 0
		.amdhsa_system_sgpr_private_segment_wavefront_offset 0
		.amdhsa_system_sgpr_workgroup_id_x 1
		.amdhsa_system_sgpr_workgroup_id_y 0
		.amdhsa_system_sgpr_workgroup_id_z 0
		.amdhsa_system_sgpr_workgroup_info 0
		.amdhsa_system_vgpr_workitem_id 0
		.amdhsa_next_free_vgpr 26
		.amdhsa_next_free_sgpr 63
		.amdhsa_reserve_vcc 1
		.amdhsa_reserve_flat_scratch 0
		.amdhsa_float_round_mode_32 0
		.amdhsa_float_round_mode_16_64 0
		.amdhsa_float_denorm_mode_32 3
		.amdhsa_float_denorm_mode_16_64 3
		.amdhsa_dx10_clamp 1
		.amdhsa_ieee_mode 1
		.amdhsa_fp16_overflow 0
		.amdhsa_exception_fp_ieee_invalid_op 0
		.amdhsa_exception_fp_denorm_src 0
		.amdhsa_exception_fp_ieee_div_zero 0
		.amdhsa_exception_fp_ieee_overflow 0
		.amdhsa_exception_fp_ieee_underflow 0
		.amdhsa_exception_fp_ieee_inexact 0
		.amdhsa_exception_int_div_zero 0
	.end_amdhsa_kernel
	.section	.text._ZN2at6native32elementwise_kernel_manual_unrollILi128ELi8EZNS0_22gpu_kernel_impl_nocastINS0_13AUnaryFunctorIN3c104HalfES5_S5_ZNS0_12_GLOBAL__N_121threshold_kernel_implIS5_EEvRNS_18TensorIteratorBaseET_SA_EUlS5_S5_E_EEEEvS9_RKSA_EUlibE_EEviT1_,"axG",@progbits,_ZN2at6native32elementwise_kernel_manual_unrollILi128ELi8EZNS0_22gpu_kernel_impl_nocastINS0_13AUnaryFunctorIN3c104HalfES5_S5_ZNS0_12_GLOBAL__N_121threshold_kernel_implIS5_EEvRNS_18TensorIteratorBaseET_SA_EUlS5_S5_E_EEEEvS9_RKSA_EUlibE_EEviT1_,comdat
.Lfunc_end198:
	.size	_ZN2at6native32elementwise_kernel_manual_unrollILi128ELi8EZNS0_22gpu_kernel_impl_nocastINS0_13AUnaryFunctorIN3c104HalfES5_S5_ZNS0_12_GLOBAL__N_121threshold_kernel_implIS5_EEvRNS_18TensorIteratorBaseET_SA_EUlS5_S5_E_EEEEvS9_RKSA_EUlibE_EEviT1_, .Lfunc_end198-_ZN2at6native32elementwise_kernel_manual_unrollILi128ELi8EZNS0_22gpu_kernel_impl_nocastINS0_13AUnaryFunctorIN3c104HalfES5_S5_ZNS0_12_GLOBAL__N_121threshold_kernel_implIS5_EEvRNS_18TensorIteratorBaseET_SA_EUlS5_S5_E_EEEEvS9_RKSA_EUlibE_EEviT1_
                                        ; -- End function
	.set _ZN2at6native32elementwise_kernel_manual_unrollILi128ELi8EZNS0_22gpu_kernel_impl_nocastINS0_13AUnaryFunctorIN3c104HalfES5_S5_ZNS0_12_GLOBAL__N_121threshold_kernel_implIS5_EEvRNS_18TensorIteratorBaseET_SA_EUlS5_S5_E_EEEEvS9_RKSA_EUlibE_EEviT1_.num_vgpr, 26
	.set _ZN2at6native32elementwise_kernel_manual_unrollILi128ELi8EZNS0_22gpu_kernel_impl_nocastINS0_13AUnaryFunctorIN3c104HalfES5_S5_ZNS0_12_GLOBAL__N_121threshold_kernel_implIS5_EEvRNS_18TensorIteratorBaseET_SA_EUlS5_S5_E_EEEEvS9_RKSA_EUlibE_EEviT1_.num_agpr, 0
	.set _ZN2at6native32elementwise_kernel_manual_unrollILi128ELi8EZNS0_22gpu_kernel_impl_nocastINS0_13AUnaryFunctorIN3c104HalfES5_S5_ZNS0_12_GLOBAL__N_121threshold_kernel_implIS5_EEvRNS_18TensorIteratorBaseET_SA_EUlS5_S5_E_EEEEvS9_RKSA_EUlibE_EEviT1_.numbered_sgpr, 63
	.set _ZN2at6native32elementwise_kernel_manual_unrollILi128ELi8EZNS0_22gpu_kernel_impl_nocastINS0_13AUnaryFunctorIN3c104HalfES5_S5_ZNS0_12_GLOBAL__N_121threshold_kernel_implIS5_EEvRNS_18TensorIteratorBaseET_SA_EUlS5_S5_E_EEEEvS9_RKSA_EUlibE_EEviT1_.num_named_barrier, 0
	.set _ZN2at6native32elementwise_kernel_manual_unrollILi128ELi8EZNS0_22gpu_kernel_impl_nocastINS0_13AUnaryFunctorIN3c104HalfES5_S5_ZNS0_12_GLOBAL__N_121threshold_kernel_implIS5_EEvRNS_18TensorIteratorBaseET_SA_EUlS5_S5_E_EEEEvS9_RKSA_EUlibE_EEviT1_.private_seg_size, 0
	.set _ZN2at6native32elementwise_kernel_manual_unrollILi128ELi8EZNS0_22gpu_kernel_impl_nocastINS0_13AUnaryFunctorIN3c104HalfES5_S5_ZNS0_12_GLOBAL__N_121threshold_kernel_implIS5_EEvRNS_18TensorIteratorBaseET_SA_EUlS5_S5_E_EEEEvS9_RKSA_EUlibE_EEviT1_.uses_vcc, 1
	.set _ZN2at6native32elementwise_kernel_manual_unrollILi128ELi8EZNS0_22gpu_kernel_impl_nocastINS0_13AUnaryFunctorIN3c104HalfES5_S5_ZNS0_12_GLOBAL__N_121threshold_kernel_implIS5_EEvRNS_18TensorIteratorBaseET_SA_EUlS5_S5_E_EEEEvS9_RKSA_EUlibE_EEviT1_.uses_flat_scratch, 0
	.set _ZN2at6native32elementwise_kernel_manual_unrollILi128ELi8EZNS0_22gpu_kernel_impl_nocastINS0_13AUnaryFunctorIN3c104HalfES5_S5_ZNS0_12_GLOBAL__N_121threshold_kernel_implIS5_EEvRNS_18TensorIteratorBaseET_SA_EUlS5_S5_E_EEEEvS9_RKSA_EUlibE_EEviT1_.has_dyn_sized_stack, 0
	.set _ZN2at6native32elementwise_kernel_manual_unrollILi128ELi8EZNS0_22gpu_kernel_impl_nocastINS0_13AUnaryFunctorIN3c104HalfES5_S5_ZNS0_12_GLOBAL__N_121threshold_kernel_implIS5_EEvRNS_18TensorIteratorBaseET_SA_EUlS5_S5_E_EEEEvS9_RKSA_EUlibE_EEviT1_.has_recursion, 0
	.set _ZN2at6native32elementwise_kernel_manual_unrollILi128ELi8EZNS0_22gpu_kernel_impl_nocastINS0_13AUnaryFunctorIN3c104HalfES5_S5_ZNS0_12_GLOBAL__N_121threshold_kernel_implIS5_EEvRNS_18TensorIteratorBaseET_SA_EUlS5_S5_E_EEEEvS9_RKSA_EUlibE_EEviT1_.has_indirect_call, 0
	.section	.AMDGPU.csdata,"",@progbits
; Kernel info:
; codeLenInByte = 11284
; TotalNumSgprs: 67
; NumVgprs: 26
; ScratchSize: 0
; MemoryBound: 0
; FloatMode: 240
; IeeeMode: 1
; LDSByteSize: 0 bytes/workgroup (compile time only)
; SGPRBlocks: 8
; VGPRBlocks: 6
; NumSGPRsForWavesPerEU: 67
; NumVGPRsForWavesPerEU: 26
; Occupancy: 9
; WaveLimiterHint : 1
; COMPUTE_PGM_RSRC2:SCRATCH_EN: 0
; COMPUTE_PGM_RSRC2:USER_SGPR: 6
; COMPUTE_PGM_RSRC2:TRAP_HANDLER: 0
; COMPUTE_PGM_RSRC2:TGID_X_EN: 1
; COMPUTE_PGM_RSRC2:TGID_Y_EN: 0
; COMPUTE_PGM_RSRC2:TGID_Z_EN: 0
; COMPUTE_PGM_RSRC2:TIDIG_COMP_CNT: 0
	.section	.text._ZN2at6native32elementwise_kernel_manual_unrollILi128ELi4EZNS0_15gpu_kernel_implINS0_13AUnaryFunctorIN3c104HalfES5_S5_ZNS0_12_GLOBAL__N_121threshold_kernel_implIS5_EEvRNS_18TensorIteratorBaseET_SA_EUlS5_S5_E_EEEEvS9_RKSA_EUlibE_EEviT1_,"axG",@progbits,_ZN2at6native32elementwise_kernel_manual_unrollILi128ELi4EZNS0_15gpu_kernel_implINS0_13AUnaryFunctorIN3c104HalfES5_S5_ZNS0_12_GLOBAL__N_121threshold_kernel_implIS5_EEvRNS_18TensorIteratorBaseET_SA_EUlS5_S5_E_EEEEvS9_RKSA_EUlibE_EEviT1_,comdat
	.globl	_ZN2at6native32elementwise_kernel_manual_unrollILi128ELi4EZNS0_15gpu_kernel_implINS0_13AUnaryFunctorIN3c104HalfES5_S5_ZNS0_12_GLOBAL__N_121threshold_kernel_implIS5_EEvRNS_18TensorIteratorBaseET_SA_EUlS5_S5_E_EEEEvS9_RKSA_EUlibE_EEviT1_ ; -- Begin function _ZN2at6native32elementwise_kernel_manual_unrollILi128ELi4EZNS0_15gpu_kernel_implINS0_13AUnaryFunctorIN3c104HalfES5_S5_ZNS0_12_GLOBAL__N_121threshold_kernel_implIS5_EEvRNS_18TensorIteratorBaseET_SA_EUlS5_S5_E_EEEEvS9_RKSA_EUlibE_EEviT1_
	.p2align	8
	.type	_ZN2at6native32elementwise_kernel_manual_unrollILi128ELi4EZNS0_15gpu_kernel_implINS0_13AUnaryFunctorIN3c104HalfES5_S5_ZNS0_12_GLOBAL__N_121threshold_kernel_implIS5_EEvRNS_18TensorIteratorBaseET_SA_EUlS5_S5_E_EEEEvS9_RKSA_EUlibE_EEviT1_,@function
_ZN2at6native32elementwise_kernel_manual_unrollILi128ELi4EZNS0_15gpu_kernel_implINS0_13AUnaryFunctorIN3c104HalfES5_S5_ZNS0_12_GLOBAL__N_121threshold_kernel_implIS5_EEvRNS_18TensorIteratorBaseET_SA_EUlS5_S5_E_EEEEvS9_RKSA_EUlibE_EEviT1_: ; @_ZN2at6native32elementwise_kernel_manual_unrollILi128ELi4EZNS0_15gpu_kernel_implINS0_13AUnaryFunctorIN3c104HalfES5_S5_ZNS0_12_GLOBAL__N_121threshold_kernel_implIS5_EEvRNS_18TensorIteratorBaseET_SA_EUlS5_S5_E_EEEEvS9_RKSA_EUlibE_EEviT1_
; %bb.0:
	s_load_dwordx8 s[8:15], s[4:5], 0x8
	s_load_dword s0, s[4:5], 0x24
	s_load_dword s42, s[4:5], 0x0
	v_lshl_or_b32 v2, s6, 9, v0
	v_or_b32_e32 v0, 0x180, v2
	s_waitcnt lgkmcnt(0)
	s_lshr_b32 s33, s14, 16
	s_lshr_b32 s46, s0, 16
	;; [unrolled: 1-line block ×3, first 2 shown]
	v_cmp_le_i32_e32 vcc, s42, v0
	s_mov_b64 s[4:5], 0
	s_mov_b64 s[16:17], 0
	s_and_saveexec_b64 s[0:1], vcc
	s_xor_b64 s[6:7], exec, s[0:1]
	s_cbranch_execz .LBB199_1027
; %bb.1:
	v_mov_b32_e32 v0, s14
	v_cmp_le_f16_e64 s[0:1], s15, v0
	v_cmp_gt_i32_e32 vcc, s42, v2
	s_mov_b64 s[2:3], -1
	s_mov_b64 s[24:25], 0
	s_mov_b64 s[18:19], 0
	s_and_saveexec_b64 s[20:21], vcc
	s_cbranch_execz .LBB199_252
; %bb.2:
	v_mul_lo_u32 v0, v2, s13
	v_mov_b32_e32 v1, s11
	s_and_b32 s26, 0xffff, s47
	s_cmp_lt_i32 s26, 11
	v_ashrrev_i32_e32 v3, 31, v0
	v_add_co_u32_e32 v0, vcc, s10, v0
	v_addc_co_u32_e32 v1, vcc, v1, v3, vcc
	s_cbranch_scc1 .LBB199_9
; %bb.3:
	s_cmp_gt_i32 s26, 25
	s_cbranch_scc0 .LBB199_18
; %bb.4:
	s_cmp_gt_i32 s26, 28
	s_cbranch_scc0 .LBB199_22
	;; [unrolled: 3-line block ×4, first 2 shown]
; %bb.7:
	s_cmp_eq_u32 s26, 46
	s_cbranch_scc0 .LBB199_28
; %bb.8:
	global_load_dword v3, v[0:1], off
	s_waitcnt vmcnt(0)
	v_lshlrev_b32_e32 v3, 16, v3
	v_cvt_f16_f32_e32 v3, v3
	s_branch .LBB199_30
.LBB199_9:
                                        ; implicit-def: $vgpr3
	s_mov_b64 s[2:3], 0
	s_cbranch_execnz .LBB199_203
.LBB199_10:
	s_andn2_b64 vcc, exec, s[2:3]
	s_cbranch_vccnz .LBB199_250
.LBB199_11:
	v_mul_lo_u32 v0, v2, s12
	v_mov_b32_e32 v1, s33
	v_mov_b32_e32 v4, s9
	s_waitcnt vmcnt(0)
	v_cndmask_b32_e64 v3, v3, v1, s[0:1]
	v_ashrrev_i32_e32 v1, 31, v0
	s_and_b32 s28, s46, 0xff
	v_add_co_u32_e32 v0, vcc, s8, v0
	s_cmp_lt_i32 s28, 11
	v_addc_co_u32_e32 v1, vcc, v4, v1, vcc
	s_cbranch_scc1 .LBB199_19
; %bb.12:
	s_and_b32 s29, 0xffff, s28
	s_cmp_gt_i32 s29, 25
	s_cbranch_scc0 .LBB199_23
; %bb.13:
	s_cmp_gt_i32 s29, 28
	s_cbranch_scc0 .LBB199_25
; %bb.14:
	;; [unrolled: 3-line block ×4, first 2 shown]
	s_mov_b64 s[22:23], 0
	s_mov_b64 s[2:3], -1
	s_cmp_eq_u32 s29, 46
	s_mov_b64 s[16:17], 0
	s_cbranch_scc0 .LBB199_34
; %bb.17:
	v_cvt_f32_f16_e32 v4, v3
	s_movk_i32 s2, 0x7fff
	v_cmp_o_f16_e32 vcc, v3, v3
	v_mov_b32_e32 v5, 0x7fc0
	v_bfe_u32 v6, v4, 16, 1
	v_add3_u32 v4, v4, v6, s2
	v_cndmask_b32_sdwa v4, v5, v4, vcc dst_sel:DWORD dst_unused:UNUSED_PAD src0_sel:DWORD src1_sel:WORD_1
	global_store_dword v[0:1], v4, off
	s_mov_b64 s[16:17], -1
	s_mov_b64 s[2:3], 0
	s_branch .LBB199_34
.LBB199_18:
	s_mov_b64 s[2:3], 0
                                        ; implicit-def: $vgpr3
	s_cbranch_execnz .LBB199_168
	s_branch .LBB199_202
.LBB199_19:
	s_mov_b64 s[2:3], 0
	s_mov_b64 s[16:17], 0
	s_cbranch_execnz .LBB199_103
.LBB199_20:
	s_andn2_b64 vcc, exec, s[16:17]
	s_cbranch_vccnz .LBB199_141
.LBB199_21:
	v_add_u32_e32 v2, 0x80, v2
	s_mov_b64 s[22:23], -1
	s_branch .LBB199_251
.LBB199_22:
	s_mov_b64 s[16:17], -1
	s_mov_b64 s[2:3], 0
                                        ; implicit-def: $vgpr3
	s_branch .LBB199_149
.LBB199_23:
	s_mov_b64 s[22:23], -1
	s_mov_b64 s[2:3], 0
	s_mov_b64 s[16:17], 0
	s_branch .LBB199_61
.LBB199_24:
	s_mov_b64 s[16:17], -1
	s_mov_b64 s[2:3], 0
                                        ; implicit-def: $vgpr3
	s_branch .LBB199_144
.LBB199_25:
	s_mov_b64 s[22:23], -1
	s_mov_b64 s[2:3], 0
	s_mov_b64 s[16:17], 0
	s_branch .LBB199_44
.LBB199_26:
	s_mov_b64 s[16:17], -1
	s_branch .LBB199_29
.LBB199_27:
	s_mov_b64 s[22:23], -1
	s_mov_b64 s[2:3], 0
	s_mov_b64 s[16:17], 0
	s_branch .LBB199_40
.LBB199_28:
	s_mov_b64 s[18:19], -1
.LBB199_29:
	s_mov_b64 s[2:3], 0
                                        ; implicit-def: $vgpr3
.LBB199_30:
	s_and_b64 vcc, exec, s[16:17]
	s_cbranch_vccz .LBB199_143
; %bb.31:
	s_cmp_eq_u32 s26, 44
	s_cbranch_scc0 .LBB199_142
; %bb.32:
	global_load_ubyte v3, v[0:1], off
	s_movk_i32 s16, 0xff
	v_mov_b32_e32 v5, 0x7e00
	s_mov_b64 s[2:3], -1
	s_mov_b64 s[18:19], 0
	s_waitcnt vmcnt(0)
	v_lshlrev_b32_e32 v4, 23, v3
	v_cvt_f16_f32_e32 v4, v4
	v_cmp_ne_u32_e32 vcc, s16, v3
	v_cndmask_b32_e32 v4, v5, v4, vcc
	v_cmp_ne_u32_e32 vcc, 0, v3
	v_cndmask_b32_e32 v3, 0, v4, vcc
	s_branch .LBB199_143
.LBB199_33:
	s_mov_b64 s[22:23], -1
	s_mov_b64 s[2:3], 0
	s_mov_b64 s[16:17], 0
.LBB199_34:
	s_and_b64 vcc, exec, s[22:23]
	s_cbranch_vccz .LBB199_39
; %bb.35:
	s_cmp_eq_u32 s29, 44
	s_mov_b64 s[2:3], -1
	s_cbranch_scc0 .LBB199_39
; %bb.36:
	v_cvt_f32_f16_e32 v4, v3
	s_movk_i32 s2, 0xff
	v_mov_b32_e32 v6, 0xff
	v_bfe_u32 v5, v4, 23, 8
	v_cmp_ne_u32_e32 vcc, s2, v5
	s_and_saveexec_b64 s[16:17], vcc
; %bb.37:
	s_mov_b32 s2, 0x3fffff
	v_lshrrev_b32_e32 v6, 23, v4
	v_and_b32_e32 v7, 0x400000, v4
	v_and_or_b32 v4, v4, s2, v5
	v_cmp_ne_u32_e32 vcc, 0, v7
	v_cmp_ne_u32_e64 s[2:3], 0, v4
	s_and_b64 s[2:3], vcc, s[2:3]
	v_cndmask_b32_e64 v4, 0, 1, s[2:3]
	v_add_u32_e32 v6, v6, v4
; %bb.38:
	s_or_b64 exec, exec, s[16:17]
	s_mov_b64 s[16:17], -1
	s_mov_b64 s[2:3], 0
	global_store_byte v[0:1], v6, off
.LBB199_39:
	s_mov_b64 s[22:23], 0
.LBB199_40:
	s_and_b64 vcc, exec, s[22:23]
	s_cbranch_vccz .LBB199_43
; %bb.41:
	s_cmp_eq_u32 s29, 29
	s_mov_b64 s[2:3], -1
	s_cbranch_scc0 .LBB199_43
; %bb.42:
	v_cvt_f32_f16_e32 v4, v3
	v_mov_b32_e32 v5, 0
	s_mov_b64 s[16:17], -1
	s_mov_b64 s[2:3], 0
	v_cvt_u32_f32_e32 v4, v4
	s_mov_b64 s[22:23], 0
	global_store_dwordx2 v[0:1], v[4:5], off
	s_branch .LBB199_44
.LBB199_43:
	s_mov_b64 s[22:23], 0
.LBB199_44:
	s_and_b64 vcc, exec, s[22:23]
	s_cbranch_vccz .LBB199_60
; %bb.45:
	s_cmp_lt_i32 s29, 27
	s_mov_b64 s[16:17], -1
	s_cbranch_scc1 .LBB199_51
; %bb.46:
	s_cmp_gt_i32 s29, 27
	s_cbranch_scc0 .LBB199_48
; %bb.47:
	v_cvt_f32_f16_e32 v4, v3
	s_mov_b64 s[16:17], 0
	v_cvt_u32_f32_e32 v4, v4
	global_store_dword v[0:1], v4, off
.LBB199_48:
	s_andn2_b64 vcc, exec, s[16:17]
	s_cbranch_vccnz .LBB199_50
; %bb.49:
	v_cvt_u16_f16_e32 v4, v3
	global_store_short v[0:1], v4, off
.LBB199_50:
	s_mov_b64 s[16:17], 0
.LBB199_51:
	s_andn2_b64 vcc, exec, s[16:17]
	s_cbranch_vccnz .LBB199_59
; %bb.52:
	v_cvt_f32_f16_e32 v4, v3
	s_mov_b32 s16, 0x43800000
	v_mov_b32_e32 v6, 0x80
	v_and_b32_e32 v5, 0x7fffffff, v4
	v_cmp_gt_u32_e32 vcc, s16, v5
	s_and_saveexec_b64 s[16:17], vcc
	s_cbranch_execz .LBB199_58
; %bb.53:
	s_mov_b32 s22, 0x3bffffff
	v_cmp_lt_u32_e32 vcc, s22, v5
	s_mov_b64 s[22:23], 0
                                        ; implicit-def: $vgpr5
	s_and_saveexec_b64 s[26:27], vcc
	s_xor_b64 s[26:27], exec, s[26:27]
	s_cbranch_execz .LBB199_279
; %bb.54:
	v_bfe_u32 v5, v4, 20, 1
	s_mov_b32 s30, 0x487ffff
	v_add3_u32 v5, v4, v5, s30
	s_mov_b64 s[22:23], exec
	v_lshrrev_b32_e32 v5, 20, v5
	s_andn2_saveexec_b64 s[26:27], s[26:27]
	s_cbranch_execnz .LBB199_280
.LBB199_55:
	s_or_b64 exec, exec, s[26:27]
	v_mov_b32_e32 v6, 0
	s_and_saveexec_b64 s[26:27], s[22:23]
.LBB199_56:
	v_lshrrev_b32_e32 v4, 24, v4
	s_movk_i32 s22, 0x80
	v_and_or_b32 v6, v4, s22, v5
.LBB199_57:
	s_or_b64 exec, exec, s[26:27]
.LBB199_58:
	s_or_b64 exec, exec, s[16:17]
	global_store_byte v[0:1], v6, off
.LBB199_59:
	s_mov_b64 s[16:17], -1
.LBB199_60:
	s_mov_b64 s[22:23], 0
.LBB199_61:
	s_and_b64 vcc, exec, s[22:23]
	s_cbranch_vccz .LBB199_102
; %bb.62:
	s_cmp_gt_i32 s29, 22
	s_mov_b64 s[22:23], -1
	s_cbranch_scc0 .LBB199_94
; %bb.63:
	s_cmp_lt_i32 s29, 24
	s_mov_b64 s[16:17], -1
	s_cbranch_scc1 .LBB199_83
; %bb.64:
	s_cmp_gt_i32 s29, 24
	s_cbranch_scc0 .LBB199_72
; %bb.65:
	v_cvt_f32_f16_e32 v4, v3
	s_mov_b32 s16, 0x47800000
	v_mov_b32_e32 v6, 0x80
	v_and_b32_e32 v5, 0x7fffffff, v4
	v_cmp_gt_u32_e32 vcc, s16, v5
	s_and_saveexec_b64 s[16:17], vcc
	s_cbranch_execz .LBB199_71
; %bb.66:
	s_mov_b32 s22, 0x37ffffff
	v_cmp_lt_u32_e32 vcc, s22, v5
	s_mov_b64 s[22:23], 0
                                        ; implicit-def: $vgpr5
	s_and_saveexec_b64 s[26:27], vcc
	s_xor_b64 s[26:27], exec, s[26:27]
	s_cbranch_execz .LBB199_283
; %bb.67:
	v_bfe_u32 v5, v4, 21, 1
	s_mov_b32 s30, 0x88fffff
	v_add3_u32 v5, v4, v5, s30
	s_mov_b64 s[22:23], exec
	v_lshrrev_b32_e32 v5, 21, v5
	s_andn2_saveexec_b64 s[26:27], s[26:27]
	s_cbranch_execnz .LBB199_284
.LBB199_68:
	s_or_b64 exec, exec, s[26:27]
	v_mov_b32_e32 v6, 0
	s_and_saveexec_b64 s[26:27], s[22:23]
.LBB199_69:
	v_lshrrev_b32_e32 v4, 24, v4
	s_movk_i32 s22, 0x80
	v_and_or_b32 v6, v4, s22, v5
.LBB199_70:
	s_or_b64 exec, exec, s[26:27]
.LBB199_71:
	s_or_b64 exec, exec, s[16:17]
	s_mov_b64 s[16:17], 0
	global_store_byte v[0:1], v6, off
.LBB199_72:
	s_and_b64 vcc, exec, s[16:17]
	s_cbranch_vccz .LBB199_82
; %bb.73:
	v_cvt_f32_f16_e32 v4, v3
	s_mov_b32 s16, 0x43f00000
                                        ; implicit-def: $vgpr5
	v_and_b32_e32 v6, 0x7fffffff, v4
	v_cmp_gt_u32_e32 vcc, s16, v6
	s_and_saveexec_b64 s[16:17], vcc
	s_xor_b64 s[16:17], exec, s[16:17]
	s_cbranch_execz .LBB199_79
; %bb.74:
	s_mov_b32 s22, 0x3c7fffff
	v_cmp_lt_u32_e32 vcc, s22, v6
                                        ; implicit-def: $vgpr5
	s_and_saveexec_b64 s[22:23], vcc
	s_xor_b64 s[22:23], exec, s[22:23]
; %bb.75:
	v_bfe_u32 v5, v4, 20, 1
	s_mov_b32 s26, 0x407ffff
	v_add3_u32 v5, v4, v5, s26
	v_lshrrev_b32_e32 v6, 20, v5
	v_and_b32_e32 v5, 0xff00000, v5
	s_mov_b32 s26, 0x7f00000
	v_mov_b32_e32 v7, 0x7e
	v_cmp_ne_u32_e32 vcc, s26, v5
	v_cndmask_b32_e32 v5, v7, v6, vcc
; %bb.76:
	s_andn2_saveexec_b64 s[22:23], s[22:23]
; %bb.77:
	s_mov_b32 s26, 0x46800000
	v_add_f32_e64 v5, |v4|, s26
; %bb.78:
	s_or_b64 exec, exec, s[22:23]
                                        ; implicit-def: $vgpr6
.LBB199_79:
	s_andn2_saveexec_b64 s[16:17], s[16:17]
; %bb.80:
	s_mov_b32 s22, 0x7f800000
	v_mov_b32_e32 v5, 0x7e
	v_mov_b32_e32 v7, 0x7f
	v_cmp_lt_u32_e32 vcc, s22, v6
	v_cndmask_b32_e32 v5, v5, v7, vcc
; %bb.81:
	s_or_b64 exec, exec, s[16:17]
	v_lshrrev_b32_e32 v4, 24, v4
	s_movk_i32 s16, 0x80
	v_and_or_b32 v4, v4, s16, v5
	global_store_byte v[0:1], v4, off
.LBB199_82:
	s_mov_b64 s[16:17], 0
.LBB199_83:
	s_andn2_b64 vcc, exec, s[16:17]
	s_cbranch_vccnz .LBB199_93
; %bb.84:
	v_cvt_f32_f16_e32 v4, v3
	s_mov_b32 s16, 0x47800000
                                        ; implicit-def: $vgpr5
	v_and_b32_e32 v6, 0x7fffffff, v4
	v_cmp_gt_u32_e32 vcc, s16, v6
	s_and_saveexec_b64 s[16:17], vcc
	s_xor_b64 s[16:17], exec, s[16:17]
	s_cbranch_execz .LBB199_90
; %bb.85:
	s_mov_b32 s22, 0x387fffff
	v_cmp_lt_u32_e32 vcc, s22, v6
                                        ; implicit-def: $vgpr5
	s_and_saveexec_b64 s[22:23], vcc
	s_xor_b64 s[22:23], exec, s[22:23]
; %bb.86:
	v_bfe_u32 v5, v4, 21, 1
	s_mov_b32 s26, 0x80fffff
	v_add3_u32 v5, v4, v5, s26
	v_lshrrev_b32_e32 v5, 21, v5
; %bb.87:
	s_andn2_saveexec_b64 s[22:23], s[22:23]
; %bb.88:
	s_mov_b32 s26, 0x43000000
	v_add_f32_e64 v5, |v4|, s26
; %bb.89:
	s_or_b64 exec, exec, s[22:23]
                                        ; implicit-def: $vgpr6
.LBB199_90:
	s_andn2_saveexec_b64 s[16:17], s[16:17]
; %bb.91:
	s_mov_b32 s22, 0x7f800000
	v_mov_b32_e32 v5, 0x7c
	v_mov_b32_e32 v7, 0x7f
	v_cmp_lt_u32_e32 vcc, s22, v6
	v_cndmask_b32_e32 v5, v5, v7, vcc
; %bb.92:
	s_or_b64 exec, exec, s[16:17]
	v_lshrrev_b32_e32 v4, 24, v4
	s_movk_i32 s16, 0x80
	v_and_or_b32 v4, v4, s16, v5
	global_store_byte v[0:1], v4, off
.LBB199_93:
	s_mov_b64 s[22:23], 0
	s_mov_b64 s[16:17], -1
.LBB199_94:
	s_andn2_b64 vcc, exec, s[22:23]
	s_cbranch_vccnz .LBB199_102
; %bb.95:
	s_cmp_gt_i32 s29, 14
	s_mov_b64 s[22:23], -1
	s_cbranch_scc0 .LBB199_99
; %bb.96:
	s_cmp_eq_u32 s29, 15
	s_mov_b64 s[2:3], -1
	s_cbranch_scc0 .LBB199_98
; %bb.97:
	v_cvt_f32_f16_e32 v4, v3
	s_movk_i32 s2, 0x7fff
	v_cmp_o_f16_e32 vcc, v3, v3
	v_mov_b32_e32 v5, 0x7fc0
	v_bfe_u32 v6, v4, 16, 1
	v_add3_u32 v4, v4, v6, s2
	v_cndmask_b32_sdwa v4, v5, v4, vcc dst_sel:DWORD dst_unused:UNUSED_PAD src0_sel:DWORD src1_sel:WORD_1
	global_store_short v[0:1], v4, off
	s_mov_b64 s[16:17], -1
	s_mov_b64 s[2:3], 0
.LBB199_98:
	s_mov_b64 s[22:23], 0
.LBB199_99:
	s_and_b64 vcc, exec, s[22:23]
	s_cbranch_vccz .LBB199_102
; %bb.100:
	s_cmp_eq_u32 s29, 11
	s_mov_b64 s[2:3], -1
	s_cbranch_scc0 .LBB199_102
; %bb.101:
	v_and_b32_e32 v4, 0x7fff, v3
	v_cmp_ne_u16_e32 vcc, 0, v4
	v_cndmask_b32_e64 v4, 0, 1, vcc
	s_mov_b64 s[16:17], -1
	s_mov_b64 s[2:3], 0
	global_store_byte v[0:1], v4, off
.LBB199_102:
	s_branch .LBB199_20
.LBB199_103:
	s_and_b32 s22, 0xffff, s28
	s_cmp_lt_i32 s22, 5
	s_mov_b64 s[16:17], -1
	s_cbranch_scc1 .LBB199_124
; %bb.104:
	s_cmp_lt_i32 s22, 8
	s_cbranch_scc1 .LBB199_114
; %bb.105:
	s_cmp_lt_i32 s22, 9
	s_cbranch_scc1 .LBB199_111
; %bb.106:
	s_cmp_gt_i32 s22, 9
	s_cbranch_scc0 .LBB199_108
; %bb.107:
	v_cvt_f32_f16_e32 v4, v3
	v_mov_b32_e32 v6, 0
	v_mov_b32_e32 v7, v6
	s_mov_b64 s[16:17], 0
	v_cvt_f64_f32_e32 v[4:5], v4
	global_store_dwordx4 v[0:1], v[4:7], off
.LBB199_108:
	s_andn2_b64 vcc, exec, s[16:17]
	s_cbranch_vccnz .LBB199_110
; %bb.109:
	v_cvt_f32_f16_e32 v4, v3
	v_mov_b32_e32 v5, 0
	global_store_dwordx2 v[0:1], v[4:5], off
.LBB199_110:
	s_mov_b64 s[16:17], 0
.LBB199_111:
	s_andn2_b64 vcc, exec, s[16:17]
	s_cbranch_vccnz .LBB199_113
; %bb.112:
	v_and_b32_e32 v4, 0xffff, v3
	global_store_dword v[0:1], v4, off
.LBB199_113:
	s_mov_b64 s[16:17], 0
.LBB199_114:
	s_andn2_b64 vcc, exec, s[16:17]
	s_cbranch_vccnz .LBB199_123
; %bb.115:
	s_cmp_lt_i32 s22, 6
	s_mov_b64 s[16:17], -1
	s_cbranch_scc1 .LBB199_121
; %bb.116:
	s_cmp_gt_i32 s22, 6
	s_cbranch_scc0 .LBB199_118
; %bb.117:
	v_cvt_f32_f16_e32 v4, v3
	s_mov_b64 s[16:17], 0
	v_cvt_f64_f32_e32 v[4:5], v4
	global_store_dwordx2 v[0:1], v[4:5], off
.LBB199_118:
	s_andn2_b64 vcc, exec, s[16:17]
	s_cbranch_vccnz .LBB199_120
; %bb.119:
	v_cvt_f32_f16_e32 v4, v3
	global_store_dword v[0:1], v4, off
.LBB199_120:
	s_mov_b64 s[16:17], 0
.LBB199_121:
	s_andn2_b64 vcc, exec, s[16:17]
	s_cbranch_vccnz .LBB199_123
; %bb.122:
	global_store_short v[0:1], v3, off
.LBB199_123:
	s_mov_b64 s[16:17], 0
.LBB199_124:
	s_andn2_b64 vcc, exec, s[16:17]
	s_cbranch_vccnz .LBB199_140
; %bb.125:
	s_cmp_lt_i32 s22, 2
	s_mov_b64 s[16:17], -1
	s_cbranch_scc1 .LBB199_135
; %bb.126:
	s_cmp_lt_i32 s22, 3
	s_cbranch_scc1 .LBB199_132
; %bb.127:
	s_cmp_gt_i32 s22, 3
	s_cbranch_scc0 .LBB199_129
; %bb.128:
	v_cvt_f32_f16_e32 v4, v3
	s_mov_b64 s[16:17], 0
	v_cvt_i32_f32_e32 v4, v4
	v_ashrrev_i32_e32 v5, 31, v4
	global_store_dwordx2 v[0:1], v[4:5], off
.LBB199_129:
	s_andn2_b64 vcc, exec, s[16:17]
	s_cbranch_vccnz .LBB199_131
; %bb.130:
	v_cvt_f32_f16_e32 v4, v3
	v_cvt_i32_f32_e32 v4, v4
	global_store_dword v[0:1], v4, off
.LBB199_131:
	s_mov_b64 s[16:17], 0
.LBB199_132:
	s_andn2_b64 vcc, exec, s[16:17]
	s_cbranch_vccnz .LBB199_134
; %bb.133:
	v_cvt_i16_f16_e32 v4, v3
	global_store_short v[0:1], v4, off
.LBB199_134:
	s_mov_b64 s[16:17], 0
.LBB199_135:
	s_andn2_b64 vcc, exec, s[16:17]
	s_cbranch_vccnz .LBB199_140
; %bb.136:
	s_cmp_gt_i32 s22, 0
	s_mov_b64 s[16:17], -1
	s_cbranch_scc0 .LBB199_138
; %bb.137:
	v_cvt_i16_f16_e32 v4, v3
	global_store_byte v[0:1], v4, off
	s_mov_b64 s[16:17], 0
.LBB199_138:
	s_andn2_b64 vcc, exec, s[16:17]
	s_cbranch_vccnz .LBB199_140
; %bb.139:
	v_cvt_f32_f16_e32 v3, v3
	v_cvt_i32_f32_e32 v3, v3
	global_store_byte v[0:1], v3, off
.LBB199_140:
	s_branch .LBB199_21
.LBB199_141:
	s_mov_b64 s[22:23], 0
                                        ; implicit-def: $vgpr2
	s_branch .LBB199_251
.LBB199_142:
	s_mov_b64 s[18:19], -1
                                        ; implicit-def: $vgpr3
.LBB199_143:
	s_mov_b64 s[16:17], 0
.LBB199_144:
	s_and_b64 vcc, exec, s[16:17]
	s_cbranch_vccz .LBB199_148
; %bb.145:
	s_cmp_eq_u32 s26, 29
	s_cbranch_scc0 .LBB199_147
; %bb.146:
	global_load_dwordx2 v[3:4], v[0:1], off
	s_mov_b64 s[2:3], -1
	s_mov_b64 s[18:19], 0
	s_mov_b64 s[16:17], 0
	s_waitcnt vmcnt(0)
	v_ffbh_u32_e32 v5, v4
	v_min_u32_e32 v5, 32, v5
	v_lshlrev_b64 v[3:4], v5, v[3:4]
	v_min_u32_e32 v3, 1, v3
	v_or_b32_e32 v3, v4, v3
	v_cvt_f32_u32_e32 v3, v3
	v_sub_u32_e32 v4, 32, v5
	v_ldexp_f32 v3, v3, v4
	v_cvt_f16_f32_e32 v3, v3
	s_branch .LBB199_149
.LBB199_147:
	s_mov_b64 s[18:19], -1
                                        ; implicit-def: $vgpr3
.LBB199_148:
	s_mov_b64 s[16:17], 0
.LBB199_149:
	s_and_b64 vcc, exec, s[16:17]
	s_cbranch_vccz .LBB199_167
; %bb.150:
	s_cmp_lt_i32 s26, 27
	s_cbranch_scc1 .LBB199_153
; %bb.151:
	s_cmp_gt_i32 s26, 27
	s_cbranch_scc0 .LBB199_154
; %bb.152:
	global_load_dword v3, v[0:1], off
	s_mov_b64 s[2:3], 0
	s_waitcnt vmcnt(0)
	v_cvt_f32_u32_e32 v3, v3
	v_cvt_f16_f32_e32 v3, v3
	s_branch .LBB199_155
.LBB199_153:
	s_mov_b64 s[2:3], -1
                                        ; implicit-def: $vgpr3
	s_branch .LBB199_158
.LBB199_154:
	s_mov_b64 s[2:3], -1
                                        ; implicit-def: $vgpr3
.LBB199_155:
	s_andn2_b64 vcc, exec, s[2:3]
	s_cbranch_vccnz .LBB199_157
; %bb.156:
	global_load_ushort v3, v[0:1], off
	s_waitcnt vmcnt(0)
	v_cvt_f16_u16_e32 v3, v3
.LBB199_157:
	s_mov_b64 s[2:3], 0
.LBB199_158:
	s_andn2_b64 vcc, exec, s[2:3]
	s_cbranch_vccnz .LBB199_166
; %bb.159:
	global_load_ubyte v4, v[0:1], off
	s_movk_i32 s2, 0x7f
	s_waitcnt vmcnt(0)
	v_cmp_lt_i16_e32 vcc, s2, v4
	s_mov_b64 s[2:3], 0
	s_and_saveexec_b64 s[16:17], vcc
	s_xor_b64 s[16:17], exec, s[16:17]
	s_cbranch_execz .LBB199_179
; %bb.160:
	s_movk_i32 s2, 0x80
	v_cmp_eq_u16_e32 vcc, s2, v4
	s_mov_b64 s[2:3], -1
	s_and_saveexec_b64 s[22:23], vcc
; %bb.161:
	s_xor_b64 s[2:3], exec, -1
; %bb.162:
	s_or_b64 exec, exec, s[22:23]
	s_and_b64 s[2:3], s[2:3], exec
	s_or_saveexec_b64 s[16:17], s[16:17]
	v_mov_b32_e32 v3, 0x7e00
	s_xor_b64 exec, exec, s[16:17]
	s_cbranch_execnz .LBB199_180
.LBB199_163:
	s_or_b64 exec, exec, s[16:17]
	s_and_saveexec_b64 s[16:17], s[2:3]
	s_cbranch_execz .LBB199_165
.LBB199_164:
	v_lshlrev_b32_e32 v3, 24, v4
	v_and_b32_e32 v4, 0xffff, v4
	v_and_b32_e32 v5, 7, v4
	v_ffbh_u32_e32 v7, v5
	v_min_u32_e32 v7, 32, v7
	v_subrev_u32_e32 v8, 28, v7
	v_bfe_u32 v6, v4, 3, 4
	v_lshlrev_b32_e32 v4, v8, v4
	v_sub_u32_e32 v7, 29, v7
	v_and_b32_e32 v4, 7, v4
	v_cmp_eq_u32_e32 vcc, 0, v6
	v_cndmask_b32_e32 v6, v6, v7, vcc
	v_cndmask_b32_e32 v4, v5, v4, vcc
	v_mov_b32_e32 v5, 0x3b800000
	v_lshlrev_b32_e32 v4, 20, v4
	v_and_b32_e32 v3, 0x80000000, v3
	v_lshl_add_u32 v5, v6, 23, v5
	v_or3_b32 v3, v3, v5, v4
	v_cvt_f16_f32_e32 v3, v3
.LBB199_165:
	s_or_b64 exec, exec, s[16:17]
.LBB199_166:
	s_mov_b64 s[2:3], -1
.LBB199_167:
	s_branch .LBB199_202
.LBB199_168:
	s_cmp_gt_i32 s26, 22
	s_cbranch_scc0 .LBB199_178
; %bb.169:
	s_cmp_lt_i32 s26, 24
	s_cbranch_scc1 .LBB199_181
; %bb.170:
	s_cmp_gt_i32 s26, 24
	s_cbranch_scc0 .LBB199_182
; %bb.171:
	global_load_ubyte v4, v[0:1], off
	s_movk_i32 s2, 0x7f
	s_waitcnt vmcnt(0)
	v_cmp_lt_i16_e32 vcc, s2, v4
	s_mov_b64 s[2:3], 0
	s_and_saveexec_b64 s[16:17], vcc
	s_xor_b64 s[16:17], exec, s[16:17]
	s_cbranch_execz .LBB199_194
; %bb.172:
	s_movk_i32 s2, 0x80
	v_cmp_eq_u16_e32 vcc, s2, v4
	s_mov_b64 s[2:3], -1
	s_and_saveexec_b64 s[22:23], vcc
; %bb.173:
	s_xor_b64 s[2:3], exec, -1
; %bb.174:
	s_or_b64 exec, exec, s[22:23]
	s_and_b64 s[2:3], s[2:3], exec
	s_or_saveexec_b64 s[16:17], s[16:17]
	v_mov_b32_e32 v3, 0x7e00
	s_xor_b64 exec, exec, s[16:17]
	s_cbranch_execnz .LBB199_195
.LBB199_175:
	s_or_b64 exec, exec, s[16:17]
	s_and_saveexec_b64 s[16:17], s[2:3]
	s_cbranch_execz .LBB199_177
.LBB199_176:
	v_lshlrev_b32_e32 v3, 24, v4
	v_and_b32_e32 v4, 0xffff, v4
	v_and_b32_e32 v5, 3, v4
	v_ffbh_u32_e32 v7, v5
	v_min_u32_e32 v7, 32, v7
	v_subrev_u32_e32 v8, 29, v7
	v_bfe_u32 v6, v4, 2, 5
	v_lshlrev_b32_e32 v4, v8, v4
	v_sub_u32_e32 v7, 30, v7
	v_and_b32_e32 v4, 3, v4
	v_cmp_eq_u32_e32 vcc, 0, v6
	v_cndmask_b32_e32 v6, v6, v7, vcc
	v_cndmask_b32_e32 v4, v5, v4, vcc
	v_mov_b32_e32 v5, 0x37800000
	v_lshlrev_b32_e32 v4, 21, v4
	v_and_b32_e32 v3, 0x80000000, v3
	v_lshl_add_u32 v5, v6, 23, v5
	v_or3_b32 v3, v3, v5, v4
	v_cvt_f16_f32_e32 v3, v3
.LBB199_177:
	s_or_b64 exec, exec, s[16:17]
	s_mov_b64 s[2:3], 0
	s_branch .LBB199_183
.LBB199_178:
	s_mov_b64 s[16:17], -1
                                        ; implicit-def: $vgpr3
	s_branch .LBB199_189
.LBB199_179:
	s_or_saveexec_b64 s[16:17], s[16:17]
	v_mov_b32_e32 v3, 0x7e00
	s_xor_b64 exec, exec, s[16:17]
	s_cbranch_execz .LBB199_163
.LBB199_180:
	v_cmp_ne_u16_e32 vcc, 0, v4
	s_andn2_b64 s[2:3], s[2:3], exec
	s_and_b64 s[22:23], vcc, exec
	s_or_b64 s[2:3], s[2:3], s[22:23]
	v_mov_b32_e32 v3, v4
	s_or_b64 exec, exec, s[16:17]
	s_and_saveexec_b64 s[16:17], s[2:3]
	s_cbranch_execnz .LBB199_164
	s_branch .LBB199_165
.LBB199_181:
	s_mov_b64 s[2:3], -1
                                        ; implicit-def: $vgpr3
	s_branch .LBB199_186
.LBB199_182:
	s_mov_b64 s[2:3], -1
                                        ; implicit-def: $vgpr3
.LBB199_183:
	s_and_b64 vcc, exec, s[2:3]
	s_cbranch_vccz .LBB199_185
; %bb.184:
	global_load_ubyte v3, v[0:1], off
	s_mov_b32 s2, 0x7f800000
	s_waitcnt vmcnt(0)
	v_lshlrev_b32_e32 v3, 24, v3
	v_and_b32_e32 v4, 0x7f000000, v3
	v_ffbh_u32_e32 v5, v4
	v_min_u32_e32 v5, 32, v5
	v_sub_u32_e64 v5, v5, 4 clamp
	v_lshlrev_b32_e32 v7, v5, v4
	v_lshlrev_b32_e32 v5, 23, v5
	v_lshrrev_b32_e32 v7, 4, v7
	v_add_u32_e32 v6, 0x1000000, v4
	v_sub_u32_e32 v5, v7, v5
	v_ashrrev_i32_e32 v6, 8, v6
	v_add_u32_e32 v5, 0x3c000000, v5
	v_and_or_b32 v5, v6, s2, v5
	v_cmp_ne_u32_e32 vcc, 0, v4
	v_cndmask_b32_e32 v4, 0, v5, vcc
	s_brev_b32 s2, 1
	v_and_or_b32 v3, v3, s2, v4
	v_cvt_f16_f32_e32 v3, v3
.LBB199_185:
	s_mov_b64 s[2:3], 0
.LBB199_186:
	s_andn2_b64 vcc, exec, s[2:3]
	s_cbranch_vccnz .LBB199_188
; %bb.187:
	global_load_ubyte v3, v[0:1], off
	s_movk_i32 s2, 0x7f00
	s_brev_b32 s3, 16
	s_waitcnt vmcnt(0)
	v_lshlrev_b16_e32 v4, 8, v3
	v_lshlrev_b32_e32 v3, 25, v3
	v_lshrrev_b32_e32 v5, 4, v3
	v_and_or_b32 v6, v4, s2, 0.5
	v_or_b32_e32 v5, 0x70000000, v5
	v_add_f32_e32 v6, -0.5, v6
	v_mul_f32_e32 v5, 0x7800000, v5
	v_cmp_gt_u32_e32 vcc, s3, v3
	v_bfe_i32 v4, v4, 0, 16
	v_cndmask_b32_e32 v3, v5, v6, vcc
	s_brev_b32 s2, 1
	v_and_or_b32 v3, v4, s2, v3
	v_cvt_f16_f32_e32 v3, v3
.LBB199_188:
	s_mov_b64 s[16:17], 0
	s_mov_b64 s[2:3], -1
.LBB199_189:
	s_andn2_b64 vcc, exec, s[16:17]
	s_cbranch_vccnz .LBB199_202
; %bb.190:
	s_cmp_gt_i32 s26, 14
	s_cbranch_scc0 .LBB199_193
; %bb.191:
	s_cmp_eq_u32 s26, 15
	s_cbranch_scc0 .LBB199_196
; %bb.192:
	global_load_ushort v3, v[0:1], off
	s_mov_b64 s[2:3], -1
	s_mov_b64 s[18:19], 0
	s_waitcnt vmcnt(0)
	v_lshlrev_b32_e32 v3, 16, v3
	v_cvt_f16_f32_e32 v3, v3
	s_branch .LBB199_197
.LBB199_193:
	s_mov_b64 s[16:17], -1
                                        ; implicit-def: $vgpr3
	s_branch .LBB199_198
.LBB199_194:
	s_or_saveexec_b64 s[16:17], s[16:17]
	v_mov_b32_e32 v3, 0x7e00
	s_xor_b64 exec, exec, s[16:17]
	s_cbranch_execz .LBB199_175
.LBB199_195:
	v_cmp_ne_u16_e32 vcc, 0, v4
	s_andn2_b64 s[2:3], s[2:3], exec
	s_and_b64 s[22:23], vcc, exec
	s_or_b64 s[2:3], s[2:3], s[22:23]
	v_mov_b32_e32 v3, v4
	s_or_b64 exec, exec, s[16:17]
	s_and_saveexec_b64 s[16:17], s[2:3]
	s_cbranch_execnz .LBB199_176
	s_branch .LBB199_177
.LBB199_196:
	s_mov_b64 s[18:19], -1
                                        ; implicit-def: $vgpr3
.LBB199_197:
	s_mov_b64 s[16:17], 0
.LBB199_198:
	s_and_b64 vcc, exec, s[16:17]
	s_cbranch_vccz .LBB199_202
; %bb.199:
	s_cmp_eq_u32 s26, 11
	s_cbranch_scc0 .LBB199_201
; %bb.200:
	global_load_ubyte v3, v[0:1], off
	v_mov_b32_e32 v4, 0x3c00
	s_mov_b64 s[2:3], -1
	s_mov_b64 s[18:19], 0
	s_waitcnt vmcnt(0)
	v_cmp_ne_u16_e32 vcc, 0, v3
	v_cndmask_b32_e32 v3, 0, v4, vcc
	s_branch .LBB199_202
.LBB199_201:
	s_mov_b64 s[18:19], -1
                                        ; implicit-def: $vgpr3
.LBB199_202:
	s_branch .LBB199_10
.LBB199_203:
	s_cmp_lt_i32 s26, 5
	s_cbranch_scc1 .LBB199_208
; %bb.204:
	s_cmp_lt_i32 s26, 8
	s_cbranch_scc1 .LBB199_209
; %bb.205:
	;; [unrolled: 3-line block ×3, first 2 shown]
	s_cmp_gt_i32 s26, 9
	s_cbranch_scc0 .LBB199_211
; %bb.207:
	global_load_dwordx2 v[3:4], v[0:1], off
	s_movk_i32 s2, 0x1ff
	s_movk_i32 s3, 0xffe
	v_mov_b32_e32 v5, 0x7c00
	v_mov_b32_e32 v6, 0x7e00
	s_movk_i32 s16, 0x40f
	s_mov_b32 s17, 0x8000
	s_waitcnt vmcnt(0)
	v_and_or_b32 v3, v4, s2, v3
	v_cmp_ne_u32_e32 vcc, 0, v3
	v_lshrrev_b32_e32 v7, 8, v4
	v_bfe_u32 v8, v4, 20, 11
	v_cndmask_b32_e64 v3, 0, 1, vcc
	v_sub_u32_e32 v9, 0x3f1, v8
	v_and_or_b32 v3, v7, s3, v3
	v_add_u32_e32 v8, 0xfffffc10, v8
	v_med3_i32 v7, v9, 0, 13
	v_or_b32_e32 v9, 0x1000, v3
	v_cmp_ne_u32_e32 vcc, 0, v3
	v_lshl_or_b32 v10, v8, 12, v3
	v_cndmask_b32_e32 v3, v5, v6, vcc
	v_lshrrev_b32_e32 v6, v7, v9
	v_lshlrev_b32_e32 v7, v7, v6
	v_cmp_ne_u32_e32 vcc, v7, v9
	v_cndmask_b32_e64 v7, 0, 1, vcc
	v_or_b32_e32 v6, v6, v7
	v_cmp_gt_i32_e32 vcc, 1, v8
	v_cndmask_b32_e32 v6, v10, v6, vcc
	v_and_b32_e32 v7, 7, v6
	v_cmp_lt_i32_e32 vcc, 5, v7
	v_cndmask_b32_e64 v9, 0, 1, vcc
	v_cmp_eq_u32_e32 vcc, 3, v7
	v_cndmask_b32_e64 v7, 0, 1, vcc
	v_lshrrev_b32_e32 v6, 2, v6
	v_or_b32_e32 v7, v7, v9
	v_add_u32_e32 v6, v6, v7
	v_cmp_gt_i32_e32 vcc, 31, v8
	v_cndmask_b32_e32 v5, v5, v6, vcc
	v_cmp_eq_u32_e32 vcc, s16, v8
	v_lshrrev_b32_e32 v4, 16, v4
	v_cndmask_b32_e32 v3, v5, v3, vcc
	v_and_or_b32 v3, v4, s17, v3
	s_mov_b64 s[2:3], 0
	s_branch .LBB199_212
.LBB199_208:
                                        ; implicit-def: $vgpr3
	s_branch .LBB199_230
.LBB199_209:
	s_mov_b64 s[2:3], -1
                                        ; implicit-def: $vgpr3
	s_branch .LBB199_218
.LBB199_210:
	s_mov_b64 s[2:3], -1
                                        ; implicit-def: $vgpr3
	s_branch .LBB199_215
.LBB199_211:
	s_mov_b64 s[2:3], -1
                                        ; implicit-def: $vgpr3
.LBB199_212:
	s_andn2_b64 vcc, exec, s[2:3]
	s_cbranch_vccnz .LBB199_214
; %bb.213:
	global_load_dword v3, v[0:1], off
	s_waitcnt vmcnt(0)
	v_cvt_f16_f32_e32 v3, v3
.LBB199_214:
	s_mov_b64 s[2:3], 0
.LBB199_215:
	s_andn2_b64 vcc, exec, s[2:3]
	s_cbranch_vccnz .LBB199_217
; %bb.216:
	global_load_dword v3, v[0:1], off
.LBB199_217:
	s_mov_b64 s[2:3], 0
.LBB199_218:
	s_andn2_b64 vcc, exec, s[2:3]
	s_cbranch_vccnz .LBB199_229
; %bb.219:
	s_cmp_lt_i32 s26, 6
	s_cbranch_scc1 .LBB199_222
; %bb.220:
	s_cmp_gt_i32 s26, 6
	s_cbranch_scc0 .LBB199_223
; %bb.221:
	global_load_dwordx2 v[3:4], v[0:1], off
	s_movk_i32 s2, 0x1ff
	s_movk_i32 s3, 0xffe
	v_mov_b32_e32 v5, 0x7c00
	v_mov_b32_e32 v6, 0x7e00
	s_movk_i32 s16, 0x40f
	s_mov_b32 s17, 0x8000
	s_waitcnt vmcnt(0)
	v_and_or_b32 v3, v4, s2, v3
	v_cmp_ne_u32_e32 vcc, 0, v3
	v_lshrrev_b32_e32 v7, 8, v4
	v_bfe_u32 v8, v4, 20, 11
	v_cndmask_b32_e64 v3, 0, 1, vcc
	v_sub_u32_e32 v9, 0x3f1, v8
	v_and_or_b32 v3, v7, s3, v3
	v_add_u32_e32 v8, 0xfffffc10, v8
	v_med3_i32 v7, v9, 0, 13
	v_or_b32_e32 v9, 0x1000, v3
	v_cmp_ne_u32_e32 vcc, 0, v3
	v_lshl_or_b32 v10, v8, 12, v3
	v_cndmask_b32_e32 v3, v5, v6, vcc
	v_lshrrev_b32_e32 v6, v7, v9
	v_lshlrev_b32_e32 v7, v7, v6
	v_cmp_ne_u32_e32 vcc, v7, v9
	v_cndmask_b32_e64 v7, 0, 1, vcc
	v_or_b32_e32 v6, v6, v7
	v_cmp_gt_i32_e32 vcc, 1, v8
	v_cndmask_b32_e32 v6, v10, v6, vcc
	v_and_b32_e32 v7, 7, v6
	v_cmp_lt_i32_e32 vcc, 5, v7
	v_cndmask_b32_e64 v9, 0, 1, vcc
	v_cmp_eq_u32_e32 vcc, 3, v7
	v_cndmask_b32_e64 v7, 0, 1, vcc
	v_lshrrev_b32_e32 v6, 2, v6
	v_or_b32_e32 v7, v7, v9
	v_add_u32_e32 v6, v6, v7
	v_cmp_gt_i32_e32 vcc, 31, v8
	v_cndmask_b32_e32 v5, v5, v6, vcc
	v_cmp_eq_u32_e32 vcc, s16, v8
	v_lshrrev_b32_e32 v4, 16, v4
	v_cndmask_b32_e32 v3, v5, v3, vcc
	v_and_or_b32 v3, v4, s17, v3
	s_mov_b64 s[2:3], 0
	s_branch .LBB199_224
.LBB199_222:
	s_mov_b64 s[2:3], -1
                                        ; implicit-def: $vgpr3
	s_branch .LBB199_227
.LBB199_223:
	s_mov_b64 s[2:3], -1
                                        ; implicit-def: $vgpr3
.LBB199_224:
	s_andn2_b64 vcc, exec, s[2:3]
	s_cbranch_vccnz .LBB199_226
; %bb.225:
	global_load_dword v3, v[0:1], off
	s_waitcnt vmcnt(0)
	v_cvt_f16_f32_e32 v3, v3
.LBB199_226:
	s_mov_b64 s[2:3], 0
.LBB199_227:
	s_andn2_b64 vcc, exec, s[2:3]
	s_cbranch_vccnz .LBB199_229
; %bb.228:
	global_load_ushort v3, v[0:1], off
.LBB199_229:
	s_cbranch_execnz .LBB199_249
.LBB199_230:
	s_cmp_lt_i32 s26, 2
	s_cbranch_scc1 .LBB199_234
; %bb.231:
	s_cmp_lt_i32 s26, 3
	s_cbranch_scc1 .LBB199_235
; %bb.232:
	s_cmp_gt_i32 s26, 3
	s_cbranch_scc0 .LBB199_236
; %bb.233:
	global_load_dwordx2 v[3:4], v[0:1], off
	s_mov_b64 s[2:3], 0
	s_waitcnt vmcnt(0)
	v_xor_b32_e32 v6, v3, v4
	v_ffbh_i32_e32 v5, v4
	v_ashrrev_i32_e32 v6, 31, v6
	v_add_u32_e32 v5, -1, v5
	v_add_u32_e32 v6, 32, v6
	v_min_u32_e32 v5, v5, v6
	v_lshlrev_b64 v[3:4], v5, v[3:4]
	v_min_u32_e32 v3, 1, v3
	v_or_b32_e32 v3, v4, v3
	v_cvt_f32_i32_e32 v3, v3
	v_sub_u32_e32 v4, 32, v5
	v_ldexp_f32 v3, v3, v4
	v_cvt_f16_f32_e32 v3, v3
	s_branch .LBB199_237
.LBB199_234:
	s_mov_b64 s[2:3], -1
                                        ; implicit-def: $vgpr3
	s_branch .LBB199_243
.LBB199_235:
	s_mov_b64 s[2:3], -1
                                        ; implicit-def: $vgpr3
	s_branch .LBB199_240
.LBB199_236:
	s_mov_b64 s[2:3], -1
                                        ; implicit-def: $vgpr3
.LBB199_237:
	s_andn2_b64 vcc, exec, s[2:3]
	s_cbranch_vccnz .LBB199_239
; %bb.238:
	global_load_dword v3, v[0:1], off
	s_waitcnt vmcnt(0)
	v_cvt_f32_i32_e32 v3, v3
	v_cvt_f16_f32_e32 v3, v3
.LBB199_239:
	s_mov_b64 s[2:3], 0
.LBB199_240:
	s_andn2_b64 vcc, exec, s[2:3]
	s_cbranch_vccnz .LBB199_242
; %bb.241:
	global_load_ushort v3, v[0:1], off
	s_waitcnt vmcnt(0)
	v_cvt_f16_i16_e32 v3, v3
.LBB199_242:
	s_mov_b64 s[2:3], 0
.LBB199_243:
	s_andn2_b64 vcc, exec, s[2:3]
	s_cbranch_vccnz .LBB199_249
; %bb.244:
	s_cmp_gt_i32 s26, 0
	s_cbranch_scc0 .LBB199_246
; %bb.245:
	global_load_sbyte v3, v[0:1], off
	s_mov_b64 s[2:3], 0
	s_waitcnt vmcnt(0)
	v_cvt_f16_i16_e32 v3, v3
	s_branch .LBB199_247
.LBB199_246:
	s_mov_b64 s[2:3], -1
                                        ; implicit-def: $vgpr3
.LBB199_247:
	s_andn2_b64 vcc, exec, s[2:3]
	s_cbranch_vccnz .LBB199_249
; %bb.248:
	global_load_ubyte v0, v[0:1], off
	s_waitcnt vmcnt(0)
	v_cvt_f16_u16_e32 v3, v0
.LBB199_249:
	s_branch .LBB199_11
.LBB199_250:
	s_mov_b64 s[2:3], 0
                                        ; implicit-def: $vgpr2
	s_mov_b64 s[22:23], 0
.LBB199_251:
	s_and_b64 s[16:17], s[2:3], exec
	s_and_b64 s[18:19], s[18:19], exec
	s_orn2_b64 s[2:3], s[22:23], exec
.LBB199_252:
	s_or_b64 exec, exec, s[20:21]
	s_mov_b64 s[28:29], 0
	s_mov_b64 s[26:27], 0
                                        ; implicit-def: $vgpr0_vgpr1
                                        ; implicit-def: $vgpr4
	s_and_saveexec_b64 s[20:21], s[2:3]
	s_cbranch_execz .LBB199_261
; %bb.253:
	v_cmp_gt_i32_e32 vcc, s42, v2
	s_mov_b64 s[2:3], -1
	s_mov_b64 s[22:23], s[18:19]
	s_mov_b64 s[24:25], s[16:17]
	s_and_saveexec_b64 s[26:27], vcc
	s_cbranch_execz .LBB199_513
; %bb.254:
	v_mul_lo_u32 v0, v2, s13
	v_mov_b32_e32 v1, s11
	s_and_b32 s30, 0xffff, s47
	s_cmp_lt_i32 s30, 11
	s_waitcnt vmcnt(0)
	v_ashrrev_i32_e32 v3, 31, v0
	v_add_co_u32_e32 v0, vcc, s10, v0
	v_addc_co_u32_e32 v1, vcc, v1, v3, vcc
	s_cbranch_scc1 .LBB199_264
; %bb.255:
	s_cmp_gt_i32 s30, 25
	s_cbranch_scc0 .LBB199_273
; %bb.256:
	s_cmp_gt_i32 s30, 28
	s_cbranch_scc0 .LBB199_275
	;; [unrolled: 3-line block ×4, first 2 shown]
; %bb.259:
	s_cmp_eq_u32 s30, 46
	s_mov_b64 s[24:25], 0
	s_cbranch_scc0 .LBB199_285
; %bb.260:
	global_load_dword v3, v[0:1], off
	s_mov_b64 s[22:23], 0
	s_waitcnt vmcnt(0)
	v_lshlrev_b32_e32 v3, 16, v3
	v_cvt_f16_f32_e32 v3, v3
	s_branch .LBB199_286
.LBB199_261:
	s_or_b64 exec, exec, s[20:21]
	s_mov_b64 s[2:3], 0
	s_and_saveexec_b64 s[20:21], s[18:19]
	s_cbranch_execnz .LBB199_859
.LBB199_262:
	s_or_b64 exec, exec, s[20:21]
	s_and_saveexec_b64 s[18:19], s[24:25]
	s_xor_b64 s[18:19], exec, s[18:19]
	s_cbranch_execz .LBB199_860
.LBB199_263:
	global_load_ubyte v3, v[0:1], off
	v_mov_b32_e32 v4, 0x3c00
	s_or_b64 s[26:27], s[26:27], exec
	s_waitcnt vmcnt(0)
	v_cmp_ne_u16_e32 vcc, 0, v3
	v_cndmask_b32_e32 v4, 0, v4, vcc
	s_or_b64 exec, exec, s[18:19]
	s_and_saveexec_b64 s[18:19], s[28:29]
	s_cbranch_execz .LBB199_906
	s_branch .LBB199_861
.LBB199_264:
	s_mov_b64 s[2:3], 0
                                        ; implicit-def: $vgpr3
	s_mov_b64 s[22:23], s[18:19]
	s_cbranch_execnz .LBB199_463
.LBB199_265:
	s_andn2_b64 vcc, exec, s[2:3]
	s_cbranch_vccnz .LBB199_511
.LBB199_266:
	v_mul_lo_u32 v0, v2, s12
	v_mov_b32_e32 v1, s33
	v_mov_b32_e32 v4, s9
	s_waitcnt vmcnt(0)
	v_cndmask_b32_e64 v3, v3, v1, s[0:1]
	v_ashrrev_i32_e32 v1, 31, v0
	s_and_b32 s34, s46, 0xff
	v_add_co_u32_e32 v0, vcc, s8, v0
	s_cmp_lt_i32 s34, 11
	v_addc_co_u32_e32 v1, vcc, v4, v1, vcc
	s_cbranch_scc1 .LBB199_274
; %bb.267:
	s_and_b32 s35, 0xffff, s34
	s_cmp_gt_i32 s35, 25
	s_cbranch_scc0 .LBB199_276
; %bb.268:
	s_cmp_gt_i32 s35, 28
	s_cbranch_scc0 .LBB199_278
; %bb.269:
	;; [unrolled: 3-line block ×4, first 2 shown]
	s_mov_b64 s[28:29], 0
	s_mov_b64 s[2:3], -1
	s_cmp_eq_u32 s35, 46
	s_mov_b64 s[24:25], 0
	s_cbranch_scc0 .LBB199_290
; %bb.272:
	v_cvt_f32_f16_e32 v4, v3
	s_movk_i32 s2, 0x7fff
	v_cmp_o_f16_e32 vcc, v3, v3
	v_mov_b32_e32 v5, 0x7fc0
	v_bfe_u32 v6, v4, 16, 1
	v_add3_u32 v4, v4, v6, s2
	v_cndmask_b32_sdwa v4, v5, v4, vcc dst_sel:DWORD dst_unused:UNUSED_PAD src0_sel:DWORD src1_sel:WORD_1
	global_store_dword v[0:1], v4, off
	s_mov_b64 s[24:25], -1
	s_mov_b64 s[2:3], 0
	s_branch .LBB199_290
.LBB199_273:
	s_mov_b64 s[24:25], -1
	s_mov_b64 s[2:3], 0
	s_mov_b64 s[22:23], s[18:19]
                                        ; implicit-def: $vgpr3
	s_branch .LBB199_427
.LBB199_274:
	s_mov_b64 s[28:29], -1
	s_mov_b64 s[24:25], 0
	s_mov_b64 s[2:3], s[16:17]
	s_branch .LBB199_359
.LBB199_275:
	s_mov_b64 s[24:25], -1
	s_mov_b64 s[2:3], 0
	s_mov_b64 s[22:23], s[18:19]
                                        ; implicit-def: $vgpr3
	s_branch .LBB199_408
.LBB199_276:
	s_mov_b64 s[28:29], -1
	s_mov_b64 s[24:25], 0
	s_mov_b64 s[2:3], s[16:17]
	s_branch .LBB199_317
.LBB199_277:
	s_mov_b64 s[24:25], -1
	s_mov_b64 s[2:3], 0
	s_mov_b64 s[22:23], s[18:19]
                                        ; implicit-def: $vgpr3
	s_branch .LBB199_403
.LBB199_278:
	s_mov_b64 s[28:29], -1
	s_mov_b64 s[24:25], 0
	s_mov_b64 s[2:3], s[16:17]
	s_branch .LBB199_300
.LBB199_279:
	s_andn2_saveexec_b64 s[26:27], s[26:27]
	s_cbranch_execz .LBB199_55
.LBB199_280:
	s_mov_b32 s30, 0x46000000
	v_add_f32_e64 v5, |v4|, s30
	v_and_b32_e32 v5, 0xff, v5
	v_cmp_ne_u32_e32 vcc, 0, v5
	s_andn2_b64 s[22:23], s[22:23], exec
	s_and_b64 s[30:31], vcc, exec
	s_or_b64 s[22:23], s[22:23], s[30:31]
	s_or_b64 exec, exec, s[26:27]
	v_mov_b32_e32 v6, 0
	s_and_saveexec_b64 s[26:27], s[22:23]
	s_cbranch_execnz .LBB199_56
	s_branch .LBB199_57
.LBB199_281:
	s_mov_b64 s[24:25], -1
	s_mov_b64 s[2:3], 0
	s_mov_b64 s[22:23], s[18:19]
                                        ; implicit-def: $vgpr3
	s_branch .LBB199_286
.LBB199_282:
	s_mov_b64 s[28:29], -1
	s_mov_b64 s[24:25], 0
	s_mov_b64 s[2:3], s[16:17]
	s_branch .LBB199_296
.LBB199_283:
	s_andn2_saveexec_b64 s[26:27], s[26:27]
	s_cbranch_execz .LBB199_68
.LBB199_284:
	s_mov_b32 s30, 0x42800000
	v_add_f32_e64 v5, |v4|, s30
	v_and_b32_e32 v5, 0xff, v5
	v_cmp_ne_u32_e32 vcc, 0, v5
	s_andn2_b64 s[22:23], s[22:23], exec
	s_and_b64 s[30:31], vcc, exec
	s_or_b64 s[22:23], s[22:23], s[30:31]
	s_or_b64 exec, exec, s[26:27]
	v_mov_b32_e32 v6, 0
	s_and_saveexec_b64 s[26:27], s[22:23]
	s_cbranch_execnz .LBB199_69
	s_branch .LBB199_70
.LBB199_285:
	s_mov_b64 s[22:23], -1
                                        ; implicit-def: $vgpr3
	s_mov_b64 s[2:3], 0
.LBB199_286:
	s_and_b64 vcc, exec, s[24:25]
	s_cbranch_vccz .LBB199_402
; %bb.287:
	s_cmp_eq_u32 s30, 44
	s_cbranch_scc0 .LBB199_401
; %bb.288:
	global_load_ubyte v3, v[0:1], off
	s_movk_i32 s22, 0xff
	v_mov_b32_e32 v5, 0x7e00
	s_mov_b64 s[2:3], -1
	s_waitcnt vmcnt(0)
	v_lshlrev_b32_e32 v4, 23, v3
	v_cvt_f16_f32_e32 v4, v4
	v_cmp_ne_u32_e32 vcc, s22, v3
	s_mov_b64 s[22:23], 0
	v_cndmask_b32_e32 v4, v5, v4, vcc
	v_cmp_ne_u32_e32 vcc, 0, v3
	v_cndmask_b32_e32 v3, 0, v4, vcc
	s_branch .LBB199_402
.LBB199_289:
	s_mov_b64 s[28:29], -1
	s_mov_b64 s[24:25], 0
	s_mov_b64 s[2:3], s[16:17]
.LBB199_290:
	s_and_b64 vcc, exec, s[28:29]
	s_cbranch_vccz .LBB199_295
; %bb.291:
	s_cmp_eq_u32 s35, 44
	s_mov_b64 s[2:3], -1
	s_cbranch_scc0 .LBB199_295
; %bb.292:
	v_cvt_f32_f16_e32 v4, v3
	s_movk_i32 s2, 0xff
	v_mov_b32_e32 v6, 0xff
	v_bfe_u32 v5, v4, 23, 8
	v_cmp_ne_u32_e32 vcc, s2, v5
	s_and_saveexec_b64 s[24:25], vcc
; %bb.293:
	s_mov_b32 s2, 0x3fffff
	v_lshrrev_b32_e32 v6, 23, v4
	v_and_b32_e32 v7, 0x400000, v4
	v_and_or_b32 v4, v4, s2, v5
	v_cmp_ne_u32_e32 vcc, 0, v7
	v_cmp_ne_u32_e64 s[2:3], 0, v4
	s_and_b64 s[2:3], vcc, s[2:3]
	v_cndmask_b32_e64 v4, 0, 1, s[2:3]
	v_add_u32_e32 v6, v6, v4
; %bb.294:
	s_or_b64 exec, exec, s[24:25]
	s_mov_b64 s[24:25], -1
	s_mov_b64 s[2:3], 0
	global_store_byte v[0:1], v6, off
.LBB199_295:
	s_mov_b64 s[28:29], 0
.LBB199_296:
	s_and_b64 vcc, exec, s[28:29]
	s_cbranch_vccz .LBB199_299
; %bb.297:
	s_cmp_eq_u32 s35, 29
	s_mov_b64 s[2:3], -1
	s_cbranch_scc0 .LBB199_299
; %bb.298:
	v_cvt_f32_f16_e32 v4, v3
	v_mov_b32_e32 v5, 0
	s_mov_b64 s[24:25], -1
	s_mov_b64 s[2:3], 0
	v_cvt_u32_f32_e32 v4, v4
	s_mov_b64 s[28:29], 0
	global_store_dwordx2 v[0:1], v[4:5], off
	s_branch .LBB199_300
.LBB199_299:
	s_mov_b64 s[28:29], 0
.LBB199_300:
	s_and_b64 vcc, exec, s[28:29]
	s_cbranch_vccz .LBB199_316
; %bb.301:
	s_cmp_lt_i32 s35, 27
	s_mov_b64 s[24:25], -1
	s_cbranch_scc1 .LBB199_307
; %bb.302:
	s_cmp_gt_i32 s35, 27
	s_cbranch_scc0 .LBB199_304
; %bb.303:
	v_cvt_f32_f16_e32 v4, v3
	s_mov_b64 s[24:25], 0
	v_cvt_u32_f32_e32 v4, v4
	global_store_dword v[0:1], v4, off
.LBB199_304:
	s_andn2_b64 vcc, exec, s[24:25]
	s_cbranch_vccnz .LBB199_306
; %bb.305:
	v_cvt_u16_f16_e32 v4, v3
	global_store_short v[0:1], v4, off
.LBB199_306:
	s_mov_b64 s[24:25], 0
.LBB199_307:
	s_andn2_b64 vcc, exec, s[24:25]
	s_cbranch_vccnz .LBB199_315
; %bb.308:
	v_cvt_f32_f16_e32 v4, v3
	s_mov_b32 s24, 0x43800000
	v_mov_b32_e32 v6, 0x80
	v_and_b32_e32 v5, 0x7fffffff, v4
	v_cmp_gt_u32_e32 vcc, s24, v5
	s_and_saveexec_b64 s[24:25], vcc
	s_cbranch_execz .LBB199_314
; %bb.309:
	s_mov_b32 s28, 0x3bffffff
	v_cmp_lt_u32_e32 vcc, s28, v5
	s_mov_b64 s[28:29], 0
                                        ; implicit-def: $vgpr5
	s_and_saveexec_b64 s[30:31], vcc
	s_xor_b64 s[30:31], exec, s[30:31]
	s_cbranch_execz .LBB199_526
; %bb.310:
	v_bfe_u32 v5, v4, 20, 1
	s_mov_b32 s36, 0x487ffff
	v_add3_u32 v5, v4, v5, s36
	s_mov_b64 s[28:29], exec
	v_lshrrev_b32_e32 v5, 20, v5
	s_andn2_saveexec_b64 s[30:31], s[30:31]
	s_cbranch_execnz .LBB199_527
.LBB199_311:
	s_or_b64 exec, exec, s[30:31]
	v_mov_b32_e32 v6, 0
	s_and_saveexec_b64 s[30:31], s[28:29]
.LBB199_312:
	v_lshrrev_b32_e32 v4, 24, v4
	s_movk_i32 s28, 0x80
	v_and_or_b32 v6, v4, s28, v5
.LBB199_313:
	s_or_b64 exec, exec, s[30:31]
.LBB199_314:
	s_or_b64 exec, exec, s[24:25]
	global_store_byte v[0:1], v6, off
.LBB199_315:
	s_mov_b64 s[24:25], -1
.LBB199_316:
	s_mov_b64 s[28:29], 0
.LBB199_317:
	s_and_b64 vcc, exec, s[28:29]
	s_cbranch_vccz .LBB199_358
; %bb.318:
	s_cmp_gt_i32 s35, 22
	s_mov_b64 s[28:29], -1
	s_cbranch_scc0 .LBB199_350
; %bb.319:
	s_cmp_lt_i32 s35, 24
	s_mov_b64 s[24:25], -1
	s_cbranch_scc1 .LBB199_339
; %bb.320:
	s_cmp_gt_i32 s35, 24
	s_cbranch_scc0 .LBB199_328
; %bb.321:
	v_cvt_f32_f16_e32 v4, v3
	s_mov_b32 s24, 0x47800000
	v_mov_b32_e32 v6, 0x80
	v_and_b32_e32 v5, 0x7fffffff, v4
	v_cmp_gt_u32_e32 vcc, s24, v5
	s_and_saveexec_b64 s[24:25], vcc
	s_cbranch_execz .LBB199_327
; %bb.322:
	s_mov_b32 s28, 0x37ffffff
	v_cmp_lt_u32_e32 vcc, s28, v5
	s_mov_b64 s[28:29], 0
                                        ; implicit-def: $vgpr5
	s_and_saveexec_b64 s[30:31], vcc
	s_xor_b64 s[30:31], exec, s[30:31]
	s_cbranch_execz .LBB199_529
; %bb.323:
	v_bfe_u32 v5, v4, 21, 1
	s_mov_b32 s36, 0x88fffff
	v_add3_u32 v5, v4, v5, s36
	s_mov_b64 s[28:29], exec
	v_lshrrev_b32_e32 v5, 21, v5
	s_andn2_saveexec_b64 s[30:31], s[30:31]
	s_cbranch_execnz .LBB199_530
.LBB199_324:
	s_or_b64 exec, exec, s[30:31]
	v_mov_b32_e32 v6, 0
	s_and_saveexec_b64 s[30:31], s[28:29]
.LBB199_325:
	v_lshrrev_b32_e32 v4, 24, v4
	s_movk_i32 s28, 0x80
	v_and_or_b32 v6, v4, s28, v5
.LBB199_326:
	s_or_b64 exec, exec, s[30:31]
.LBB199_327:
	s_or_b64 exec, exec, s[24:25]
	s_mov_b64 s[24:25], 0
	global_store_byte v[0:1], v6, off
.LBB199_328:
	s_and_b64 vcc, exec, s[24:25]
	s_cbranch_vccz .LBB199_338
; %bb.329:
	v_cvt_f32_f16_e32 v4, v3
	s_mov_b32 s24, 0x43f00000
                                        ; implicit-def: $vgpr5
	v_and_b32_e32 v6, 0x7fffffff, v4
	v_cmp_gt_u32_e32 vcc, s24, v6
	s_and_saveexec_b64 s[24:25], vcc
	s_xor_b64 s[24:25], exec, s[24:25]
	s_cbranch_execz .LBB199_335
; %bb.330:
	s_mov_b32 s28, 0x3c7fffff
	v_cmp_lt_u32_e32 vcc, s28, v6
                                        ; implicit-def: $vgpr5
	s_and_saveexec_b64 s[28:29], vcc
	s_xor_b64 s[28:29], exec, s[28:29]
; %bb.331:
	v_bfe_u32 v5, v4, 20, 1
	s_mov_b32 s30, 0x407ffff
	v_add3_u32 v5, v4, v5, s30
	v_lshrrev_b32_e32 v6, 20, v5
	v_and_b32_e32 v5, 0xff00000, v5
	s_mov_b32 s30, 0x7f00000
	v_mov_b32_e32 v7, 0x7e
	v_cmp_ne_u32_e32 vcc, s30, v5
	v_cndmask_b32_e32 v5, v7, v6, vcc
; %bb.332:
	s_andn2_saveexec_b64 s[28:29], s[28:29]
; %bb.333:
	s_mov_b32 s30, 0x46800000
	v_add_f32_e64 v5, |v4|, s30
; %bb.334:
	s_or_b64 exec, exec, s[28:29]
                                        ; implicit-def: $vgpr6
.LBB199_335:
	s_andn2_saveexec_b64 s[24:25], s[24:25]
; %bb.336:
	s_mov_b32 s28, 0x7f800000
	v_mov_b32_e32 v5, 0x7e
	v_mov_b32_e32 v7, 0x7f
	v_cmp_lt_u32_e32 vcc, s28, v6
	v_cndmask_b32_e32 v5, v5, v7, vcc
; %bb.337:
	s_or_b64 exec, exec, s[24:25]
	v_lshrrev_b32_e32 v4, 24, v4
	s_movk_i32 s24, 0x80
	v_and_or_b32 v4, v4, s24, v5
	global_store_byte v[0:1], v4, off
.LBB199_338:
	s_mov_b64 s[24:25], 0
.LBB199_339:
	s_andn2_b64 vcc, exec, s[24:25]
	s_cbranch_vccnz .LBB199_349
; %bb.340:
	v_cvt_f32_f16_e32 v4, v3
	s_mov_b32 s24, 0x47800000
                                        ; implicit-def: $vgpr5
	v_and_b32_e32 v6, 0x7fffffff, v4
	v_cmp_gt_u32_e32 vcc, s24, v6
	s_and_saveexec_b64 s[24:25], vcc
	s_xor_b64 s[24:25], exec, s[24:25]
	s_cbranch_execz .LBB199_346
; %bb.341:
	s_mov_b32 s28, 0x387fffff
	v_cmp_lt_u32_e32 vcc, s28, v6
                                        ; implicit-def: $vgpr5
	s_and_saveexec_b64 s[28:29], vcc
	s_xor_b64 s[28:29], exec, s[28:29]
; %bb.342:
	v_bfe_u32 v5, v4, 21, 1
	s_mov_b32 s30, 0x80fffff
	v_add3_u32 v5, v4, v5, s30
	v_lshrrev_b32_e32 v5, 21, v5
; %bb.343:
	s_andn2_saveexec_b64 s[28:29], s[28:29]
; %bb.344:
	s_mov_b32 s30, 0x43000000
	v_add_f32_e64 v5, |v4|, s30
; %bb.345:
	s_or_b64 exec, exec, s[28:29]
                                        ; implicit-def: $vgpr6
.LBB199_346:
	s_andn2_saveexec_b64 s[24:25], s[24:25]
; %bb.347:
	s_mov_b32 s28, 0x7f800000
	v_mov_b32_e32 v5, 0x7c
	v_mov_b32_e32 v7, 0x7f
	v_cmp_lt_u32_e32 vcc, s28, v6
	v_cndmask_b32_e32 v5, v5, v7, vcc
; %bb.348:
	s_or_b64 exec, exec, s[24:25]
	v_lshrrev_b32_e32 v4, 24, v4
	s_movk_i32 s24, 0x80
	v_and_or_b32 v4, v4, s24, v5
	global_store_byte v[0:1], v4, off
.LBB199_349:
	s_mov_b64 s[28:29], 0
	s_mov_b64 s[24:25], -1
.LBB199_350:
	s_andn2_b64 vcc, exec, s[28:29]
	s_cbranch_vccnz .LBB199_358
; %bb.351:
	s_cmp_gt_i32 s35, 14
	s_mov_b64 s[28:29], -1
	s_cbranch_scc0 .LBB199_355
; %bb.352:
	s_cmp_eq_u32 s35, 15
	s_mov_b64 s[2:3], -1
	s_cbranch_scc0 .LBB199_354
; %bb.353:
	v_cvt_f32_f16_e32 v4, v3
	s_movk_i32 s2, 0x7fff
	v_cmp_o_f16_e32 vcc, v3, v3
	v_mov_b32_e32 v5, 0x7fc0
	v_bfe_u32 v6, v4, 16, 1
	v_add3_u32 v4, v4, v6, s2
	v_cndmask_b32_sdwa v4, v5, v4, vcc dst_sel:DWORD dst_unused:UNUSED_PAD src0_sel:DWORD src1_sel:WORD_1
	global_store_short v[0:1], v4, off
	s_mov_b64 s[24:25], -1
	s_mov_b64 s[2:3], 0
.LBB199_354:
	s_mov_b64 s[28:29], 0
.LBB199_355:
	s_and_b64 vcc, exec, s[28:29]
	s_cbranch_vccz .LBB199_358
; %bb.356:
	s_cmp_eq_u32 s35, 11
	s_mov_b64 s[2:3], -1
	s_cbranch_scc0 .LBB199_358
; %bb.357:
	v_and_b32_e32 v4, 0x7fff, v3
	v_cmp_ne_u16_e32 vcc, 0, v4
	v_cndmask_b32_e64 v4, 0, 1, vcc
	s_mov_b64 s[24:25], -1
	s_mov_b64 s[2:3], 0
	global_store_byte v[0:1], v4, off
.LBB199_358:
	s_mov_b64 s[28:29], 0
.LBB199_359:
	s_and_b64 vcc, exec, s[28:29]
	s_cbranch_vccz .LBB199_398
; %bb.360:
	s_and_b32 s28, 0xffff, s34
	s_cmp_lt_i32 s28, 5
	s_mov_b64 s[24:25], -1
	s_cbranch_scc1 .LBB199_381
; %bb.361:
	s_cmp_lt_i32 s28, 8
	s_cbranch_scc1 .LBB199_371
; %bb.362:
	s_cmp_lt_i32 s28, 9
	s_cbranch_scc1 .LBB199_368
; %bb.363:
	s_cmp_gt_i32 s28, 9
	s_cbranch_scc0 .LBB199_365
; %bb.364:
	v_cvt_f32_f16_e32 v4, v3
	v_mov_b32_e32 v6, 0
	v_mov_b32_e32 v7, v6
	s_mov_b64 s[24:25], 0
	v_cvt_f64_f32_e32 v[4:5], v4
	global_store_dwordx4 v[0:1], v[4:7], off
.LBB199_365:
	s_andn2_b64 vcc, exec, s[24:25]
	s_cbranch_vccnz .LBB199_367
; %bb.366:
	v_cvt_f32_f16_e32 v4, v3
	v_mov_b32_e32 v5, 0
	global_store_dwordx2 v[0:1], v[4:5], off
.LBB199_367:
	s_mov_b64 s[24:25], 0
.LBB199_368:
	s_andn2_b64 vcc, exec, s[24:25]
	s_cbranch_vccnz .LBB199_370
; %bb.369:
	v_and_b32_e32 v4, 0xffff, v3
	global_store_dword v[0:1], v4, off
.LBB199_370:
	s_mov_b64 s[24:25], 0
.LBB199_371:
	s_andn2_b64 vcc, exec, s[24:25]
	s_cbranch_vccnz .LBB199_380
; %bb.372:
	s_cmp_lt_i32 s28, 6
	s_mov_b64 s[24:25], -1
	s_cbranch_scc1 .LBB199_378
; %bb.373:
	s_cmp_gt_i32 s28, 6
	s_cbranch_scc0 .LBB199_375
; %bb.374:
	v_cvt_f32_f16_e32 v4, v3
	s_mov_b64 s[24:25], 0
	v_cvt_f64_f32_e32 v[4:5], v4
	global_store_dwordx2 v[0:1], v[4:5], off
.LBB199_375:
	s_andn2_b64 vcc, exec, s[24:25]
	s_cbranch_vccnz .LBB199_377
; %bb.376:
	v_cvt_f32_f16_e32 v4, v3
	global_store_dword v[0:1], v4, off
.LBB199_377:
	s_mov_b64 s[24:25], 0
.LBB199_378:
	s_andn2_b64 vcc, exec, s[24:25]
	s_cbranch_vccnz .LBB199_380
; %bb.379:
	global_store_short v[0:1], v3, off
.LBB199_380:
	s_mov_b64 s[24:25], 0
.LBB199_381:
	s_andn2_b64 vcc, exec, s[24:25]
	s_cbranch_vccnz .LBB199_397
; %bb.382:
	s_cmp_lt_i32 s28, 2
	s_mov_b64 s[24:25], -1
	s_cbranch_scc1 .LBB199_392
; %bb.383:
	s_cmp_lt_i32 s28, 3
	s_cbranch_scc1 .LBB199_389
; %bb.384:
	s_cmp_gt_i32 s28, 3
	s_cbranch_scc0 .LBB199_386
; %bb.385:
	v_cvt_f32_f16_e32 v4, v3
	s_mov_b64 s[24:25], 0
	v_cvt_i32_f32_e32 v4, v4
	v_ashrrev_i32_e32 v5, 31, v4
	global_store_dwordx2 v[0:1], v[4:5], off
.LBB199_386:
	s_andn2_b64 vcc, exec, s[24:25]
	s_cbranch_vccnz .LBB199_388
; %bb.387:
	v_cvt_f32_f16_e32 v4, v3
	v_cvt_i32_f32_e32 v4, v4
	global_store_dword v[0:1], v4, off
.LBB199_388:
	s_mov_b64 s[24:25], 0
.LBB199_389:
	s_andn2_b64 vcc, exec, s[24:25]
	s_cbranch_vccnz .LBB199_391
; %bb.390:
	v_cvt_i16_f16_e32 v4, v3
	global_store_short v[0:1], v4, off
.LBB199_391:
	s_mov_b64 s[24:25], 0
.LBB199_392:
	s_andn2_b64 vcc, exec, s[24:25]
	s_cbranch_vccnz .LBB199_397
; %bb.393:
	s_cmp_gt_i32 s28, 0
	s_mov_b64 s[24:25], -1
	s_cbranch_scc0 .LBB199_395
; %bb.394:
	v_cvt_i16_f16_e32 v4, v3
	s_mov_b64 s[24:25], 0
	global_store_byte v[0:1], v4, off
.LBB199_395:
	s_andn2_b64 vcc, exec, s[24:25]
	s_cbranch_vccnz .LBB199_397
; %bb.396:
	v_cvt_f32_f16_e32 v3, v3
	v_cvt_i32_f32_e32 v3, v3
	global_store_byte v[0:1], v3, off
.LBB199_397:
	s_mov_b64 s[24:25], -1
.LBB199_398:
	s_andn2_b64 vcc, exec, s[24:25]
	s_cbranch_vccnz .LBB199_400
; %bb.399:
	v_add_u32_e32 v2, 0x80, v2
	s_mov_b64 s[28:29], -1
	s_branch .LBB199_512
.LBB199_400:
	s_mov_b64 s[28:29], 0
                                        ; implicit-def: $vgpr2
	s_branch .LBB199_512
.LBB199_401:
	s_mov_b64 s[22:23], -1
                                        ; implicit-def: $vgpr3
.LBB199_402:
	s_mov_b64 s[24:25], 0
.LBB199_403:
	s_and_b64 vcc, exec, s[24:25]
	s_cbranch_vccz .LBB199_407
; %bb.404:
	s_cmp_eq_u32 s30, 29
	s_cbranch_scc0 .LBB199_406
; %bb.405:
	global_load_dwordx2 v[3:4], v[0:1], off
	s_mov_b64 s[2:3], -1
	s_mov_b64 s[22:23], 0
	s_mov_b64 s[24:25], 0
	s_waitcnt vmcnt(0)
	v_ffbh_u32_e32 v5, v4
	v_min_u32_e32 v5, 32, v5
	v_lshlrev_b64 v[3:4], v5, v[3:4]
	v_min_u32_e32 v3, 1, v3
	v_or_b32_e32 v3, v4, v3
	v_cvt_f32_u32_e32 v3, v3
	v_sub_u32_e32 v4, 32, v5
	v_ldexp_f32 v3, v3, v4
	v_cvt_f16_f32_e32 v3, v3
	s_branch .LBB199_408
.LBB199_406:
	s_mov_b64 s[22:23], -1
                                        ; implicit-def: $vgpr3
.LBB199_407:
	s_mov_b64 s[24:25], 0
.LBB199_408:
	s_and_b64 vcc, exec, s[24:25]
	s_cbranch_vccz .LBB199_426
; %bb.409:
	s_cmp_lt_i32 s30, 27
	s_cbranch_scc1 .LBB199_412
; %bb.410:
	s_cmp_gt_i32 s30, 27
	s_cbranch_scc0 .LBB199_413
; %bb.411:
	global_load_dword v3, v[0:1], off
	s_mov_b64 s[2:3], 0
	s_waitcnt vmcnt(0)
	v_cvt_f32_u32_e32 v3, v3
	v_cvt_f16_f32_e32 v3, v3
	s_branch .LBB199_414
.LBB199_412:
	s_mov_b64 s[2:3], -1
                                        ; implicit-def: $vgpr3
	s_branch .LBB199_417
.LBB199_413:
	s_mov_b64 s[2:3], -1
                                        ; implicit-def: $vgpr3
.LBB199_414:
	s_andn2_b64 vcc, exec, s[2:3]
	s_cbranch_vccnz .LBB199_416
; %bb.415:
	global_load_ushort v3, v[0:1], off
	s_waitcnt vmcnt(0)
	v_cvt_f16_u16_e32 v3, v3
.LBB199_416:
	s_mov_b64 s[2:3], 0
.LBB199_417:
	s_andn2_b64 vcc, exec, s[2:3]
	s_cbranch_vccnz .LBB199_425
; %bb.418:
	global_load_ubyte v4, v[0:1], off
	s_movk_i32 s2, 0x7f
	s_waitcnt vmcnt(0)
	v_cmp_lt_i16_e32 vcc, s2, v4
	s_mov_b64 s[2:3], 0
	s_and_saveexec_b64 s[24:25], vcc
	s_xor_b64 s[24:25], exec, s[24:25]
	s_cbranch_execz .LBB199_439
; %bb.419:
	s_movk_i32 s2, 0x80
	v_cmp_eq_u16_e32 vcc, s2, v4
	s_mov_b64 s[2:3], -1
	s_and_saveexec_b64 s[28:29], vcc
; %bb.420:
	s_xor_b64 s[2:3], exec, -1
; %bb.421:
	s_or_b64 exec, exec, s[28:29]
	s_and_b64 s[2:3], s[2:3], exec
	s_or_saveexec_b64 s[24:25], s[24:25]
	v_mov_b32_e32 v3, 0x7e00
	s_xor_b64 exec, exec, s[24:25]
	s_cbranch_execnz .LBB199_440
.LBB199_422:
	s_or_b64 exec, exec, s[24:25]
	s_and_saveexec_b64 s[24:25], s[2:3]
	s_cbranch_execz .LBB199_424
.LBB199_423:
	v_lshlrev_b32_e32 v3, 24, v4
	v_and_b32_e32 v4, 0xffff, v4
	v_and_b32_e32 v5, 7, v4
	v_ffbh_u32_e32 v7, v5
	v_min_u32_e32 v7, 32, v7
	v_subrev_u32_e32 v8, 28, v7
	v_bfe_u32 v6, v4, 3, 4
	v_lshlrev_b32_e32 v4, v8, v4
	v_sub_u32_e32 v7, 29, v7
	v_and_b32_e32 v4, 7, v4
	v_cmp_eq_u32_e32 vcc, 0, v6
	v_cndmask_b32_e32 v6, v6, v7, vcc
	v_cndmask_b32_e32 v4, v5, v4, vcc
	v_mov_b32_e32 v5, 0x3b800000
	v_lshlrev_b32_e32 v4, 20, v4
	v_and_b32_e32 v3, 0x80000000, v3
	v_lshl_add_u32 v5, v6, 23, v5
	v_or3_b32 v3, v3, v5, v4
	v_cvt_f16_f32_e32 v3, v3
.LBB199_424:
	s_or_b64 exec, exec, s[24:25]
.LBB199_425:
	s_mov_b64 s[2:3], -1
.LBB199_426:
	s_mov_b64 s[24:25], 0
.LBB199_427:
	s_and_b64 vcc, exec, s[24:25]
	s_cbranch_vccz .LBB199_462
; %bb.428:
	s_cmp_gt_i32 s30, 22
	s_cbranch_scc0 .LBB199_438
; %bb.429:
	s_cmp_lt_i32 s30, 24
	s_cbranch_scc1 .LBB199_441
; %bb.430:
	s_cmp_gt_i32 s30, 24
	s_cbranch_scc0 .LBB199_442
; %bb.431:
	global_load_ubyte v4, v[0:1], off
	s_movk_i32 s2, 0x7f
	s_waitcnt vmcnt(0)
	v_cmp_lt_i16_e32 vcc, s2, v4
	s_mov_b64 s[2:3], 0
	s_and_saveexec_b64 s[24:25], vcc
	s_xor_b64 s[24:25], exec, s[24:25]
	s_cbranch_execz .LBB199_454
; %bb.432:
	s_movk_i32 s2, 0x80
	v_cmp_eq_u16_e32 vcc, s2, v4
	s_mov_b64 s[2:3], -1
	s_and_saveexec_b64 s[28:29], vcc
; %bb.433:
	s_xor_b64 s[2:3], exec, -1
; %bb.434:
	s_or_b64 exec, exec, s[28:29]
	s_and_b64 s[2:3], s[2:3], exec
	s_or_saveexec_b64 s[24:25], s[24:25]
	v_mov_b32_e32 v3, 0x7e00
	s_xor_b64 exec, exec, s[24:25]
	s_cbranch_execnz .LBB199_455
.LBB199_435:
	s_or_b64 exec, exec, s[24:25]
	s_and_saveexec_b64 s[24:25], s[2:3]
	s_cbranch_execz .LBB199_437
.LBB199_436:
	v_lshlrev_b32_e32 v3, 24, v4
	v_and_b32_e32 v4, 0xffff, v4
	v_and_b32_e32 v5, 3, v4
	v_ffbh_u32_e32 v7, v5
	v_min_u32_e32 v7, 32, v7
	v_subrev_u32_e32 v8, 29, v7
	v_bfe_u32 v6, v4, 2, 5
	v_lshlrev_b32_e32 v4, v8, v4
	v_sub_u32_e32 v7, 30, v7
	v_and_b32_e32 v4, 3, v4
	v_cmp_eq_u32_e32 vcc, 0, v6
	v_cndmask_b32_e32 v6, v6, v7, vcc
	v_cndmask_b32_e32 v4, v5, v4, vcc
	v_mov_b32_e32 v5, 0x37800000
	v_lshlrev_b32_e32 v4, 21, v4
	v_and_b32_e32 v3, 0x80000000, v3
	v_lshl_add_u32 v5, v6, 23, v5
	v_or3_b32 v3, v3, v5, v4
	v_cvt_f16_f32_e32 v3, v3
.LBB199_437:
	s_or_b64 exec, exec, s[24:25]
	s_mov_b64 s[2:3], 0
	s_branch .LBB199_443
.LBB199_438:
	s_mov_b64 s[24:25], -1
                                        ; implicit-def: $vgpr3
	s_branch .LBB199_449
.LBB199_439:
	s_or_saveexec_b64 s[24:25], s[24:25]
	v_mov_b32_e32 v3, 0x7e00
	s_xor_b64 exec, exec, s[24:25]
	s_cbranch_execz .LBB199_422
.LBB199_440:
	v_cmp_ne_u16_e32 vcc, 0, v4
	s_andn2_b64 s[2:3], s[2:3], exec
	s_and_b64 s[28:29], vcc, exec
	s_or_b64 s[2:3], s[2:3], s[28:29]
	v_mov_b32_e32 v3, v4
	s_or_b64 exec, exec, s[24:25]
	s_and_saveexec_b64 s[24:25], s[2:3]
	s_cbranch_execnz .LBB199_423
	s_branch .LBB199_424
.LBB199_441:
	s_mov_b64 s[2:3], -1
                                        ; implicit-def: $vgpr3
	s_branch .LBB199_446
.LBB199_442:
	s_mov_b64 s[2:3], -1
                                        ; implicit-def: $vgpr3
.LBB199_443:
	s_and_b64 vcc, exec, s[2:3]
	s_cbranch_vccz .LBB199_445
; %bb.444:
	global_load_ubyte v3, v[0:1], off
	s_mov_b32 s2, 0x7f800000
	s_waitcnt vmcnt(0)
	v_lshlrev_b32_e32 v3, 24, v3
	v_and_b32_e32 v4, 0x7f000000, v3
	v_ffbh_u32_e32 v5, v4
	v_min_u32_e32 v5, 32, v5
	v_sub_u32_e64 v5, v5, 4 clamp
	v_lshlrev_b32_e32 v7, v5, v4
	v_lshlrev_b32_e32 v5, 23, v5
	v_lshrrev_b32_e32 v7, 4, v7
	v_add_u32_e32 v6, 0x1000000, v4
	v_sub_u32_e32 v5, v7, v5
	v_ashrrev_i32_e32 v6, 8, v6
	v_add_u32_e32 v5, 0x3c000000, v5
	v_and_or_b32 v5, v6, s2, v5
	v_cmp_ne_u32_e32 vcc, 0, v4
	v_cndmask_b32_e32 v4, 0, v5, vcc
	s_brev_b32 s2, 1
	v_and_or_b32 v3, v3, s2, v4
	v_cvt_f16_f32_e32 v3, v3
.LBB199_445:
	s_mov_b64 s[2:3], 0
.LBB199_446:
	s_andn2_b64 vcc, exec, s[2:3]
	s_cbranch_vccnz .LBB199_448
; %bb.447:
	global_load_ubyte v3, v[0:1], off
	s_movk_i32 s2, 0x7f00
	s_brev_b32 s3, 16
	s_waitcnt vmcnt(0)
	v_lshlrev_b16_e32 v4, 8, v3
	v_lshlrev_b32_e32 v3, 25, v3
	v_lshrrev_b32_e32 v5, 4, v3
	v_and_or_b32 v6, v4, s2, 0.5
	v_or_b32_e32 v5, 0x70000000, v5
	v_add_f32_e32 v6, -0.5, v6
	v_mul_f32_e32 v5, 0x7800000, v5
	v_cmp_gt_u32_e32 vcc, s3, v3
	v_bfe_i32 v4, v4, 0, 16
	v_cndmask_b32_e32 v3, v5, v6, vcc
	s_brev_b32 s2, 1
	v_and_or_b32 v3, v4, s2, v3
	v_cvt_f16_f32_e32 v3, v3
.LBB199_448:
	s_mov_b64 s[24:25], 0
	s_mov_b64 s[2:3], -1
.LBB199_449:
	s_andn2_b64 vcc, exec, s[24:25]
	s_cbranch_vccnz .LBB199_462
; %bb.450:
	s_cmp_gt_i32 s30, 14
	s_cbranch_scc0 .LBB199_453
; %bb.451:
	s_cmp_eq_u32 s30, 15
	s_cbranch_scc0 .LBB199_456
; %bb.452:
	global_load_ushort v3, v[0:1], off
	s_mov_b64 s[2:3], -1
	s_mov_b64 s[22:23], 0
	s_waitcnt vmcnt(0)
	v_lshlrev_b32_e32 v3, 16, v3
	v_cvt_f16_f32_e32 v3, v3
	s_branch .LBB199_457
.LBB199_453:
	s_mov_b64 s[24:25], -1
                                        ; implicit-def: $vgpr3
	s_branch .LBB199_458
.LBB199_454:
	s_or_saveexec_b64 s[24:25], s[24:25]
	v_mov_b32_e32 v3, 0x7e00
	s_xor_b64 exec, exec, s[24:25]
	s_cbranch_execz .LBB199_435
.LBB199_455:
	v_cmp_ne_u16_e32 vcc, 0, v4
	s_andn2_b64 s[2:3], s[2:3], exec
	s_and_b64 s[28:29], vcc, exec
	s_or_b64 s[2:3], s[2:3], s[28:29]
	v_mov_b32_e32 v3, v4
	s_or_b64 exec, exec, s[24:25]
	s_and_saveexec_b64 s[24:25], s[2:3]
	s_cbranch_execnz .LBB199_436
	s_branch .LBB199_437
.LBB199_456:
	s_mov_b64 s[22:23], -1
                                        ; implicit-def: $vgpr3
.LBB199_457:
	s_mov_b64 s[24:25], 0
.LBB199_458:
	s_and_b64 vcc, exec, s[24:25]
	s_cbranch_vccz .LBB199_462
; %bb.459:
	s_cmp_eq_u32 s30, 11
	s_cbranch_scc0 .LBB199_461
; %bb.460:
	global_load_ubyte v3, v[0:1], off
	v_mov_b32_e32 v4, 0x3c00
	s_mov_b64 s[2:3], -1
	s_mov_b64 s[22:23], 0
	s_waitcnt vmcnt(0)
	v_cmp_ne_u16_e32 vcc, 0, v3
	v_cndmask_b32_e32 v3, 0, v4, vcc
	s_branch .LBB199_462
.LBB199_461:
	s_mov_b64 s[22:23], -1
                                        ; implicit-def: $vgpr3
.LBB199_462:
	s_branch .LBB199_265
.LBB199_463:
	s_cmp_lt_i32 s30, 5
	s_cbranch_scc1 .LBB199_468
; %bb.464:
	s_cmp_lt_i32 s30, 8
	s_cbranch_scc1 .LBB199_469
; %bb.465:
	;; [unrolled: 3-line block ×3, first 2 shown]
	s_cmp_gt_i32 s30, 9
	s_cbranch_scc0 .LBB199_471
; %bb.467:
	global_load_dwordx2 v[3:4], v[0:1], off
	s_movk_i32 s2, 0x1ff
	s_movk_i32 s3, 0xffe
	v_mov_b32_e32 v5, 0x7c00
	v_mov_b32_e32 v6, 0x7e00
	s_movk_i32 s24, 0x40f
	s_mov_b32 s25, 0x8000
	s_waitcnt vmcnt(0)
	v_and_or_b32 v3, v4, s2, v3
	v_cmp_ne_u32_e32 vcc, 0, v3
	v_lshrrev_b32_e32 v7, 8, v4
	v_bfe_u32 v8, v4, 20, 11
	v_cndmask_b32_e64 v3, 0, 1, vcc
	v_sub_u32_e32 v9, 0x3f1, v8
	v_and_or_b32 v3, v7, s3, v3
	v_add_u32_e32 v8, 0xfffffc10, v8
	v_med3_i32 v7, v9, 0, 13
	v_or_b32_e32 v9, 0x1000, v3
	v_cmp_ne_u32_e32 vcc, 0, v3
	v_lshl_or_b32 v10, v8, 12, v3
	v_cndmask_b32_e32 v3, v5, v6, vcc
	v_lshrrev_b32_e32 v6, v7, v9
	v_lshlrev_b32_e32 v7, v7, v6
	v_cmp_ne_u32_e32 vcc, v7, v9
	v_cndmask_b32_e64 v7, 0, 1, vcc
	v_or_b32_e32 v6, v6, v7
	v_cmp_gt_i32_e32 vcc, 1, v8
	v_cndmask_b32_e32 v6, v10, v6, vcc
	v_and_b32_e32 v7, 7, v6
	v_cmp_lt_i32_e32 vcc, 5, v7
	v_cndmask_b32_e64 v9, 0, 1, vcc
	v_cmp_eq_u32_e32 vcc, 3, v7
	v_cndmask_b32_e64 v7, 0, 1, vcc
	v_lshrrev_b32_e32 v6, 2, v6
	v_or_b32_e32 v7, v7, v9
	v_add_u32_e32 v6, v6, v7
	v_cmp_gt_i32_e32 vcc, 31, v8
	v_cndmask_b32_e32 v5, v5, v6, vcc
	v_cmp_eq_u32_e32 vcc, s24, v8
	v_lshrrev_b32_e32 v4, 16, v4
	v_cndmask_b32_e32 v3, v5, v3, vcc
	v_and_or_b32 v3, v4, s25, v3
	s_mov_b64 s[2:3], 0
	s_branch .LBB199_472
.LBB199_468:
	s_mov_b64 s[2:3], -1
                                        ; implicit-def: $vgpr3
	s_branch .LBB199_490
.LBB199_469:
	s_mov_b64 s[2:3], -1
                                        ; implicit-def: $vgpr3
	s_branch .LBB199_478
.LBB199_470:
	s_mov_b64 s[2:3], -1
                                        ; implicit-def: $vgpr3
	s_branch .LBB199_475
.LBB199_471:
	s_mov_b64 s[2:3], -1
                                        ; implicit-def: $vgpr3
.LBB199_472:
	s_andn2_b64 vcc, exec, s[2:3]
	s_cbranch_vccnz .LBB199_474
; %bb.473:
	global_load_dword v3, v[0:1], off
	s_waitcnt vmcnt(0)
	v_cvt_f16_f32_e32 v3, v3
.LBB199_474:
	s_mov_b64 s[2:3], 0
.LBB199_475:
	s_andn2_b64 vcc, exec, s[2:3]
	s_cbranch_vccnz .LBB199_477
; %bb.476:
	global_load_dword v3, v[0:1], off
.LBB199_477:
	s_mov_b64 s[2:3], 0
.LBB199_478:
	s_andn2_b64 vcc, exec, s[2:3]
	s_cbranch_vccnz .LBB199_489
; %bb.479:
	s_cmp_lt_i32 s30, 6
	s_cbranch_scc1 .LBB199_482
; %bb.480:
	s_cmp_gt_i32 s30, 6
	s_cbranch_scc0 .LBB199_483
; %bb.481:
	global_load_dwordx2 v[3:4], v[0:1], off
	s_movk_i32 s2, 0x1ff
	s_movk_i32 s3, 0xffe
	v_mov_b32_e32 v5, 0x7c00
	v_mov_b32_e32 v6, 0x7e00
	s_movk_i32 s24, 0x40f
	s_mov_b32 s25, 0x8000
	s_waitcnt vmcnt(0)
	v_and_or_b32 v3, v4, s2, v3
	v_cmp_ne_u32_e32 vcc, 0, v3
	v_lshrrev_b32_e32 v7, 8, v4
	v_bfe_u32 v8, v4, 20, 11
	v_cndmask_b32_e64 v3, 0, 1, vcc
	v_sub_u32_e32 v9, 0x3f1, v8
	v_and_or_b32 v3, v7, s3, v3
	v_add_u32_e32 v8, 0xfffffc10, v8
	v_med3_i32 v7, v9, 0, 13
	v_or_b32_e32 v9, 0x1000, v3
	v_cmp_ne_u32_e32 vcc, 0, v3
	v_lshl_or_b32 v10, v8, 12, v3
	v_cndmask_b32_e32 v3, v5, v6, vcc
	v_lshrrev_b32_e32 v6, v7, v9
	v_lshlrev_b32_e32 v7, v7, v6
	v_cmp_ne_u32_e32 vcc, v7, v9
	v_cndmask_b32_e64 v7, 0, 1, vcc
	v_or_b32_e32 v6, v6, v7
	v_cmp_gt_i32_e32 vcc, 1, v8
	v_cndmask_b32_e32 v6, v10, v6, vcc
	v_and_b32_e32 v7, 7, v6
	v_cmp_lt_i32_e32 vcc, 5, v7
	v_cndmask_b32_e64 v9, 0, 1, vcc
	v_cmp_eq_u32_e32 vcc, 3, v7
	v_cndmask_b32_e64 v7, 0, 1, vcc
	v_lshrrev_b32_e32 v6, 2, v6
	v_or_b32_e32 v7, v7, v9
	v_add_u32_e32 v6, v6, v7
	v_cmp_gt_i32_e32 vcc, 31, v8
	v_cndmask_b32_e32 v5, v5, v6, vcc
	v_cmp_eq_u32_e32 vcc, s24, v8
	v_lshrrev_b32_e32 v4, 16, v4
	v_cndmask_b32_e32 v3, v5, v3, vcc
	v_and_or_b32 v3, v4, s25, v3
	s_mov_b64 s[2:3], 0
	s_branch .LBB199_484
.LBB199_482:
	s_mov_b64 s[2:3], -1
                                        ; implicit-def: $vgpr3
	s_branch .LBB199_487
.LBB199_483:
	s_mov_b64 s[2:3], -1
                                        ; implicit-def: $vgpr3
.LBB199_484:
	s_andn2_b64 vcc, exec, s[2:3]
	s_cbranch_vccnz .LBB199_486
; %bb.485:
	global_load_dword v3, v[0:1], off
	s_waitcnt vmcnt(0)
	v_cvt_f16_f32_e32 v3, v3
.LBB199_486:
	s_mov_b64 s[2:3], 0
.LBB199_487:
	s_andn2_b64 vcc, exec, s[2:3]
	s_cbranch_vccnz .LBB199_489
; %bb.488:
	global_load_ushort v3, v[0:1], off
.LBB199_489:
	s_mov_b64 s[2:3], 0
.LBB199_490:
	s_andn2_b64 vcc, exec, s[2:3]
	s_cbranch_vccnz .LBB199_510
; %bb.491:
	s_cmp_lt_i32 s30, 2
	s_cbranch_scc1 .LBB199_495
; %bb.492:
	s_cmp_lt_i32 s30, 3
	s_cbranch_scc1 .LBB199_496
; %bb.493:
	s_cmp_gt_i32 s30, 3
	s_cbranch_scc0 .LBB199_497
; %bb.494:
	global_load_dwordx2 v[3:4], v[0:1], off
	s_mov_b64 s[2:3], 0
	s_waitcnt vmcnt(0)
	v_xor_b32_e32 v6, v3, v4
	v_ffbh_i32_e32 v5, v4
	v_ashrrev_i32_e32 v6, 31, v6
	v_add_u32_e32 v5, -1, v5
	v_add_u32_e32 v6, 32, v6
	v_min_u32_e32 v5, v5, v6
	v_lshlrev_b64 v[3:4], v5, v[3:4]
	v_min_u32_e32 v3, 1, v3
	v_or_b32_e32 v3, v4, v3
	v_cvt_f32_i32_e32 v3, v3
	v_sub_u32_e32 v4, 32, v5
	v_ldexp_f32 v3, v3, v4
	v_cvt_f16_f32_e32 v3, v3
	s_branch .LBB199_498
.LBB199_495:
	s_mov_b64 s[2:3], -1
                                        ; implicit-def: $vgpr3
	s_branch .LBB199_504
.LBB199_496:
	s_mov_b64 s[2:3], -1
                                        ; implicit-def: $vgpr3
	s_branch .LBB199_501
.LBB199_497:
	s_mov_b64 s[2:3], -1
                                        ; implicit-def: $vgpr3
.LBB199_498:
	s_andn2_b64 vcc, exec, s[2:3]
	s_cbranch_vccnz .LBB199_500
; %bb.499:
	global_load_dword v3, v[0:1], off
	s_waitcnt vmcnt(0)
	v_cvt_f32_i32_e32 v3, v3
	v_cvt_f16_f32_e32 v3, v3
.LBB199_500:
	s_mov_b64 s[2:3], 0
.LBB199_501:
	s_andn2_b64 vcc, exec, s[2:3]
	s_cbranch_vccnz .LBB199_503
; %bb.502:
	global_load_ushort v3, v[0:1], off
	s_waitcnt vmcnt(0)
	v_cvt_f16_i16_e32 v3, v3
.LBB199_503:
	s_mov_b64 s[2:3], 0
.LBB199_504:
	s_andn2_b64 vcc, exec, s[2:3]
	s_cbranch_vccnz .LBB199_510
; %bb.505:
	s_cmp_gt_i32 s30, 0
	s_cbranch_scc0 .LBB199_507
; %bb.506:
	global_load_sbyte v3, v[0:1], off
	s_mov_b64 s[2:3], 0
	s_waitcnt vmcnt(0)
	v_cvt_f16_i16_e32 v3, v3
	s_branch .LBB199_508
.LBB199_507:
	s_mov_b64 s[2:3], -1
                                        ; implicit-def: $vgpr3
.LBB199_508:
	s_andn2_b64 vcc, exec, s[2:3]
	s_cbranch_vccnz .LBB199_510
; %bb.509:
	global_load_ubyte v0, v[0:1], off
	s_waitcnt vmcnt(0)
	v_cvt_f16_u16_e32 v3, v0
.LBB199_510:
	s_branch .LBB199_266
.LBB199_511:
	s_mov_b64 s[28:29], 0
                                        ; implicit-def: $vgpr2
	s_mov_b64 s[2:3], s[16:17]
.LBB199_512:
	s_andn2_b64 s[24:25], s[16:17], exec
	s_and_b64 s[2:3], s[2:3], exec
	s_or_b64 s[24:25], s[24:25], s[2:3]
	s_andn2_b64 s[2:3], s[18:19], exec
	s_and_b64 s[22:23], s[22:23], exec
	s_or_b64 s[22:23], s[2:3], s[22:23]
	s_orn2_b64 s[2:3], s[28:29], exec
.LBB199_513:
	s_or_b64 exec, exec, s[26:27]
	s_mov_b64 s[30:31], 0
	s_mov_b64 s[28:29], 0
	;; [unrolled: 1-line block ×3, first 2 shown]
                                        ; implicit-def: $vgpr0_vgpr1
                                        ; implicit-def: $vgpr4
	s_and_saveexec_b64 s[26:27], s[2:3]
	s_cbranch_execz .LBB199_858
; %bb.514:
	v_cmp_gt_i32_e32 vcc, s42, v2
	s_mov_b64 s[38:39], -1
	s_mov_b64 s[2:3], s[22:23]
	s_mov_b64 s[34:35], s[24:25]
	s_and_saveexec_b64 s[28:29], vcc
	s_cbranch_execz .LBB199_772
; %bb.515:
	v_mul_lo_u32 v0, v2, s13
	v_mov_b32_e32 v1, s11
	s_and_b32 s38, 0xffff, s47
	s_cmp_lt_i32 s38, 11
	s_waitcnt vmcnt(0)
	v_ashrrev_i32_e32 v3, 31, v0
	v_add_co_u32_e32 v0, vcc, s10, v0
	v_addc_co_u32_e32 v1, vcc, v1, v3, vcc
	s_cbranch_scc1 .LBB199_522
; %bb.516:
	s_cmp_gt_i32 s38, 25
	s_cbranch_scc0 .LBB199_523
; %bb.517:
	s_cmp_gt_i32 s38, 28
	s_cbranch_scc0 .LBB199_524
	;; [unrolled: 3-line block ×4, first 2 shown]
; %bb.520:
	s_cmp_eq_u32 s38, 46
	s_mov_b64 s[34:35], 0
	s_cbranch_scc0 .LBB199_531
; %bb.521:
	global_load_dword v3, v[0:1], off
	s_mov_b64 s[2:3], -1
	s_waitcnt vmcnt(0)
	v_lshlrev_b32_e32 v3, 16, v3
	v_cvt_f16_f32_e32 v3, v3
	s_branch .LBB199_532
.LBB199_522:
	s_mov_b64 s[34:35], -1
	s_mov_b64 s[2:3], 0
                                        ; implicit-def: $vgpr3
	s_mov_b64 s[30:31], s[22:23]
	s_branch .LBB199_597
.LBB199_523:
	s_mov_b64 s[34:35], -1
	s_mov_b64 s[2:3], 0
	s_mov_b64 s[30:31], s[22:23]
                                        ; implicit-def: $vgpr3
	s_branch .LBB199_561
.LBB199_524:
	s_mov_b64 s[34:35], -1
	s_mov_b64 s[2:3], 0
	s_mov_b64 s[30:31], s[22:23]
                                        ; implicit-def: $vgpr3
	s_branch .LBB199_542
.LBB199_525:
	s_mov_b64 s[34:35], -1
	s_mov_b64 s[2:3], 0
	s_mov_b64 s[30:31], s[22:23]
                                        ; implicit-def: $vgpr3
	s_branch .LBB199_537
.LBB199_526:
	s_andn2_saveexec_b64 s[30:31], s[30:31]
	s_cbranch_execz .LBB199_311
.LBB199_527:
	s_mov_b32 s36, 0x46000000
	v_add_f32_e64 v5, |v4|, s36
	v_and_b32_e32 v5, 0xff, v5
	v_cmp_ne_u32_e32 vcc, 0, v5
	s_andn2_b64 s[28:29], s[28:29], exec
	s_and_b64 s[36:37], vcc, exec
	s_or_b64 s[28:29], s[28:29], s[36:37]
	s_or_b64 exec, exec, s[30:31]
	v_mov_b32_e32 v6, 0
	s_and_saveexec_b64 s[30:31], s[28:29]
	s_cbranch_execnz .LBB199_312
	s_branch .LBB199_313
.LBB199_528:
	s_mov_b64 s[34:35], -1
	s_mov_b64 s[2:3], 0
	s_mov_b64 s[30:31], s[22:23]
                                        ; implicit-def: $vgpr3
	s_branch .LBB199_532
.LBB199_529:
	s_andn2_saveexec_b64 s[30:31], s[30:31]
	s_cbranch_execz .LBB199_324
.LBB199_530:
	s_mov_b32 s36, 0x42800000
	v_add_f32_e64 v5, |v4|, s36
	v_and_b32_e32 v5, 0xff, v5
	v_cmp_ne_u32_e32 vcc, 0, v5
	s_andn2_b64 s[28:29], s[28:29], exec
	s_and_b64 s[36:37], vcc, exec
	s_or_b64 s[28:29], s[28:29], s[36:37]
	s_or_b64 exec, exec, s[30:31]
	v_mov_b32_e32 v6, 0
	s_and_saveexec_b64 s[30:31], s[28:29]
	s_cbranch_execnz .LBB199_325
	s_branch .LBB199_326
.LBB199_531:
	s_mov_b64 s[30:31], -1
                                        ; implicit-def: $vgpr3
	s_mov_b64 s[2:3], 0
.LBB199_532:
	s_and_b64 vcc, exec, s[34:35]
	s_cbranch_vccz .LBB199_536
; %bb.533:
	s_cmp_eq_u32 s38, 44
	s_cbranch_scc0 .LBB199_535
; %bb.534:
	global_load_ubyte v3, v[0:1], off
	s_movk_i32 s30, 0xff
	v_mov_b32_e32 v5, 0x7e00
	s_mov_b64 s[2:3], -1
	s_waitcnt vmcnt(0)
	v_lshlrev_b32_e32 v4, 23, v3
	v_cvt_f16_f32_e32 v4, v4
	v_cmp_ne_u32_e32 vcc, s30, v3
	s_mov_b64 s[30:31], 0
	v_cndmask_b32_e32 v4, v5, v4, vcc
	v_cmp_ne_u32_e32 vcc, 0, v3
	v_cndmask_b32_e32 v3, 0, v4, vcc
	s_branch .LBB199_536
.LBB199_535:
	s_mov_b64 s[30:31], -1
                                        ; implicit-def: $vgpr3
.LBB199_536:
	s_mov_b64 s[34:35], 0
.LBB199_537:
	s_and_b64 vcc, exec, s[34:35]
	s_cbranch_vccz .LBB199_541
; %bb.538:
	s_cmp_eq_u32 s38, 29
	s_cbranch_scc0 .LBB199_540
; %bb.539:
	global_load_dwordx2 v[3:4], v[0:1], off
	s_mov_b64 s[2:3], -1
	s_mov_b64 s[30:31], 0
	s_mov_b64 s[34:35], 0
	s_waitcnt vmcnt(0)
	v_ffbh_u32_e32 v5, v4
	v_min_u32_e32 v5, 32, v5
	v_lshlrev_b64 v[3:4], v5, v[3:4]
	v_min_u32_e32 v3, 1, v3
	v_or_b32_e32 v3, v4, v3
	v_cvt_f32_u32_e32 v3, v3
	v_sub_u32_e32 v4, 32, v5
	v_ldexp_f32 v3, v3, v4
	v_cvt_f16_f32_e32 v3, v3
	s_branch .LBB199_542
.LBB199_540:
	s_mov_b64 s[30:31], -1
                                        ; implicit-def: $vgpr3
.LBB199_541:
	s_mov_b64 s[34:35], 0
.LBB199_542:
	s_and_b64 vcc, exec, s[34:35]
	s_cbranch_vccz .LBB199_560
; %bb.543:
	s_cmp_lt_i32 s38, 27
	s_cbranch_scc1 .LBB199_546
; %bb.544:
	s_cmp_gt_i32 s38, 27
	s_cbranch_scc0 .LBB199_547
; %bb.545:
	global_load_dword v3, v[0:1], off
	s_mov_b64 s[2:3], 0
	s_waitcnt vmcnt(0)
	v_cvt_f32_u32_e32 v3, v3
	v_cvt_f16_f32_e32 v3, v3
	s_branch .LBB199_548
.LBB199_546:
	s_mov_b64 s[2:3], -1
                                        ; implicit-def: $vgpr3
	s_branch .LBB199_551
.LBB199_547:
	s_mov_b64 s[2:3], -1
                                        ; implicit-def: $vgpr3
.LBB199_548:
	s_andn2_b64 vcc, exec, s[2:3]
	s_cbranch_vccnz .LBB199_550
; %bb.549:
	global_load_ushort v3, v[0:1], off
	s_waitcnt vmcnt(0)
	v_cvt_f16_u16_e32 v3, v3
.LBB199_550:
	s_mov_b64 s[2:3], 0
.LBB199_551:
	s_andn2_b64 vcc, exec, s[2:3]
	s_cbranch_vccnz .LBB199_559
; %bb.552:
	global_load_ubyte v4, v[0:1], off
	s_movk_i32 s2, 0x7f
	s_waitcnt vmcnt(0)
	v_cmp_lt_i16_e32 vcc, s2, v4
	s_mov_b64 s[2:3], 0
	s_and_saveexec_b64 s[34:35], vcc
	s_xor_b64 s[34:35], exec, s[34:35]
	s_cbranch_execz .LBB199_573
; %bb.553:
	s_movk_i32 s2, 0x80
	v_cmp_eq_u16_e32 vcc, s2, v4
	s_mov_b64 s[2:3], -1
	s_and_saveexec_b64 s[36:37], vcc
; %bb.554:
	s_xor_b64 s[2:3], exec, -1
; %bb.555:
	s_or_b64 exec, exec, s[36:37]
	s_and_b64 s[2:3], s[2:3], exec
	s_or_saveexec_b64 s[34:35], s[34:35]
	v_mov_b32_e32 v3, 0x7e00
	s_xor_b64 exec, exec, s[34:35]
	s_cbranch_execnz .LBB199_574
.LBB199_556:
	s_or_b64 exec, exec, s[34:35]
	s_and_saveexec_b64 s[34:35], s[2:3]
	s_cbranch_execz .LBB199_558
.LBB199_557:
	v_lshlrev_b32_e32 v3, 24, v4
	v_and_b32_e32 v4, 0xffff, v4
	v_and_b32_e32 v5, 7, v4
	v_ffbh_u32_e32 v7, v5
	v_min_u32_e32 v7, 32, v7
	v_subrev_u32_e32 v8, 28, v7
	v_bfe_u32 v6, v4, 3, 4
	v_lshlrev_b32_e32 v4, v8, v4
	v_sub_u32_e32 v7, 29, v7
	v_and_b32_e32 v4, 7, v4
	v_cmp_eq_u32_e32 vcc, 0, v6
	v_cndmask_b32_e32 v6, v6, v7, vcc
	v_cndmask_b32_e32 v4, v5, v4, vcc
	v_mov_b32_e32 v5, 0x3b800000
	v_lshlrev_b32_e32 v4, 20, v4
	v_and_b32_e32 v3, 0x80000000, v3
	v_lshl_add_u32 v5, v6, 23, v5
	v_or3_b32 v3, v3, v5, v4
	v_cvt_f16_f32_e32 v3, v3
.LBB199_558:
	s_or_b64 exec, exec, s[34:35]
.LBB199_559:
	s_mov_b64 s[2:3], -1
.LBB199_560:
	s_mov_b64 s[34:35], 0
.LBB199_561:
	s_and_b64 vcc, exec, s[34:35]
	s_cbranch_vccz .LBB199_596
; %bb.562:
	s_cmp_gt_i32 s38, 22
	s_cbranch_scc0 .LBB199_572
; %bb.563:
	s_cmp_lt_i32 s38, 24
	s_cbranch_scc1 .LBB199_575
; %bb.564:
	s_cmp_gt_i32 s38, 24
	s_cbranch_scc0 .LBB199_576
; %bb.565:
	global_load_ubyte v4, v[0:1], off
	s_movk_i32 s2, 0x7f
	s_waitcnt vmcnt(0)
	v_cmp_lt_i16_e32 vcc, s2, v4
	s_mov_b64 s[2:3], 0
	s_and_saveexec_b64 s[34:35], vcc
	s_xor_b64 s[34:35], exec, s[34:35]
	s_cbranch_execz .LBB199_588
; %bb.566:
	s_movk_i32 s2, 0x80
	v_cmp_eq_u16_e32 vcc, s2, v4
	s_mov_b64 s[2:3], -1
	s_and_saveexec_b64 s[36:37], vcc
; %bb.567:
	s_xor_b64 s[2:3], exec, -1
; %bb.568:
	s_or_b64 exec, exec, s[36:37]
	s_and_b64 s[2:3], s[2:3], exec
	s_or_saveexec_b64 s[34:35], s[34:35]
	v_mov_b32_e32 v3, 0x7e00
	s_xor_b64 exec, exec, s[34:35]
	s_cbranch_execnz .LBB199_589
.LBB199_569:
	s_or_b64 exec, exec, s[34:35]
	s_and_saveexec_b64 s[34:35], s[2:3]
	s_cbranch_execz .LBB199_571
.LBB199_570:
	v_lshlrev_b32_e32 v3, 24, v4
	v_and_b32_e32 v4, 0xffff, v4
	v_and_b32_e32 v5, 3, v4
	v_ffbh_u32_e32 v7, v5
	v_min_u32_e32 v7, 32, v7
	v_subrev_u32_e32 v8, 29, v7
	v_bfe_u32 v6, v4, 2, 5
	v_lshlrev_b32_e32 v4, v8, v4
	v_sub_u32_e32 v7, 30, v7
	v_and_b32_e32 v4, 3, v4
	v_cmp_eq_u32_e32 vcc, 0, v6
	v_cndmask_b32_e32 v6, v6, v7, vcc
	v_cndmask_b32_e32 v4, v5, v4, vcc
	v_mov_b32_e32 v5, 0x37800000
	v_lshlrev_b32_e32 v4, 21, v4
	v_and_b32_e32 v3, 0x80000000, v3
	v_lshl_add_u32 v5, v6, 23, v5
	v_or3_b32 v3, v3, v5, v4
	v_cvt_f16_f32_e32 v3, v3
.LBB199_571:
	s_or_b64 exec, exec, s[34:35]
	s_mov_b64 s[2:3], 0
	s_branch .LBB199_577
.LBB199_572:
	s_mov_b64 s[34:35], -1
                                        ; implicit-def: $vgpr3
	s_branch .LBB199_583
.LBB199_573:
	s_or_saveexec_b64 s[34:35], s[34:35]
	v_mov_b32_e32 v3, 0x7e00
	s_xor_b64 exec, exec, s[34:35]
	s_cbranch_execz .LBB199_556
.LBB199_574:
	v_cmp_ne_u16_e32 vcc, 0, v4
	s_andn2_b64 s[2:3], s[2:3], exec
	s_and_b64 s[36:37], vcc, exec
	s_or_b64 s[2:3], s[2:3], s[36:37]
	v_mov_b32_e32 v3, v4
	s_or_b64 exec, exec, s[34:35]
	s_and_saveexec_b64 s[34:35], s[2:3]
	s_cbranch_execnz .LBB199_557
	s_branch .LBB199_558
.LBB199_575:
	s_mov_b64 s[2:3], -1
                                        ; implicit-def: $vgpr3
	s_branch .LBB199_580
.LBB199_576:
	s_mov_b64 s[2:3], -1
                                        ; implicit-def: $vgpr3
.LBB199_577:
	s_and_b64 vcc, exec, s[2:3]
	s_cbranch_vccz .LBB199_579
; %bb.578:
	global_load_ubyte v3, v[0:1], off
	s_mov_b32 s2, 0x7f800000
	s_waitcnt vmcnt(0)
	v_lshlrev_b32_e32 v3, 24, v3
	v_and_b32_e32 v4, 0x7f000000, v3
	v_ffbh_u32_e32 v5, v4
	v_min_u32_e32 v5, 32, v5
	v_sub_u32_e64 v5, v5, 4 clamp
	v_lshlrev_b32_e32 v7, v5, v4
	v_lshlrev_b32_e32 v5, 23, v5
	v_lshrrev_b32_e32 v7, 4, v7
	v_add_u32_e32 v6, 0x1000000, v4
	v_sub_u32_e32 v5, v7, v5
	v_ashrrev_i32_e32 v6, 8, v6
	v_add_u32_e32 v5, 0x3c000000, v5
	v_and_or_b32 v5, v6, s2, v5
	v_cmp_ne_u32_e32 vcc, 0, v4
	v_cndmask_b32_e32 v4, 0, v5, vcc
	s_brev_b32 s2, 1
	v_and_or_b32 v3, v3, s2, v4
	v_cvt_f16_f32_e32 v3, v3
.LBB199_579:
	s_mov_b64 s[2:3], 0
.LBB199_580:
	s_andn2_b64 vcc, exec, s[2:3]
	s_cbranch_vccnz .LBB199_582
; %bb.581:
	global_load_ubyte v3, v[0:1], off
	s_movk_i32 s2, 0x7f00
	s_brev_b32 s3, 16
	s_waitcnt vmcnt(0)
	v_lshlrev_b16_e32 v4, 8, v3
	v_lshlrev_b32_e32 v3, 25, v3
	v_lshrrev_b32_e32 v5, 4, v3
	v_and_or_b32 v6, v4, s2, 0.5
	v_or_b32_e32 v5, 0x70000000, v5
	v_add_f32_e32 v6, -0.5, v6
	v_mul_f32_e32 v5, 0x7800000, v5
	v_cmp_gt_u32_e32 vcc, s3, v3
	v_bfe_i32 v4, v4, 0, 16
	v_cndmask_b32_e32 v3, v5, v6, vcc
	s_brev_b32 s2, 1
	v_and_or_b32 v3, v4, s2, v3
	v_cvt_f16_f32_e32 v3, v3
.LBB199_582:
	s_mov_b64 s[34:35], 0
	s_mov_b64 s[2:3], -1
.LBB199_583:
	s_andn2_b64 vcc, exec, s[34:35]
	s_cbranch_vccnz .LBB199_596
; %bb.584:
	s_cmp_gt_i32 s38, 14
	s_cbranch_scc0 .LBB199_587
; %bb.585:
	s_cmp_eq_u32 s38, 15
	s_cbranch_scc0 .LBB199_590
; %bb.586:
	global_load_ushort v3, v[0:1], off
	s_mov_b64 s[2:3], -1
	s_mov_b64 s[30:31], 0
	s_waitcnt vmcnt(0)
	v_lshlrev_b32_e32 v3, 16, v3
	v_cvt_f16_f32_e32 v3, v3
	s_branch .LBB199_591
.LBB199_587:
	s_mov_b64 s[34:35], -1
                                        ; implicit-def: $vgpr3
	s_branch .LBB199_592
.LBB199_588:
	s_or_saveexec_b64 s[34:35], s[34:35]
	v_mov_b32_e32 v3, 0x7e00
	s_xor_b64 exec, exec, s[34:35]
	s_cbranch_execz .LBB199_569
.LBB199_589:
	v_cmp_ne_u16_e32 vcc, 0, v4
	s_andn2_b64 s[2:3], s[2:3], exec
	s_and_b64 s[36:37], vcc, exec
	s_or_b64 s[2:3], s[2:3], s[36:37]
	v_mov_b32_e32 v3, v4
	s_or_b64 exec, exec, s[34:35]
	s_and_saveexec_b64 s[34:35], s[2:3]
	s_cbranch_execnz .LBB199_570
	s_branch .LBB199_571
.LBB199_590:
	s_mov_b64 s[30:31], -1
                                        ; implicit-def: $vgpr3
.LBB199_591:
	s_mov_b64 s[34:35], 0
.LBB199_592:
	s_and_b64 vcc, exec, s[34:35]
	s_cbranch_vccz .LBB199_596
; %bb.593:
	s_cmp_eq_u32 s38, 11
	s_cbranch_scc0 .LBB199_595
; %bb.594:
	global_load_ubyte v3, v[0:1], off
	v_mov_b32_e32 v4, 0x3c00
	s_mov_b64 s[2:3], -1
	s_mov_b64 s[30:31], 0
	s_waitcnt vmcnt(0)
	v_cmp_ne_u16_e32 vcc, 0, v3
	v_cndmask_b32_e32 v3, 0, v4, vcc
	s_branch .LBB199_596
.LBB199_595:
	s_mov_b64 s[30:31], -1
                                        ; implicit-def: $vgpr3
.LBB199_596:
	s_mov_b64 s[34:35], 0
.LBB199_597:
	s_and_b64 vcc, exec, s[34:35]
	s_cbranch_vccz .LBB199_646
; %bb.598:
	s_cmp_lt_i32 s38, 5
	s_cbranch_scc1 .LBB199_603
; %bb.599:
	s_cmp_lt_i32 s38, 8
	s_cbranch_scc1 .LBB199_604
	;; [unrolled: 3-line block ×3, first 2 shown]
; %bb.601:
	s_cmp_gt_i32 s38, 9
	s_cbranch_scc0 .LBB199_606
; %bb.602:
	global_load_dwordx2 v[3:4], v[0:1], off
	s_movk_i32 s2, 0x1ff
	s_movk_i32 s3, 0xffe
	v_mov_b32_e32 v5, 0x7c00
	v_mov_b32_e32 v6, 0x7e00
	s_movk_i32 s34, 0x40f
	s_mov_b32 s35, 0x8000
	s_waitcnt vmcnt(0)
	v_and_or_b32 v3, v4, s2, v3
	v_cmp_ne_u32_e32 vcc, 0, v3
	v_lshrrev_b32_e32 v7, 8, v4
	v_bfe_u32 v8, v4, 20, 11
	v_cndmask_b32_e64 v3, 0, 1, vcc
	v_sub_u32_e32 v9, 0x3f1, v8
	v_and_or_b32 v3, v7, s3, v3
	v_add_u32_e32 v8, 0xfffffc10, v8
	v_med3_i32 v7, v9, 0, 13
	v_or_b32_e32 v9, 0x1000, v3
	v_cmp_ne_u32_e32 vcc, 0, v3
	v_lshl_or_b32 v10, v8, 12, v3
	v_cndmask_b32_e32 v3, v5, v6, vcc
	v_lshrrev_b32_e32 v6, v7, v9
	v_lshlrev_b32_e32 v7, v7, v6
	v_cmp_ne_u32_e32 vcc, v7, v9
	v_cndmask_b32_e64 v7, 0, 1, vcc
	v_or_b32_e32 v6, v6, v7
	v_cmp_gt_i32_e32 vcc, 1, v8
	v_cndmask_b32_e32 v6, v10, v6, vcc
	v_and_b32_e32 v7, 7, v6
	v_cmp_lt_i32_e32 vcc, 5, v7
	v_cndmask_b32_e64 v9, 0, 1, vcc
	v_cmp_eq_u32_e32 vcc, 3, v7
	v_cndmask_b32_e64 v7, 0, 1, vcc
	v_lshrrev_b32_e32 v6, 2, v6
	v_or_b32_e32 v7, v7, v9
	v_add_u32_e32 v6, v6, v7
	v_cmp_gt_i32_e32 vcc, 31, v8
	v_cndmask_b32_e32 v5, v5, v6, vcc
	v_cmp_eq_u32_e32 vcc, s34, v8
	v_lshrrev_b32_e32 v4, 16, v4
	v_cndmask_b32_e32 v3, v5, v3, vcc
	v_and_or_b32 v3, v4, s35, v3
	s_mov_b64 s[2:3], 0
	s_branch .LBB199_607
.LBB199_603:
	s_mov_b64 s[2:3], -1
                                        ; implicit-def: $vgpr3
	s_branch .LBB199_625
.LBB199_604:
	s_mov_b64 s[2:3], -1
                                        ; implicit-def: $vgpr3
	s_branch .LBB199_613
.LBB199_605:
	s_mov_b64 s[2:3], -1
                                        ; implicit-def: $vgpr3
	s_branch .LBB199_610
.LBB199_606:
	s_mov_b64 s[2:3], -1
                                        ; implicit-def: $vgpr3
.LBB199_607:
	s_andn2_b64 vcc, exec, s[2:3]
	s_cbranch_vccnz .LBB199_609
; %bb.608:
	global_load_dword v3, v[0:1], off
	s_waitcnt vmcnt(0)
	v_cvt_f16_f32_e32 v3, v3
.LBB199_609:
	s_mov_b64 s[2:3], 0
.LBB199_610:
	s_andn2_b64 vcc, exec, s[2:3]
	s_cbranch_vccnz .LBB199_612
; %bb.611:
	global_load_dword v3, v[0:1], off
.LBB199_612:
	s_mov_b64 s[2:3], 0
.LBB199_613:
	s_andn2_b64 vcc, exec, s[2:3]
	s_cbranch_vccnz .LBB199_624
; %bb.614:
	s_cmp_lt_i32 s38, 6
	s_cbranch_scc1 .LBB199_617
; %bb.615:
	s_cmp_gt_i32 s38, 6
	s_cbranch_scc0 .LBB199_618
; %bb.616:
	global_load_dwordx2 v[3:4], v[0:1], off
	s_movk_i32 s2, 0x1ff
	s_movk_i32 s3, 0xffe
	v_mov_b32_e32 v5, 0x7c00
	v_mov_b32_e32 v6, 0x7e00
	s_movk_i32 s34, 0x40f
	s_mov_b32 s35, 0x8000
	s_waitcnt vmcnt(0)
	v_and_or_b32 v3, v4, s2, v3
	v_cmp_ne_u32_e32 vcc, 0, v3
	v_lshrrev_b32_e32 v7, 8, v4
	v_bfe_u32 v8, v4, 20, 11
	v_cndmask_b32_e64 v3, 0, 1, vcc
	v_sub_u32_e32 v9, 0x3f1, v8
	v_and_or_b32 v3, v7, s3, v3
	v_add_u32_e32 v8, 0xfffffc10, v8
	v_med3_i32 v7, v9, 0, 13
	v_or_b32_e32 v9, 0x1000, v3
	v_cmp_ne_u32_e32 vcc, 0, v3
	v_lshl_or_b32 v10, v8, 12, v3
	v_cndmask_b32_e32 v3, v5, v6, vcc
	v_lshrrev_b32_e32 v6, v7, v9
	v_lshlrev_b32_e32 v7, v7, v6
	v_cmp_ne_u32_e32 vcc, v7, v9
	v_cndmask_b32_e64 v7, 0, 1, vcc
	v_or_b32_e32 v6, v6, v7
	v_cmp_gt_i32_e32 vcc, 1, v8
	v_cndmask_b32_e32 v6, v10, v6, vcc
	v_and_b32_e32 v7, 7, v6
	v_cmp_lt_i32_e32 vcc, 5, v7
	v_cndmask_b32_e64 v9, 0, 1, vcc
	v_cmp_eq_u32_e32 vcc, 3, v7
	v_cndmask_b32_e64 v7, 0, 1, vcc
	v_lshrrev_b32_e32 v6, 2, v6
	v_or_b32_e32 v7, v7, v9
	v_add_u32_e32 v6, v6, v7
	v_cmp_gt_i32_e32 vcc, 31, v8
	v_cndmask_b32_e32 v5, v5, v6, vcc
	v_cmp_eq_u32_e32 vcc, s34, v8
	v_lshrrev_b32_e32 v4, 16, v4
	v_cndmask_b32_e32 v3, v5, v3, vcc
	v_and_or_b32 v3, v4, s35, v3
	s_mov_b64 s[2:3], 0
	s_branch .LBB199_619
.LBB199_617:
	s_mov_b64 s[2:3], -1
                                        ; implicit-def: $vgpr3
	s_branch .LBB199_622
.LBB199_618:
	s_mov_b64 s[2:3], -1
                                        ; implicit-def: $vgpr3
.LBB199_619:
	s_andn2_b64 vcc, exec, s[2:3]
	s_cbranch_vccnz .LBB199_621
; %bb.620:
	global_load_dword v3, v[0:1], off
	s_waitcnt vmcnt(0)
	v_cvt_f16_f32_e32 v3, v3
.LBB199_621:
	s_mov_b64 s[2:3], 0
.LBB199_622:
	s_andn2_b64 vcc, exec, s[2:3]
	s_cbranch_vccnz .LBB199_624
; %bb.623:
	global_load_ushort v3, v[0:1], off
.LBB199_624:
	s_mov_b64 s[2:3], 0
.LBB199_625:
	s_andn2_b64 vcc, exec, s[2:3]
	s_cbranch_vccnz .LBB199_645
; %bb.626:
	s_cmp_lt_i32 s38, 2
	s_cbranch_scc1 .LBB199_630
; %bb.627:
	s_cmp_lt_i32 s38, 3
	s_cbranch_scc1 .LBB199_631
; %bb.628:
	s_cmp_gt_i32 s38, 3
	s_cbranch_scc0 .LBB199_632
; %bb.629:
	global_load_dwordx2 v[3:4], v[0:1], off
	s_mov_b64 s[2:3], 0
	s_waitcnt vmcnt(0)
	v_xor_b32_e32 v6, v3, v4
	v_ffbh_i32_e32 v5, v4
	v_ashrrev_i32_e32 v6, 31, v6
	v_add_u32_e32 v5, -1, v5
	v_add_u32_e32 v6, 32, v6
	v_min_u32_e32 v5, v5, v6
	v_lshlrev_b64 v[3:4], v5, v[3:4]
	v_min_u32_e32 v3, 1, v3
	v_or_b32_e32 v3, v4, v3
	v_cvt_f32_i32_e32 v3, v3
	v_sub_u32_e32 v4, 32, v5
	v_ldexp_f32 v3, v3, v4
	v_cvt_f16_f32_e32 v3, v3
	s_branch .LBB199_633
.LBB199_630:
	s_mov_b64 s[2:3], -1
                                        ; implicit-def: $vgpr3
	s_branch .LBB199_639
.LBB199_631:
	s_mov_b64 s[2:3], -1
                                        ; implicit-def: $vgpr3
	s_branch .LBB199_636
.LBB199_632:
	s_mov_b64 s[2:3], -1
                                        ; implicit-def: $vgpr3
.LBB199_633:
	s_andn2_b64 vcc, exec, s[2:3]
	s_cbranch_vccnz .LBB199_635
; %bb.634:
	global_load_dword v3, v[0:1], off
	s_waitcnt vmcnt(0)
	v_cvt_f32_i32_e32 v3, v3
	v_cvt_f16_f32_e32 v3, v3
.LBB199_635:
	s_mov_b64 s[2:3], 0
.LBB199_636:
	s_andn2_b64 vcc, exec, s[2:3]
	s_cbranch_vccnz .LBB199_638
; %bb.637:
	global_load_ushort v3, v[0:1], off
	s_waitcnt vmcnt(0)
	v_cvt_f16_i16_e32 v3, v3
.LBB199_638:
	s_mov_b64 s[2:3], 0
.LBB199_639:
	s_andn2_b64 vcc, exec, s[2:3]
	s_cbranch_vccnz .LBB199_645
; %bb.640:
	s_cmp_gt_i32 s38, 0
	s_cbranch_scc0 .LBB199_642
; %bb.641:
	global_load_sbyte v3, v[0:1], off
	s_mov_b64 s[2:3], 0
	s_waitcnt vmcnt(0)
	v_cvt_f16_i16_e32 v3, v3
	s_branch .LBB199_643
.LBB199_642:
	s_mov_b64 s[2:3], -1
                                        ; implicit-def: $vgpr3
.LBB199_643:
	s_andn2_b64 vcc, exec, s[2:3]
	s_cbranch_vccnz .LBB199_645
; %bb.644:
	global_load_ubyte v0, v[0:1], off
	s_waitcnt vmcnt(0)
	v_cvt_f16_u16_e32 v3, v0
.LBB199_645:
	s_mov_b64 s[2:3], -1
.LBB199_646:
	s_andn2_b64 vcc, exec, s[2:3]
	s_cbranch_vccnz .LBB199_654
; %bb.647:
	v_mul_lo_u32 v0, v2, s12
	v_mov_b32_e32 v1, s33
	v_mov_b32_e32 v4, s9
	s_waitcnt vmcnt(0)
	v_cndmask_b32_e64 v3, v3, v1, s[0:1]
	v_ashrrev_i32_e32 v1, 31, v0
	s_and_b32 s40, s46, 0xff
	v_add_co_u32_e32 v0, vcc, s8, v0
	s_cmp_lt_i32 s40, 11
	v_addc_co_u32_e32 v1, vcc, v4, v1, vcc
	s_cbranch_scc1 .LBB199_655
; %bb.648:
	s_and_b32 s41, 0xffff, s40
	s_cmp_gt_i32 s41, 25
	s_cbranch_scc0 .LBB199_656
; %bb.649:
	s_cmp_gt_i32 s41, 28
	s_cbranch_scc0 .LBB199_657
; %bb.650:
	;; [unrolled: 3-line block ×4, first 2 shown]
	s_mov_b64 s[36:37], 0
	s_mov_b64 s[2:3], -1
	s_cmp_eq_u32 s41, 46
	s_mov_b64 s[34:35], 0
	s_cbranch_scc0 .LBB199_660
; %bb.653:
	v_cvt_f32_f16_e32 v4, v3
	s_movk_i32 s2, 0x7fff
	v_cmp_o_f16_e32 vcc, v3, v3
	v_mov_b32_e32 v5, 0x7fc0
	v_bfe_u32 v6, v4, 16, 1
	v_add3_u32 v4, v4, v6, s2
	v_cndmask_b32_sdwa v4, v5, v4, vcc dst_sel:DWORD dst_unused:UNUSED_PAD src0_sel:DWORD src1_sel:WORD_1
	global_store_dword v[0:1], v4, off
	s_mov_b64 s[34:35], -1
	s_mov_b64 s[2:3], 0
	s_branch .LBB199_660
.LBB199_654:
	s_mov_b64 s[36:37], 0
                                        ; implicit-def: $vgpr2
	s_mov_b64 s[2:3], s[24:25]
	s_branch .LBB199_771
.LBB199_655:
	s_mov_b64 s[36:37], -1
	s_mov_b64 s[34:35], 0
	s_mov_b64 s[2:3], s[24:25]
	s_branch .LBB199_729
.LBB199_656:
	s_mov_b64 s[36:37], -1
	s_mov_b64 s[34:35], 0
	s_mov_b64 s[2:3], s[24:25]
	s_branch .LBB199_687
.LBB199_657:
	s_mov_b64 s[36:37], -1
	s_mov_b64 s[34:35], 0
	s_mov_b64 s[2:3], s[24:25]
	s_branch .LBB199_670
.LBB199_658:
	s_mov_b64 s[36:37], -1
	s_mov_b64 s[34:35], 0
	s_mov_b64 s[2:3], s[24:25]
	s_branch .LBB199_666
.LBB199_659:
	s_mov_b64 s[36:37], -1
	s_mov_b64 s[34:35], 0
	s_mov_b64 s[2:3], s[24:25]
.LBB199_660:
	s_and_b64 vcc, exec, s[36:37]
	s_cbranch_vccz .LBB199_665
; %bb.661:
	s_cmp_eq_u32 s41, 44
	s_mov_b64 s[2:3], -1
	s_cbranch_scc0 .LBB199_665
; %bb.662:
	v_cvt_f32_f16_e32 v4, v3
	s_movk_i32 s2, 0xff
	v_mov_b32_e32 v6, 0xff
	v_bfe_u32 v5, v4, 23, 8
	v_cmp_ne_u32_e32 vcc, s2, v5
	s_and_saveexec_b64 s[34:35], vcc
; %bb.663:
	s_mov_b32 s2, 0x3fffff
	v_lshrrev_b32_e32 v6, 23, v4
	v_and_b32_e32 v7, 0x400000, v4
	v_and_or_b32 v4, v4, s2, v5
	v_cmp_ne_u32_e32 vcc, 0, v7
	v_cmp_ne_u32_e64 s[2:3], 0, v4
	s_and_b64 s[2:3], vcc, s[2:3]
	v_cndmask_b32_e64 v4, 0, 1, s[2:3]
	v_add_u32_e32 v6, v6, v4
; %bb.664:
	s_or_b64 exec, exec, s[34:35]
	s_mov_b64 s[34:35], -1
	s_mov_b64 s[2:3], 0
	global_store_byte v[0:1], v6, off
.LBB199_665:
	s_mov_b64 s[36:37], 0
.LBB199_666:
	s_and_b64 vcc, exec, s[36:37]
	s_cbranch_vccz .LBB199_669
; %bb.667:
	s_cmp_eq_u32 s41, 29
	s_mov_b64 s[2:3], -1
	s_cbranch_scc0 .LBB199_669
; %bb.668:
	v_cvt_f32_f16_e32 v4, v3
	v_mov_b32_e32 v5, 0
	s_mov_b64 s[34:35], -1
	s_mov_b64 s[2:3], 0
	v_cvt_u32_f32_e32 v4, v4
	s_mov_b64 s[36:37], 0
	global_store_dwordx2 v[0:1], v[4:5], off
	s_branch .LBB199_670
.LBB199_669:
	s_mov_b64 s[36:37], 0
.LBB199_670:
	s_and_b64 vcc, exec, s[36:37]
	s_cbranch_vccz .LBB199_686
; %bb.671:
	s_cmp_lt_i32 s41, 27
	s_mov_b64 s[34:35], -1
	s_cbranch_scc1 .LBB199_677
; %bb.672:
	s_cmp_gt_i32 s41, 27
	s_cbranch_scc0 .LBB199_674
; %bb.673:
	v_cvt_f32_f16_e32 v4, v3
	s_mov_b64 s[34:35], 0
	v_cvt_u32_f32_e32 v4, v4
	global_store_dword v[0:1], v4, off
.LBB199_674:
	s_andn2_b64 vcc, exec, s[34:35]
	s_cbranch_vccnz .LBB199_676
; %bb.675:
	v_cvt_u16_f16_e32 v4, v3
	global_store_short v[0:1], v4, off
.LBB199_676:
	s_mov_b64 s[34:35], 0
.LBB199_677:
	s_andn2_b64 vcc, exec, s[34:35]
	s_cbranch_vccnz .LBB199_685
; %bb.678:
	v_cvt_f32_f16_e32 v4, v3
	s_mov_b32 s34, 0x43800000
	v_mov_b32_e32 v6, 0x80
	v_and_b32_e32 v5, 0x7fffffff, v4
	v_cmp_gt_u32_e32 vcc, s34, v5
	s_and_saveexec_b64 s[34:35], vcc
	s_cbranch_execz .LBB199_684
; %bb.679:
	s_mov_b32 s36, 0x3bffffff
	v_cmp_lt_u32_e32 vcc, s36, v5
	s_mov_b64 s[36:37], 0
                                        ; implicit-def: $vgpr5
	s_and_saveexec_b64 s[38:39], vcc
	s_xor_b64 s[38:39], exec, s[38:39]
	s_cbranch_execz .LBB199_785
; %bb.680:
	v_bfe_u32 v5, v4, 20, 1
	s_mov_b32 s43, 0x487ffff
	v_add3_u32 v5, v4, v5, s43
	s_mov_b64 s[36:37], exec
	v_lshrrev_b32_e32 v5, 20, v5
	s_andn2_saveexec_b64 s[38:39], s[38:39]
	s_cbranch_execnz .LBB199_786
.LBB199_681:
	s_or_b64 exec, exec, s[38:39]
	v_mov_b32_e32 v6, 0
	s_and_saveexec_b64 s[38:39], s[36:37]
.LBB199_682:
	v_lshrrev_b32_e32 v4, 24, v4
	s_movk_i32 s36, 0x80
	v_and_or_b32 v6, v4, s36, v5
.LBB199_683:
	s_or_b64 exec, exec, s[38:39]
.LBB199_684:
	s_or_b64 exec, exec, s[34:35]
	global_store_byte v[0:1], v6, off
.LBB199_685:
	s_mov_b64 s[34:35], -1
.LBB199_686:
	s_mov_b64 s[36:37], 0
.LBB199_687:
	s_and_b64 vcc, exec, s[36:37]
	s_cbranch_vccz .LBB199_728
; %bb.688:
	s_cmp_gt_i32 s41, 22
	s_mov_b64 s[36:37], -1
	s_cbranch_scc0 .LBB199_720
; %bb.689:
	s_cmp_lt_i32 s41, 24
	s_mov_b64 s[34:35], -1
	s_cbranch_scc1 .LBB199_709
; %bb.690:
	s_cmp_gt_i32 s41, 24
	s_cbranch_scc0 .LBB199_698
; %bb.691:
	v_cvt_f32_f16_e32 v4, v3
	s_mov_b32 s34, 0x47800000
	v_mov_b32_e32 v6, 0x80
	v_and_b32_e32 v5, 0x7fffffff, v4
	v_cmp_gt_u32_e32 vcc, s34, v5
	s_and_saveexec_b64 s[34:35], vcc
	s_cbranch_execz .LBB199_697
; %bb.692:
	s_mov_b32 s36, 0x37ffffff
	v_cmp_lt_u32_e32 vcc, s36, v5
	s_mov_b64 s[36:37], 0
                                        ; implicit-def: $vgpr5
	s_and_saveexec_b64 s[38:39], vcc
	s_xor_b64 s[38:39], exec, s[38:39]
	s_cbranch_execz .LBB199_788
; %bb.693:
	v_bfe_u32 v5, v4, 21, 1
	s_mov_b32 s43, 0x88fffff
	v_add3_u32 v5, v4, v5, s43
	s_mov_b64 s[36:37], exec
	v_lshrrev_b32_e32 v5, 21, v5
	s_andn2_saveexec_b64 s[38:39], s[38:39]
	s_cbranch_execnz .LBB199_789
.LBB199_694:
	s_or_b64 exec, exec, s[38:39]
	v_mov_b32_e32 v6, 0
	s_and_saveexec_b64 s[38:39], s[36:37]
.LBB199_695:
	v_lshrrev_b32_e32 v4, 24, v4
	s_movk_i32 s36, 0x80
	v_and_or_b32 v6, v4, s36, v5
.LBB199_696:
	s_or_b64 exec, exec, s[38:39]
.LBB199_697:
	s_or_b64 exec, exec, s[34:35]
	s_mov_b64 s[34:35], 0
	global_store_byte v[0:1], v6, off
.LBB199_698:
	s_and_b64 vcc, exec, s[34:35]
	s_cbranch_vccz .LBB199_708
; %bb.699:
	v_cvt_f32_f16_e32 v4, v3
	s_mov_b32 s34, 0x43f00000
                                        ; implicit-def: $vgpr5
	v_and_b32_e32 v6, 0x7fffffff, v4
	v_cmp_gt_u32_e32 vcc, s34, v6
	s_and_saveexec_b64 s[34:35], vcc
	s_xor_b64 s[34:35], exec, s[34:35]
	s_cbranch_execz .LBB199_705
; %bb.700:
	s_mov_b32 s36, 0x3c7fffff
	v_cmp_lt_u32_e32 vcc, s36, v6
                                        ; implicit-def: $vgpr5
	s_and_saveexec_b64 s[36:37], vcc
	s_xor_b64 s[36:37], exec, s[36:37]
; %bb.701:
	v_bfe_u32 v5, v4, 20, 1
	s_mov_b32 s38, 0x407ffff
	v_add3_u32 v5, v4, v5, s38
	v_lshrrev_b32_e32 v6, 20, v5
	v_and_b32_e32 v5, 0xff00000, v5
	s_mov_b32 s38, 0x7f00000
	v_mov_b32_e32 v7, 0x7e
	v_cmp_ne_u32_e32 vcc, s38, v5
	v_cndmask_b32_e32 v5, v7, v6, vcc
; %bb.702:
	s_andn2_saveexec_b64 s[36:37], s[36:37]
; %bb.703:
	s_mov_b32 s38, 0x46800000
	v_add_f32_e64 v5, |v4|, s38
; %bb.704:
	s_or_b64 exec, exec, s[36:37]
                                        ; implicit-def: $vgpr6
.LBB199_705:
	s_andn2_saveexec_b64 s[34:35], s[34:35]
; %bb.706:
	s_mov_b32 s36, 0x7f800000
	v_mov_b32_e32 v5, 0x7e
	v_mov_b32_e32 v7, 0x7f
	v_cmp_lt_u32_e32 vcc, s36, v6
	v_cndmask_b32_e32 v5, v5, v7, vcc
; %bb.707:
	s_or_b64 exec, exec, s[34:35]
	v_lshrrev_b32_e32 v4, 24, v4
	s_movk_i32 s34, 0x80
	v_and_or_b32 v4, v4, s34, v5
	global_store_byte v[0:1], v4, off
.LBB199_708:
	s_mov_b64 s[34:35], 0
.LBB199_709:
	s_andn2_b64 vcc, exec, s[34:35]
	s_cbranch_vccnz .LBB199_719
; %bb.710:
	v_cvt_f32_f16_e32 v4, v3
	s_mov_b32 s34, 0x47800000
                                        ; implicit-def: $vgpr5
	v_and_b32_e32 v6, 0x7fffffff, v4
	v_cmp_gt_u32_e32 vcc, s34, v6
	s_and_saveexec_b64 s[34:35], vcc
	s_xor_b64 s[34:35], exec, s[34:35]
	s_cbranch_execz .LBB199_716
; %bb.711:
	s_mov_b32 s36, 0x387fffff
	v_cmp_lt_u32_e32 vcc, s36, v6
                                        ; implicit-def: $vgpr5
	s_and_saveexec_b64 s[36:37], vcc
	s_xor_b64 s[36:37], exec, s[36:37]
; %bb.712:
	v_bfe_u32 v5, v4, 21, 1
	s_mov_b32 s38, 0x80fffff
	v_add3_u32 v5, v4, v5, s38
	v_lshrrev_b32_e32 v5, 21, v5
; %bb.713:
	s_andn2_saveexec_b64 s[36:37], s[36:37]
; %bb.714:
	s_mov_b32 s38, 0x43000000
	v_add_f32_e64 v5, |v4|, s38
; %bb.715:
	s_or_b64 exec, exec, s[36:37]
                                        ; implicit-def: $vgpr6
.LBB199_716:
	s_andn2_saveexec_b64 s[34:35], s[34:35]
; %bb.717:
	s_mov_b32 s36, 0x7f800000
	v_mov_b32_e32 v5, 0x7c
	v_mov_b32_e32 v7, 0x7f
	v_cmp_lt_u32_e32 vcc, s36, v6
	v_cndmask_b32_e32 v5, v5, v7, vcc
; %bb.718:
	s_or_b64 exec, exec, s[34:35]
	v_lshrrev_b32_e32 v4, 24, v4
	s_movk_i32 s34, 0x80
	v_and_or_b32 v4, v4, s34, v5
	global_store_byte v[0:1], v4, off
.LBB199_719:
	s_mov_b64 s[36:37], 0
	s_mov_b64 s[34:35], -1
.LBB199_720:
	s_andn2_b64 vcc, exec, s[36:37]
	s_cbranch_vccnz .LBB199_728
; %bb.721:
	s_cmp_gt_i32 s41, 14
	s_mov_b64 s[36:37], -1
	s_cbranch_scc0 .LBB199_725
; %bb.722:
	s_cmp_eq_u32 s41, 15
	s_mov_b64 s[2:3], -1
	s_cbranch_scc0 .LBB199_724
; %bb.723:
	v_cvt_f32_f16_e32 v4, v3
	s_movk_i32 s2, 0x7fff
	v_cmp_o_f16_e32 vcc, v3, v3
	v_mov_b32_e32 v5, 0x7fc0
	v_bfe_u32 v6, v4, 16, 1
	v_add3_u32 v4, v4, v6, s2
	v_cndmask_b32_sdwa v4, v5, v4, vcc dst_sel:DWORD dst_unused:UNUSED_PAD src0_sel:DWORD src1_sel:WORD_1
	global_store_short v[0:1], v4, off
	s_mov_b64 s[34:35], -1
	s_mov_b64 s[2:3], 0
.LBB199_724:
	s_mov_b64 s[36:37], 0
.LBB199_725:
	s_and_b64 vcc, exec, s[36:37]
	s_cbranch_vccz .LBB199_728
; %bb.726:
	s_cmp_eq_u32 s41, 11
	s_mov_b64 s[2:3], -1
	s_cbranch_scc0 .LBB199_728
; %bb.727:
	v_and_b32_e32 v4, 0x7fff, v3
	v_cmp_ne_u16_e32 vcc, 0, v4
	v_cndmask_b32_e64 v4, 0, 1, vcc
	s_mov_b64 s[34:35], -1
	s_mov_b64 s[2:3], 0
	global_store_byte v[0:1], v4, off
.LBB199_728:
	s_mov_b64 s[36:37], 0
.LBB199_729:
	s_and_b64 vcc, exec, s[36:37]
	s_cbranch_vccz .LBB199_768
; %bb.730:
	s_and_b32 s36, 0xffff, s40
	s_cmp_lt_i32 s36, 5
	s_mov_b64 s[34:35], -1
	s_cbranch_scc1 .LBB199_751
; %bb.731:
	s_cmp_lt_i32 s36, 8
	s_cbranch_scc1 .LBB199_741
; %bb.732:
	s_cmp_lt_i32 s36, 9
	s_cbranch_scc1 .LBB199_738
; %bb.733:
	s_cmp_gt_i32 s36, 9
	s_cbranch_scc0 .LBB199_735
; %bb.734:
	v_cvt_f32_f16_e32 v4, v3
	v_mov_b32_e32 v6, 0
	v_mov_b32_e32 v7, v6
	s_mov_b64 s[34:35], 0
	v_cvt_f64_f32_e32 v[4:5], v4
	global_store_dwordx4 v[0:1], v[4:7], off
.LBB199_735:
	s_andn2_b64 vcc, exec, s[34:35]
	s_cbranch_vccnz .LBB199_737
; %bb.736:
	v_cvt_f32_f16_e32 v4, v3
	v_mov_b32_e32 v5, 0
	global_store_dwordx2 v[0:1], v[4:5], off
.LBB199_737:
	s_mov_b64 s[34:35], 0
.LBB199_738:
	s_andn2_b64 vcc, exec, s[34:35]
	s_cbranch_vccnz .LBB199_740
; %bb.739:
	v_and_b32_e32 v4, 0xffff, v3
	global_store_dword v[0:1], v4, off
.LBB199_740:
	s_mov_b64 s[34:35], 0
.LBB199_741:
	s_andn2_b64 vcc, exec, s[34:35]
	s_cbranch_vccnz .LBB199_750
; %bb.742:
	s_cmp_lt_i32 s36, 6
	s_mov_b64 s[34:35], -1
	s_cbranch_scc1 .LBB199_748
; %bb.743:
	s_cmp_gt_i32 s36, 6
	s_cbranch_scc0 .LBB199_745
; %bb.744:
	v_cvt_f32_f16_e32 v4, v3
	s_mov_b64 s[34:35], 0
	v_cvt_f64_f32_e32 v[4:5], v4
	global_store_dwordx2 v[0:1], v[4:5], off
.LBB199_745:
	s_andn2_b64 vcc, exec, s[34:35]
	s_cbranch_vccnz .LBB199_747
; %bb.746:
	v_cvt_f32_f16_e32 v4, v3
	global_store_dword v[0:1], v4, off
.LBB199_747:
	s_mov_b64 s[34:35], 0
.LBB199_748:
	s_andn2_b64 vcc, exec, s[34:35]
	s_cbranch_vccnz .LBB199_750
; %bb.749:
	global_store_short v[0:1], v3, off
.LBB199_750:
	s_mov_b64 s[34:35], 0
.LBB199_751:
	s_andn2_b64 vcc, exec, s[34:35]
	s_cbranch_vccnz .LBB199_767
; %bb.752:
	s_cmp_lt_i32 s36, 2
	s_mov_b64 s[34:35], -1
	s_cbranch_scc1 .LBB199_762
; %bb.753:
	s_cmp_lt_i32 s36, 3
	s_cbranch_scc1 .LBB199_759
; %bb.754:
	s_cmp_gt_i32 s36, 3
	s_cbranch_scc0 .LBB199_756
; %bb.755:
	v_cvt_f32_f16_e32 v4, v3
	s_mov_b64 s[34:35], 0
	v_cvt_i32_f32_e32 v4, v4
	v_ashrrev_i32_e32 v5, 31, v4
	global_store_dwordx2 v[0:1], v[4:5], off
.LBB199_756:
	s_andn2_b64 vcc, exec, s[34:35]
	s_cbranch_vccnz .LBB199_758
; %bb.757:
	v_cvt_f32_f16_e32 v4, v3
	v_cvt_i32_f32_e32 v4, v4
	global_store_dword v[0:1], v4, off
.LBB199_758:
	s_mov_b64 s[34:35], 0
.LBB199_759:
	s_andn2_b64 vcc, exec, s[34:35]
	s_cbranch_vccnz .LBB199_761
; %bb.760:
	v_cvt_i16_f16_e32 v4, v3
	global_store_short v[0:1], v4, off
.LBB199_761:
	s_mov_b64 s[34:35], 0
.LBB199_762:
	s_andn2_b64 vcc, exec, s[34:35]
	s_cbranch_vccnz .LBB199_767
; %bb.763:
	s_cmp_gt_i32 s36, 0
	s_mov_b64 s[34:35], -1
	s_cbranch_scc0 .LBB199_765
; %bb.764:
	v_cvt_i16_f16_e32 v4, v3
	s_mov_b64 s[34:35], 0
	global_store_byte v[0:1], v4, off
.LBB199_765:
	s_andn2_b64 vcc, exec, s[34:35]
	s_cbranch_vccnz .LBB199_767
; %bb.766:
	v_cvt_f32_f16_e32 v3, v3
	v_cvt_i32_f32_e32 v3, v3
	global_store_byte v[0:1], v3, off
.LBB199_767:
	s_mov_b64 s[34:35], -1
.LBB199_768:
	s_andn2_b64 vcc, exec, s[34:35]
	s_cbranch_vccnz .LBB199_770
; %bb.769:
	v_add_u32_e32 v2, 0x80, v2
	s_mov_b64 s[36:37], -1
	s_branch .LBB199_771
.LBB199_770:
	s_mov_b64 s[36:37], 0
                                        ; implicit-def: $vgpr2
.LBB199_771:
	s_andn2_b64 s[34:35], s[24:25], exec
	s_and_b64 s[2:3], s[2:3], exec
	s_or_b64 s[34:35], s[34:35], s[2:3]
	s_andn2_b64 s[2:3], s[22:23], exec
	s_and_b64 s[30:31], s[30:31], exec
	s_or_b64 s[2:3], s[2:3], s[30:31]
	s_orn2_b64 s[38:39], s[36:37], exec
.LBB199_772:
	s_or_b64 exec, exec, s[28:29]
	s_mov_b64 s[30:31], 0
	s_mov_b64 s[36:37], 0
	;; [unrolled: 1-line block ×3, first 2 shown]
                                        ; implicit-def: $vgpr0_vgpr1
                                        ; implicit-def: $vgpr4
	s_and_saveexec_b64 s[28:29], s[38:39]
	s_cbranch_execz .LBB199_857
; %bb.773:
	v_cmp_gt_i32_e32 vcc, s42, v2
	s_mov_b64 s[38:39], 0
	s_mov_b64 s[42:43], s[2:3]
	;; [unrolled: 1-line block ×3, first 2 shown]
                                        ; implicit-def: $vgpr0_vgpr1
                                        ; implicit-def: $vgpr4
	s_and_saveexec_b64 s[30:31], vcc
	s_cbranch_execz .LBB199_856
; %bb.774:
	v_mul_lo_u32 v0, v2, s13
	v_mov_b32_e32 v1, s11
	s_and_b32 s48, 0xffff, s47
	s_cmp_lt_i32 s48, 11
	s_waitcnt vmcnt(0)
	v_ashrrev_i32_e32 v3, 31, v0
	v_add_co_u32_e32 v0, vcc, s10, v0
	v_addc_co_u32_e32 v1, vcc, v1, v3, vcc
	s_cbranch_scc1 .LBB199_781
; %bb.775:
	s_cmp_gt_i32 s48, 25
	s_cbranch_scc0 .LBB199_782
; %bb.776:
	s_cmp_gt_i32 s48, 28
	s_cbranch_scc0 .LBB199_783
; %bb.777:
	s_cmp_gt_i32 s48, 43
	s_cbranch_scc0 .LBB199_784
; %bb.778:
	s_cmp_gt_i32 s48, 45
	s_cbranch_scc0 .LBB199_787
; %bb.779:
	s_cmp_eq_u32 s48, 46
	s_mov_b64 s[42:43], 0
	s_cbranch_scc0 .LBB199_790
; %bb.780:
	global_load_dword v3, v[0:1], off
	s_mov_b64 s[40:41], -1
	s_waitcnt vmcnt(0)
	v_lshlrev_b32_e32 v3, 16, v3
	v_cvt_f16_f32_e32 v4, v3
	s_branch .LBB199_792
.LBB199_781:
	s_mov_b64 s[42:43], -1
                                        ; implicit-def: $vgpr4
	s_mov_b64 s[36:37], s[2:3]
	s_branch .LBB199_855
.LBB199_782:
	s_mov_b64 s[42:43], -1
	s_mov_b64 s[36:37], s[2:3]
                                        ; implicit-def: $vgpr4
	s_branch .LBB199_821
.LBB199_783:
	s_mov_b64 s[42:43], -1
	s_mov_b64 s[36:37], s[2:3]
                                        ; implicit-def: $vgpr4
	s_branch .LBB199_802
.LBB199_784:
	s_mov_b64 s[42:43], -1
	s_mov_b64 s[36:37], s[2:3]
                                        ; implicit-def: $vgpr4
	s_branch .LBB199_797
.LBB199_785:
	s_andn2_saveexec_b64 s[38:39], s[38:39]
	s_cbranch_execz .LBB199_681
.LBB199_786:
	s_mov_b32 s43, 0x46000000
	v_add_f32_e64 v5, |v4|, s43
	v_and_b32_e32 v5, 0xff, v5
	v_cmp_ne_u32_e32 vcc, 0, v5
	s_andn2_b64 s[36:37], s[36:37], exec
	s_and_b64 s[44:45], vcc, exec
	s_or_b64 s[36:37], s[36:37], s[44:45]
	s_or_b64 exec, exec, s[38:39]
	v_mov_b32_e32 v6, 0
	s_and_saveexec_b64 s[38:39], s[36:37]
	s_cbranch_execnz .LBB199_682
	s_branch .LBB199_683
.LBB199_787:
	s_mov_b64 s[42:43], -1
	s_mov_b64 s[36:37], s[2:3]
	s_branch .LBB199_791
.LBB199_788:
	s_andn2_saveexec_b64 s[38:39], s[38:39]
	s_cbranch_execz .LBB199_694
.LBB199_789:
	s_mov_b32 s43, 0x42800000
	v_add_f32_e64 v5, |v4|, s43
	v_and_b32_e32 v5, 0xff, v5
	v_cmp_ne_u32_e32 vcc, 0, v5
	s_andn2_b64 s[36:37], s[36:37], exec
	s_and_b64 s[44:45], vcc, exec
	s_or_b64 s[36:37], s[36:37], s[44:45]
	s_or_b64 exec, exec, s[38:39]
	v_mov_b32_e32 v6, 0
	s_and_saveexec_b64 s[38:39], s[36:37]
	s_cbranch_execnz .LBB199_695
	s_branch .LBB199_696
.LBB199_790:
	s_mov_b64 s[36:37], -1
.LBB199_791:
                                        ; implicit-def: $vgpr4
.LBB199_792:
	s_and_b64 vcc, exec, s[42:43]
	s_cbranch_vccz .LBB199_796
; %bb.793:
	s_cmp_eq_u32 s48, 44
	s_cbranch_scc0 .LBB199_795
; %bb.794:
	global_load_ubyte v3, v[0:1], off
	s_movk_i32 s40, 0xff
	v_mov_b32_e32 v5, 0x7e00
	s_mov_b64 s[36:37], 0
	s_waitcnt vmcnt(0)
	v_lshlrev_b32_e32 v4, 23, v3
	v_cvt_f16_f32_e32 v4, v4
	v_cmp_ne_u32_e32 vcc, s40, v3
	s_mov_b64 s[40:41], -1
	v_cndmask_b32_e32 v4, v5, v4, vcc
	v_cmp_ne_u32_e32 vcc, 0, v3
	v_cndmask_b32_e32 v4, 0, v4, vcc
	s_branch .LBB199_796
.LBB199_795:
	s_mov_b64 s[36:37], -1
                                        ; implicit-def: $vgpr4
.LBB199_796:
	s_mov_b64 s[42:43], 0
.LBB199_797:
	s_and_b64 vcc, exec, s[42:43]
	s_cbranch_vccz .LBB199_801
; %bb.798:
	s_cmp_eq_u32 s48, 29
	s_cbranch_scc0 .LBB199_800
; %bb.799:
	global_load_dwordx2 v[3:4], v[0:1], off
	s_mov_b64 s[36:37], 0
	s_mov_b64 s[40:41], -1
	s_mov_b64 s[42:43], 0
	s_waitcnt vmcnt(0)
	v_ffbh_u32_e32 v5, v4
	v_min_u32_e32 v5, 32, v5
	v_lshlrev_b64 v[3:4], v5, v[3:4]
	v_min_u32_e32 v3, 1, v3
	v_or_b32_e32 v3, v4, v3
	v_cvt_f32_u32_e32 v3, v3
	v_sub_u32_e32 v4, 32, v5
	v_ldexp_f32 v3, v3, v4
	v_cvt_f16_f32_e32 v4, v3
	s_branch .LBB199_802
.LBB199_800:
	s_mov_b64 s[36:37], -1
                                        ; implicit-def: $vgpr4
.LBB199_801:
	s_mov_b64 s[42:43], 0
.LBB199_802:
	s_and_b64 vcc, exec, s[42:43]
	s_cbranch_vccz .LBB199_820
; %bb.803:
	s_cmp_lt_i32 s48, 27
	s_cbranch_scc1 .LBB199_806
; %bb.804:
	s_cmp_gt_i32 s48, 27
	s_cbranch_scc0 .LBB199_807
; %bb.805:
	global_load_dword v3, v[0:1], off
	s_mov_b64 s[40:41], 0
	s_waitcnt vmcnt(0)
	v_cvt_f32_u32_e32 v3, v3
	v_cvt_f16_f32_e32 v4, v3
	s_branch .LBB199_808
.LBB199_806:
	s_mov_b64 s[40:41], -1
                                        ; implicit-def: $vgpr4
	s_branch .LBB199_811
.LBB199_807:
	s_mov_b64 s[40:41], -1
                                        ; implicit-def: $vgpr4
.LBB199_808:
	s_andn2_b64 vcc, exec, s[40:41]
	s_cbranch_vccnz .LBB199_810
; %bb.809:
	global_load_ushort v3, v[0:1], off
	s_waitcnt vmcnt(0)
	v_cvt_f16_u16_e32 v4, v3
.LBB199_810:
	s_mov_b64 s[40:41], 0
.LBB199_811:
	s_andn2_b64 vcc, exec, s[40:41]
	s_cbranch_vccnz .LBB199_819
; %bb.812:
	global_load_ubyte v3, v[0:1], off
	s_movk_i32 s40, 0x7f
	s_waitcnt vmcnt(0)
	v_cmp_lt_i16_e32 vcc, s40, v3
	s_mov_b64 s[40:41], 0
	s_and_saveexec_b64 s[42:43], vcc
	s_xor_b64 s[42:43], exec, s[42:43]
	s_cbranch_execz .LBB199_833
; %bb.813:
	s_movk_i32 s40, 0x80
	v_cmp_eq_u16_e32 vcc, s40, v3
	s_mov_b64 s[40:41], -1
	s_and_saveexec_b64 s[44:45], vcc
; %bb.814:
	s_xor_b64 s[40:41], exec, -1
; %bb.815:
	s_or_b64 exec, exec, s[44:45]
	s_and_b64 s[40:41], s[40:41], exec
	s_or_saveexec_b64 s[42:43], s[42:43]
	v_mov_b32_e32 v4, 0x7e00
	s_xor_b64 exec, exec, s[42:43]
	s_cbranch_execnz .LBB199_834
.LBB199_816:
	s_or_b64 exec, exec, s[42:43]
	s_and_saveexec_b64 s[42:43], s[40:41]
	s_cbranch_execz .LBB199_818
.LBB199_817:
	v_lshlrev_b32_e32 v4, 24, v3
	v_and_b32_e32 v3, 0xffff, v3
	v_and_b32_e32 v5, 7, v3
	v_ffbh_u32_e32 v7, v5
	v_min_u32_e32 v7, 32, v7
	v_subrev_u32_e32 v8, 28, v7
	v_bfe_u32 v6, v3, 3, 4
	v_lshlrev_b32_e32 v3, v8, v3
	v_sub_u32_e32 v7, 29, v7
	v_and_b32_e32 v3, 7, v3
	v_cmp_eq_u32_e32 vcc, 0, v6
	v_cndmask_b32_e32 v6, v6, v7, vcc
	v_cndmask_b32_e32 v3, v5, v3, vcc
	v_mov_b32_e32 v5, 0x3b800000
	v_lshlrev_b32_e32 v3, 20, v3
	v_and_b32_e32 v4, 0x80000000, v4
	v_lshl_add_u32 v5, v6, 23, v5
	v_or3_b32 v3, v4, v5, v3
	v_cvt_f16_f32_e32 v4, v3
.LBB199_818:
	s_or_b64 exec, exec, s[42:43]
.LBB199_819:
	s_mov_b64 s[40:41], -1
.LBB199_820:
	s_mov_b64 s[42:43], 0
.LBB199_821:
	s_and_b64 vcc, exec, s[42:43]
	s_cbranch_vccz .LBB199_854
; %bb.822:
	s_cmp_gt_i32 s48, 22
	s_cbranch_scc0 .LBB199_832
; %bb.823:
	s_cmp_lt_i32 s48, 24
	s_cbranch_scc1 .LBB199_835
; %bb.824:
	s_cmp_gt_i32 s48, 24
	s_cbranch_scc0 .LBB199_836
; %bb.825:
	global_load_ubyte v3, v[0:1], off
	s_movk_i32 s38, 0x7f
	s_waitcnt vmcnt(0)
	v_cmp_lt_i16_e32 vcc, s38, v3
	s_mov_b64 s[38:39], 0
	s_and_saveexec_b64 s[40:41], vcc
	s_xor_b64 s[40:41], exec, s[40:41]
	s_cbranch_execz .LBB199_848
; %bb.826:
	s_movk_i32 s38, 0x80
	v_cmp_eq_u16_e32 vcc, s38, v3
	s_mov_b64 s[38:39], -1
	s_and_saveexec_b64 s[42:43], vcc
; %bb.827:
	s_xor_b64 s[38:39], exec, -1
; %bb.828:
	s_or_b64 exec, exec, s[42:43]
	s_and_b64 s[38:39], s[38:39], exec
	s_or_saveexec_b64 s[40:41], s[40:41]
	v_mov_b32_e32 v4, 0x7e00
	s_xor_b64 exec, exec, s[40:41]
	s_cbranch_execnz .LBB199_849
.LBB199_829:
	s_or_b64 exec, exec, s[40:41]
	s_and_saveexec_b64 s[40:41], s[38:39]
	s_cbranch_execz .LBB199_831
.LBB199_830:
	v_lshlrev_b32_e32 v4, 24, v3
	v_and_b32_e32 v3, 0xffff, v3
	v_and_b32_e32 v5, 3, v3
	v_ffbh_u32_e32 v7, v5
	v_min_u32_e32 v7, 32, v7
	v_subrev_u32_e32 v8, 29, v7
	v_bfe_u32 v6, v3, 2, 5
	v_lshlrev_b32_e32 v3, v8, v3
	v_sub_u32_e32 v7, 30, v7
	v_and_b32_e32 v3, 3, v3
	v_cmp_eq_u32_e32 vcc, 0, v6
	v_cndmask_b32_e32 v6, v6, v7, vcc
	v_cndmask_b32_e32 v3, v5, v3, vcc
	v_mov_b32_e32 v5, 0x37800000
	v_lshlrev_b32_e32 v3, 21, v3
	v_and_b32_e32 v4, 0x80000000, v4
	v_lshl_add_u32 v5, v6, 23, v5
	v_or3_b32 v3, v4, v5, v3
	v_cvt_f16_f32_e32 v4, v3
.LBB199_831:
	s_or_b64 exec, exec, s[40:41]
	s_mov_b64 s[38:39], 0
	s_branch .LBB199_837
.LBB199_832:
	s_mov_b64 s[38:39], -1
                                        ; implicit-def: $vgpr4
	s_branch .LBB199_843
.LBB199_833:
	s_or_saveexec_b64 s[42:43], s[42:43]
	v_mov_b32_e32 v4, 0x7e00
	s_xor_b64 exec, exec, s[42:43]
	s_cbranch_execz .LBB199_816
.LBB199_834:
	v_cmp_ne_u16_e32 vcc, 0, v3
	s_andn2_b64 s[40:41], s[40:41], exec
	s_and_b64 s[44:45], vcc, exec
	s_or_b64 s[40:41], s[40:41], s[44:45]
	v_mov_b32_e32 v4, v3
	s_or_b64 exec, exec, s[42:43]
	s_and_saveexec_b64 s[42:43], s[40:41]
	s_cbranch_execnz .LBB199_817
	s_branch .LBB199_818
.LBB199_835:
	s_mov_b64 s[38:39], -1
                                        ; implicit-def: $vgpr4
	s_branch .LBB199_840
.LBB199_836:
	s_mov_b64 s[38:39], -1
                                        ; implicit-def: $vgpr4
.LBB199_837:
	s_and_b64 vcc, exec, s[38:39]
	s_cbranch_vccz .LBB199_839
; %bb.838:
	global_load_ubyte v3, v[0:1], off
	s_mov_b32 s38, 0x7f800000
	s_waitcnt vmcnt(0)
	v_lshlrev_b32_e32 v3, 24, v3
	v_and_b32_e32 v4, 0x7f000000, v3
	v_ffbh_u32_e32 v5, v4
	v_min_u32_e32 v5, 32, v5
	v_sub_u32_e64 v5, v5, 4 clamp
	v_lshlrev_b32_e32 v7, v5, v4
	v_lshlrev_b32_e32 v5, 23, v5
	v_lshrrev_b32_e32 v7, 4, v7
	v_add_u32_e32 v6, 0x1000000, v4
	v_sub_u32_e32 v5, v7, v5
	v_ashrrev_i32_e32 v6, 8, v6
	v_add_u32_e32 v5, 0x3c000000, v5
	v_and_or_b32 v5, v6, s38, v5
	v_cmp_ne_u32_e32 vcc, 0, v4
	v_cndmask_b32_e32 v4, 0, v5, vcc
	s_brev_b32 s38, 1
	v_and_or_b32 v3, v3, s38, v4
	v_cvt_f16_f32_e32 v4, v3
.LBB199_839:
	s_mov_b64 s[38:39], 0
.LBB199_840:
	s_andn2_b64 vcc, exec, s[38:39]
	s_cbranch_vccnz .LBB199_842
; %bb.841:
	global_load_ubyte v3, v[0:1], off
	s_movk_i32 s38, 0x7f00
	s_brev_b32 s39, 16
	s_waitcnt vmcnt(0)
	v_lshlrev_b16_e32 v4, 8, v3
	v_lshlrev_b32_e32 v3, 25, v3
	v_lshrrev_b32_e32 v5, 4, v3
	v_and_or_b32 v6, v4, s38, 0.5
	v_or_b32_e32 v5, 0x70000000, v5
	v_add_f32_e32 v6, -0.5, v6
	v_mul_f32_e32 v5, 0x7800000, v5
	v_cmp_gt_u32_e32 vcc, s39, v3
	v_bfe_i32 v4, v4, 0, 16
	v_cndmask_b32_e32 v3, v5, v6, vcc
	s_brev_b32 s38, 1
	v_and_or_b32 v3, v4, s38, v3
	v_cvt_f16_f32_e32 v4, v3
.LBB199_842:
	s_mov_b64 s[38:39], 0
	s_mov_b64 s[40:41], -1
.LBB199_843:
	s_andn2_b64 vcc, exec, s[38:39]
	s_mov_b64 s[38:39], 0
	s_cbranch_vccnz .LBB199_854
; %bb.844:
	s_cmp_gt_i32 s48, 14
	s_cbranch_scc0 .LBB199_847
; %bb.845:
	s_cmp_eq_u32 s48, 15
	s_cbranch_scc0 .LBB199_850
; %bb.846:
	global_load_ushort v3, v[0:1], off
	s_mov_b64 s[36:37], 0
	s_mov_b64 s[40:41], -1
	s_waitcnt vmcnt(0)
	v_lshlrev_b32_e32 v3, 16, v3
	v_cvt_f16_f32_e32 v4, v3
	s_branch .LBB199_851
.LBB199_847:
	s_mov_b64 s[42:43], -1
                                        ; implicit-def: $vgpr4
	s_branch .LBB199_852
.LBB199_848:
	s_or_saveexec_b64 s[40:41], s[40:41]
	v_mov_b32_e32 v4, 0x7e00
	s_xor_b64 exec, exec, s[40:41]
	s_cbranch_execz .LBB199_829
.LBB199_849:
	v_cmp_ne_u16_e32 vcc, 0, v3
	s_andn2_b64 s[38:39], s[38:39], exec
	s_and_b64 s[42:43], vcc, exec
	s_or_b64 s[38:39], s[38:39], s[42:43]
	v_mov_b32_e32 v4, v3
	s_or_b64 exec, exec, s[40:41]
	s_and_saveexec_b64 s[40:41], s[38:39]
	s_cbranch_execnz .LBB199_830
	s_branch .LBB199_831
.LBB199_850:
	s_mov_b64 s[36:37], -1
                                        ; implicit-def: $vgpr4
.LBB199_851:
	s_mov_b64 s[42:43], 0
.LBB199_852:
	s_and_b64 vcc, exec, s[42:43]
	s_cbranch_vccz .LBB199_854
; %bb.853:
	s_cmp_lg_u32 s48, 11
	s_cselect_b64 s[42:43], -1, 0
	s_andn2_b64 s[36:37], s[36:37], exec
	s_and_b64 s[42:43], s[42:43], exec
	s_mov_b64 s[38:39], -1
	s_or_b64 s[36:37], s[36:37], s[42:43]
.LBB199_854:
	s_mov_b64 s[42:43], 0
.LBB199_855:
	s_and_b64 s[44:45], s[42:43], exec
	s_andn2_b64 s[42:43], s[2:3], exec
	s_and_b64 s[36:37], s[36:37], exec
	s_and_b64 s[40:41], s[40:41], exec
	;; [unrolled: 1-line block ×3, first 2 shown]
	s_or_b64 s[42:43], s[42:43], s[36:37]
.LBB199_856:
	s_or_b64 exec, exec, s[30:31]
	s_and_b64 s[30:31], s[38:39], exec
	s_andn2_b64 s[2:3], s[2:3], exec
	s_and_b64 s[38:39], s[42:43], exec
	s_and_b64 s[40:41], s[40:41], exec
	;; [unrolled: 1-line block ×3, first 2 shown]
	s_or_b64 s[2:3], s[2:3], s[38:39]
.LBB199_857:
	s_or_b64 exec, exec, s[28:29]
	s_andn2_b64 s[24:25], s[24:25], exec
	s_and_b64 s[28:29], s[34:35], exec
	s_andn2_b64 s[22:23], s[22:23], exec
	s_and_b64 s[2:3], s[2:3], exec
	s_or_b64 s[24:25], s[24:25], s[28:29]
	s_and_b64 s[34:35], s[40:41], exec
	s_and_b64 s[28:29], s[36:37], exec
	;; [unrolled: 1-line block ×3, first 2 shown]
	s_or_b64 s[22:23], s[22:23], s[2:3]
.LBB199_858:
	s_or_b64 exec, exec, s[26:27]
	s_andn2_b64 s[2:3], s[16:17], exec
	s_and_b64 s[16:17], s[24:25], exec
	s_or_b64 s[16:17], s[2:3], s[16:17]
	s_andn2_b64 s[2:3], s[18:19], exec
	s_and_b64 s[18:19], s[22:23], exec
	s_and_b64 s[26:27], s[34:35], exec
	;; [unrolled: 1-line block ×4, first 2 shown]
	s_or_b64 s[18:19], s[2:3], s[18:19]
	s_or_b64 exec, exec, s[20:21]
	s_mov_b64 s[2:3], 0
	s_and_saveexec_b64 s[20:21], s[18:19]
	s_cbranch_execz .LBB199_262
.LBB199_859:
	s_mov_b64 s[2:3], exec
	s_andn2_b64 s[24:25], s[24:25], exec
	s_trap 2
	s_or_b64 exec, exec, s[20:21]
	s_and_saveexec_b64 s[18:19], s[24:25]
	s_xor_b64 s[18:19], exec, s[18:19]
	s_cbranch_execnz .LBB199_263
.LBB199_860:
	s_or_b64 exec, exec, s[18:19]
	s_and_saveexec_b64 s[18:19], s[28:29]
	s_cbranch_execz .LBB199_906
.LBB199_861:
	s_sext_i32_i16 s20, s47
	s_cmp_lt_i32 s20, 5
	s_cbranch_scc1 .LBB199_866
; %bb.862:
	s_cmp_lt_i32 s20, 8
	s_cbranch_scc1 .LBB199_867
; %bb.863:
	;; [unrolled: 3-line block ×3, first 2 shown]
	s_cmp_gt_i32 s20, 9
	s_cbranch_scc0 .LBB199_869
; %bb.865:
	global_load_dwordx2 v[3:4], v[0:1], off
	s_movk_i32 s20, 0x1ff
	s_movk_i32 s21, 0xffe
	v_mov_b32_e32 v5, 0x7c00
	v_mov_b32_e32 v6, 0x7e00
	s_movk_i32 s22, 0x40f
	s_mov_b32 s23, 0x8000
	s_waitcnt vmcnt(0)
	v_and_or_b32 v3, v4, s20, v3
	v_cmp_ne_u32_e32 vcc, 0, v3
	v_lshrrev_b32_e32 v7, 8, v4
	v_bfe_u32 v8, v4, 20, 11
	v_cndmask_b32_e64 v3, 0, 1, vcc
	v_sub_u32_e32 v9, 0x3f1, v8
	v_and_or_b32 v3, v7, s21, v3
	v_add_u32_e32 v8, 0xfffffc10, v8
	v_med3_i32 v7, v9, 0, 13
	v_or_b32_e32 v9, 0x1000, v3
	v_cmp_ne_u32_e32 vcc, 0, v3
	v_lshl_or_b32 v10, v8, 12, v3
	v_cndmask_b32_e32 v3, v5, v6, vcc
	v_lshrrev_b32_e32 v6, v7, v9
	v_lshlrev_b32_e32 v7, v7, v6
	v_cmp_ne_u32_e32 vcc, v7, v9
	v_cndmask_b32_e64 v7, 0, 1, vcc
	v_or_b32_e32 v6, v6, v7
	v_cmp_gt_i32_e32 vcc, 1, v8
	v_cndmask_b32_e32 v6, v10, v6, vcc
	v_and_b32_e32 v7, 7, v6
	v_cmp_lt_i32_e32 vcc, 5, v7
	v_cndmask_b32_e64 v9, 0, 1, vcc
	v_cmp_eq_u32_e32 vcc, 3, v7
	v_cndmask_b32_e64 v7, 0, 1, vcc
	v_lshrrev_b32_e32 v6, 2, v6
	v_or_b32_e32 v7, v7, v9
	v_add_u32_e32 v6, v6, v7
	v_cmp_gt_i32_e32 vcc, 31, v8
	v_cndmask_b32_e32 v5, v5, v6, vcc
	v_cmp_eq_u32_e32 vcc, s22, v8
	v_lshrrev_b32_e32 v4, 16, v4
	v_cndmask_b32_e32 v3, v5, v3, vcc
	v_and_or_b32 v4, v4, s23, v3
	s_mov_b64 s[20:21], 0
	s_branch .LBB199_870
.LBB199_866:
                                        ; implicit-def: $vgpr4
	s_branch .LBB199_887
.LBB199_867:
                                        ; implicit-def: $vgpr4
	s_branch .LBB199_876
.LBB199_868:
	s_mov_b64 s[20:21], -1
                                        ; implicit-def: $vgpr4
	s_branch .LBB199_873
.LBB199_869:
	s_mov_b64 s[20:21], -1
                                        ; implicit-def: $vgpr4
.LBB199_870:
	s_andn2_b64 vcc, exec, s[20:21]
	s_cbranch_vccnz .LBB199_872
; %bb.871:
	global_load_dword v3, v[0:1], off
	s_waitcnt vmcnt(0)
	v_cvt_f16_f32_e32 v4, v3
.LBB199_872:
	s_mov_b64 s[20:21], 0
.LBB199_873:
	s_andn2_b64 vcc, exec, s[20:21]
	s_cbranch_vccnz .LBB199_875
; %bb.874:
	global_load_dword v4, v[0:1], off
.LBB199_875:
	s_cbranch_execnz .LBB199_886
.LBB199_876:
	s_sext_i32_i16 s20, s47
	s_cmp_lt_i32 s20, 6
	s_cbranch_scc1 .LBB199_879
; %bb.877:
	s_cmp_gt_i32 s20, 6
	s_cbranch_scc0 .LBB199_880
; %bb.878:
	global_load_dwordx2 v[3:4], v[0:1], off
	s_movk_i32 s20, 0x1ff
	s_movk_i32 s21, 0xffe
	v_mov_b32_e32 v5, 0x7c00
	v_mov_b32_e32 v6, 0x7e00
	s_movk_i32 s22, 0x40f
	s_mov_b32 s23, 0x8000
	s_waitcnt vmcnt(0)
	v_and_or_b32 v3, v4, s20, v3
	v_cmp_ne_u32_e32 vcc, 0, v3
	v_lshrrev_b32_e32 v7, 8, v4
	v_bfe_u32 v8, v4, 20, 11
	v_cndmask_b32_e64 v3, 0, 1, vcc
	v_sub_u32_e32 v9, 0x3f1, v8
	v_and_or_b32 v3, v7, s21, v3
	v_add_u32_e32 v8, 0xfffffc10, v8
	v_med3_i32 v7, v9, 0, 13
	v_or_b32_e32 v9, 0x1000, v3
	v_cmp_ne_u32_e32 vcc, 0, v3
	v_lshl_or_b32 v10, v8, 12, v3
	v_cndmask_b32_e32 v3, v5, v6, vcc
	v_lshrrev_b32_e32 v6, v7, v9
	v_lshlrev_b32_e32 v7, v7, v6
	v_cmp_ne_u32_e32 vcc, v7, v9
	v_cndmask_b32_e64 v7, 0, 1, vcc
	v_or_b32_e32 v6, v6, v7
	v_cmp_gt_i32_e32 vcc, 1, v8
	v_cndmask_b32_e32 v6, v10, v6, vcc
	v_and_b32_e32 v7, 7, v6
	v_cmp_lt_i32_e32 vcc, 5, v7
	v_cndmask_b32_e64 v9, 0, 1, vcc
	v_cmp_eq_u32_e32 vcc, 3, v7
	v_cndmask_b32_e64 v7, 0, 1, vcc
	v_lshrrev_b32_e32 v6, 2, v6
	v_or_b32_e32 v7, v7, v9
	v_add_u32_e32 v6, v6, v7
	v_cmp_gt_i32_e32 vcc, 31, v8
	v_cndmask_b32_e32 v5, v5, v6, vcc
	v_cmp_eq_u32_e32 vcc, s22, v8
	v_lshrrev_b32_e32 v4, 16, v4
	v_cndmask_b32_e32 v3, v5, v3, vcc
	v_and_or_b32 v4, v4, s23, v3
	s_mov_b64 s[20:21], 0
	s_branch .LBB199_881
.LBB199_879:
	s_mov_b64 s[20:21], -1
                                        ; implicit-def: $vgpr4
	s_branch .LBB199_884
.LBB199_880:
	s_mov_b64 s[20:21], -1
                                        ; implicit-def: $vgpr4
.LBB199_881:
	s_andn2_b64 vcc, exec, s[20:21]
	s_cbranch_vccnz .LBB199_883
; %bb.882:
	global_load_dword v3, v[0:1], off
	s_waitcnt vmcnt(0)
	v_cvt_f16_f32_e32 v4, v3
.LBB199_883:
	s_mov_b64 s[20:21], 0
.LBB199_884:
	s_andn2_b64 vcc, exec, s[20:21]
	s_cbranch_vccnz .LBB199_886
; %bb.885:
	global_load_ushort v4, v[0:1], off
.LBB199_886:
	s_cbranch_execnz .LBB199_905
.LBB199_887:
	s_sext_i32_i16 s20, s47
	s_cmp_lt_i32 s20, 2
	s_cbranch_scc1 .LBB199_891
; %bb.888:
	s_cmp_lt_i32 s20, 3
	s_cbranch_scc1 .LBB199_892
; %bb.889:
	s_cmp_gt_i32 s20, 3
	s_cbranch_scc0 .LBB199_893
; %bb.890:
	global_load_dwordx2 v[3:4], v[0:1], off
	s_mov_b64 s[20:21], 0
	s_waitcnt vmcnt(0)
	v_xor_b32_e32 v6, v3, v4
	v_ffbh_i32_e32 v5, v4
	v_ashrrev_i32_e32 v6, 31, v6
	v_add_u32_e32 v5, -1, v5
	v_add_u32_e32 v6, 32, v6
	v_min_u32_e32 v5, v5, v6
	v_lshlrev_b64 v[3:4], v5, v[3:4]
	v_min_u32_e32 v3, 1, v3
	v_or_b32_e32 v3, v4, v3
	v_cvt_f32_i32_e32 v3, v3
	v_sub_u32_e32 v4, 32, v5
	v_ldexp_f32 v3, v3, v4
	v_cvt_f16_f32_e32 v4, v3
	s_branch .LBB199_894
.LBB199_891:
                                        ; implicit-def: $vgpr4
	s_branch .LBB199_900
.LBB199_892:
	s_mov_b64 s[20:21], -1
                                        ; implicit-def: $vgpr4
	s_branch .LBB199_897
.LBB199_893:
	s_mov_b64 s[20:21], -1
                                        ; implicit-def: $vgpr4
.LBB199_894:
	s_andn2_b64 vcc, exec, s[20:21]
	s_cbranch_vccnz .LBB199_896
; %bb.895:
	global_load_dword v3, v[0:1], off
	s_waitcnt vmcnt(0)
	v_cvt_f32_i32_e32 v3, v3
	v_cvt_f16_f32_e32 v4, v3
.LBB199_896:
	s_mov_b64 s[20:21], 0
.LBB199_897:
	s_andn2_b64 vcc, exec, s[20:21]
	s_cbranch_vccnz .LBB199_899
; %bb.898:
	global_load_ushort v3, v[0:1], off
	s_waitcnt vmcnt(0)
	v_cvt_f16_i16_e32 v4, v3
.LBB199_899:
	s_cbranch_execnz .LBB199_905
.LBB199_900:
	s_sext_i32_i16 s20, s47
	s_cmp_gt_i32 s20, 0
	s_cbranch_scc0 .LBB199_902
; %bb.901:
	global_load_sbyte v3, v[0:1], off
	s_mov_b64 s[20:21], 0
	s_waitcnt vmcnt(0)
	v_cvt_f16_i16_e32 v4, v3
	s_branch .LBB199_903
.LBB199_902:
	s_mov_b64 s[20:21], -1
                                        ; implicit-def: $vgpr4
.LBB199_903:
	s_andn2_b64 vcc, exec, s[20:21]
	s_cbranch_vccnz .LBB199_905
; %bb.904:
	global_load_ubyte v0, v[0:1], off
	s_waitcnt vmcnt(0)
	v_cvt_f16_u16_e32 v4, v0
.LBB199_905:
	s_or_b64 s[26:27], s[26:27], exec
.LBB199_906:
	s_or_b64 exec, exec, s[18:19]
	s_mov_b64 s[22:23], 0
	s_mov_b64 s[20:21], 0
                                        ; implicit-def: $sgpr28
                                        ; implicit-def: $vgpr0_vgpr1
                                        ; implicit-def: $vgpr3
	s_and_saveexec_b64 s[18:19], s[26:27]
	s_cbranch_execz .LBB199_924
; %bb.907:
	v_mul_lo_u32 v0, v2, s12
	v_mov_b32_e32 v1, s33
	v_mov_b32_e32 v2, s9
	s_waitcnt vmcnt(0)
	v_cndmask_b32_e64 v3, v4, v1, s[0:1]
	v_ashrrev_i32_e32 v1, 31, v0
	s_and_b32 s28, s46, 0xff
	v_add_co_u32_e32 v0, vcc, s8, v0
	s_cmp_lt_i32 s28, 11
	v_addc_co_u32_e32 v1, vcc, v2, v1, vcc
	s_cbranch_scc1 .LBB199_927
; %bb.908:
	s_and_b32 s29, 0xffff, s28
	s_mov_b64 s[22:23], -1
	s_cmp_gt_i32 s29, 25
	s_mov_b64 s[0:1], s[16:17]
	s_cbranch_scc0 .LBB199_945
; %bb.909:
	s_mov_b64 s[20:21], -1
	s_cmp_gt_i32 s29, 28
	s_mov_b64 s[0:1], s[16:17]
	s_cbranch_scc0 .LBB199_929
; %bb.910:
	s_cmp_gt_i32 s29, 43
	s_mov_b64 s[0:1], s[16:17]
	s_cbranch_scc0 .LBB199_921
; %bb.911:
	;; [unrolled: 4-line block ×3, first 2 shown]
	s_cmp_eq_u32 s29, 46
	s_mov_b64 s[0:1], -1
	s_cbranch_scc0 .LBB199_914
; %bb.913:
	v_cvt_f32_f16_e32 v2, v3
	s_movk_i32 s0, 0x7fff
	v_cmp_o_f16_e32 vcc, v3, v3
	v_mov_b32_e32 v4, 0x7fc0
	v_bfe_u32 v5, v2, 16, 1
	v_add3_u32 v2, v2, v5, s0
	v_cndmask_b32_sdwa v2, v4, v2, vcc dst_sel:DWORD dst_unused:UNUSED_PAD src0_sel:DWORD src1_sel:WORD_1
	global_store_dword v[0:1], v2, off
	s_mov_b64 s[0:1], 0
.LBB199_914:
	s_mov_b64 s[20:21], 0
.LBB199_915:
	s_and_b64 vcc, exec, s[20:21]
	s_cbranch_vccz .LBB199_920
; %bb.916:
	s_cmp_eq_u32 s29, 44
	s_mov_b64 s[0:1], -1
	s_cbranch_scc0 .LBB199_920
; %bb.917:
	v_cvt_f32_f16_e32 v2, v3
	s_movk_i32 s0, 0xff
	v_mov_b32_e32 v5, 0xff
	v_bfe_u32 v4, v2, 23, 8
	v_cmp_ne_u32_e32 vcc, s0, v4
	s_and_saveexec_b64 s[20:21], vcc
; %bb.918:
	s_mov_b32 s0, 0x3fffff
	v_lshrrev_b32_e32 v5, 23, v2
	v_and_b32_e32 v6, 0x400000, v2
	v_and_or_b32 v2, v2, s0, v4
	v_cmp_ne_u32_e32 vcc, 0, v6
	v_cmp_ne_u32_e64 s[0:1], 0, v2
	s_and_b64 s[0:1], vcc, s[0:1]
	v_cndmask_b32_e64 v2, 0, 1, s[0:1]
	v_add_u32_e32 v5, v5, v2
; %bb.919:
	s_or_b64 exec, exec, s[20:21]
	s_mov_b64 s[0:1], 0
	global_store_byte v[0:1], v5, off
.LBB199_920:
	s_mov_b64 s[20:21], 0
.LBB199_921:
	s_and_b64 vcc, exec, s[20:21]
	s_cbranch_vccz .LBB199_928
; %bb.922:
	s_cmp_eq_u32 s29, 29
	s_mov_b64 s[0:1], -1
	s_cbranch_scc0 .LBB199_928
; %bb.923:
	v_cvt_f32_f16_e32 v2, v3
	v_mov_b32_e32 v5, 0
	s_mov_b64 s[0:1], 0
	s_mov_b64 s[20:21], 0
	v_cvt_u32_f32_e32 v4, v2
	global_store_dwordx2 v[0:1], v[4:5], off
	s_branch .LBB199_929
.LBB199_924:
	s_or_b64 exec, exec, s[18:19]
	s_and_saveexec_b64 s[0:1], s[16:17]
	s_cbranch_execnz .LBB199_987
.LBB199_925:
	s_or_b64 exec, exec, s[0:1]
	s_and_saveexec_b64 s[0:1], s[22:23]
	s_xor_b64 s[0:1], exec, s[0:1]
	s_cbranch_execz .LBB199_988
.LBB199_926:
	s_waitcnt vmcnt(0)
	v_and_b32_e32 v2, 0x7fff, v3
	v_cmp_ne_u16_e32 vcc, 0, v2
	v_cndmask_b32_e64 v2, 0, 1, vcc
	global_store_byte v[0:1], v2, off
	s_or_b64 exec, exec, s[0:1]
	s_and_saveexec_b64 s[0:1], s[20:21]
	s_xor_b64 s[0:1], exec, s[0:1]
	s_cbranch_execz .LBB199_1026
	s_branch .LBB199_989
.LBB199_927:
	s_mov_b64 s[20:21], -1
	s_mov_b64 s[0:1], s[16:17]
	s_branch .LBB199_986
.LBB199_928:
	s_mov_b64 s[20:21], 0
.LBB199_929:
	s_and_b64 vcc, exec, s[20:21]
	s_cbranch_vccz .LBB199_944
; %bb.930:
	s_cmp_lt_i32 s29, 27
	s_mov_b64 s[20:21], -1
	s_cbranch_scc1 .LBB199_936
; %bb.931:
	s_cmp_gt_i32 s29, 27
	s_cbranch_scc0 .LBB199_933
; %bb.932:
	v_cvt_f32_f16_e32 v2, v3
	s_mov_b64 s[20:21], 0
	v_cvt_u32_f32_e32 v2, v2
	global_store_dword v[0:1], v2, off
.LBB199_933:
	s_andn2_b64 vcc, exec, s[20:21]
	s_cbranch_vccnz .LBB199_935
; %bb.934:
	v_cvt_u16_f16_e32 v2, v3
	global_store_short v[0:1], v2, off
.LBB199_935:
	s_mov_b64 s[20:21], 0
.LBB199_936:
	s_andn2_b64 vcc, exec, s[20:21]
	s_cbranch_vccnz .LBB199_944
; %bb.937:
	v_cvt_f32_f16_e32 v2, v3
	s_mov_b32 s20, 0x43800000
	v_mov_b32_e32 v5, 0x80
	v_and_b32_e32 v4, 0x7fffffff, v2
	v_cmp_gt_u32_e32 vcc, s20, v4
	s_and_saveexec_b64 s[20:21], vcc
	s_cbranch_execz .LBB199_943
; %bb.938:
	s_mov_b32 s22, 0x3bffffff
	v_cmp_lt_u32_e32 vcc, s22, v4
	s_mov_b64 s[22:23], 0
                                        ; implicit-def: $vgpr4
	s_and_saveexec_b64 s[24:25], vcc
	s_xor_b64 s[24:25], exec, s[24:25]
	s_cbranch_execz .LBB199_1041
; %bb.939:
	v_bfe_u32 v4, v2, 20, 1
	s_mov_b32 s26, 0x487ffff
	v_add3_u32 v4, v2, v4, s26
	s_mov_b64 s[22:23], exec
	v_lshrrev_b32_e32 v4, 20, v4
	s_andn2_saveexec_b64 s[24:25], s[24:25]
	s_cbranch_execnz .LBB199_1042
.LBB199_940:
	s_or_b64 exec, exec, s[24:25]
	v_mov_b32_e32 v5, 0
	s_and_saveexec_b64 s[24:25], s[22:23]
.LBB199_941:
	v_lshrrev_b32_e32 v2, 24, v2
	s_movk_i32 s22, 0x80
	v_and_or_b32 v5, v2, s22, v4
.LBB199_942:
	s_or_b64 exec, exec, s[24:25]
.LBB199_943:
	s_or_b64 exec, exec, s[20:21]
	global_store_byte v[0:1], v5, off
.LBB199_944:
	s_mov_b64 s[22:23], 0
.LBB199_945:
	s_mov_b64 s[20:21], 0
	s_and_b64 vcc, exec, s[22:23]
	s_cbranch_vccz .LBB199_985
; %bb.946:
	s_cmp_gt_i32 s29, 22
	s_mov_b64 s[22:23], -1
	s_cbranch_scc0 .LBB199_978
; %bb.947:
	s_cmp_lt_i32 s29, 24
	s_cbranch_scc1 .LBB199_967
; %bb.948:
	s_cmp_gt_i32 s29, 24
	s_cbranch_scc0 .LBB199_956
; %bb.949:
	v_cvt_f32_f16_e32 v2, v3
	s_mov_b32 s22, 0x47800000
	v_mov_b32_e32 v5, 0x80
	v_and_b32_e32 v4, 0x7fffffff, v2
	v_cmp_gt_u32_e32 vcc, s22, v4
	s_and_saveexec_b64 s[22:23], vcc
	s_cbranch_execz .LBB199_955
; %bb.950:
	s_mov_b32 s24, 0x37ffffff
	v_cmp_lt_u32_e32 vcc, s24, v4
	s_mov_b64 s[24:25], 0
                                        ; implicit-def: $vgpr4
	s_and_saveexec_b64 s[26:27], vcc
	s_xor_b64 s[26:27], exec, s[26:27]
	s_cbranch_execz .LBB199_1167
; %bb.951:
	v_bfe_u32 v4, v2, 21, 1
	s_mov_b32 s30, 0x88fffff
	v_add3_u32 v4, v2, v4, s30
	s_mov_b64 s[24:25], exec
	v_lshrrev_b32_e32 v4, 21, v4
	s_andn2_saveexec_b64 s[26:27], s[26:27]
	s_cbranch_execnz .LBB199_1168
.LBB199_952:
	s_or_b64 exec, exec, s[26:27]
	v_mov_b32_e32 v5, 0
	s_and_saveexec_b64 s[26:27], s[24:25]
.LBB199_953:
	v_lshrrev_b32_e32 v2, 24, v2
	s_movk_i32 s24, 0x80
	v_and_or_b32 v5, v2, s24, v4
.LBB199_954:
	s_or_b64 exec, exec, s[26:27]
.LBB199_955:
	s_or_b64 exec, exec, s[22:23]
	s_mov_b64 s[22:23], 0
	global_store_byte v[0:1], v5, off
.LBB199_956:
	s_and_b64 vcc, exec, s[22:23]
	s_cbranch_vccz .LBB199_966
; %bb.957:
	v_cvt_f32_f16_e32 v2, v3
	s_mov_b32 s22, 0x43f00000
                                        ; implicit-def: $vgpr4
	v_and_b32_e32 v5, 0x7fffffff, v2
	v_cmp_gt_u32_e32 vcc, s22, v5
	s_and_saveexec_b64 s[22:23], vcc
	s_xor_b64 s[22:23], exec, s[22:23]
	s_cbranch_execz .LBB199_963
; %bb.958:
	s_mov_b32 s24, 0x3c7fffff
	v_cmp_lt_u32_e32 vcc, s24, v5
                                        ; implicit-def: $vgpr4
	s_and_saveexec_b64 s[24:25], vcc
	s_xor_b64 s[24:25], exec, s[24:25]
; %bb.959:
	v_bfe_u32 v4, v2, 20, 1
	s_mov_b32 s26, 0x407ffff
	v_add3_u32 v4, v2, v4, s26
	v_lshrrev_b32_e32 v5, 20, v4
	v_and_b32_e32 v4, 0xff00000, v4
	s_mov_b32 s26, 0x7f00000
	v_mov_b32_e32 v6, 0x7e
	v_cmp_ne_u32_e32 vcc, s26, v4
	v_cndmask_b32_e32 v4, v6, v5, vcc
; %bb.960:
	s_andn2_saveexec_b64 s[24:25], s[24:25]
; %bb.961:
	s_mov_b32 s26, 0x46800000
	v_add_f32_e64 v4, |v2|, s26
; %bb.962:
	s_or_b64 exec, exec, s[24:25]
                                        ; implicit-def: $vgpr5
.LBB199_963:
	s_andn2_saveexec_b64 s[22:23], s[22:23]
; %bb.964:
	s_mov_b32 s24, 0x7f800000
	v_mov_b32_e32 v4, 0x7e
	v_mov_b32_e32 v6, 0x7f
	v_cmp_lt_u32_e32 vcc, s24, v5
	v_cndmask_b32_e32 v4, v4, v6, vcc
; %bb.965:
	s_or_b64 exec, exec, s[22:23]
	v_lshrrev_b32_e32 v2, 24, v2
	s_movk_i32 s22, 0x80
	v_and_or_b32 v2, v2, s22, v4
	global_store_byte v[0:1], v2, off
.LBB199_966:
	s_mov_b64 s[22:23], 0
.LBB199_967:
	s_andn2_b64 vcc, exec, s[22:23]
	s_cbranch_vccnz .LBB199_977
; %bb.968:
	v_cvt_f32_f16_e32 v2, v3
	s_mov_b32 s22, 0x47800000
                                        ; implicit-def: $vgpr4
	v_and_b32_e32 v5, 0x7fffffff, v2
	v_cmp_gt_u32_e32 vcc, s22, v5
	s_and_saveexec_b64 s[22:23], vcc
	s_xor_b64 s[22:23], exec, s[22:23]
	s_cbranch_execz .LBB199_974
; %bb.969:
	s_mov_b32 s24, 0x387fffff
	v_cmp_lt_u32_e32 vcc, s24, v5
                                        ; implicit-def: $vgpr4
	s_and_saveexec_b64 s[24:25], vcc
	s_xor_b64 s[24:25], exec, s[24:25]
; %bb.970:
	v_bfe_u32 v4, v2, 21, 1
	s_mov_b32 s26, 0x80fffff
	v_add3_u32 v4, v2, v4, s26
	v_lshrrev_b32_e32 v4, 21, v4
; %bb.971:
	s_andn2_saveexec_b64 s[24:25], s[24:25]
; %bb.972:
	s_mov_b32 s26, 0x43000000
	v_add_f32_e64 v4, |v2|, s26
; %bb.973:
	s_or_b64 exec, exec, s[24:25]
                                        ; implicit-def: $vgpr5
.LBB199_974:
	s_andn2_saveexec_b64 s[22:23], s[22:23]
; %bb.975:
	s_mov_b32 s24, 0x7f800000
	v_mov_b32_e32 v4, 0x7c
	v_mov_b32_e32 v6, 0x7f
	v_cmp_lt_u32_e32 vcc, s24, v5
	v_cndmask_b32_e32 v4, v4, v6, vcc
; %bb.976:
	s_or_b64 exec, exec, s[22:23]
	v_lshrrev_b32_e32 v2, 24, v2
	s_movk_i32 s22, 0x80
	v_and_or_b32 v2, v2, s22, v4
	global_store_byte v[0:1], v2, off
.LBB199_977:
	s_mov_b64 s[22:23], 0
.LBB199_978:
	s_andn2_b64 vcc, exec, s[22:23]
	s_mov_b64 s[22:23], 0
	s_cbranch_vccnz .LBB199_986
; %bb.979:
	s_cmp_gt_i32 s29, 14
	s_mov_b64 s[24:25], -1
	s_cbranch_scc0 .LBB199_983
; %bb.980:
	s_cmp_eq_u32 s29, 15
	s_mov_b64 s[0:1], -1
	s_cbranch_scc0 .LBB199_982
; %bb.981:
	v_cvt_f32_f16_e32 v2, v3
	s_movk_i32 s0, 0x7fff
	v_cmp_o_f16_e32 vcc, v3, v3
	v_mov_b32_e32 v4, 0x7fc0
	v_bfe_u32 v5, v2, 16, 1
	v_add3_u32 v2, v2, v5, s0
	v_cndmask_b32_sdwa v2, v4, v2, vcc dst_sel:DWORD dst_unused:UNUSED_PAD src0_sel:DWORD src1_sel:WORD_1
	global_store_short v[0:1], v2, off
	s_mov_b64 s[0:1], 0
.LBB199_982:
	s_mov_b64 s[24:25], 0
.LBB199_983:
	s_and_b64 vcc, exec, s[24:25]
	s_cbranch_vccz .LBB199_986
; %bb.984:
	s_cmp_lg_u32 s29, 11
	s_cselect_b64 s[24:25], -1, 0
	s_andn2_b64 s[0:1], s[0:1], exec
	s_and_b64 s[24:25], s[24:25], exec
	s_mov_b64 s[22:23], -1
	s_or_b64 s[0:1], s[0:1], s[24:25]
	s_branch .LBB199_986
.LBB199_985:
	s_mov_b64 s[22:23], 0
.LBB199_986:
	s_andn2_b64 s[16:17], s[16:17], exec
	s_and_b64 s[0:1], s[0:1], exec
	s_and_b64 s[20:21], s[20:21], exec
	;; [unrolled: 1-line block ×3, first 2 shown]
	s_or_b64 s[16:17], s[16:17], s[0:1]
	s_or_b64 exec, exec, s[18:19]
	s_and_saveexec_b64 s[0:1], s[16:17]
	s_cbranch_execz .LBB199_925
.LBB199_987:
	s_or_b64 s[2:3], s[2:3], exec
	s_andn2_b64 s[22:23], s[22:23], exec
	s_trap 2
	s_or_b64 exec, exec, s[0:1]
	s_and_saveexec_b64 s[0:1], s[22:23]
	s_xor_b64 s[0:1], exec, s[0:1]
	s_cbranch_execnz .LBB199_926
.LBB199_988:
	s_or_b64 exec, exec, s[0:1]
	s_and_saveexec_b64 s[0:1], s[20:21]
	s_xor_b64 s[0:1], exec, s[0:1]
	s_cbranch_execz .LBB199_1026
.LBB199_989:
	s_sext_i32_i16 s18, s28
	s_cmp_lt_i32 s18, 5
	s_mov_b64 s[16:17], -1
	s_cbranch_scc1 .LBB199_1010
; %bb.990:
	s_cmp_lt_i32 s18, 8
	s_cbranch_scc1 .LBB199_1000
; %bb.991:
	s_cmp_lt_i32 s18, 9
	s_cbranch_scc1 .LBB199_997
; %bb.992:
	s_cmp_gt_i32 s18, 9
	s_cbranch_scc0 .LBB199_994
; %bb.993:
	s_waitcnt vmcnt(0)
	v_cvt_f32_f16_e32 v2, v3
	v_mov_b32_e32 v6, 0
	v_mov_b32_e32 v7, v6
	s_mov_b64 s[16:17], 0
	v_cvt_f64_f32_e32 v[4:5], v2
	global_store_dwordx4 v[0:1], v[4:7], off
.LBB199_994:
	s_andn2_b64 vcc, exec, s[16:17]
	s_cbranch_vccnz .LBB199_996
; %bb.995:
	s_waitcnt vmcnt(0)
	v_cvt_f32_f16_e32 v4, v3
	v_mov_b32_e32 v5, 0
	global_store_dwordx2 v[0:1], v[4:5], off
.LBB199_996:
	s_mov_b64 s[16:17], 0
.LBB199_997:
	s_andn2_b64 vcc, exec, s[16:17]
	s_cbranch_vccnz .LBB199_999
; %bb.998:
	s_waitcnt vmcnt(0)
	v_and_b32_e32 v2, 0xffff, v3
	global_store_dword v[0:1], v2, off
.LBB199_999:
	s_mov_b64 s[16:17], 0
.LBB199_1000:
	s_andn2_b64 vcc, exec, s[16:17]
	s_cbranch_vccnz .LBB199_1009
; %bb.1001:
	s_sext_i32_i16 s18, s28
	s_cmp_lt_i32 s18, 6
	s_mov_b64 s[16:17], -1
	s_cbranch_scc1 .LBB199_1007
; %bb.1002:
	s_cmp_gt_i32 s18, 6
	s_cbranch_scc0 .LBB199_1004
; %bb.1003:
	s_waitcnt vmcnt(0)
	v_cvt_f32_f16_e32 v2, v3
	s_mov_b64 s[16:17], 0
	v_cvt_f64_f32_e32 v[4:5], v2
	global_store_dwordx2 v[0:1], v[4:5], off
.LBB199_1004:
	s_andn2_b64 vcc, exec, s[16:17]
	s_cbranch_vccnz .LBB199_1006
; %bb.1005:
	s_waitcnt vmcnt(0)
	v_cvt_f32_f16_e32 v2, v3
	global_store_dword v[0:1], v2, off
.LBB199_1006:
	s_mov_b64 s[16:17], 0
.LBB199_1007:
	s_andn2_b64 vcc, exec, s[16:17]
	s_cbranch_vccnz .LBB199_1009
; %bb.1008:
	s_waitcnt vmcnt(0)
	global_store_short v[0:1], v3, off
.LBB199_1009:
	s_mov_b64 s[16:17], 0
.LBB199_1010:
	s_andn2_b64 vcc, exec, s[16:17]
	s_cbranch_vccnz .LBB199_1026
; %bb.1011:
	s_sext_i32_i16 s18, s28
	s_cmp_lt_i32 s18, 2
	s_mov_b64 s[16:17], -1
	s_cbranch_scc1 .LBB199_1021
; %bb.1012:
	s_cmp_lt_i32 s18, 3
	s_cbranch_scc1 .LBB199_1018
; %bb.1013:
	s_cmp_gt_i32 s18, 3
	s_cbranch_scc0 .LBB199_1015
; %bb.1014:
	s_waitcnt vmcnt(0)
	v_cvt_f32_f16_e32 v2, v3
	s_mov_b64 s[16:17], 0
	v_cvt_i32_f32_e32 v4, v2
	v_ashrrev_i32_e32 v5, 31, v4
	global_store_dwordx2 v[0:1], v[4:5], off
.LBB199_1015:
	s_andn2_b64 vcc, exec, s[16:17]
	s_cbranch_vccnz .LBB199_1017
; %bb.1016:
	s_waitcnt vmcnt(0)
	v_cvt_f32_f16_e32 v2, v3
	v_cvt_i32_f32_e32 v2, v2
	global_store_dword v[0:1], v2, off
.LBB199_1017:
	s_mov_b64 s[16:17], 0
.LBB199_1018:
	s_andn2_b64 vcc, exec, s[16:17]
	s_cbranch_vccnz .LBB199_1020
; %bb.1019:
	s_waitcnt vmcnt(0)
	v_cvt_i16_f16_e32 v2, v3
	global_store_short v[0:1], v2, off
.LBB199_1020:
	s_mov_b64 s[16:17], 0
.LBB199_1021:
	s_andn2_b64 vcc, exec, s[16:17]
	s_cbranch_vccnz .LBB199_1026
; %bb.1022:
	s_sext_i32_i16 s16, s28
	s_cmp_gt_i32 s16, 0
	s_mov_b64 s[16:17], -1
	s_cbranch_scc0 .LBB199_1024
; %bb.1023:
	s_waitcnt vmcnt(0)
	v_cvt_i16_f16_e32 v2, v3
	s_mov_b64 s[16:17], 0
	global_store_byte v[0:1], v2, off
.LBB199_1024:
	s_andn2_b64 vcc, exec, s[16:17]
	s_cbranch_vccnz .LBB199_1026
; %bb.1025:
	s_waitcnt vmcnt(0)
	v_cvt_f32_f16_e32 v2, v3
	v_cvt_i32_f32_e32 v2, v2
	global_store_byte v[0:1], v2, off
.LBB199_1026:
	s_or_b64 exec, exec, s[0:1]
	s_and_b64 s[16:17], s[2:3], exec
                                        ; implicit-def: $vgpr2
.LBB199_1027:
	s_or_saveexec_b64 s[6:7], s[6:7]
	s_mov_b64 s[0:1], 0
                                        ; implicit-def: $sgpr22
                                        ; implicit-def: $vgpr0_vgpr1
                                        ; implicit-def: $vgpr3
	s_xor_b64 exec, exec, s[6:7]
	s_cbranch_execz .LBB199_1976
; %bb.1028:
	s_waitcnt vmcnt(0)
	v_mul_lo_u32 v4, s13, v2
	v_mov_b32_e32 v1, s11
	s_and_b32 s24, 0xffff, s47
	s_cmp_lt_i32 s24, 11
	v_ashrrev_i32_e32 v3, 31, v4
	v_add_co_u32_e32 v0, vcc, s10, v4
	v_addc_co_u32_e32 v1, vcc, v1, v3, vcc
	s_cbranch_scc1 .LBB199_1035
; %bb.1029:
	s_cmp_gt_i32 s24, 25
	s_mov_b64 s[2:3], 0
	s_cbranch_scc0 .LBB199_1037
; %bb.1030:
	s_cmp_gt_i32 s24, 28
	s_cbranch_scc0 .LBB199_1038
; %bb.1031:
	s_cmp_gt_i32 s24, 43
	;; [unrolled: 3-line block ×3, first 2 shown]
	s_cbranch_scc0 .LBB199_1040
; %bb.1033:
	s_cmp_eq_u32 s24, 46
	s_mov_b64 s[18:19], 0
	s_cbranch_scc0 .LBB199_1043
; %bb.1034:
	global_load_dword v3, v[0:1], off
	s_mov_b64 s[4:5], -1
	s_waitcnt vmcnt(0)
	v_lshlrev_b32_e32 v3, 16, v3
	v_cvt_f16_f32_e32 v3, v3
	s_branch .LBB199_1045
.LBB199_1035:
                                        ; implicit-def: $vgpr3
	s_mov_b64 s[18:19], s[16:17]
	s_cbranch_execnz .LBB199_1108
.LBB199_1036:
	s_andn2_b64 vcc, exec, s[4:5]
	s_cbranch_vccz .LBB199_1153
	s_branch .LBB199_1974
.LBB199_1037:
                                        ; implicit-def: $vgpr3
	s_cbranch_execnz .LBB199_1073
	s_branch .LBB199_1104
.LBB199_1038:
	s_mov_b64 s[18:19], -1
                                        ; implicit-def: $vgpr3
	s_branch .LBB199_1054
.LBB199_1039:
                                        ; implicit-def: $vgpr3
	s_cbranch_execnz .LBB199_1050
	s_branch .LBB199_1053
.LBB199_1040:
	s_mov_b64 s[18:19], -1
	s_branch .LBB199_1044
.LBB199_1041:
	s_andn2_saveexec_b64 s[24:25], s[24:25]
	s_cbranch_execz .LBB199_940
.LBB199_1042:
	s_mov_b32 s26, 0x46000000
	v_add_f32_e64 v4, |v2|, s26
	v_and_b32_e32 v4, 0xff, v4
	v_cmp_ne_u32_e32 vcc, 0, v4
	s_andn2_b64 s[22:23], s[22:23], exec
	s_and_b64 s[26:27], vcc, exec
	s_or_b64 s[22:23], s[22:23], s[26:27]
	s_or_b64 exec, exec, s[24:25]
	v_mov_b32_e32 v5, 0
	s_and_saveexec_b64 s[24:25], s[22:23]
	s_cbranch_execnz .LBB199_941
	s_branch .LBB199_942
.LBB199_1043:
	s_mov_b64 s[0:1], -1
.LBB199_1044:
                                        ; implicit-def: $vgpr3
.LBB199_1045:
	s_and_b64 vcc, exec, s[18:19]
	s_cbranch_vccz .LBB199_1048
; %bb.1046:
	s_cmp_eq_u32 s24, 44
	s_cbranch_scc0 .LBB199_1049
; %bb.1047:
	global_load_ubyte v3, v[0:1], off
	s_movk_i32 s4, 0xff
	v_mov_b32_e32 v6, 0x7e00
	s_mov_b64 s[0:1], 0
	s_waitcnt vmcnt(0)
	v_lshlrev_b32_e32 v5, 23, v3
	v_cvt_f16_f32_e32 v5, v5
	v_cmp_ne_u32_e32 vcc, s4, v3
	s_mov_b64 s[4:5], -1
	v_cndmask_b32_e32 v5, v6, v5, vcc
	v_cmp_ne_u32_e32 vcc, 0, v3
	v_cndmask_b32_e32 v3, 0, v5, vcc
.LBB199_1048:
	s_branch .LBB199_1053
.LBB199_1049:
	s_mov_b64 s[0:1], -1
                                        ; implicit-def: $vgpr3
	s_branch .LBB199_1053
.LBB199_1050:
	s_cmp_eq_u32 s24, 29
	s_cbranch_scc0 .LBB199_1052
; %bb.1051:
	global_load_dwordx2 v[5:6], v[0:1], off
	s_mov_b64 s[0:1], 0
	s_mov_b64 s[4:5], -1
	s_mov_b64 s[18:19], 0
	s_waitcnt vmcnt(0)
	v_ffbh_u32_e32 v3, v6
	v_min_u32_e32 v3, 32, v3
	v_lshlrev_b64 v[5:6], v3, v[5:6]
	v_sub_u32_e32 v3, 32, v3
	v_min_u32_e32 v5, 1, v5
	v_or_b32_e32 v5, v6, v5
	v_cvt_f32_u32_e32 v5, v5
	v_ldexp_f32 v3, v5, v3
	v_cvt_f16_f32_e32 v3, v3
	s_branch .LBB199_1054
.LBB199_1052:
	s_mov_b64 s[0:1], -1
                                        ; implicit-def: $vgpr3
.LBB199_1053:
	s_mov_b64 s[18:19], 0
.LBB199_1054:
	s_and_b64 vcc, exec, s[18:19]
	s_cbranch_vccz .LBB199_1072
; %bb.1055:
	s_cmp_lt_i32 s24, 27
	s_cbranch_scc1 .LBB199_1058
; %bb.1056:
	s_cmp_gt_i32 s24, 27
	s_cbranch_scc0 .LBB199_1059
; %bb.1057:
	global_load_dword v3, v[0:1], off
	s_mov_b64 s[4:5], 0
	s_waitcnt vmcnt(0)
	v_cvt_f32_u32_e32 v3, v3
	v_cvt_f16_f32_e32 v3, v3
	s_branch .LBB199_1060
.LBB199_1058:
	s_mov_b64 s[4:5], -1
                                        ; implicit-def: $vgpr3
	s_branch .LBB199_1063
.LBB199_1059:
	s_mov_b64 s[4:5], -1
                                        ; implicit-def: $vgpr3
.LBB199_1060:
	s_andn2_b64 vcc, exec, s[4:5]
	s_cbranch_vccnz .LBB199_1062
; %bb.1061:
	global_load_ushort v3, v[0:1], off
	s_waitcnt vmcnt(0)
	v_cvt_f16_u16_e32 v3, v3
.LBB199_1062:
	s_mov_b64 s[4:5], 0
.LBB199_1063:
	s_andn2_b64 vcc, exec, s[4:5]
	s_cbranch_vccnz .LBB199_1071
; %bb.1064:
	global_load_ubyte v5, v[0:1], off
	s_movk_i32 s4, 0x7f
	s_waitcnt vmcnt(0)
	v_cmp_lt_i16_e32 vcc, s4, v5
	s_mov_b64 s[4:5], 0
	s_and_saveexec_b64 s[18:19], vcc
	s_xor_b64 s[18:19], exec, s[18:19]
	s_cbranch_execz .LBB199_1084
; %bb.1065:
	s_movk_i32 s4, 0x80
	v_cmp_eq_u16_e32 vcc, s4, v5
	s_mov_b64 s[4:5], -1
	s_and_saveexec_b64 s[20:21], vcc
; %bb.1066:
	s_xor_b64 s[4:5], exec, -1
; %bb.1067:
	s_or_b64 exec, exec, s[20:21]
	s_and_b64 s[4:5], s[4:5], exec
	s_or_saveexec_b64 s[18:19], s[18:19]
	v_mov_b32_e32 v3, 0x7e00
	s_xor_b64 exec, exec, s[18:19]
	s_cbranch_execnz .LBB199_1085
.LBB199_1068:
	s_or_b64 exec, exec, s[18:19]
	s_and_saveexec_b64 s[18:19], s[4:5]
	s_cbranch_execz .LBB199_1070
.LBB199_1069:
	v_lshlrev_b32_e32 v3, 24, v5
	v_and_b32_e32 v5, 0xffff, v5
	v_and_b32_e32 v6, 7, v5
	v_ffbh_u32_e32 v8, v6
	v_min_u32_e32 v8, 32, v8
	v_subrev_u32_e32 v9, 28, v8
	v_bfe_u32 v7, v5, 3, 4
	v_lshlrev_b32_e32 v5, v9, v5
	v_sub_u32_e32 v8, 29, v8
	v_and_b32_e32 v5, 7, v5
	v_cmp_eq_u32_e32 vcc, 0, v7
	v_cndmask_b32_e32 v7, v7, v8, vcc
	v_cndmask_b32_e32 v5, v6, v5, vcc
	v_mov_b32_e32 v6, 0x3b800000
	v_lshlrev_b32_e32 v5, 20, v5
	v_and_b32_e32 v3, 0x80000000, v3
	v_lshl_add_u32 v6, v7, 23, v6
	v_or3_b32 v3, v3, v6, v5
	v_cvt_f16_f32_e32 v3, v3
.LBB199_1070:
	s_or_b64 exec, exec, s[18:19]
.LBB199_1071:
	s_mov_b64 s[4:5], -1
.LBB199_1072:
	s_branch .LBB199_1104
.LBB199_1073:
	s_cmp_gt_i32 s24, 22
	s_cbranch_scc0 .LBB199_1083
; %bb.1074:
	s_cmp_lt_i32 s24, 24
	s_cbranch_scc1 .LBB199_1086
; %bb.1075:
	s_cmp_gt_i32 s24, 24
	s_cbranch_scc0 .LBB199_1087
; %bb.1076:
	global_load_ubyte v5, v[0:1], off
	s_movk_i32 s2, 0x7f
	s_waitcnt vmcnt(0)
	v_cmp_lt_i16_e32 vcc, s2, v5
	s_mov_b64 s[2:3], 0
	s_and_saveexec_b64 s[4:5], vcc
	s_xor_b64 s[4:5], exec, s[4:5]
	s_cbranch_execz .LBB199_1098
; %bb.1077:
	s_movk_i32 s2, 0x80
	v_cmp_eq_u16_e32 vcc, s2, v5
	s_mov_b64 s[2:3], -1
	s_and_saveexec_b64 s[18:19], vcc
; %bb.1078:
	s_xor_b64 s[2:3], exec, -1
; %bb.1079:
	s_or_b64 exec, exec, s[18:19]
	s_and_b64 s[2:3], s[2:3], exec
	s_or_saveexec_b64 s[4:5], s[4:5]
	v_mov_b32_e32 v3, 0x7e00
	s_xor_b64 exec, exec, s[4:5]
	s_cbranch_execnz .LBB199_1099
.LBB199_1080:
	s_or_b64 exec, exec, s[4:5]
	s_and_saveexec_b64 s[4:5], s[2:3]
	s_cbranch_execz .LBB199_1082
.LBB199_1081:
	v_lshlrev_b32_e32 v3, 24, v5
	v_and_b32_e32 v5, 0xffff, v5
	v_and_b32_e32 v6, 3, v5
	v_ffbh_u32_e32 v8, v6
	v_min_u32_e32 v8, 32, v8
	v_subrev_u32_e32 v9, 29, v8
	v_bfe_u32 v7, v5, 2, 5
	v_lshlrev_b32_e32 v5, v9, v5
	v_sub_u32_e32 v8, 30, v8
	v_and_b32_e32 v5, 3, v5
	v_cmp_eq_u32_e32 vcc, 0, v7
	v_cndmask_b32_e32 v7, v7, v8, vcc
	v_cndmask_b32_e32 v5, v6, v5, vcc
	v_mov_b32_e32 v6, 0x37800000
	v_lshlrev_b32_e32 v5, 21, v5
	v_and_b32_e32 v3, 0x80000000, v3
	v_lshl_add_u32 v6, v7, 23, v6
	v_or3_b32 v3, v3, v6, v5
	v_cvt_f16_f32_e32 v3, v3
.LBB199_1082:
	s_or_b64 exec, exec, s[4:5]
	s_mov_b64 s[2:3], 0
	s_branch .LBB199_1088
.LBB199_1083:
                                        ; implicit-def: $vgpr3
	s_mov_b64 s[2:3], 0
	s_branch .LBB199_1094
.LBB199_1084:
	s_or_saveexec_b64 s[18:19], s[18:19]
	v_mov_b32_e32 v3, 0x7e00
	s_xor_b64 exec, exec, s[18:19]
	s_cbranch_execz .LBB199_1068
.LBB199_1085:
	v_cmp_ne_u16_e32 vcc, 0, v5
	s_andn2_b64 s[4:5], s[4:5], exec
	s_and_b64 s[20:21], vcc, exec
	s_or_b64 s[4:5], s[4:5], s[20:21]
	v_mov_b32_e32 v3, v5
	s_or_b64 exec, exec, s[18:19]
	s_and_saveexec_b64 s[18:19], s[4:5]
	s_cbranch_execnz .LBB199_1069
	s_branch .LBB199_1070
.LBB199_1086:
	s_mov_b64 s[2:3], -1
                                        ; implicit-def: $vgpr3
	s_branch .LBB199_1091
.LBB199_1087:
	s_mov_b64 s[2:3], -1
                                        ; implicit-def: $vgpr3
.LBB199_1088:
	s_and_b64 vcc, exec, s[2:3]
	s_cbranch_vccz .LBB199_1090
; %bb.1089:
	global_load_ubyte v3, v[0:1], off
	s_mov_b32 s2, 0x7f800000
	s_waitcnt vmcnt(0)
	v_lshlrev_b32_e32 v3, 24, v3
	v_and_b32_e32 v5, 0x7f000000, v3
	v_ffbh_u32_e32 v6, v5
	v_min_u32_e32 v6, 32, v6
	v_sub_u32_e64 v6, v6, 4 clamp
	v_lshlrev_b32_e32 v8, v6, v5
	v_lshlrev_b32_e32 v6, 23, v6
	v_lshrrev_b32_e32 v8, 4, v8
	v_add_u32_e32 v7, 0x1000000, v5
	v_sub_u32_e32 v6, v8, v6
	v_ashrrev_i32_e32 v7, 8, v7
	v_add_u32_e32 v6, 0x3c000000, v6
	v_and_or_b32 v6, v7, s2, v6
	v_cmp_ne_u32_e32 vcc, 0, v5
	v_cndmask_b32_e32 v5, 0, v6, vcc
	s_brev_b32 s2, 1
	v_and_or_b32 v3, v3, s2, v5
	v_cvt_f16_f32_e32 v3, v3
.LBB199_1090:
	s_mov_b64 s[2:3], 0
.LBB199_1091:
	s_andn2_b64 vcc, exec, s[2:3]
	s_cbranch_vccnz .LBB199_1093
; %bb.1092:
	global_load_ubyte v3, v[0:1], off
	s_movk_i32 s2, 0x7f00
	s_brev_b32 s3, 16
	s_waitcnt vmcnt(0)
	v_lshlrev_b16_e32 v5, 8, v3
	v_lshlrev_b32_e32 v3, 25, v3
	v_lshrrev_b32_e32 v6, 4, v3
	v_and_or_b32 v7, v5, s2, 0.5
	v_or_b32_e32 v6, 0x70000000, v6
	v_add_f32_e32 v7, -0.5, v7
	v_mul_f32_e32 v6, 0x7800000, v6
	v_cmp_gt_u32_e32 vcc, s3, v3
	v_bfe_i32 v5, v5, 0, 16
	v_cndmask_b32_e32 v3, v6, v7, vcc
	s_brev_b32 s2, 1
	v_and_or_b32 v3, v5, s2, v3
	v_cvt_f16_f32_e32 v3, v3
.LBB199_1093:
	s_mov_b64 s[4:5], -1
	s_mov_b64 s[2:3], 0
	s_cbranch_execnz .LBB199_1104
.LBB199_1094:
	s_cmp_gt_i32 s24, 14
	s_cbranch_scc0 .LBB199_1097
; %bb.1095:
	s_cmp_eq_u32 s24, 15
	s_cbranch_scc0 .LBB199_1100
; %bb.1096:
	global_load_ushort v3, v[0:1], off
	s_mov_b64 s[0:1], 0
	s_mov_b64 s[4:5], -1
	s_waitcnt vmcnt(0)
	v_lshlrev_b32_e32 v3, 16, v3
	v_cvt_f16_f32_e32 v3, v3
	s_branch .LBB199_1101
.LBB199_1097:
	s_mov_b64 s[18:19], -1
                                        ; implicit-def: $vgpr3
	s_branch .LBB199_1102
.LBB199_1098:
	s_or_saveexec_b64 s[4:5], s[4:5]
	v_mov_b32_e32 v3, 0x7e00
	s_xor_b64 exec, exec, s[4:5]
	s_cbranch_execz .LBB199_1080
.LBB199_1099:
	v_cmp_ne_u16_e32 vcc, 0, v5
	s_andn2_b64 s[2:3], s[2:3], exec
	s_and_b64 s[18:19], vcc, exec
	s_or_b64 s[2:3], s[2:3], s[18:19]
	v_mov_b32_e32 v3, v5
	s_or_b64 exec, exec, s[4:5]
	s_and_saveexec_b64 s[4:5], s[2:3]
	s_cbranch_execnz .LBB199_1081
	s_branch .LBB199_1082
.LBB199_1100:
	s_mov_b64 s[0:1], -1
                                        ; implicit-def: $vgpr3
.LBB199_1101:
	s_mov_b64 s[18:19], 0
.LBB199_1102:
	s_and_b64 vcc, exec, s[18:19]
	s_cbranch_vccz .LBB199_1104
; %bb.1103:
	s_cmp_lg_u32 s24, 11
	s_mov_b64 s[2:3], -1
	s_cselect_b64 s[0:1], -1, 0
.LBB199_1104:
	s_and_b64 vcc, exec, s[0:1]
	s_mov_b64 s[18:19], s[16:17]
	s_cbranch_vccnz .LBB199_1165
; %bb.1105:
	s_andn2_b64 vcc, exec, s[2:3]
	s_cbranch_vccnz .LBB199_1107
.LBB199_1106:
	global_load_ubyte v3, v[0:1], off
	v_mov_b32_e32 v5, 0x3c00
	s_mov_b64 s[4:5], -1
	s_waitcnt vmcnt(0)
	v_cmp_ne_u16_e32 vcc, 0, v3
	v_cndmask_b32_e32 v3, 0, v5, vcc
.LBB199_1107:
	s_branch .LBB199_1036
.LBB199_1108:
	s_cmp_lt_i32 s24, 5
	s_cbranch_scc1 .LBB199_1113
; %bb.1109:
	s_cmp_lt_i32 s24, 8
	s_cbranch_scc1 .LBB199_1114
; %bb.1110:
	;; [unrolled: 3-line block ×3, first 2 shown]
	s_cmp_gt_i32 s24, 9
	s_cbranch_scc0 .LBB199_1116
; %bb.1112:
	global_load_dwordx2 v[5:6], v[0:1], off
	s_movk_i32 s0, 0x1ff
	s_movk_i32 s1, 0xffe
	v_mov_b32_e32 v3, 0x7c00
	v_mov_b32_e32 v7, 0x7e00
	s_movk_i32 s2, 0x40f
	s_mov_b32 s3, 0x8000
	s_waitcnt vmcnt(0)
	v_and_or_b32 v5, v6, s0, v5
	v_cmp_ne_u32_e32 vcc, 0, v5
	v_lshrrev_b32_e32 v8, 8, v6
	v_bfe_u32 v9, v6, 20, 11
	v_cndmask_b32_e64 v5, 0, 1, vcc
	v_sub_u32_e32 v10, 0x3f1, v9
	v_and_or_b32 v5, v8, s1, v5
	v_add_u32_e32 v9, 0xfffffc10, v9
	v_med3_i32 v8, v10, 0, 13
	v_or_b32_e32 v10, 0x1000, v5
	v_cmp_ne_u32_e32 vcc, 0, v5
	v_lshl_or_b32 v11, v9, 12, v5
	v_cndmask_b32_e32 v5, v3, v7, vcc
	v_lshrrev_b32_e32 v7, v8, v10
	v_lshlrev_b32_e32 v8, v8, v7
	v_cmp_ne_u32_e32 vcc, v8, v10
	v_cndmask_b32_e64 v8, 0, 1, vcc
	v_or_b32_e32 v7, v7, v8
	v_cmp_gt_i32_e32 vcc, 1, v9
	v_cndmask_b32_e32 v7, v11, v7, vcc
	v_and_b32_e32 v8, 7, v7
	v_cmp_lt_i32_e32 vcc, 5, v8
	v_cndmask_b32_e64 v10, 0, 1, vcc
	v_cmp_eq_u32_e32 vcc, 3, v8
	v_cndmask_b32_e64 v8, 0, 1, vcc
	v_lshrrev_b32_e32 v7, 2, v7
	v_or_b32_e32 v8, v8, v10
	v_add_u32_e32 v7, v7, v8
	v_cmp_gt_i32_e32 vcc, 31, v9
	v_cndmask_b32_e32 v3, v3, v7, vcc
	v_cmp_eq_u32_e32 vcc, s2, v9
	v_lshrrev_b32_e32 v6, 16, v6
	v_cndmask_b32_e32 v3, v3, v5, vcc
	v_and_or_b32 v3, v6, s3, v3
	s_mov_b64 s[0:1], 0
	s_branch .LBB199_1117
.LBB199_1113:
                                        ; implicit-def: $vgpr3
	s_branch .LBB199_1134
.LBB199_1114:
                                        ; implicit-def: $vgpr3
	s_branch .LBB199_1123
.LBB199_1115:
	s_mov_b64 s[0:1], -1
                                        ; implicit-def: $vgpr3
	s_branch .LBB199_1120
.LBB199_1116:
	s_mov_b64 s[0:1], -1
                                        ; implicit-def: $vgpr3
.LBB199_1117:
	s_andn2_b64 vcc, exec, s[0:1]
	s_cbranch_vccnz .LBB199_1119
; %bb.1118:
	global_load_dword v3, v[0:1], off
	s_waitcnt vmcnt(0)
	v_cvt_f16_f32_e32 v3, v3
.LBB199_1119:
	s_mov_b64 s[0:1], 0
.LBB199_1120:
	s_andn2_b64 vcc, exec, s[0:1]
	s_cbranch_vccnz .LBB199_1122
; %bb.1121:
	global_load_dword v3, v[0:1], off
.LBB199_1122:
	s_cbranch_execnz .LBB199_1133
.LBB199_1123:
	s_cmp_lt_i32 s24, 6
	s_cbranch_scc1 .LBB199_1126
; %bb.1124:
	s_cmp_gt_i32 s24, 6
	s_cbranch_scc0 .LBB199_1127
; %bb.1125:
	global_load_dwordx2 v[5:6], v[0:1], off
	s_movk_i32 s0, 0x1ff
	s_movk_i32 s1, 0xffe
	s_waitcnt vmcnt(1)
	v_mov_b32_e32 v3, 0x7c00
	v_mov_b32_e32 v7, 0x7e00
	s_movk_i32 s2, 0x40f
	s_mov_b32 s3, 0x8000
	s_waitcnt vmcnt(0)
	v_and_or_b32 v5, v6, s0, v5
	v_cmp_ne_u32_e32 vcc, 0, v5
	v_lshrrev_b32_e32 v8, 8, v6
	v_bfe_u32 v9, v6, 20, 11
	v_cndmask_b32_e64 v5, 0, 1, vcc
	v_sub_u32_e32 v10, 0x3f1, v9
	v_and_or_b32 v5, v8, s1, v5
	v_add_u32_e32 v9, 0xfffffc10, v9
	v_med3_i32 v8, v10, 0, 13
	v_or_b32_e32 v10, 0x1000, v5
	v_cmp_ne_u32_e32 vcc, 0, v5
	v_lshl_or_b32 v11, v9, 12, v5
	v_cndmask_b32_e32 v5, v3, v7, vcc
	v_lshrrev_b32_e32 v7, v8, v10
	v_lshlrev_b32_e32 v8, v8, v7
	v_cmp_ne_u32_e32 vcc, v8, v10
	v_cndmask_b32_e64 v8, 0, 1, vcc
	v_or_b32_e32 v7, v7, v8
	v_cmp_gt_i32_e32 vcc, 1, v9
	v_cndmask_b32_e32 v7, v11, v7, vcc
	v_and_b32_e32 v8, 7, v7
	v_cmp_lt_i32_e32 vcc, 5, v8
	v_cndmask_b32_e64 v10, 0, 1, vcc
	v_cmp_eq_u32_e32 vcc, 3, v8
	v_cndmask_b32_e64 v8, 0, 1, vcc
	v_lshrrev_b32_e32 v7, 2, v7
	v_or_b32_e32 v8, v8, v10
	v_add_u32_e32 v7, v7, v8
	v_cmp_gt_i32_e32 vcc, 31, v9
	v_cndmask_b32_e32 v3, v3, v7, vcc
	v_cmp_eq_u32_e32 vcc, s2, v9
	v_lshrrev_b32_e32 v6, 16, v6
	v_cndmask_b32_e32 v3, v3, v5, vcc
	v_and_or_b32 v3, v6, s3, v3
	s_mov_b64 s[0:1], 0
	s_branch .LBB199_1128
.LBB199_1126:
	s_mov_b64 s[0:1], -1
                                        ; implicit-def: $vgpr3
	s_branch .LBB199_1131
.LBB199_1127:
	s_mov_b64 s[0:1], -1
                                        ; implicit-def: $vgpr3
.LBB199_1128:
	s_andn2_b64 vcc, exec, s[0:1]
	s_cbranch_vccnz .LBB199_1130
; %bb.1129:
	global_load_dword v3, v[0:1], off
	s_waitcnt vmcnt(0)
	v_cvt_f16_f32_e32 v3, v3
.LBB199_1130:
	s_mov_b64 s[0:1], 0
.LBB199_1131:
	s_andn2_b64 vcc, exec, s[0:1]
	s_cbranch_vccnz .LBB199_1133
; %bb.1132:
	global_load_ushort v3, v[0:1], off
.LBB199_1133:
	s_cbranch_execnz .LBB199_1152
.LBB199_1134:
	s_cmp_lt_i32 s24, 2
	s_cbranch_scc1 .LBB199_1138
; %bb.1135:
	s_cmp_lt_i32 s24, 3
	s_cbranch_scc1 .LBB199_1139
; %bb.1136:
	s_cmp_gt_i32 s24, 3
	s_cbranch_scc0 .LBB199_1140
; %bb.1137:
	global_load_dwordx2 v[5:6], v[0:1], off
	s_mov_b64 s[0:1], 0
	s_waitcnt vmcnt(0)
	v_xor_b32_e32 v7, v5, v6
	v_ffbh_i32_e32 v3, v6
	v_ashrrev_i32_e32 v7, 31, v7
	v_add_u32_e32 v3, -1, v3
	v_add_u32_e32 v7, 32, v7
	v_min_u32_e32 v3, v3, v7
	v_lshlrev_b64 v[5:6], v3, v[5:6]
	v_sub_u32_e32 v3, 32, v3
	v_min_u32_e32 v5, 1, v5
	v_or_b32_e32 v5, v6, v5
	v_cvt_f32_i32_e32 v5, v5
	v_ldexp_f32 v3, v5, v3
	v_cvt_f16_f32_e32 v3, v3
	s_branch .LBB199_1141
.LBB199_1138:
                                        ; implicit-def: $vgpr3
	s_branch .LBB199_1147
.LBB199_1139:
	s_mov_b64 s[0:1], -1
                                        ; implicit-def: $vgpr3
	s_branch .LBB199_1144
.LBB199_1140:
	s_mov_b64 s[0:1], -1
                                        ; implicit-def: $vgpr3
.LBB199_1141:
	s_andn2_b64 vcc, exec, s[0:1]
	s_cbranch_vccnz .LBB199_1143
; %bb.1142:
	global_load_dword v3, v[0:1], off
	s_waitcnt vmcnt(0)
	v_cvt_f32_i32_e32 v3, v3
	v_cvt_f16_f32_e32 v3, v3
.LBB199_1143:
	s_mov_b64 s[0:1], 0
.LBB199_1144:
	s_andn2_b64 vcc, exec, s[0:1]
	s_cbranch_vccnz .LBB199_1146
; %bb.1145:
	global_load_ushort v3, v[0:1], off
	s_waitcnt vmcnt(0)
	v_cvt_f16_i16_e32 v3, v3
.LBB199_1146:
	s_cbranch_execnz .LBB199_1152
.LBB199_1147:
	s_cmp_gt_i32 s24, 0
	s_cbranch_scc0 .LBB199_1149
; %bb.1148:
	global_load_sbyte v3, v[0:1], off
	s_mov_b64 s[0:1], 0
	s_waitcnt vmcnt(0)
	v_cvt_f16_i16_e32 v3, v3
	s_branch .LBB199_1150
.LBB199_1149:
	s_mov_b64 s[0:1], -1
                                        ; implicit-def: $vgpr3
.LBB199_1150:
	s_andn2_b64 vcc, exec, s[0:1]
	s_cbranch_vccnz .LBB199_1152
; %bb.1151:
	global_load_ubyte v0, v[0:1], off
	s_waitcnt vmcnt(0)
	v_cvt_f16_u16_e32 v3, v0
.LBB199_1152:
.LBB199_1153:
	s_lshl_b32 s13, s13, 7
	v_add_u32_e32 v5, s13, v4
	v_ashrrev_i32_e32 v1, 31, v5
	v_mov_b32_e32 v4, s11
	v_add_co_u32_e32 v0, vcc, s10, v5
	s_cmp_lt_i32 s24, 11
	v_addc_co_u32_e32 v1, vcc, v4, v1, vcc
	s_cbranch_scc1 .LBB199_1160
; %bb.1154:
	s_cmp_gt_i32 s24, 25
	s_mov_b64 s[2:3], 0
	s_cbranch_scc0 .LBB199_1162
; %bb.1155:
	s_cmp_gt_i32 s24, 28
	s_cbranch_scc0 .LBB199_1163
; %bb.1156:
	s_cmp_gt_i32 s24, 43
	;; [unrolled: 3-line block ×3, first 2 shown]
	s_cbranch_scc0 .LBB199_1166
; %bb.1158:
	s_cmp_eq_u32 s24, 46
	s_mov_b64 s[20:21], 0
	s_cbranch_scc0 .LBB199_1169
; %bb.1159:
	global_load_dword v4, v[0:1], off
	s_mov_b64 s[0:1], 0
	s_mov_b64 s[4:5], -1
	s_waitcnt vmcnt(0)
	v_lshlrev_b32_e32 v4, 16, v4
	v_cvt_f16_f32_e32 v4, v4
	s_branch .LBB199_1170
.LBB199_1160:
	s_mov_b64 s[4:5], 0
                                        ; implicit-def: $vgpr4
	s_cbranch_execnz .LBB199_1235
.LBB199_1161:
	s_andn2_b64 vcc, exec, s[4:5]
	s_cbranch_vccnz .LBB199_1974
	s_branch .LBB199_1282
.LBB199_1162:
	s_mov_b64 s[4:5], 0
	s_mov_b64 s[0:1], 0
                                        ; implicit-def: $vgpr4
	s_cbranch_execnz .LBB199_1199
	s_branch .LBB199_1231
.LBB199_1163:
	s_mov_b64 s[20:21], -1
	s_mov_b64 s[4:5], 0
	s_mov_b64 s[0:1], 0
                                        ; implicit-def: $vgpr4
	s_branch .LBB199_1180
.LBB199_1164:
	s_mov_b64 s[20:21], -1
	s_mov_b64 s[4:5], 0
	s_mov_b64 s[0:1], 0
                                        ; implicit-def: $vgpr4
	s_branch .LBB199_1175
.LBB199_1165:
	s_or_b64 s[18:19], s[16:17], exec
	s_trap 2
	s_cbranch_execz .LBB199_1106
	s_branch .LBB199_1107
.LBB199_1166:
	s_mov_b64 s[20:21], -1
	s_mov_b64 s[4:5], 0
	s_mov_b64 s[0:1], 0
                                        ; implicit-def: $vgpr4
	s_branch .LBB199_1170
.LBB199_1167:
	s_andn2_saveexec_b64 s[26:27], s[26:27]
	s_cbranch_execz .LBB199_952
.LBB199_1168:
	s_mov_b32 s30, 0x42800000
	v_add_f32_e64 v4, |v2|, s30
	v_and_b32_e32 v4, 0xff, v4
	v_cmp_ne_u32_e32 vcc, 0, v4
	s_andn2_b64 s[24:25], s[24:25], exec
	s_and_b64 s[30:31], vcc, exec
	s_or_b64 s[24:25], s[24:25], s[30:31]
	s_or_b64 exec, exec, s[26:27]
	v_mov_b32_e32 v5, 0
	s_and_saveexec_b64 s[26:27], s[24:25]
	s_cbranch_execnz .LBB199_953
	s_branch .LBB199_954
.LBB199_1169:
	s_mov_b64 s[0:1], -1
                                        ; implicit-def: $vgpr4
	s_mov_b64 s[4:5], 0
.LBB199_1170:
	s_and_b64 vcc, exec, s[20:21]
	s_cbranch_vccz .LBB199_1174
; %bb.1171:
	s_cmp_eq_u32 s24, 44
	s_cbranch_scc0 .LBB199_1173
; %bb.1172:
	global_load_ubyte v4, v[0:1], off
	s_movk_i32 s4, 0xff
	v_mov_b32_e32 v7, 0x7e00
	s_mov_b64 s[0:1], 0
	s_waitcnt vmcnt(0)
	v_lshlrev_b32_e32 v6, 23, v4
	v_cvt_f16_f32_e32 v6, v6
	v_cmp_ne_u32_e32 vcc, s4, v4
	s_mov_b64 s[4:5], -1
	v_cndmask_b32_e32 v6, v7, v6, vcc
	v_cmp_ne_u32_e32 vcc, 0, v4
	v_cndmask_b32_e32 v4, 0, v6, vcc
	s_branch .LBB199_1174
.LBB199_1173:
	s_mov_b64 s[0:1], -1
                                        ; implicit-def: $vgpr4
.LBB199_1174:
	s_mov_b64 s[20:21], 0
.LBB199_1175:
	s_and_b64 vcc, exec, s[20:21]
	s_cbranch_vccz .LBB199_1179
; %bb.1176:
	s_cmp_eq_u32 s24, 29
	s_cbranch_scc0 .LBB199_1178
; %bb.1177:
	global_load_dwordx2 v[6:7], v[0:1], off
	s_mov_b64 s[0:1], 0
	s_mov_b64 s[4:5], -1
	s_mov_b64 s[20:21], 0
	s_waitcnt vmcnt(0)
	v_ffbh_u32_e32 v4, v7
	v_min_u32_e32 v4, 32, v4
	v_lshlrev_b64 v[6:7], v4, v[6:7]
	v_sub_u32_e32 v4, 32, v4
	v_min_u32_e32 v6, 1, v6
	v_or_b32_e32 v6, v7, v6
	v_cvt_f32_u32_e32 v6, v6
	v_ldexp_f32 v4, v6, v4
	v_cvt_f16_f32_e32 v4, v4
	s_branch .LBB199_1180
.LBB199_1178:
	s_mov_b64 s[0:1], -1
                                        ; implicit-def: $vgpr4
.LBB199_1179:
	s_mov_b64 s[20:21], 0
.LBB199_1180:
	s_and_b64 vcc, exec, s[20:21]
	s_cbranch_vccz .LBB199_1198
; %bb.1181:
	s_cmp_lt_i32 s24, 27
	s_cbranch_scc1 .LBB199_1184
; %bb.1182:
	s_cmp_gt_i32 s24, 27
	s_cbranch_scc0 .LBB199_1185
; %bb.1183:
	global_load_dword v4, v[0:1], off
	s_mov_b64 s[4:5], 0
	s_waitcnt vmcnt(0)
	v_cvt_f32_u32_e32 v4, v4
	v_cvt_f16_f32_e32 v4, v4
	s_branch .LBB199_1186
.LBB199_1184:
	s_mov_b64 s[4:5], -1
                                        ; implicit-def: $vgpr4
	s_branch .LBB199_1189
.LBB199_1185:
	s_mov_b64 s[4:5], -1
                                        ; implicit-def: $vgpr4
.LBB199_1186:
	s_andn2_b64 vcc, exec, s[4:5]
	s_cbranch_vccnz .LBB199_1188
; %bb.1187:
	global_load_ushort v4, v[0:1], off
	s_waitcnt vmcnt(0)
	v_cvt_f16_u16_e32 v4, v4
.LBB199_1188:
	s_mov_b64 s[4:5], 0
.LBB199_1189:
	s_andn2_b64 vcc, exec, s[4:5]
	s_cbranch_vccnz .LBB199_1197
; %bb.1190:
	global_load_ubyte v6, v[0:1], off
	s_movk_i32 s4, 0x7f
	s_waitcnt vmcnt(0)
	v_cmp_lt_i16_e32 vcc, s4, v6
	s_mov_b64 s[4:5], 0
	s_and_saveexec_b64 s[20:21], vcc
	s_xor_b64 s[20:21], exec, s[20:21]
	s_cbranch_execz .LBB199_1210
; %bb.1191:
	s_movk_i32 s4, 0x80
	v_cmp_eq_u16_e32 vcc, s4, v6
	s_mov_b64 s[4:5], -1
	s_and_saveexec_b64 s[22:23], vcc
; %bb.1192:
	s_xor_b64 s[4:5], exec, -1
; %bb.1193:
	s_or_b64 exec, exec, s[22:23]
	s_and_b64 s[4:5], s[4:5], exec
	s_or_saveexec_b64 s[20:21], s[20:21]
	v_mov_b32_e32 v4, 0x7e00
	s_xor_b64 exec, exec, s[20:21]
	s_cbranch_execnz .LBB199_1211
.LBB199_1194:
	s_or_b64 exec, exec, s[20:21]
	s_and_saveexec_b64 s[20:21], s[4:5]
	s_cbranch_execz .LBB199_1196
.LBB199_1195:
	v_lshlrev_b32_e32 v4, 24, v6
	v_and_b32_e32 v6, 0xffff, v6
	v_and_b32_e32 v7, 7, v6
	v_ffbh_u32_e32 v9, v7
	v_min_u32_e32 v9, 32, v9
	v_subrev_u32_e32 v10, 28, v9
	v_bfe_u32 v8, v6, 3, 4
	v_lshlrev_b32_e32 v6, v10, v6
	v_sub_u32_e32 v9, 29, v9
	v_and_b32_e32 v6, 7, v6
	v_cmp_eq_u32_e32 vcc, 0, v8
	v_cndmask_b32_e32 v8, v8, v9, vcc
	v_cndmask_b32_e32 v6, v7, v6, vcc
	v_mov_b32_e32 v7, 0x3b800000
	v_lshlrev_b32_e32 v6, 20, v6
	v_and_b32_e32 v4, 0x80000000, v4
	v_lshl_add_u32 v7, v8, 23, v7
	v_or3_b32 v4, v4, v7, v6
	v_cvt_f16_f32_e32 v4, v4
.LBB199_1196:
	s_or_b64 exec, exec, s[20:21]
.LBB199_1197:
	s_mov_b64 s[4:5], -1
.LBB199_1198:
	s_branch .LBB199_1231
.LBB199_1199:
	s_cmp_gt_i32 s24, 22
	s_cbranch_scc0 .LBB199_1209
; %bb.1200:
	s_cmp_lt_i32 s24, 24
	s_cbranch_scc1 .LBB199_1212
; %bb.1201:
	s_cmp_gt_i32 s24, 24
	s_cbranch_scc0 .LBB199_1213
; %bb.1202:
	global_load_ubyte v6, v[0:1], off
	s_movk_i32 s2, 0x7f
	s_waitcnt vmcnt(0)
	v_cmp_lt_i16_e32 vcc, s2, v6
	s_mov_b64 s[2:3], 0
	s_and_saveexec_b64 s[4:5], vcc
	s_xor_b64 s[4:5], exec, s[4:5]
	s_cbranch_execz .LBB199_1225
; %bb.1203:
	s_movk_i32 s2, 0x80
	v_cmp_eq_u16_e32 vcc, s2, v6
	s_mov_b64 s[2:3], -1
	s_and_saveexec_b64 s[20:21], vcc
; %bb.1204:
	s_xor_b64 s[2:3], exec, -1
; %bb.1205:
	s_or_b64 exec, exec, s[20:21]
	s_and_b64 s[2:3], s[2:3], exec
	s_or_saveexec_b64 s[4:5], s[4:5]
	v_mov_b32_e32 v4, 0x7e00
	s_xor_b64 exec, exec, s[4:5]
	s_cbranch_execnz .LBB199_1226
.LBB199_1206:
	s_or_b64 exec, exec, s[4:5]
	s_and_saveexec_b64 s[4:5], s[2:3]
	s_cbranch_execz .LBB199_1208
.LBB199_1207:
	v_lshlrev_b32_e32 v4, 24, v6
	v_and_b32_e32 v6, 0xffff, v6
	v_and_b32_e32 v7, 3, v6
	v_ffbh_u32_e32 v9, v7
	v_min_u32_e32 v9, 32, v9
	v_subrev_u32_e32 v10, 29, v9
	v_bfe_u32 v8, v6, 2, 5
	v_lshlrev_b32_e32 v6, v10, v6
	v_sub_u32_e32 v9, 30, v9
	v_and_b32_e32 v6, 3, v6
	v_cmp_eq_u32_e32 vcc, 0, v8
	v_cndmask_b32_e32 v8, v8, v9, vcc
	v_cndmask_b32_e32 v6, v7, v6, vcc
	v_mov_b32_e32 v7, 0x37800000
	v_lshlrev_b32_e32 v6, 21, v6
	v_and_b32_e32 v4, 0x80000000, v4
	v_lshl_add_u32 v7, v8, 23, v7
	v_or3_b32 v4, v4, v7, v6
	v_cvt_f16_f32_e32 v4, v4
.LBB199_1208:
	s_or_b64 exec, exec, s[4:5]
	s_mov_b64 s[2:3], 0
	s_branch .LBB199_1214
.LBB199_1209:
	s_mov_b64 s[2:3], -1
                                        ; implicit-def: $vgpr4
	s_branch .LBB199_1220
.LBB199_1210:
	s_or_saveexec_b64 s[20:21], s[20:21]
	v_mov_b32_e32 v4, 0x7e00
	s_xor_b64 exec, exec, s[20:21]
	s_cbranch_execz .LBB199_1194
.LBB199_1211:
	v_cmp_ne_u16_e32 vcc, 0, v6
	s_andn2_b64 s[4:5], s[4:5], exec
	s_and_b64 s[22:23], vcc, exec
	s_or_b64 s[4:5], s[4:5], s[22:23]
	v_mov_b32_e32 v4, v6
	s_or_b64 exec, exec, s[20:21]
	s_and_saveexec_b64 s[20:21], s[4:5]
	s_cbranch_execnz .LBB199_1195
	s_branch .LBB199_1196
.LBB199_1212:
	s_mov_b64 s[2:3], -1
                                        ; implicit-def: $vgpr4
	s_branch .LBB199_1217
.LBB199_1213:
	s_mov_b64 s[2:3], -1
                                        ; implicit-def: $vgpr4
.LBB199_1214:
	s_and_b64 vcc, exec, s[2:3]
	s_cbranch_vccz .LBB199_1216
; %bb.1215:
	global_load_ubyte v4, v[0:1], off
	s_mov_b32 s2, 0x7f800000
	s_waitcnt vmcnt(0)
	v_lshlrev_b32_e32 v4, 24, v4
	v_and_b32_e32 v6, 0x7f000000, v4
	v_ffbh_u32_e32 v7, v6
	v_min_u32_e32 v7, 32, v7
	v_sub_u32_e64 v7, v7, 4 clamp
	v_lshlrev_b32_e32 v9, v7, v6
	v_lshlrev_b32_e32 v7, 23, v7
	v_lshrrev_b32_e32 v9, 4, v9
	v_add_u32_e32 v8, 0x1000000, v6
	v_sub_u32_e32 v7, v9, v7
	v_ashrrev_i32_e32 v8, 8, v8
	v_add_u32_e32 v7, 0x3c000000, v7
	v_and_or_b32 v7, v8, s2, v7
	v_cmp_ne_u32_e32 vcc, 0, v6
	v_cndmask_b32_e32 v6, 0, v7, vcc
	s_brev_b32 s2, 1
	v_and_or_b32 v4, v4, s2, v6
	v_cvt_f16_f32_e32 v4, v4
.LBB199_1216:
	s_mov_b64 s[2:3], 0
.LBB199_1217:
	s_andn2_b64 vcc, exec, s[2:3]
	s_cbranch_vccnz .LBB199_1219
; %bb.1218:
	global_load_ubyte v4, v[0:1], off
	s_movk_i32 s2, 0x7f00
	s_brev_b32 s3, 16
	s_waitcnt vmcnt(0)
	v_lshlrev_b16_e32 v6, 8, v4
	v_lshlrev_b32_e32 v4, 25, v4
	v_lshrrev_b32_e32 v7, 4, v4
	v_and_or_b32 v8, v6, s2, 0.5
	v_or_b32_e32 v7, 0x70000000, v7
	v_add_f32_e32 v8, -0.5, v8
	v_mul_f32_e32 v7, 0x7800000, v7
	v_cmp_gt_u32_e32 vcc, s3, v4
	v_bfe_i32 v6, v6, 0, 16
	v_cndmask_b32_e32 v4, v7, v8, vcc
	s_brev_b32 s2, 1
	v_and_or_b32 v4, v6, s2, v4
	v_cvt_f16_f32_e32 v4, v4
.LBB199_1219:
	s_mov_b64 s[2:3], 0
	s_mov_b64 s[4:5], -1
.LBB199_1220:
	s_andn2_b64 vcc, exec, s[2:3]
	s_mov_b64 s[2:3], 0
	s_cbranch_vccnz .LBB199_1231
; %bb.1221:
	s_cmp_gt_i32 s24, 14
	s_cbranch_scc0 .LBB199_1224
; %bb.1222:
	s_cmp_eq_u32 s24, 15
	s_cbranch_scc0 .LBB199_1227
; %bb.1223:
	global_load_ushort v4, v[0:1], off
	s_mov_b64 s[0:1], 0
	s_mov_b64 s[4:5], -1
	s_waitcnt vmcnt(0)
	v_lshlrev_b32_e32 v4, 16, v4
	v_cvt_f16_f32_e32 v4, v4
	s_branch .LBB199_1228
.LBB199_1224:
	s_mov_b64 s[20:21], -1
                                        ; implicit-def: $vgpr4
	s_branch .LBB199_1229
.LBB199_1225:
	s_or_saveexec_b64 s[4:5], s[4:5]
	v_mov_b32_e32 v4, 0x7e00
	s_xor_b64 exec, exec, s[4:5]
	s_cbranch_execz .LBB199_1206
.LBB199_1226:
	v_cmp_ne_u16_e32 vcc, 0, v6
	s_andn2_b64 s[2:3], s[2:3], exec
	s_and_b64 s[20:21], vcc, exec
	s_or_b64 s[2:3], s[2:3], s[20:21]
	v_mov_b32_e32 v4, v6
	s_or_b64 exec, exec, s[4:5]
	s_and_saveexec_b64 s[4:5], s[2:3]
	s_cbranch_execnz .LBB199_1207
	s_branch .LBB199_1208
.LBB199_1227:
	s_mov_b64 s[0:1], -1
                                        ; implicit-def: $vgpr4
.LBB199_1228:
	s_mov_b64 s[20:21], 0
.LBB199_1229:
	s_and_b64 vcc, exec, s[20:21]
	s_cbranch_vccz .LBB199_1231
; %bb.1230:
	s_cmp_lg_u32 s24, 11
	s_mov_b64 s[2:3], -1
	s_cselect_b64 s[0:1], -1, 0
.LBB199_1231:
	s_and_b64 vcc, exec, s[0:1]
	s_cbranch_vccnz .LBB199_1294
; %bb.1232:
	s_andn2_b64 vcc, exec, s[2:3]
	s_cbranch_vccnz .LBB199_1234
.LBB199_1233:
	global_load_ubyte v4, v[0:1], off
	v_mov_b32_e32 v6, 0x3c00
	s_mov_b64 s[4:5], -1
	s_waitcnt vmcnt(0)
	v_cmp_ne_u16_e32 vcc, 0, v4
	v_cndmask_b32_e32 v4, 0, v6, vcc
.LBB199_1234:
	s_branch .LBB199_1161
.LBB199_1235:
	s_cmp_lt_i32 s24, 5
	s_cbranch_scc1 .LBB199_1240
; %bb.1236:
	s_cmp_lt_i32 s24, 8
	s_cbranch_scc1 .LBB199_1241
; %bb.1237:
	;; [unrolled: 3-line block ×3, first 2 shown]
	s_cmp_gt_i32 s24, 9
	s_cbranch_scc0 .LBB199_1243
; %bb.1239:
	global_load_dwordx2 v[6:7], v[0:1], off
	s_movk_i32 s0, 0x1ff
	s_movk_i32 s1, 0xffe
	v_mov_b32_e32 v4, 0x7c00
	v_mov_b32_e32 v8, 0x7e00
	s_movk_i32 s2, 0x40f
	s_mov_b32 s3, 0x8000
	s_waitcnt vmcnt(0)
	v_and_or_b32 v6, v7, s0, v6
	v_cmp_ne_u32_e32 vcc, 0, v6
	v_lshrrev_b32_e32 v9, 8, v7
	v_bfe_u32 v10, v7, 20, 11
	v_cndmask_b32_e64 v6, 0, 1, vcc
	v_sub_u32_e32 v11, 0x3f1, v10
	v_and_or_b32 v6, v9, s1, v6
	v_add_u32_e32 v10, 0xfffffc10, v10
	v_med3_i32 v9, v11, 0, 13
	v_or_b32_e32 v11, 0x1000, v6
	v_cmp_ne_u32_e32 vcc, 0, v6
	v_lshl_or_b32 v12, v10, 12, v6
	v_cndmask_b32_e32 v6, v4, v8, vcc
	v_lshrrev_b32_e32 v8, v9, v11
	v_lshlrev_b32_e32 v9, v9, v8
	v_cmp_ne_u32_e32 vcc, v9, v11
	v_cndmask_b32_e64 v9, 0, 1, vcc
	v_or_b32_e32 v8, v8, v9
	v_cmp_gt_i32_e32 vcc, 1, v10
	v_cndmask_b32_e32 v8, v12, v8, vcc
	v_and_b32_e32 v9, 7, v8
	v_cmp_lt_i32_e32 vcc, 5, v9
	v_cndmask_b32_e64 v11, 0, 1, vcc
	v_cmp_eq_u32_e32 vcc, 3, v9
	v_cndmask_b32_e64 v9, 0, 1, vcc
	v_lshrrev_b32_e32 v8, 2, v8
	v_or_b32_e32 v9, v9, v11
	v_add_u32_e32 v8, v8, v9
	v_cmp_gt_i32_e32 vcc, 31, v10
	v_cndmask_b32_e32 v4, v4, v8, vcc
	v_cmp_eq_u32_e32 vcc, s2, v10
	v_lshrrev_b32_e32 v7, 16, v7
	v_cndmask_b32_e32 v4, v4, v6, vcc
	v_and_or_b32 v4, v7, s3, v4
	s_mov_b64 s[0:1], 0
	s_branch .LBB199_1244
.LBB199_1240:
                                        ; implicit-def: $vgpr4
	s_branch .LBB199_1262
.LBB199_1241:
	s_mov_b64 s[0:1], -1
                                        ; implicit-def: $vgpr4
	s_branch .LBB199_1250
.LBB199_1242:
	s_mov_b64 s[0:1], -1
                                        ; implicit-def: $vgpr4
	s_branch .LBB199_1247
.LBB199_1243:
	s_mov_b64 s[0:1], -1
                                        ; implicit-def: $vgpr4
.LBB199_1244:
	s_andn2_b64 vcc, exec, s[0:1]
	s_cbranch_vccnz .LBB199_1246
; %bb.1245:
	global_load_dword v4, v[0:1], off
	s_waitcnt vmcnt(0)
	v_cvt_f16_f32_e32 v4, v4
.LBB199_1246:
	s_mov_b64 s[0:1], 0
.LBB199_1247:
	s_andn2_b64 vcc, exec, s[0:1]
	s_cbranch_vccnz .LBB199_1249
; %bb.1248:
	global_load_dword v4, v[0:1], off
.LBB199_1249:
	s_mov_b64 s[0:1], 0
.LBB199_1250:
	s_andn2_b64 vcc, exec, s[0:1]
	s_cbranch_vccnz .LBB199_1261
; %bb.1251:
	s_cmp_lt_i32 s24, 6
	s_cbranch_scc1 .LBB199_1254
; %bb.1252:
	s_cmp_gt_i32 s24, 6
	s_cbranch_scc0 .LBB199_1255
; %bb.1253:
	global_load_dwordx2 v[6:7], v[0:1], off
	s_movk_i32 s0, 0x1ff
	s_movk_i32 s1, 0xffe
	s_waitcnt vmcnt(1)
	v_mov_b32_e32 v4, 0x7c00
	v_mov_b32_e32 v8, 0x7e00
	s_movk_i32 s2, 0x40f
	s_mov_b32 s3, 0x8000
	s_waitcnt vmcnt(0)
	v_and_or_b32 v6, v7, s0, v6
	v_cmp_ne_u32_e32 vcc, 0, v6
	v_lshrrev_b32_e32 v9, 8, v7
	v_bfe_u32 v10, v7, 20, 11
	v_cndmask_b32_e64 v6, 0, 1, vcc
	v_sub_u32_e32 v11, 0x3f1, v10
	v_and_or_b32 v6, v9, s1, v6
	v_add_u32_e32 v10, 0xfffffc10, v10
	v_med3_i32 v9, v11, 0, 13
	v_or_b32_e32 v11, 0x1000, v6
	v_cmp_ne_u32_e32 vcc, 0, v6
	v_lshl_or_b32 v12, v10, 12, v6
	v_cndmask_b32_e32 v6, v4, v8, vcc
	v_lshrrev_b32_e32 v8, v9, v11
	v_lshlrev_b32_e32 v9, v9, v8
	v_cmp_ne_u32_e32 vcc, v9, v11
	v_cndmask_b32_e64 v9, 0, 1, vcc
	v_or_b32_e32 v8, v8, v9
	v_cmp_gt_i32_e32 vcc, 1, v10
	v_cndmask_b32_e32 v8, v12, v8, vcc
	v_and_b32_e32 v9, 7, v8
	v_cmp_lt_i32_e32 vcc, 5, v9
	v_cndmask_b32_e64 v11, 0, 1, vcc
	v_cmp_eq_u32_e32 vcc, 3, v9
	v_cndmask_b32_e64 v9, 0, 1, vcc
	v_lshrrev_b32_e32 v8, 2, v8
	v_or_b32_e32 v9, v9, v11
	v_add_u32_e32 v8, v8, v9
	v_cmp_gt_i32_e32 vcc, 31, v10
	v_cndmask_b32_e32 v4, v4, v8, vcc
	v_cmp_eq_u32_e32 vcc, s2, v10
	v_lshrrev_b32_e32 v7, 16, v7
	v_cndmask_b32_e32 v4, v4, v6, vcc
	v_and_or_b32 v4, v7, s3, v4
	s_mov_b64 s[0:1], 0
	s_branch .LBB199_1256
.LBB199_1254:
	s_mov_b64 s[0:1], -1
                                        ; implicit-def: $vgpr4
	s_branch .LBB199_1259
.LBB199_1255:
	s_mov_b64 s[0:1], -1
                                        ; implicit-def: $vgpr4
.LBB199_1256:
	s_andn2_b64 vcc, exec, s[0:1]
	s_cbranch_vccnz .LBB199_1258
; %bb.1257:
	global_load_dword v4, v[0:1], off
	s_waitcnt vmcnt(0)
	v_cvt_f16_f32_e32 v4, v4
.LBB199_1258:
	s_mov_b64 s[0:1], 0
.LBB199_1259:
	s_andn2_b64 vcc, exec, s[0:1]
	s_cbranch_vccnz .LBB199_1261
; %bb.1260:
	global_load_ushort v4, v[0:1], off
.LBB199_1261:
	s_cbranch_execnz .LBB199_1281
.LBB199_1262:
	s_cmp_lt_i32 s24, 2
	s_cbranch_scc1 .LBB199_1266
; %bb.1263:
	s_cmp_lt_i32 s24, 3
	s_cbranch_scc1 .LBB199_1267
; %bb.1264:
	s_cmp_gt_i32 s24, 3
	s_cbranch_scc0 .LBB199_1268
; %bb.1265:
	global_load_dwordx2 v[6:7], v[0:1], off
	s_mov_b64 s[0:1], 0
	s_waitcnt vmcnt(0)
	v_xor_b32_e32 v8, v6, v7
	v_ffbh_i32_e32 v4, v7
	v_ashrrev_i32_e32 v8, 31, v8
	v_add_u32_e32 v4, -1, v4
	v_add_u32_e32 v8, 32, v8
	v_min_u32_e32 v4, v4, v8
	v_lshlrev_b64 v[6:7], v4, v[6:7]
	v_sub_u32_e32 v4, 32, v4
	v_min_u32_e32 v6, 1, v6
	v_or_b32_e32 v6, v7, v6
	v_cvt_f32_i32_e32 v6, v6
	v_ldexp_f32 v4, v6, v4
	v_cvt_f16_f32_e32 v4, v4
	s_branch .LBB199_1269
.LBB199_1266:
	s_mov_b64 s[0:1], -1
                                        ; implicit-def: $vgpr4
	s_branch .LBB199_1275
.LBB199_1267:
	s_mov_b64 s[0:1], -1
                                        ; implicit-def: $vgpr4
	s_branch .LBB199_1272
.LBB199_1268:
	s_mov_b64 s[0:1], -1
                                        ; implicit-def: $vgpr4
.LBB199_1269:
	s_andn2_b64 vcc, exec, s[0:1]
	s_cbranch_vccnz .LBB199_1271
; %bb.1270:
	global_load_dword v4, v[0:1], off
	s_waitcnt vmcnt(0)
	v_cvt_f32_i32_e32 v4, v4
	v_cvt_f16_f32_e32 v4, v4
.LBB199_1271:
	s_mov_b64 s[0:1], 0
.LBB199_1272:
	s_andn2_b64 vcc, exec, s[0:1]
	s_cbranch_vccnz .LBB199_1274
; %bb.1273:
	global_load_ushort v4, v[0:1], off
	s_waitcnt vmcnt(0)
	v_cvt_f16_i16_e32 v4, v4
.LBB199_1274:
	s_mov_b64 s[0:1], 0
.LBB199_1275:
	s_andn2_b64 vcc, exec, s[0:1]
	s_cbranch_vccnz .LBB199_1281
; %bb.1276:
	s_cmp_gt_i32 s24, 0
	s_cbranch_scc0 .LBB199_1278
; %bb.1277:
	global_load_sbyte v4, v[0:1], off
	s_mov_b64 s[0:1], 0
	s_waitcnt vmcnt(0)
	v_cvt_f16_i16_e32 v4, v4
	s_branch .LBB199_1279
.LBB199_1278:
	s_mov_b64 s[0:1], -1
                                        ; implicit-def: $vgpr4
.LBB199_1279:
	s_andn2_b64 vcc, exec, s[0:1]
	s_cbranch_vccnz .LBB199_1281
; %bb.1280:
	global_load_ubyte v0, v[0:1], off
	s_waitcnt vmcnt(0)
	v_cvt_f16_u16_e32 v4, v0
.LBB199_1281:
.LBB199_1282:
	v_add_u32_e32 v6, s13, v5
	v_ashrrev_i32_e32 v1, 31, v6
	v_mov_b32_e32 v5, s11
	v_add_co_u32_e32 v0, vcc, s10, v6
	s_cmp_lt_i32 s24, 11
	v_addc_co_u32_e32 v1, vcc, v5, v1, vcc
	s_cbranch_scc1 .LBB199_1289
; %bb.1283:
	s_cmp_gt_i32 s24, 25
	s_mov_b64 s[2:3], 0
	s_cbranch_scc0 .LBB199_1291
; %bb.1284:
	s_cmp_gt_i32 s24, 28
	s_cbranch_scc0 .LBB199_1292
; %bb.1285:
	s_cmp_gt_i32 s24, 43
	;; [unrolled: 3-line block ×3, first 2 shown]
	s_cbranch_scc0 .LBB199_1295
; %bb.1287:
	s_cmp_eq_u32 s24, 46
	s_mov_b64 s[20:21], 0
	s_cbranch_scc0 .LBB199_1296
; %bb.1288:
	global_load_dword v5, v[0:1], off
	s_mov_b64 s[0:1], 0
	s_mov_b64 s[4:5], -1
	s_waitcnt vmcnt(0)
	v_lshlrev_b32_e32 v5, 16, v5
	v_cvt_f16_f32_e32 v5, v5
	s_branch .LBB199_1297
.LBB199_1289:
	s_mov_b64 s[4:5], 0
                                        ; implicit-def: $vgpr5
	s_cbranch_execnz .LBB199_1363
.LBB199_1290:
	s_andn2_b64 vcc, exec, s[4:5]
	s_cbranch_vccnz .LBB199_1974
	s_branch .LBB199_1411
.LBB199_1291:
	s_mov_b64 s[20:21], -1
	s_mov_b64 s[4:5], 0
	s_mov_b64 s[0:1], 0
                                        ; implicit-def: $vgpr5
	s_branch .LBB199_1326
.LBB199_1292:
	s_mov_b64 s[20:21], -1
	s_mov_b64 s[4:5], 0
	s_mov_b64 s[0:1], 0
                                        ; implicit-def: $vgpr5
	s_branch .LBB199_1307
.LBB199_1293:
	s_mov_b64 s[20:21], -1
	s_mov_b64 s[4:5], 0
	s_mov_b64 s[0:1], 0
                                        ; implicit-def: $vgpr5
	s_branch .LBB199_1302
.LBB199_1294:
	s_trap 2
	s_or_b64 s[18:19], s[18:19], exec
	s_cbranch_execz .LBB199_1233
	s_branch .LBB199_1234
.LBB199_1295:
	s_mov_b64 s[20:21], -1
	s_mov_b64 s[4:5], 0
	s_mov_b64 s[0:1], 0
                                        ; implicit-def: $vgpr5
	s_branch .LBB199_1297
.LBB199_1296:
	s_mov_b64 s[0:1], -1
                                        ; implicit-def: $vgpr5
	s_mov_b64 s[4:5], 0
.LBB199_1297:
	s_and_b64 vcc, exec, s[20:21]
	s_cbranch_vccz .LBB199_1301
; %bb.1298:
	s_cmp_eq_u32 s24, 44
	s_cbranch_scc0 .LBB199_1300
; %bb.1299:
	global_load_ubyte v5, v[0:1], off
	s_movk_i32 s4, 0xff
	v_mov_b32_e32 v8, 0x7e00
	s_mov_b64 s[0:1], 0
	s_waitcnt vmcnt(0)
	v_lshlrev_b32_e32 v7, 23, v5
	v_cvt_f16_f32_e32 v7, v7
	v_cmp_ne_u32_e32 vcc, s4, v5
	s_mov_b64 s[4:5], -1
	v_cndmask_b32_e32 v7, v8, v7, vcc
	v_cmp_ne_u32_e32 vcc, 0, v5
	v_cndmask_b32_e32 v5, 0, v7, vcc
	s_branch .LBB199_1301
.LBB199_1300:
	s_mov_b64 s[0:1], -1
                                        ; implicit-def: $vgpr5
.LBB199_1301:
	s_mov_b64 s[20:21], 0
.LBB199_1302:
	s_and_b64 vcc, exec, s[20:21]
	s_cbranch_vccz .LBB199_1306
; %bb.1303:
	s_cmp_eq_u32 s24, 29
	s_cbranch_scc0 .LBB199_1305
; %bb.1304:
	global_load_dwordx2 v[7:8], v[0:1], off
	s_mov_b64 s[0:1], 0
	s_mov_b64 s[4:5], -1
	s_mov_b64 s[20:21], 0
	s_waitcnt vmcnt(0)
	v_ffbh_u32_e32 v5, v8
	v_min_u32_e32 v5, 32, v5
	v_lshlrev_b64 v[7:8], v5, v[7:8]
	v_sub_u32_e32 v5, 32, v5
	v_min_u32_e32 v7, 1, v7
	v_or_b32_e32 v7, v8, v7
	v_cvt_f32_u32_e32 v7, v7
	v_ldexp_f32 v5, v7, v5
	v_cvt_f16_f32_e32 v5, v5
	s_branch .LBB199_1307
.LBB199_1305:
	s_mov_b64 s[0:1], -1
                                        ; implicit-def: $vgpr5
.LBB199_1306:
	s_mov_b64 s[20:21], 0
.LBB199_1307:
	s_and_b64 vcc, exec, s[20:21]
	s_cbranch_vccz .LBB199_1325
; %bb.1308:
	s_cmp_lt_i32 s24, 27
	s_cbranch_scc1 .LBB199_1311
; %bb.1309:
	s_cmp_gt_i32 s24, 27
	s_cbranch_scc0 .LBB199_1312
; %bb.1310:
	global_load_dword v5, v[0:1], off
	s_mov_b64 s[4:5], 0
	s_waitcnt vmcnt(0)
	v_cvt_f32_u32_e32 v5, v5
	v_cvt_f16_f32_e32 v5, v5
	s_branch .LBB199_1313
.LBB199_1311:
	s_mov_b64 s[4:5], -1
                                        ; implicit-def: $vgpr5
	s_branch .LBB199_1316
.LBB199_1312:
	s_mov_b64 s[4:5], -1
                                        ; implicit-def: $vgpr5
.LBB199_1313:
	s_andn2_b64 vcc, exec, s[4:5]
	s_cbranch_vccnz .LBB199_1315
; %bb.1314:
	global_load_ushort v5, v[0:1], off
	s_waitcnt vmcnt(0)
	v_cvt_f16_u16_e32 v5, v5
.LBB199_1315:
	s_mov_b64 s[4:5], 0
.LBB199_1316:
	s_andn2_b64 vcc, exec, s[4:5]
	s_cbranch_vccnz .LBB199_1324
; %bb.1317:
	global_load_ubyte v7, v[0:1], off
	s_movk_i32 s4, 0x7f
	s_waitcnt vmcnt(0)
	v_cmp_lt_i16_e32 vcc, s4, v7
	s_mov_b64 s[4:5], 0
	s_and_saveexec_b64 s[20:21], vcc
	s_xor_b64 s[20:21], exec, s[20:21]
	s_cbranch_execz .LBB199_1338
; %bb.1318:
	s_movk_i32 s4, 0x80
	v_cmp_eq_u16_e32 vcc, s4, v7
	s_mov_b64 s[4:5], -1
	s_and_saveexec_b64 s[22:23], vcc
; %bb.1319:
	s_xor_b64 s[4:5], exec, -1
; %bb.1320:
	s_or_b64 exec, exec, s[22:23]
	s_and_b64 s[4:5], s[4:5], exec
	s_or_saveexec_b64 s[20:21], s[20:21]
	v_mov_b32_e32 v5, 0x7e00
	s_xor_b64 exec, exec, s[20:21]
	s_cbranch_execnz .LBB199_1339
.LBB199_1321:
	s_or_b64 exec, exec, s[20:21]
	s_and_saveexec_b64 s[20:21], s[4:5]
	s_cbranch_execz .LBB199_1323
.LBB199_1322:
	v_lshlrev_b32_e32 v5, 24, v7
	v_and_b32_e32 v7, 0xffff, v7
	v_and_b32_e32 v8, 7, v7
	v_ffbh_u32_e32 v10, v8
	v_min_u32_e32 v10, 32, v10
	v_subrev_u32_e32 v11, 28, v10
	v_bfe_u32 v9, v7, 3, 4
	v_lshlrev_b32_e32 v7, v11, v7
	v_sub_u32_e32 v10, 29, v10
	v_and_b32_e32 v7, 7, v7
	v_cmp_eq_u32_e32 vcc, 0, v9
	v_cndmask_b32_e32 v9, v9, v10, vcc
	v_cndmask_b32_e32 v7, v8, v7, vcc
	v_mov_b32_e32 v8, 0x3b800000
	v_lshlrev_b32_e32 v7, 20, v7
	v_and_b32_e32 v5, 0x80000000, v5
	v_lshl_add_u32 v8, v9, 23, v8
	v_or3_b32 v5, v5, v8, v7
	v_cvt_f16_f32_e32 v5, v5
.LBB199_1323:
	s_or_b64 exec, exec, s[20:21]
.LBB199_1324:
	s_mov_b64 s[4:5], -1
.LBB199_1325:
	s_mov_b64 s[20:21], 0
.LBB199_1326:
	s_and_b64 vcc, exec, s[20:21]
	s_cbranch_vccz .LBB199_1359
; %bb.1327:
	s_cmp_gt_i32 s24, 22
	s_cbranch_scc0 .LBB199_1337
; %bb.1328:
	s_cmp_lt_i32 s24, 24
	s_cbranch_scc1 .LBB199_1340
; %bb.1329:
	s_cmp_gt_i32 s24, 24
	s_cbranch_scc0 .LBB199_1341
; %bb.1330:
	global_load_ubyte v7, v[0:1], off
	s_movk_i32 s2, 0x7f
	s_waitcnt vmcnt(0)
	v_cmp_lt_i16_e32 vcc, s2, v7
	s_mov_b64 s[2:3], 0
	s_and_saveexec_b64 s[4:5], vcc
	s_xor_b64 s[4:5], exec, s[4:5]
	s_cbranch_execz .LBB199_1353
; %bb.1331:
	s_movk_i32 s2, 0x80
	v_cmp_eq_u16_e32 vcc, s2, v7
	s_mov_b64 s[2:3], -1
	s_and_saveexec_b64 s[20:21], vcc
; %bb.1332:
	s_xor_b64 s[2:3], exec, -1
; %bb.1333:
	s_or_b64 exec, exec, s[20:21]
	s_and_b64 s[2:3], s[2:3], exec
	s_or_saveexec_b64 s[4:5], s[4:5]
	v_mov_b32_e32 v5, 0x7e00
	s_xor_b64 exec, exec, s[4:5]
	s_cbranch_execnz .LBB199_1354
.LBB199_1334:
	s_or_b64 exec, exec, s[4:5]
	s_and_saveexec_b64 s[4:5], s[2:3]
	s_cbranch_execz .LBB199_1336
.LBB199_1335:
	v_lshlrev_b32_e32 v5, 24, v7
	v_and_b32_e32 v7, 0xffff, v7
	v_and_b32_e32 v8, 3, v7
	v_ffbh_u32_e32 v10, v8
	v_min_u32_e32 v10, 32, v10
	v_subrev_u32_e32 v11, 29, v10
	v_bfe_u32 v9, v7, 2, 5
	v_lshlrev_b32_e32 v7, v11, v7
	v_sub_u32_e32 v10, 30, v10
	v_and_b32_e32 v7, 3, v7
	v_cmp_eq_u32_e32 vcc, 0, v9
	v_cndmask_b32_e32 v9, v9, v10, vcc
	v_cndmask_b32_e32 v7, v8, v7, vcc
	v_mov_b32_e32 v8, 0x37800000
	v_lshlrev_b32_e32 v7, 21, v7
	v_and_b32_e32 v5, 0x80000000, v5
	v_lshl_add_u32 v8, v9, 23, v8
	v_or3_b32 v5, v5, v8, v7
	v_cvt_f16_f32_e32 v5, v5
.LBB199_1336:
	s_or_b64 exec, exec, s[4:5]
	s_mov_b64 s[2:3], 0
	s_branch .LBB199_1342
.LBB199_1337:
	s_mov_b64 s[2:3], -1
                                        ; implicit-def: $vgpr5
	s_branch .LBB199_1348
.LBB199_1338:
	s_or_saveexec_b64 s[20:21], s[20:21]
	v_mov_b32_e32 v5, 0x7e00
	s_xor_b64 exec, exec, s[20:21]
	s_cbranch_execz .LBB199_1321
.LBB199_1339:
	v_cmp_ne_u16_e32 vcc, 0, v7
	s_andn2_b64 s[4:5], s[4:5], exec
	s_and_b64 s[22:23], vcc, exec
	s_or_b64 s[4:5], s[4:5], s[22:23]
	v_mov_b32_e32 v5, v7
	s_or_b64 exec, exec, s[20:21]
	s_and_saveexec_b64 s[20:21], s[4:5]
	s_cbranch_execnz .LBB199_1322
	s_branch .LBB199_1323
.LBB199_1340:
	s_mov_b64 s[2:3], -1
                                        ; implicit-def: $vgpr5
	s_branch .LBB199_1345
.LBB199_1341:
	s_mov_b64 s[2:3], -1
                                        ; implicit-def: $vgpr5
.LBB199_1342:
	s_and_b64 vcc, exec, s[2:3]
	s_cbranch_vccz .LBB199_1344
; %bb.1343:
	global_load_ubyte v5, v[0:1], off
	s_mov_b32 s2, 0x7f800000
	s_waitcnt vmcnt(0)
	v_lshlrev_b32_e32 v5, 24, v5
	v_and_b32_e32 v7, 0x7f000000, v5
	v_ffbh_u32_e32 v8, v7
	v_min_u32_e32 v8, 32, v8
	v_sub_u32_e64 v8, v8, 4 clamp
	v_lshlrev_b32_e32 v10, v8, v7
	v_lshlrev_b32_e32 v8, 23, v8
	v_lshrrev_b32_e32 v10, 4, v10
	v_add_u32_e32 v9, 0x1000000, v7
	v_sub_u32_e32 v8, v10, v8
	v_ashrrev_i32_e32 v9, 8, v9
	v_add_u32_e32 v8, 0x3c000000, v8
	v_and_or_b32 v8, v9, s2, v8
	v_cmp_ne_u32_e32 vcc, 0, v7
	v_cndmask_b32_e32 v7, 0, v8, vcc
	s_brev_b32 s2, 1
	v_and_or_b32 v5, v5, s2, v7
	v_cvt_f16_f32_e32 v5, v5
.LBB199_1344:
	s_mov_b64 s[2:3], 0
.LBB199_1345:
	s_andn2_b64 vcc, exec, s[2:3]
	s_cbranch_vccnz .LBB199_1347
; %bb.1346:
	global_load_ubyte v5, v[0:1], off
	s_movk_i32 s2, 0x7f00
	s_brev_b32 s3, 16
	s_waitcnt vmcnt(0)
	v_lshlrev_b16_e32 v7, 8, v5
	v_lshlrev_b32_e32 v5, 25, v5
	v_lshrrev_b32_e32 v8, 4, v5
	v_and_or_b32 v9, v7, s2, 0.5
	v_or_b32_e32 v8, 0x70000000, v8
	v_add_f32_e32 v9, -0.5, v9
	v_mul_f32_e32 v8, 0x7800000, v8
	v_cmp_gt_u32_e32 vcc, s3, v5
	v_bfe_i32 v7, v7, 0, 16
	v_cndmask_b32_e32 v5, v8, v9, vcc
	s_brev_b32 s2, 1
	v_and_or_b32 v5, v7, s2, v5
	v_cvt_f16_f32_e32 v5, v5
.LBB199_1347:
	s_mov_b64 s[2:3], 0
	s_mov_b64 s[4:5], -1
.LBB199_1348:
	s_andn2_b64 vcc, exec, s[2:3]
	s_mov_b64 s[2:3], 0
	s_cbranch_vccnz .LBB199_1359
; %bb.1349:
	s_cmp_gt_i32 s24, 14
	s_cbranch_scc0 .LBB199_1352
; %bb.1350:
	s_cmp_eq_u32 s24, 15
	s_cbranch_scc0 .LBB199_1355
; %bb.1351:
	global_load_ushort v5, v[0:1], off
	s_mov_b64 s[0:1], 0
	s_mov_b64 s[4:5], -1
	s_waitcnt vmcnt(0)
	v_lshlrev_b32_e32 v5, 16, v5
	v_cvt_f16_f32_e32 v5, v5
	s_branch .LBB199_1356
.LBB199_1352:
	s_mov_b64 s[20:21], -1
                                        ; implicit-def: $vgpr5
	s_branch .LBB199_1357
.LBB199_1353:
	s_or_saveexec_b64 s[4:5], s[4:5]
	v_mov_b32_e32 v5, 0x7e00
	s_xor_b64 exec, exec, s[4:5]
	s_cbranch_execz .LBB199_1334
.LBB199_1354:
	v_cmp_ne_u16_e32 vcc, 0, v7
	s_andn2_b64 s[2:3], s[2:3], exec
	s_and_b64 s[20:21], vcc, exec
	s_or_b64 s[2:3], s[2:3], s[20:21]
	v_mov_b32_e32 v5, v7
	s_or_b64 exec, exec, s[4:5]
	s_and_saveexec_b64 s[4:5], s[2:3]
	s_cbranch_execnz .LBB199_1335
	s_branch .LBB199_1336
.LBB199_1355:
	s_mov_b64 s[0:1], -1
                                        ; implicit-def: $vgpr5
.LBB199_1356:
	s_mov_b64 s[20:21], 0
.LBB199_1357:
	s_and_b64 vcc, exec, s[20:21]
	s_cbranch_vccz .LBB199_1359
; %bb.1358:
	s_cmp_lg_u32 s24, 11
	s_mov_b64 s[2:3], -1
	s_cselect_b64 s[0:1], -1, 0
.LBB199_1359:
	s_and_b64 vcc, exec, s[0:1]
	s_cbranch_vccnz .LBB199_1422
; %bb.1360:
	s_andn2_b64 vcc, exec, s[2:3]
	s_cbranch_vccnz .LBB199_1362
.LBB199_1361:
	global_load_ubyte v5, v[0:1], off
	v_mov_b32_e32 v7, 0x3c00
	s_mov_b64 s[4:5], -1
	s_waitcnt vmcnt(0)
	v_cmp_ne_u16_e32 vcc, 0, v5
	v_cndmask_b32_e32 v5, 0, v7, vcc
.LBB199_1362:
	s_branch .LBB199_1290
.LBB199_1363:
	s_cmp_lt_i32 s24, 5
	s_cbranch_scc1 .LBB199_1368
; %bb.1364:
	s_cmp_lt_i32 s24, 8
	s_cbranch_scc1 .LBB199_1369
; %bb.1365:
	;; [unrolled: 3-line block ×3, first 2 shown]
	s_cmp_gt_i32 s24, 9
	s_cbranch_scc0 .LBB199_1371
; %bb.1367:
	global_load_dwordx2 v[7:8], v[0:1], off
	s_movk_i32 s0, 0x1ff
	s_movk_i32 s1, 0xffe
	v_mov_b32_e32 v5, 0x7c00
	v_mov_b32_e32 v9, 0x7e00
	s_movk_i32 s2, 0x40f
	s_mov_b32 s3, 0x8000
	s_waitcnt vmcnt(0)
	v_and_or_b32 v7, v8, s0, v7
	v_cmp_ne_u32_e32 vcc, 0, v7
	v_lshrrev_b32_e32 v10, 8, v8
	v_bfe_u32 v11, v8, 20, 11
	v_cndmask_b32_e64 v7, 0, 1, vcc
	v_sub_u32_e32 v12, 0x3f1, v11
	v_and_or_b32 v7, v10, s1, v7
	v_add_u32_e32 v11, 0xfffffc10, v11
	v_med3_i32 v10, v12, 0, 13
	v_or_b32_e32 v12, 0x1000, v7
	v_cmp_ne_u32_e32 vcc, 0, v7
	v_lshl_or_b32 v13, v11, 12, v7
	v_cndmask_b32_e32 v7, v5, v9, vcc
	v_lshrrev_b32_e32 v9, v10, v12
	v_lshlrev_b32_e32 v10, v10, v9
	v_cmp_ne_u32_e32 vcc, v10, v12
	v_cndmask_b32_e64 v10, 0, 1, vcc
	v_or_b32_e32 v9, v9, v10
	v_cmp_gt_i32_e32 vcc, 1, v11
	v_cndmask_b32_e32 v9, v13, v9, vcc
	v_and_b32_e32 v10, 7, v9
	v_cmp_lt_i32_e32 vcc, 5, v10
	v_cndmask_b32_e64 v12, 0, 1, vcc
	v_cmp_eq_u32_e32 vcc, 3, v10
	v_cndmask_b32_e64 v10, 0, 1, vcc
	v_lshrrev_b32_e32 v9, 2, v9
	v_or_b32_e32 v10, v10, v12
	v_add_u32_e32 v9, v9, v10
	v_cmp_gt_i32_e32 vcc, 31, v11
	v_cndmask_b32_e32 v5, v5, v9, vcc
	v_cmp_eq_u32_e32 vcc, s2, v11
	v_lshrrev_b32_e32 v8, 16, v8
	v_cndmask_b32_e32 v5, v5, v7, vcc
	v_and_or_b32 v5, v8, s3, v5
	s_mov_b64 s[0:1], 0
	s_branch .LBB199_1372
.LBB199_1368:
	s_mov_b64 s[0:1], -1
                                        ; implicit-def: $vgpr5
	s_branch .LBB199_1390
.LBB199_1369:
	s_mov_b64 s[0:1], -1
                                        ; implicit-def: $vgpr5
	s_branch .LBB199_1378
.LBB199_1370:
	s_mov_b64 s[0:1], -1
                                        ; implicit-def: $vgpr5
	s_branch .LBB199_1375
.LBB199_1371:
	s_mov_b64 s[0:1], -1
                                        ; implicit-def: $vgpr5
.LBB199_1372:
	s_andn2_b64 vcc, exec, s[0:1]
	s_cbranch_vccnz .LBB199_1374
; %bb.1373:
	global_load_dword v5, v[0:1], off
	s_waitcnt vmcnt(0)
	v_cvt_f16_f32_e32 v5, v5
.LBB199_1374:
	s_mov_b64 s[0:1], 0
.LBB199_1375:
	s_andn2_b64 vcc, exec, s[0:1]
	s_cbranch_vccnz .LBB199_1377
; %bb.1376:
	global_load_dword v5, v[0:1], off
.LBB199_1377:
	s_mov_b64 s[0:1], 0
.LBB199_1378:
	s_andn2_b64 vcc, exec, s[0:1]
	s_cbranch_vccnz .LBB199_1389
; %bb.1379:
	s_cmp_lt_i32 s24, 6
	s_cbranch_scc1 .LBB199_1382
; %bb.1380:
	s_cmp_gt_i32 s24, 6
	s_cbranch_scc0 .LBB199_1383
; %bb.1381:
	global_load_dwordx2 v[7:8], v[0:1], off
	s_movk_i32 s0, 0x1ff
	s_movk_i32 s1, 0xffe
	s_waitcnt vmcnt(1)
	v_mov_b32_e32 v5, 0x7c00
	v_mov_b32_e32 v9, 0x7e00
	s_movk_i32 s2, 0x40f
	s_mov_b32 s3, 0x8000
	s_waitcnt vmcnt(0)
	v_and_or_b32 v7, v8, s0, v7
	v_cmp_ne_u32_e32 vcc, 0, v7
	v_lshrrev_b32_e32 v10, 8, v8
	v_bfe_u32 v11, v8, 20, 11
	v_cndmask_b32_e64 v7, 0, 1, vcc
	v_sub_u32_e32 v12, 0x3f1, v11
	v_and_or_b32 v7, v10, s1, v7
	v_add_u32_e32 v11, 0xfffffc10, v11
	v_med3_i32 v10, v12, 0, 13
	v_or_b32_e32 v12, 0x1000, v7
	v_cmp_ne_u32_e32 vcc, 0, v7
	v_lshl_or_b32 v13, v11, 12, v7
	v_cndmask_b32_e32 v7, v5, v9, vcc
	v_lshrrev_b32_e32 v9, v10, v12
	v_lshlrev_b32_e32 v10, v10, v9
	v_cmp_ne_u32_e32 vcc, v10, v12
	v_cndmask_b32_e64 v10, 0, 1, vcc
	v_or_b32_e32 v9, v9, v10
	v_cmp_gt_i32_e32 vcc, 1, v11
	v_cndmask_b32_e32 v9, v13, v9, vcc
	v_and_b32_e32 v10, 7, v9
	v_cmp_lt_i32_e32 vcc, 5, v10
	v_cndmask_b32_e64 v12, 0, 1, vcc
	v_cmp_eq_u32_e32 vcc, 3, v10
	v_cndmask_b32_e64 v10, 0, 1, vcc
	v_lshrrev_b32_e32 v9, 2, v9
	v_or_b32_e32 v10, v10, v12
	v_add_u32_e32 v9, v9, v10
	v_cmp_gt_i32_e32 vcc, 31, v11
	v_cndmask_b32_e32 v5, v5, v9, vcc
	v_cmp_eq_u32_e32 vcc, s2, v11
	v_lshrrev_b32_e32 v8, 16, v8
	v_cndmask_b32_e32 v5, v5, v7, vcc
	v_and_or_b32 v5, v8, s3, v5
	s_mov_b64 s[0:1], 0
	s_branch .LBB199_1384
.LBB199_1382:
	s_mov_b64 s[0:1], -1
                                        ; implicit-def: $vgpr5
	s_branch .LBB199_1387
.LBB199_1383:
	s_mov_b64 s[0:1], -1
                                        ; implicit-def: $vgpr5
.LBB199_1384:
	s_andn2_b64 vcc, exec, s[0:1]
	s_cbranch_vccnz .LBB199_1386
; %bb.1385:
	global_load_dword v5, v[0:1], off
	s_waitcnt vmcnt(0)
	v_cvt_f16_f32_e32 v5, v5
.LBB199_1386:
	s_mov_b64 s[0:1], 0
.LBB199_1387:
	s_andn2_b64 vcc, exec, s[0:1]
	s_cbranch_vccnz .LBB199_1389
; %bb.1388:
	global_load_ushort v5, v[0:1], off
.LBB199_1389:
	s_mov_b64 s[0:1], 0
.LBB199_1390:
	s_andn2_b64 vcc, exec, s[0:1]
	s_cbranch_vccnz .LBB199_1410
; %bb.1391:
	s_cmp_lt_i32 s24, 2
	s_cbranch_scc1 .LBB199_1395
; %bb.1392:
	s_cmp_lt_i32 s24, 3
	s_cbranch_scc1 .LBB199_1396
; %bb.1393:
	s_cmp_gt_i32 s24, 3
	s_cbranch_scc0 .LBB199_1397
; %bb.1394:
	global_load_dwordx2 v[7:8], v[0:1], off
	s_mov_b64 s[0:1], 0
	s_waitcnt vmcnt(0)
	v_xor_b32_e32 v9, v7, v8
	v_ffbh_i32_e32 v5, v8
	v_ashrrev_i32_e32 v9, 31, v9
	v_add_u32_e32 v5, -1, v5
	v_add_u32_e32 v9, 32, v9
	v_min_u32_e32 v5, v5, v9
	v_lshlrev_b64 v[7:8], v5, v[7:8]
	v_sub_u32_e32 v5, 32, v5
	v_min_u32_e32 v7, 1, v7
	v_or_b32_e32 v7, v8, v7
	v_cvt_f32_i32_e32 v7, v7
	v_ldexp_f32 v5, v7, v5
	v_cvt_f16_f32_e32 v5, v5
	s_branch .LBB199_1398
.LBB199_1395:
	s_mov_b64 s[0:1], -1
                                        ; implicit-def: $vgpr5
	s_branch .LBB199_1404
.LBB199_1396:
	s_mov_b64 s[0:1], -1
                                        ; implicit-def: $vgpr5
	s_branch .LBB199_1401
.LBB199_1397:
	s_mov_b64 s[0:1], -1
                                        ; implicit-def: $vgpr5
.LBB199_1398:
	s_andn2_b64 vcc, exec, s[0:1]
	s_cbranch_vccnz .LBB199_1400
; %bb.1399:
	global_load_dword v5, v[0:1], off
	s_waitcnt vmcnt(0)
	v_cvt_f32_i32_e32 v5, v5
	v_cvt_f16_f32_e32 v5, v5
.LBB199_1400:
	s_mov_b64 s[0:1], 0
.LBB199_1401:
	s_andn2_b64 vcc, exec, s[0:1]
	s_cbranch_vccnz .LBB199_1403
; %bb.1402:
	global_load_ushort v5, v[0:1], off
	s_waitcnt vmcnt(0)
	v_cvt_f16_i16_e32 v5, v5
.LBB199_1403:
	s_mov_b64 s[0:1], 0
.LBB199_1404:
	s_andn2_b64 vcc, exec, s[0:1]
	s_cbranch_vccnz .LBB199_1410
; %bb.1405:
	s_cmp_gt_i32 s24, 0
	s_cbranch_scc0 .LBB199_1407
; %bb.1406:
	global_load_sbyte v5, v[0:1], off
	s_mov_b64 s[0:1], 0
	s_waitcnt vmcnt(0)
	v_cvt_f16_i16_e32 v5, v5
	s_branch .LBB199_1408
.LBB199_1407:
	s_mov_b64 s[0:1], -1
                                        ; implicit-def: $vgpr5
.LBB199_1408:
	s_andn2_b64 vcc, exec, s[0:1]
	s_cbranch_vccnz .LBB199_1410
; %bb.1409:
	global_load_ubyte v0, v[0:1], off
	s_waitcnt vmcnt(0)
	v_cvt_f16_u16_e32 v5, v0
.LBB199_1410:
.LBB199_1411:
	v_add_u32_e32 v0, s13, v6
	v_ashrrev_i32_e32 v1, 31, v0
	v_mov_b32_e32 v6, s11
	v_add_co_u32_e32 v0, vcc, s10, v0
	s_cmp_lt_i32 s24, 11
	v_addc_co_u32_e32 v1, vcc, v6, v1, vcc
	s_cbranch_scc1 .LBB199_1418
; %bb.1412:
	s_cmp_gt_i32 s24, 25
	s_mov_b64 s[2:3], 0
	s_cbranch_scc0 .LBB199_1419
; %bb.1413:
	s_cmp_gt_i32 s24, 28
	s_cbranch_scc0 .LBB199_1420
; %bb.1414:
	s_cmp_gt_i32 s24, 43
	;; [unrolled: 3-line block ×3, first 2 shown]
	s_cbranch_scc0 .LBB199_1423
; %bb.1416:
	s_cmp_eq_u32 s24, 46
	s_mov_b64 s[10:11], 0
	s_cbranch_scc0 .LBB199_1424
; %bb.1417:
	global_load_dword v6, v[0:1], off
	s_mov_b64 s[0:1], 0
	s_mov_b64 s[4:5], -1
	s_waitcnt vmcnt(0)
	v_lshlrev_b32_e32 v6, 16, v6
	v_cvt_f16_f32_e32 v6, v6
	s_branch .LBB199_1425
.LBB199_1418:
	s_mov_b64 s[0:1], -1
	s_mov_b64 s[4:5], 0
                                        ; implicit-def: $vgpr6
	s_branch .LBB199_1491
.LBB199_1419:
	s_mov_b64 s[10:11], -1
	s_mov_b64 s[4:5], 0
	s_mov_b64 s[0:1], 0
                                        ; implicit-def: $vgpr6
	s_branch .LBB199_1454
.LBB199_1420:
	s_mov_b64 s[10:11], -1
	s_mov_b64 s[4:5], 0
	s_mov_b64 s[0:1], 0
                                        ; implicit-def: $vgpr6
	s_branch .LBB199_1435
.LBB199_1421:
	s_mov_b64 s[10:11], -1
	s_mov_b64 s[4:5], 0
	s_mov_b64 s[0:1], 0
                                        ; implicit-def: $vgpr6
	s_branch .LBB199_1430
.LBB199_1422:
	s_trap 2
	s_or_b64 s[18:19], s[18:19], exec
	s_cbranch_execz .LBB199_1361
	s_branch .LBB199_1362
.LBB199_1423:
	s_mov_b64 s[10:11], -1
	s_mov_b64 s[4:5], 0
	s_mov_b64 s[0:1], 0
                                        ; implicit-def: $vgpr6
	s_branch .LBB199_1425
.LBB199_1424:
	s_mov_b64 s[0:1], -1
                                        ; implicit-def: $vgpr6
	s_mov_b64 s[4:5], 0
.LBB199_1425:
	s_and_b64 vcc, exec, s[10:11]
	s_cbranch_vccz .LBB199_1429
; %bb.1426:
	s_cmp_eq_u32 s24, 44
	s_cbranch_scc0 .LBB199_1428
; %bb.1427:
	global_load_ubyte v6, v[0:1], off
	s_movk_i32 s4, 0xff
	v_mov_b32_e32 v8, 0x7e00
	s_mov_b64 s[0:1], 0
	s_waitcnt vmcnt(0)
	v_lshlrev_b32_e32 v7, 23, v6
	v_cvt_f16_f32_e32 v7, v7
	v_cmp_ne_u32_e32 vcc, s4, v6
	s_mov_b64 s[4:5], -1
	v_cndmask_b32_e32 v7, v8, v7, vcc
	v_cmp_ne_u32_e32 vcc, 0, v6
	v_cndmask_b32_e32 v6, 0, v7, vcc
	s_branch .LBB199_1429
.LBB199_1428:
	s_mov_b64 s[0:1], -1
                                        ; implicit-def: $vgpr6
.LBB199_1429:
	s_mov_b64 s[10:11], 0
.LBB199_1430:
	s_and_b64 vcc, exec, s[10:11]
	s_cbranch_vccz .LBB199_1434
; %bb.1431:
	s_cmp_eq_u32 s24, 29
	s_cbranch_scc0 .LBB199_1433
; %bb.1432:
	global_load_dwordx2 v[6:7], v[0:1], off
	s_mov_b64 s[0:1], 0
	s_mov_b64 s[4:5], -1
	s_mov_b64 s[10:11], 0
	s_waitcnt vmcnt(0)
	v_ffbh_u32_e32 v8, v7
	v_min_u32_e32 v8, 32, v8
	v_lshlrev_b64 v[6:7], v8, v[6:7]
	v_min_u32_e32 v6, 1, v6
	v_or_b32_e32 v6, v7, v6
	v_cvt_f32_u32_e32 v6, v6
	v_sub_u32_e32 v7, 32, v8
	v_ldexp_f32 v6, v6, v7
	v_cvt_f16_f32_e32 v6, v6
	s_branch .LBB199_1435
.LBB199_1433:
	s_mov_b64 s[0:1], -1
                                        ; implicit-def: $vgpr6
.LBB199_1434:
	s_mov_b64 s[10:11], 0
.LBB199_1435:
	s_and_b64 vcc, exec, s[10:11]
	s_cbranch_vccz .LBB199_1453
; %bb.1436:
	s_cmp_lt_i32 s24, 27
	s_cbranch_scc1 .LBB199_1439
; %bb.1437:
	s_cmp_gt_i32 s24, 27
	s_cbranch_scc0 .LBB199_1440
; %bb.1438:
	global_load_dword v6, v[0:1], off
	s_mov_b64 s[4:5], 0
	s_waitcnt vmcnt(0)
	v_cvt_f32_u32_e32 v6, v6
	v_cvt_f16_f32_e32 v6, v6
	s_branch .LBB199_1441
.LBB199_1439:
	s_mov_b64 s[4:5], -1
                                        ; implicit-def: $vgpr6
	s_branch .LBB199_1444
.LBB199_1440:
	s_mov_b64 s[4:5], -1
                                        ; implicit-def: $vgpr6
.LBB199_1441:
	s_andn2_b64 vcc, exec, s[4:5]
	s_cbranch_vccnz .LBB199_1443
; %bb.1442:
	global_load_ushort v6, v[0:1], off
	s_waitcnt vmcnt(0)
	v_cvt_f16_u16_e32 v6, v6
.LBB199_1443:
	s_mov_b64 s[4:5], 0
.LBB199_1444:
	s_andn2_b64 vcc, exec, s[4:5]
	s_cbranch_vccnz .LBB199_1452
; %bb.1445:
	global_load_ubyte v7, v[0:1], off
	s_movk_i32 s4, 0x7f
	s_waitcnt vmcnt(0)
	v_cmp_lt_i16_e32 vcc, s4, v7
	s_mov_b64 s[4:5], 0
	s_and_saveexec_b64 s[10:11], vcc
	s_xor_b64 s[10:11], exec, s[10:11]
	s_cbranch_execz .LBB199_1466
; %bb.1446:
	s_movk_i32 s4, 0x80
	v_cmp_eq_u16_e32 vcc, s4, v7
	s_mov_b64 s[4:5], -1
	s_and_saveexec_b64 s[20:21], vcc
; %bb.1447:
	s_xor_b64 s[4:5], exec, -1
; %bb.1448:
	s_or_b64 exec, exec, s[20:21]
	s_and_b64 s[4:5], s[4:5], exec
	s_or_saveexec_b64 s[10:11], s[10:11]
	v_mov_b32_e32 v6, 0x7e00
	s_xor_b64 exec, exec, s[10:11]
	s_cbranch_execnz .LBB199_1467
.LBB199_1449:
	s_or_b64 exec, exec, s[10:11]
	s_and_saveexec_b64 s[10:11], s[4:5]
	s_cbranch_execz .LBB199_1451
.LBB199_1450:
	v_lshlrev_b32_e32 v6, 24, v7
	v_and_b32_e32 v7, 0xffff, v7
	v_and_b32_e32 v8, 7, v7
	v_ffbh_u32_e32 v10, v8
	v_min_u32_e32 v10, 32, v10
	v_subrev_u32_e32 v11, 28, v10
	v_bfe_u32 v9, v7, 3, 4
	v_lshlrev_b32_e32 v7, v11, v7
	v_sub_u32_e32 v10, 29, v10
	v_and_b32_e32 v7, 7, v7
	v_cmp_eq_u32_e32 vcc, 0, v9
	v_cndmask_b32_e32 v9, v9, v10, vcc
	v_cndmask_b32_e32 v7, v8, v7, vcc
	v_mov_b32_e32 v8, 0x3b800000
	v_lshlrev_b32_e32 v7, 20, v7
	v_and_b32_e32 v6, 0x80000000, v6
	v_lshl_add_u32 v8, v9, 23, v8
	v_or3_b32 v6, v6, v8, v7
	v_cvt_f16_f32_e32 v6, v6
.LBB199_1451:
	s_or_b64 exec, exec, s[10:11]
.LBB199_1452:
	s_mov_b64 s[4:5], -1
.LBB199_1453:
	s_mov_b64 s[10:11], 0
.LBB199_1454:
	s_and_b64 vcc, exec, s[10:11]
	s_cbranch_vccz .LBB199_1487
; %bb.1455:
	s_cmp_gt_i32 s24, 22
	s_cbranch_scc0 .LBB199_1465
; %bb.1456:
	s_cmp_lt_i32 s24, 24
	s_cbranch_scc1 .LBB199_1468
; %bb.1457:
	s_cmp_gt_i32 s24, 24
	s_cbranch_scc0 .LBB199_1469
; %bb.1458:
	global_load_ubyte v7, v[0:1], off
	s_movk_i32 s2, 0x7f
	s_waitcnt vmcnt(0)
	v_cmp_lt_i16_e32 vcc, s2, v7
	s_mov_b64 s[2:3], 0
	s_and_saveexec_b64 s[4:5], vcc
	s_xor_b64 s[4:5], exec, s[4:5]
	s_cbranch_execz .LBB199_1481
; %bb.1459:
	s_movk_i32 s2, 0x80
	v_cmp_eq_u16_e32 vcc, s2, v7
	s_mov_b64 s[2:3], -1
	s_and_saveexec_b64 s[10:11], vcc
; %bb.1460:
	s_xor_b64 s[2:3], exec, -1
; %bb.1461:
	s_or_b64 exec, exec, s[10:11]
	s_and_b64 s[2:3], s[2:3], exec
	s_or_saveexec_b64 s[4:5], s[4:5]
	v_mov_b32_e32 v6, 0x7e00
	s_xor_b64 exec, exec, s[4:5]
	s_cbranch_execnz .LBB199_1482
.LBB199_1462:
	s_or_b64 exec, exec, s[4:5]
	s_and_saveexec_b64 s[4:5], s[2:3]
	s_cbranch_execz .LBB199_1464
.LBB199_1463:
	v_lshlrev_b32_e32 v6, 24, v7
	v_and_b32_e32 v7, 0xffff, v7
	v_and_b32_e32 v8, 3, v7
	v_ffbh_u32_e32 v10, v8
	v_min_u32_e32 v10, 32, v10
	v_subrev_u32_e32 v11, 29, v10
	v_bfe_u32 v9, v7, 2, 5
	v_lshlrev_b32_e32 v7, v11, v7
	v_sub_u32_e32 v10, 30, v10
	v_and_b32_e32 v7, 3, v7
	v_cmp_eq_u32_e32 vcc, 0, v9
	v_cndmask_b32_e32 v9, v9, v10, vcc
	v_cndmask_b32_e32 v7, v8, v7, vcc
	v_mov_b32_e32 v8, 0x37800000
	v_lshlrev_b32_e32 v7, 21, v7
	v_and_b32_e32 v6, 0x80000000, v6
	v_lshl_add_u32 v8, v9, 23, v8
	v_or3_b32 v6, v6, v8, v7
	v_cvt_f16_f32_e32 v6, v6
.LBB199_1464:
	s_or_b64 exec, exec, s[4:5]
	s_mov_b64 s[2:3], 0
	s_branch .LBB199_1470
.LBB199_1465:
	s_mov_b64 s[2:3], -1
                                        ; implicit-def: $vgpr6
	s_branch .LBB199_1476
.LBB199_1466:
	s_or_saveexec_b64 s[10:11], s[10:11]
	v_mov_b32_e32 v6, 0x7e00
	s_xor_b64 exec, exec, s[10:11]
	s_cbranch_execz .LBB199_1449
.LBB199_1467:
	v_cmp_ne_u16_e32 vcc, 0, v7
	s_andn2_b64 s[4:5], s[4:5], exec
	s_and_b64 s[20:21], vcc, exec
	s_or_b64 s[4:5], s[4:5], s[20:21]
	v_mov_b32_e32 v6, v7
	s_or_b64 exec, exec, s[10:11]
	s_and_saveexec_b64 s[10:11], s[4:5]
	s_cbranch_execnz .LBB199_1450
	s_branch .LBB199_1451
.LBB199_1468:
	s_mov_b64 s[2:3], -1
                                        ; implicit-def: $vgpr6
	s_branch .LBB199_1473
.LBB199_1469:
	s_mov_b64 s[2:3], -1
                                        ; implicit-def: $vgpr6
.LBB199_1470:
	s_and_b64 vcc, exec, s[2:3]
	s_cbranch_vccz .LBB199_1472
; %bb.1471:
	global_load_ubyte v6, v[0:1], off
	s_mov_b32 s2, 0x7f800000
	s_waitcnt vmcnt(0)
	v_lshlrev_b32_e32 v6, 24, v6
	v_and_b32_e32 v7, 0x7f000000, v6
	v_ffbh_u32_e32 v8, v7
	v_min_u32_e32 v8, 32, v8
	v_sub_u32_e64 v8, v8, 4 clamp
	v_lshlrev_b32_e32 v10, v8, v7
	v_lshlrev_b32_e32 v8, 23, v8
	v_lshrrev_b32_e32 v10, 4, v10
	v_add_u32_e32 v9, 0x1000000, v7
	v_sub_u32_e32 v8, v10, v8
	v_ashrrev_i32_e32 v9, 8, v9
	v_add_u32_e32 v8, 0x3c000000, v8
	v_and_or_b32 v8, v9, s2, v8
	v_cmp_ne_u32_e32 vcc, 0, v7
	v_cndmask_b32_e32 v7, 0, v8, vcc
	s_brev_b32 s2, 1
	v_and_or_b32 v6, v6, s2, v7
	v_cvt_f16_f32_e32 v6, v6
.LBB199_1472:
	s_mov_b64 s[2:3], 0
.LBB199_1473:
	s_andn2_b64 vcc, exec, s[2:3]
	s_cbranch_vccnz .LBB199_1475
; %bb.1474:
	global_load_ubyte v6, v[0:1], off
	s_movk_i32 s2, 0x7f00
	s_brev_b32 s3, 16
	s_waitcnt vmcnt(0)
	v_lshlrev_b16_e32 v7, 8, v6
	v_lshlrev_b32_e32 v6, 25, v6
	v_lshrrev_b32_e32 v8, 4, v6
	v_and_or_b32 v9, v7, s2, 0.5
	v_or_b32_e32 v8, 0x70000000, v8
	v_add_f32_e32 v9, -0.5, v9
	v_mul_f32_e32 v8, 0x7800000, v8
	v_cmp_gt_u32_e32 vcc, s3, v6
	v_bfe_i32 v7, v7, 0, 16
	v_cndmask_b32_e32 v6, v8, v9, vcc
	s_brev_b32 s2, 1
	v_and_or_b32 v6, v7, s2, v6
	v_cvt_f16_f32_e32 v6, v6
.LBB199_1475:
	s_mov_b64 s[2:3], 0
	s_mov_b64 s[4:5], -1
.LBB199_1476:
	s_andn2_b64 vcc, exec, s[2:3]
	s_mov_b64 s[2:3], 0
	s_cbranch_vccnz .LBB199_1487
; %bb.1477:
	s_cmp_gt_i32 s24, 14
	s_cbranch_scc0 .LBB199_1480
; %bb.1478:
	s_cmp_eq_u32 s24, 15
	s_cbranch_scc0 .LBB199_1483
; %bb.1479:
	global_load_ushort v6, v[0:1], off
	s_mov_b64 s[0:1], 0
	s_mov_b64 s[4:5], -1
	s_waitcnt vmcnt(0)
	v_lshlrev_b32_e32 v6, 16, v6
	v_cvt_f16_f32_e32 v6, v6
	s_branch .LBB199_1484
.LBB199_1480:
	s_mov_b64 s[10:11], -1
                                        ; implicit-def: $vgpr6
	s_branch .LBB199_1485
.LBB199_1481:
	s_or_saveexec_b64 s[4:5], s[4:5]
	v_mov_b32_e32 v6, 0x7e00
	s_xor_b64 exec, exec, s[4:5]
	s_cbranch_execz .LBB199_1462
.LBB199_1482:
	v_cmp_ne_u16_e32 vcc, 0, v7
	s_andn2_b64 s[2:3], s[2:3], exec
	s_and_b64 s[10:11], vcc, exec
	s_or_b64 s[2:3], s[2:3], s[10:11]
	v_mov_b32_e32 v6, v7
	s_or_b64 exec, exec, s[4:5]
	s_and_saveexec_b64 s[4:5], s[2:3]
	s_cbranch_execnz .LBB199_1463
	s_branch .LBB199_1464
.LBB199_1483:
	s_mov_b64 s[0:1], -1
                                        ; implicit-def: $vgpr6
.LBB199_1484:
	s_mov_b64 s[10:11], 0
.LBB199_1485:
	s_and_b64 vcc, exec, s[10:11]
	s_cbranch_vccz .LBB199_1487
; %bb.1486:
	s_cmp_lg_u32 s24, 11
	s_mov_b64 s[2:3], -1
	s_cselect_b64 s[0:1], -1, 0
.LBB199_1487:
	s_and_b64 vcc, exec, s[0:1]
	s_cbranch_vccnz .LBB199_2020
; %bb.1488:
	s_andn2_b64 vcc, exec, s[2:3]
	s_cbranch_vccnz .LBB199_1490
.LBB199_1489:
	global_load_ubyte v6, v[0:1], off
	v_mov_b32_e32 v7, 0x3c00
	s_mov_b64 s[4:5], -1
	s_waitcnt vmcnt(0)
	v_cmp_ne_u16_e32 vcc, 0, v6
	v_cndmask_b32_e32 v6, 0, v7, vcc
.LBB199_1490:
	s_mov_b64 s[0:1], 0
.LBB199_1491:
	s_and_b64 vcc, exec, s[0:1]
	s_cbranch_vccz .LBB199_1540
; %bb.1492:
	s_cmp_lt_i32 s24, 5
	s_cbranch_scc1 .LBB199_1497
; %bb.1493:
	s_cmp_lt_i32 s24, 8
	s_cbranch_scc1 .LBB199_1498
	;; [unrolled: 3-line block ×3, first 2 shown]
; %bb.1495:
	s_cmp_gt_i32 s24, 9
	s_cbranch_scc0 .LBB199_1500
; %bb.1496:
	global_load_dwordx2 v[6:7], v[0:1], off
	s_movk_i32 s0, 0x1ff
	s_movk_i32 s1, 0xffe
	v_mov_b32_e32 v8, 0x7c00
	v_mov_b32_e32 v9, 0x7e00
	s_movk_i32 s2, 0x40f
	s_mov_b32 s3, 0x8000
	s_waitcnt vmcnt(0)
	v_and_or_b32 v6, v7, s0, v6
	v_cmp_ne_u32_e32 vcc, 0, v6
	v_lshrrev_b32_e32 v10, 8, v7
	v_bfe_u32 v11, v7, 20, 11
	v_cndmask_b32_e64 v6, 0, 1, vcc
	v_sub_u32_e32 v12, 0x3f1, v11
	v_and_or_b32 v6, v10, s1, v6
	v_add_u32_e32 v11, 0xfffffc10, v11
	v_med3_i32 v10, v12, 0, 13
	v_or_b32_e32 v12, 0x1000, v6
	v_cmp_ne_u32_e32 vcc, 0, v6
	v_lshl_or_b32 v13, v11, 12, v6
	v_cndmask_b32_e32 v6, v8, v9, vcc
	v_lshrrev_b32_e32 v9, v10, v12
	v_lshlrev_b32_e32 v10, v10, v9
	v_cmp_ne_u32_e32 vcc, v10, v12
	v_cndmask_b32_e64 v10, 0, 1, vcc
	v_or_b32_e32 v9, v9, v10
	v_cmp_gt_i32_e32 vcc, 1, v11
	v_cndmask_b32_e32 v9, v13, v9, vcc
	v_and_b32_e32 v10, 7, v9
	v_cmp_lt_i32_e32 vcc, 5, v10
	v_cndmask_b32_e64 v12, 0, 1, vcc
	v_cmp_eq_u32_e32 vcc, 3, v10
	v_cndmask_b32_e64 v10, 0, 1, vcc
	v_lshrrev_b32_e32 v9, 2, v9
	v_or_b32_e32 v10, v10, v12
	v_add_u32_e32 v9, v9, v10
	v_cmp_gt_i32_e32 vcc, 31, v11
	v_cndmask_b32_e32 v8, v8, v9, vcc
	v_cmp_eq_u32_e32 vcc, s2, v11
	v_lshrrev_b32_e32 v7, 16, v7
	v_cndmask_b32_e32 v6, v8, v6, vcc
	v_and_or_b32 v6, v7, s3, v6
	s_mov_b64 s[0:1], 0
	s_branch .LBB199_1501
.LBB199_1497:
	s_mov_b64 s[0:1], -1
                                        ; implicit-def: $vgpr6
	s_branch .LBB199_1519
.LBB199_1498:
	s_mov_b64 s[0:1], -1
                                        ; implicit-def: $vgpr6
	s_branch .LBB199_1507
.LBB199_1499:
	s_mov_b64 s[0:1], -1
                                        ; implicit-def: $vgpr6
	s_branch .LBB199_1504
.LBB199_1500:
	s_mov_b64 s[0:1], -1
                                        ; implicit-def: $vgpr6
.LBB199_1501:
	s_andn2_b64 vcc, exec, s[0:1]
	s_cbranch_vccnz .LBB199_1503
; %bb.1502:
	global_load_dword v6, v[0:1], off
	s_waitcnt vmcnt(0)
	v_cvt_f16_f32_e32 v6, v6
.LBB199_1503:
	s_mov_b64 s[0:1], 0
.LBB199_1504:
	s_andn2_b64 vcc, exec, s[0:1]
	s_cbranch_vccnz .LBB199_1506
; %bb.1505:
	global_load_dword v6, v[0:1], off
.LBB199_1506:
	s_mov_b64 s[0:1], 0
.LBB199_1507:
	s_andn2_b64 vcc, exec, s[0:1]
	s_cbranch_vccnz .LBB199_1518
; %bb.1508:
	s_cmp_lt_i32 s24, 6
	s_cbranch_scc1 .LBB199_1511
; %bb.1509:
	s_cmp_gt_i32 s24, 6
	s_cbranch_scc0 .LBB199_1512
; %bb.1510:
	global_load_dwordx2 v[6:7], v[0:1], off
	s_movk_i32 s0, 0x1ff
	s_movk_i32 s1, 0xffe
	v_mov_b32_e32 v8, 0x7c00
	v_mov_b32_e32 v9, 0x7e00
	s_movk_i32 s2, 0x40f
	s_mov_b32 s3, 0x8000
	s_waitcnt vmcnt(0)
	v_and_or_b32 v6, v7, s0, v6
	v_cmp_ne_u32_e32 vcc, 0, v6
	v_lshrrev_b32_e32 v10, 8, v7
	v_bfe_u32 v11, v7, 20, 11
	v_cndmask_b32_e64 v6, 0, 1, vcc
	v_sub_u32_e32 v12, 0x3f1, v11
	v_and_or_b32 v6, v10, s1, v6
	v_add_u32_e32 v11, 0xfffffc10, v11
	v_med3_i32 v10, v12, 0, 13
	v_or_b32_e32 v12, 0x1000, v6
	v_cmp_ne_u32_e32 vcc, 0, v6
	v_lshl_or_b32 v13, v11, 12, v6
	v_cndmask_b32_e32 v6, v8, v9, vcc
	v_lshrrev_b32_e32 v9, v10, v12
	v_lshlrev_b32_e32 v10, v10, v9
	v_cmp_ne_u32_e32 vcc, v10, v12
	v_cndmask_b32_e64 v10, 0, 1, vcc
	v_or_b32_e32 v9, v9, v10
	v_cmp_gt_i32_e32 vcc, 1, v11
	v_cndmask_b32_e32 v9, v13, v9, vcc
	v_and_b32_e32 v10, 7, v9
	v_cmp_lt_i32_e32 vcc, 5, v10
	v_cndmask_b32_e64 v12, 0, 1, vcc
	v_cmp_eq_u32_e32 vcc, 3, v10
	v_cndmask_b32_e64 v10, 0, 1, vcc
	v_lshrrev_b32_e32 v9, 2, v9
	v_or_b32_e32 v10, v10, v12
	v_add_u32_e32 v9, v9, v10
	v_cmp_gt_i32_e32 vcc, 31, v11
	v_cndmask_b32_e32 v8, v8, v9, vcc
	v_cmp_eq_u32_e32 vcc, s2, v11
	v_lshrrev_b32_e32 v7, 16, v7
	v_cndmask_b32_e32 v6, v8, v6, vcc
	v_and_or_b32 v6, v7, s3, v6
	s_mov_b64 s[0:1], 0
	s_branch .LBB199_1513
.LBB199_1511:
	s_mov_b64 s[0:1], -1
                                        ; implicit-def: $vgpr6
	s_branch .LBB199_1516
.LBB199_1512:
	s_mov_b64 s[0:1], -1
                                        ; implicit-def: $vgpr6
.LBB199_1513:
	s_andn2_b64 vcc, exec, s[0:1]
	s_cbranch_vccnz .LBB199_1515
; %bb.1514:
	global_load_dword v6, v[0:1], off
	s_waitcnt vmcnt(0)
	v_cvt_f16_f32_e32 v6, v6
.LBB199_1515:
	s_mov_b64 s[0:1], 0
.LBB199_1516:
	s_andn2_b64 vcc, exec, s[0:1]
	s_cbranch_vccnz .LBB199_1518
; %bb.1517:
	global_load_ushort v6, v[0:1], off
.LBB199_1518:
	s_mov_b64 s[0:1], 0
.LBB199_1519:
	s_andn2_b64 vcc, exec, s[0:1]
	s_cbranch_vccnz .LBB199_1539
; %bb.1520:
	s_cmp_lt_i32 s24, 2
	s_cbranch_scc1 .LBB199_1524
; %bb.1521:
	s_cmp_lt_i32 s24, 3
	s_cbranch_scc1 .LBB199_1525
; %bb.1522:
	s_cmp_gt_i32 s24, 3
	s_cbranch_scc0 .LBB199_1526
; %bb.1523:
	global_load_dwordx2 v[6:7], v[0:1], off
	s_mov_b64 s[0:1], 0
	s_waitcnt vmcnt(0)
	v_xor_b32_e32 v9, v6, v7
	v_ffbh_i32_e32 v8, v7
	v_ashrrev_i32_e32 v9, 31, v9
	v_add_u32_e32 v8, -1, v8
	v_add_u32_e32 v9, 32, v9
	v_min_u32_e32 v8, v8, v9
	v_lshlrev_b64 v[6:7], v8, v[6:7]
	v_min_u32_e32 v6, 1, v6
	v_or_b32_e32 v6, v7, v6
	v_cvt_f32_i32_e32 v6, v6
	v_sub_u32_e32 v7, 32, v8
	v_ldexp_f32 v6, v6, v7
	v_cvt_f16_f32_e32 v6, v6
	s_branch .LBB199_1527
.LBB199_1524:
	s_mov_b64 s[0:1], -1
                                        ; implicit-def: $vgpr6
	s_branch .LBB199_1533
.LBB199_1525:
	s_mov_b64 s[0:1], -1
                                        ; implicit-def: $vgpr6
	s_branch .LBB199_1530
.LBB199_1526:
	s_mov_b64 s[0:1], -1
                                        ; implicit-def: $vgpr6
.LBB199_1527:
	s_andn2_b64 vcc, exec, s[0:1]
	s_cbranch_vccnz .LBB199_1529
; %bb.1528:
	global_load_dword v6, v[0:1], off
	s_waitcnt vmcnt(0)
	v_cvt_f32_i32_e32 v6, v6
	v_cvt_f16_f32_e32 v6, v6
.LBB199_1529:
	s_mov_b64 s[0:1], 0
.LBB199_1530:
	s_andn2_b64 vcc, exec, s[0:1]
	s_cbranch_vccnz .LBB199_1532
; %bb.1531:
	global_load_ushort v6, v[0:1], off
	s_waitcnt vmcnt(0)
	v_cvt_f16_i16_e32 v6, v6
.LBB199_1532:
	s_mov_b64 s[0:1], 0
.LBB199_1533:
	s_andn2_b64 vcc, exec, s[0:1]
	s_cbranch_vccnz .LBB199_1539
; %bb.1534:
	s_cmp_gt_i32 s24, 0
	s_cbranch_scc0 .LBB199_1536
; %bb.1535:
	global_load_sbyte v6, v[0:1], off
	s_mov_b64 s[0:1], 0
	s_waitcnt vmcnt(0)
	v_cvt_f16_i16_e32 v6, v6
	s_branch .LBB199_1537
.LBB199_1536:
	s_mov_b64 s[0:1], -1
                                        ; implicit-def: $vgpr6
.LBB199_1537:
	s_andn2_b64 vcc, exec, s[0:1]
	s_cbranch_vccnz .LBB199_1539
; %bb.1538:
	global_load_ubyte v0, v[0:1], off
	s_waitcnt vmcnt(0)
	v_cvt_f16_u16_e32 v6, v0
.LBB199_1539:
	s_mov_b64 s[4:5], -1
.LBB199_1540:
	s_andn2_b64 vcc, exec, s[4:5]
	s_cbranch_vccnz .LBB199_1974
; %bb.1541:
	v_mul_lo_u32 v2, s12, v2
	v_mov_b32_e32 v0, s14
	v_mov_b32_e32 v1, s33
	v_cmp_le_f16_e64 s[0:1], s15, v0
	s_waitcnt vmcnt(0)
	v_cndmask_b32_e64 v3, v3, v1, s[0:1]
	v_ashrrev_i32_e32 v1, 31, v2
	v_mov_b32_e32 v7, s9
	s_and_b32 s22, s46, 0xff
	v_add_co_u32_e32 v0, vcc, s8, v2
	s_cmp_lt_i32 s22, 11
	v_addc_co_u32_e32 v1, vcc, v7, v1, vcc
	s_cbranch_scc1 .LBB199_1619
; %bb.1542:
	s_and_b32 s13, 0xffff, s22
	s_mov_b64 s[14:15], -1
	s_mov_b64 s[4:5], 0
	s_cmp_gt_i32 s13, 25
	s_mov_b64 s[10:11], 0
	s_mov_b64 s[2:3], 0
	s_cbranch_scc0 .LBB199_1575
; %bb.1543:
	s_cmp_gt_i32 s13, 28
	s_cbranch_scc0 .LBB199_1558
; %bb.1544:
	s_cmp_gt_i32 s13, 43
	s_cbranch_scc0 .LBB199_1554
; %bb.1545:
	s_cmp_gt_i32 s13, 45
	s_cbranch_scc0 .LBB199_1548
; %bb.1546:
	s_mov_b64 s[2:3], -1
	s_mov_b64 s[14:15], 0
	s_cmp_eq_u32 s13, 46
	s_cbranch_scc0 .LBB199_1548
; %bb.1547:
	v_cvt_f32_f16_e32 v7, v3
	s_movk_i32 s2, 0x7fff
	v_cmp_o_f16_e32 vcc, v3, v3
	v_mov_b32_e32 v8, 0x7fc0
	v_bfe_u32 v9, v7, 16, 1
	v_add3_u32 v7, v7, v9, s2
	v_cndmask_b32_sdwa v7, v8, v7, vcc dst_sel:DWORD dst_unused:UNUSED_PAD src0_sel:DWORD src1_sel:WORD_1
	global_store_dword v[0:1], v7, off
	s_mov_b64 s[2:3], 0
	s_mov_b64 s[10:11], -1
.LBB199_1548:
	s_and_b64 vcc, exec, s[14:15]
	s_cbranch_vccz .LBB199_1553
; %bb.1549:
	s_cmp_eq_u32 s13, 44
	s_mov_b64 s[2:3], -1
	s_cbranch_scc0 .LBB199_1553
; %bb.1550:
	v_cvt_f32_f16_e32 v7, v3
	s_movk_i32 s2, 0xff
	v_mov_b32_e32 v9, 0xff
	v_bfe_u32 v8, v7, 23, 8
	v_cmp_ne_u32_e32 vcc, s2, v8
	s_and_saveexec_b64 s[10:11], vcc
; %bb.1551:
	s_mov_b32 s2, 0x3fffff
	v_lshrrev_b32_e32 v9, 23, v7
	v_and_b32_e32 v10, 0x400000, v7
	v_and_or_b32 v7, v7, s2, v8
	v_cmp_ne_u32_e32 vcc, 0, v10
	v_cmp_ne_u32_e64 s[2:3], 0, v7
	s_and_b64 s[2:3], vcc, s[2:3]
	v_cndmask_b32_e64 v7, 0, 1, s[2:3]
	v_add_u32_e32 v9, v9, v7
; %bb.1552:
	s_or_b64 exec, exec, s[10:11]
	s_mov_b64 s[2:3], 0
	s_mov_b64 s[10:11], -1
	global_store_byte v[0:1], v9, off
.LBB199_1553:
	s_mov_b64 s[14:15], 0
.LBB199_1554:
	s_and_b64 vcc, exec, s[14:15]
	s_cbranch_vccz .LBB199_1557
; %bb.1555:
	s_cmp_eq_u32 s13, 29
	s_mov_b64 s[2:3], -1
	s_cbranch_scc0 .LBB199_1557
; %bb.1556:
	v_cvt_f32_f16_e32 v7, v3
	v_mov_b32_e32 v8, 0
	s_mov_b64 s[2:3], 0
	s_mov_b64 s[10:11], -1
	v_cvt_u32_f32_e32 v7, v7
	global_store_dwordx2 v[0:1], v[7:8], off
.LBB199_1557:
	s_mov_b64 s[14:15], 0
.LBB199_1558:
	s_and_b64 vcc, exec, s[14:15]
	s_cbranch_vccz .LBB199_1574
; %bb.1559:
	s_cmp_lt_i32 s13, 27
	s_mov_b64 s[10:11], -1
	s_cbranch_scc1 .LBB199_1565
; %bb.1560:
	s_cmp_gt_i32 s13, 27
	s_cbranch_scc0 .LBB199_1562
; %bb.1561:
	v_cvt_f32_f16_e32 v7, v3
	s_mov_b64 s[10:11], 0
	v_cvt_u32_f32_e32 v7, v7
	global_store_dword v[0:1], v7, off
.LBB199_1562:
	s_andn2_b64 vcc, exec, s[10:11]
	s_cbranch_vccnz .LBB199_1564
; %bb.1563:
	v_cvt_u16_f16_e32 v7, v3
	global_store_short v[0:1], v7, off
.LBB199_1564:
	s_mov_b64 s[10:11], 0
.LBB199_1565:
	s_andn2_b64 vcc, exec, s[10:11]
	s_cbranch_vccnz .LBB199_1573
; %bb.1566:
	v_cvt_f32_f16_e32 v7, v3
	s_mov_b32 s10, 0x43800000
	v_mov_b32_e32 v9, 0x80
	v_and_b32_e32 v8, 0x7fffffff, v7
	v_cmp_gt_u32_e32 vcc, s10, v8
	s_and_saveexec_b64 s[10:11], vcc
	s_cbranch_execz .LBB199_1572
; %bb.1567:
	s_mov_b32 s14, 0x3bffffff
	v_cmp_lt_u32_e32 vcc, s14, v8
	s_mov_b64 s[14:15], 0
                                        ; implicit-def: $vgpr8
	s_and_saveexec_b64 s[20:21], vcc
	s_xor_b64 s[20:21], exec, s[20:21]
	s_cbranch_execz .LBB199_2021
; %bb.1568:
	v_bfe_u32 v8, v7, 20, 1
	s_mov_b32 s23, 0x487ffff
	v_add3_u32 v8, v7, v8, s23
	s_mov_b64 s[14:15], exec
	v_lshrrev_b32_e32 v8, 20, v8
	s_andn2_saveexec_b64 s[20:21], s[20:21]
	s_cbranch_execnz .LBB199_2022
.LBB199_1569:
	s_or_b64 exec, exec, s[20:21]
	v_mov_b32_e32 v9, 0
	s_and_saveexec_b64 s[20:21], s[14:15]
.LBB199_1570:
	v_lshrrev_b32_e32 v7, 24, v7
	s_movk_i32 s14, 0x80
	v_and_or_b32 v9, v7, s14, v8
.LBB199_1571:
	s_or_b64 exec, exec, s[20:21]
.LBB199_1572:
	s_or_b64 exec, exec, s[10:11]
	global_store_byte v[0:1], v9, off
.LBB199_1573:
	s_mov_b64 s[10:11], -1
.LBB199_1574:
	s_mov_b64 s[14:15], 0
.LBB199_1575:
	s_and_b64 vcc, exec, s[14:15]
	s_cbranch_vccz .LBB199_1615
; %bb.1576:
	s_cmp_gt_i32 s13, 22
	s_mov_b64 s[4:5], -1
	s_cbranch_scc0 .LBB199_1608
; %bb.1577:
	s_cmp_lt_i32 s13, 24
	s_cbranch_scc1 .LBB199_1597
; %bb.1578:
	s_cmp_gt_i32 s13, 24
	s_cbranch_scc0 .LBB199_1586
; %bb.1579:
	v_cvt_f32_f16_e32 v7, v3
	s_mov_b32 s4, 0x47800000
	v_mov_b32_e32 v9, 0x80
	v_and_b32_e32 v8, 0x7fffffff, v7
	v_cmp_gt_u32_e32 vcc, s4, v8
	s_and_saveexec_b64 s[4:5], vcc
	s_cbranch_execz .LBB199_1585
; %bb.1580:
	s_mov_b32 s10, 0x37ffffff
	v_cmp_lt_u32_e32 vcc, s10, v8
	s_mov_b64 s[10:11], 0
                                        ; implicit-def: $vgpr8
	s_and_saveexec_b64 s[14:15], vcc
	s_xor_b64 s[14:15], exec, s[14:15]
	s_cbranch_execz .LBB199_2024
; %bb.1581:
	v_bfe_u32 v8, v7, 21, 1
	s_mov_b32 s20, 0x88fffff
	v_add3_u32 v8, v7, v8, s20
	s_mov_b64 s[10:11], exec
	v_lshrrev_b32_e32 v8, 21, v8
	s_andn2_saveexec_b64 s[14:15], s[14:15]
	s_cbranch_execnz .LBB199_2025
.LBB199_1582:
	s_or_b64 exec, exec, s[14:15]
	v_mov_b32_e32 v9, 0
	s_and_saveexec_b64 s[14:15], s[10:11]
.LBB199_1583:
	v_lshrrev_b32_e32 v7, 24, v7
	s_movk_i32 s10, 0x80
	v_and_or_b32 v9, v7, s10, v8
.LBB199_1584:
	s_or_b64 exec, exec, s[14:15]
.LBB199_1585:
	s_or_b64 exec, exec, s[4:5]
	s_mov_b64 s[4:5], 0
	global_store_byte v[0:1], v9, off
.LBB199_1586:
	s_and_b64 vcc, exec, s[4:5]
	s_cbranch_vccz .LBB199_1596
; %bb.1587:
	v_cvt_f32_f16_e32 v7, v3
	s_mov_b32 s4, 0x43f00000
                                        ; implicit-def: $vgpr8
	v_and_b32_e32 v9, 0x7fffffff, v7
	v_cmp_gt_u32_e32 vcc, s4, v9
	s_and_saveexec_b64 s[4:5], vcc
	s_xor_b64 s[4:5], exec, s[4:5]
	s_cbranch_execz .LBB199_1593
; %bb.1588:
	s_mov_b32 s10, 0x3c7fffff
	v_cmp_lt_u32_e32 vcc, s10, v9
                                        ; implicit-def: $vgpr8
	s_and_saveexec_b64 s[10:11], vcc
	s_xor_b64 s[10:11], exec, s[10:11]
; %bb.1589:
	v_bfe_u32 v8, v7, 20, 1
	s_mov_b32 s14, 0x407ffff
	v_add3_u32 v8, v7, v8, s14
	v_lshrrev_b32_e32 v9, 20, v8
	v_and_b32_e32 v8, 0xff00000, v8
	s_mov_b32 s14, 0x7f00000
	v_mov_b32_e32 v10, 0x7e
	v_cmp_ne_u32_e32 vcc, s14, v8
	v_cndmask_b32_e32 v8, v10, v9, vcc
; %bb.1590:
	s_andn2_saveexec_b64 s[10:11], s[10:11]
; %bb.1591:
	s_mov_b32 s14, 0x46800000
	v_add_f32_e64 v8, |v7|, s14
; %bb.1592:
	s_or_b64 exec, exec, s[10:11]
                                        ; implicit-def: $vgpr9
.LBB199_1593:
	s_andn2_saveexec_b64 s[4:5], s[4:5]
; %bb.1594:
	s_mov_b32 s10, 0x7f800000
	v_mov_b32_e32 v8, 0x7e
	v_mov_b32_e32 v10, 0x7f
	v_cmp_lt_u32_e32 vcc, s10, v9
	v_cndmask_b32_e32 v8, v8, v10, vcc
; %bb.1595:
	s_or_b64 exec, exec, s[4:5]
	v_lshrrev_b32_e32 v7, 24, v7
	s_movk_i32 s4, 0x80
	v_and_or_b32 v7, v7, s4, v8
	global_store_byte v[0:1], v7, off
.LBB199_1596:
	s_mov_b64 s[4:5], 0
.LBB199_1597:
	s_andn2_b64 vcc, exec, s[4:5]
	s_cbranch_vccnz .LBB199_1607
; %bb.1598:
	v_cvt_f32_f16_e32 v7, v3
	s_mov_b32 s4, 0x47800000
                                        ; implicit-def: $vgpr8
	v_and_b32_e32 v9, 0x7fffffff, v7
	v_cmp_gt_u32_e32 vcc, s4, v9
	s_and_saveexec_b64 s[4:5], vcc
	s_xor_b64 s[4:5], exec, s[4:5]
	s_cbranch_execz .LBB199_1604
; %bb.1599:
	s_mov_b32 s10, 0x387fffff
	v_cmp_lt_u32_e32 vcc, s10, v9
                                        ; implicit-def: $vgpr8
	s_and_saveexec_b64 s[10:11], vcc
	s_xor_b64 s[10:11], exec, s[10:11]
; %bb.1600:
	v_bfe_u32 v8, v7, 21, 1
	s_mov_b32 s14, 0x80fffff
	v_add3_u32 v8, v7, v8, s14
	v_lshrrev_b32_e32 v8, 21, v8
; %bb.1601:
	s_andn2_saveexec_b64 s[10:11], s[10:11]
; %bb.1602:
	s_mov_b32 s14, 0x43000000
	v_add_f32_e64 v8, |v7|, s14
; %bb.1603:
	s_or_b64 exec, exec, s[10:11]
                                        ; implicit-def: $vgpr9
.LBB199_1604:
	s_andn2_saveexec_b64 s[4:5], s[4:5]
; %bb.1605:
	s_mov_b32 s10, 0x7f800000
	v_mov_b32_e32 v8, 0x7c
	v_mov_b32_e32 v10, 0x7f
	v_cmp_lt_u32_e32 vcc, s10, v9
	v_cndmask_b32_e32 v8, v8, v10, vcc
; %bb.1606:
	s_or_b64 exec, exec, s[4:5]
	v_lshrrev_b32_e32 v7, 24, v7
	s_movk_i32 s4, 0x80
	v_and_or_b32 v7, v7, s4, v8
	global_store_byte v[0:1], v7, off
.LBB199_1607:
	s_mov_b64 s[4:5], 0
	s_mov_b64 s[10:11], -1
.LBB199_1608:
	s_andn2_b64 vcc, exec, s[4:5]
	s_mov_b64 s[4:5], 0
	s_cbranch_vccnz .LBB199_1615
; %bb.1609:
	s_cmp_gt_i32 s13, 14
	s_mov_b64 s[14:15], -1
	s_cbranch_scc0 .LBB199_1613
; %bb.1610:
	s_cmp_eq_u32 s13, 15
	s_mov_b64 s[2:3], -1
	s_cbranch_scc0 .LBB199_1612
; %bb.1611:
	v_cvt_f32_f16_e32 v7, v3
	s_movk_i32 s2, 0x7fff
	v_cmp_o_f16_e32 vcc, v3, v3
	v_mov_b32_e32 v8, 0x7fc0
	v_bfe_u32 v9, v7, 16, 1
	v_add3_u32 v7, v7, v9, s2
	v_cndmask_b32_sdwa v7, v8, v7, vcc dst_sel:DWORD dst_unused:UNUSED_PAD src0_sel:DWORD src1_sel:WORD_1
	global_store_short v[0:1], v7, off
	s_mov_b64 s[2:3], 0
	s_mov_b64 s[10:11], -1
.LBB199_1612:
	s_mov_b64 s[14:15], 0
.LBB199_1613:
	s_and_b64 vcc, exec, s[14:15]
	s_cbranch_vccz .LBB199_1615
; %bb.1614:
	s_cmp_lg_u32 s13, 11
	s_mov_b64 s[4:5], -1
	s_cselect_b64 s[2:3], -1, 0
.LBB199_1615:
	s_and_b64 vcc, exec, s[2:3]
	s_cbranch_vccnz .LBB199_2023
; %bb.1616:
	s_andn2_b64 vcc, exec, s[4:5]
	s_cbranch_vccnz .LBB199_1618
.LBB199_1617:
	v_and_b32_e32 v7, 0x7fff, v3
	v_cmp_ne_u16_e32 vcc, 0, v7
	v_cndmask_b32_e64 v7, 0, 1, vcc
	s_mov_b64 s[10:11], -1
	global_store_byte v[0:1], v7, off
.LBB199_1618:
	s_mov_b64 s[2:3], 0
	s_branch .LBB199_1620
.LBB199_1619:
	s_mov_b64 s[2:3], -1
	s_mov_b64 s[10:11], 0
.LBB199_1620:
	s_and_b64 vcc, exec, s[2:3]
	s_cbranch_vccz .LBB199_1659
; %bb.1621:
	s_and_b32 s4, 0xffff, s22
	s_cmp_lt_i32 s4, 5
	s_mov_b64 s[2:3], -1
	s_cbranch_scc1 .LBB199_1642
; %bb.1622:
	s_cmp_lt_i32 s4, 8
	s_cbranch_scc1 .LBB199_1632
; %bb.1623:
	s_cmp_lt_i32 s4, 9
	s_cbranch_scc1 .LBB199_1629
; %bb.1624:
	s_cmp_gt_i32 s4, 9
	s_cbranch_scc0 .LBB199_1626
; %bb.1625:
	v_cvt_f32_f16_e32 v7, v3
	v_mov_b32_e32 v9, 0
	v_mov_b32_e32 v10, v9
	s_mov_b64 s[2:3], 0
	v_cvt_f64_f32_e32 v[7:8], v7
	global_store_dwordx4 v[0:1], v[7:10], off
.LBB199_1626:
	s_andn2_b64 vcc, exec, s[2:3]
	s_cbranch_vccnz .LBB199_1628
; %bb.1627:
	v_cvt_f32_f16_e32 v7, v3
	v_mov_b32_e32 v8, 0
	global_store_dwordx2 v[0:1], v[7:8], off
.LBB199_1628:
	s_mov_b64 s[2:3], 0
.LBB199_1629:
	s_andn2_b64 vcc, exec, s[2:3]
	s_cbranch_vccnz .LBB199_1631
; %bb.1630:
	v_and_b32_e32 v7, 0xffff, v3
	global_store_dword v[0:1], v7, off
.LBB199_1631:
	s_mov_b64 s[2:3], 0
.LBB199_1632:
	s_andn2_b64 vcc, exec, s[2:3]
	s_cbranch_vccnz .LBB199_1641
; %bb.1633:
	s_cmp_lt_i32 s4, 6
	s_mov_b64 s[2:3], -1
	s_cbranch_scc1 .LBB199_1639
; %bb.1634:
	s_cmp_gt_i32 s4, 6
	s_cbranch_scc0 .LBB199_1636
; %bb.1635:
	v_cvt_f32_f16_e32 v7, v3
	s_mov_b64 s[2:3], 0
	v_cvt_f64_f32_e32 v[7:8], v7
	global_store_dwordx2 v[0:1], v[7:8], off
.LBB199_1636:
	s_andn2_b64 vcc, exec, s[2:3]
	s_cbranch_vccnz .LBB199_1638
; %bb.1637:
	v_cvt_f32_f16_e32 v7, v3
	global_store_dword v[0:1], v7, off
.LBB199_1638:
	s_mov_b64 s[2:3], 0
.LBB199_1639:
	s_andn2_b64 vcc, exec, s[2:3]
	s_cbranch_vccnz .LBB199_1641
; %bb.1640:
	global_store_short v[0:1], v3, off
.LBB199_1641:
	s_mov_b64 s[2:3], 0
.LBB199_1642:
	s_andn2_b64 vcc, exec, s[2:3]
	s_cbranch_vccnz .LBB199_1658
; %bb.1643:
	s_cmp_lt_i32 s4, 2
	s_mov_b64 s[2:3], -1
	s_cbranch_scc1 .LBB199_1653
; %bb.1644:
	s_cmp_lt_i32 s4, 3
	s_cbranch_scc1 .LBB199_1650
; %bb.1645:
	s_cmp_gt_i32 s4, 3
	s_cbranch_scc0 .LBB199_1647
; %bb.1646:
	v_cvt_f32_f16_e32 v7, v3
	s_mov_b64 s[2:3], 0
	v_cvt_i32_f32_e32 v7, v7
	v_ashrrev_i32_e32 v8, 31, v7
	global_store_dwordx2 v[0:1], v[7:8], off
.LBB199_1647:
	s_andn2_b64 vcc, exec, s[2:3]
	s_cbranch_vccnz .LBB199_1649
; %bb.1648:
	v_cvt_f32_f16_e32 v7, v3
	v_cvt_i32_f32_e32 v7, v7
	global_store_dword v[0:1], v7, off
.LBB199_1649:
	s_mov_b64 s[2:3], 0
.LBB199_1650:
	s_andn2_b64 vcc, exec, s[2:3]
	s_cbranch_vccnz .LBB199_1652
; %bb.1651:
	v_cvt_i16_f16_e32 v7, v3
	global_store_short v[0:1], v7, off
.LBB199_1652:
	s_mov_b64 s[2:3], 0
.LBB199_1653:
	s_andn2_b64 vcc, exec, s[2:3]
	s_cbranch_vccnz .LBB199_1658
; %bb.1654:
	s_cmp_gt_i32 s4, 0
	s_mov_b64 s[2:3], -1
	s_cbranch_scc0 .LBB199_1656
; %bb.1655:
	v_cvt_i16_f16_e32 v7, v3
	global_store_byte v[0:1], v7, off
	s_mov_b64 s[2:3], 0
.LBB199_1656:
	s_andn2_b64 vcc, exec, s[2:3]
	s_cbranch_vccnz .LBB199_1658
; %bb.1657:
	v_cvt_f32_f16_e32 v3, v3
	v_cvt_i32_f32_e32 v3, v3
	global_store_byte v[0:1], v3, off
.LBB199_1658:
	s_mov_b64 s[10:11], -1
.LBB199_1659:
	s_andn2_b64 vcc, exec, s[10:11]
	s_cbranch_vccnz .LBB199_1974
; %bb.1660:
	s_lshl_b32 s20, s12, 7
	v_mov_b32_e32 v0, s33
	v_add_u32_e32 v2, s20, v2
	v_cndmask_b32_e64 v3, v4, v0, s[0:1]
	v_ashrrev_i32_e32 v1, 31, v2
	v_mov_b32_e32 v4, s9
	v_add_co_u32_e32 v0, vcc, s8, v2
	s_cmp_lt_i32 s22, 11
	v_addc_co_u32_e32 v1, vcc, v4, v1, vcc
	s_cbranch_scc1 .LBB199_1738
; %bb.1661:
	s_and_b32 s21, 0xffff, s22
	s_mov_b64 s[12:13], -1
	s_mov_b64 s[4:5], 0
	s_cmp_gt_i32 s21, 25
	s_mov_b64 s[10:11], 0
	s_mov_b64 s[2:3], 0
	s_cbranch_scc0 .LBB199_1694
; %bb.1662:
	s_cmp_gt_i32 s21, 28
	s_cbranch_scc0 .LBB199_1677
; %bb.1663:
	s_cmp_gt_i32 s21, 43
	;; [unrolled: 3-line block ×3, first 2 shown]
	s_cbranch_scc0 .LBB199_1667
; %bb.1665:
	s_mov_b64 s[2:3], -1
	s_mov_b64 s[12:13], 0
	s_cmp_eq_u32 s21, 46
	s_cbranch_scc0 .LBB199_1667
; %bb.1666:
	v_cvt_f32_f16_e32 v4, v3
	s_movk_i32 s2, 0x7fff
	v_cmp_o_f16_e32 vcc, v3, v3
	v_mov_b32_e32 v7, 0x7fc0
	v_bfe_u32 v8, v4, 16, 1
	v_add3_u32 v4, v4, v8, s2
	v_cndmask_b32_sdwa v4, v7, v4, vcc dst_sel:DWORD dst_unused:UNUSED_PAD src0_sel:DWORD src1_sel:WORD_1
	global_store_dword v[0:1], v4, off
	s_mov_b64 s[2:3], 0
	s_mov_b64 s[10:11], -1
.LBB199_1667:
	s_and_b64 vcc, exec, s[12:13]
	s_cbranch_vccz .LBB199_1672
; %bb.1668:
	s_cmp_eq_u32 s21, 44
	s_mov_b64 s[2:3], -1
	s_cbranch_scc0 .LBB199_1672
; %bb.1669:
	v_cvt_f32_f16_e32 v4, v3
	s_movk_i32 s2, 0xff
	v_mov_b32_e32 v8, 0xff
	v_bfe_u32 v7, v4, 23, 8
	v_cmp_ne_u32_e32 vcc, s2, v7
	s_and_saveexec_b64 s[10:11], vcc
; %bb.1670:
	s_mov_b32 s2, 0x3fffff
	v_lshrrev_b32_e32 v8, 23, v4
	v_and_b32_e32 v9, 0x400000, v4
	v_and_or_b32 v4, v4, s2, v7
	v_cmp_ne_u32_e32 vcc, 0, v9
	v_cmp_ne_u32_e64 s[2:3], 0, v4
	s_and_b64 s[2:3], vcc, s[2:3]
	v_cndmask_b32_e64 v4, 0, 1, s[2:3]
	v_add_u32_e32 v8, v8, v4
; %bb.1671:
	s_or_b64 exec, exec, s[10:11]
	s_mov_b64 s[2:3], 0
	s_mov_b64 s[10:11], -1
	global_store_byte v[0:1], v8, off
.LBB199_1672:
	s_mov_b64 s[12:13], 0
.LBB199_1673:
	s_and_b64 vcc, exec, s[12:13]
	s_cbranch_vccz .LBB199_1676
; %bb.1674:
	s_cmp_eq_u32 s21, 29
	s_mov_b64 s[2:3], -1
	s_cbranch_scc0 .LBB199_1676
; %bb.1675:
	v_cvt_f32_f16_e32 v4, v3
	v_mov_b32_e32 v8, 0
	s_mov_b64 s[2:3], 0
	s_mov_b64 s[10:11], -1
	v_cvt_u32_f32_e32 v7, v4
	global_store_dwordx2 v[0:1], v[7:8], off
.LBB199_1676:
	s_mov_b64 s[12:13], 0
.LBB199_1677:
	s_and_b64 vcc, exec, s[12:13]
	s_cbranch_vccz .LBB199_1693
; %bb.1678:
	s_cmp_lt_i32 s21, 27
	s_mov_b64 s[10:11], -1
	s_cbranch_scc1 .LBB199_1684
; %bb.1679:
	s_cmp_gt_i32 s21, 27
	s_cbranch_scc0 .LBB199_1681
; %bb.1680:
	v_cvt_f32_f16_e32 v4, v3
	s_mov_b64 s[10:11], 0
	v_cvt_u32_f32_e32 v4, v4
	global_store_dword v[0:1], v4, off
.LBB199_1681:
	s_andn2_b64 vcc, exec, s[10:11]
	s_cbranch_vccnz .LBB199_1683
; %bb.1682:
	v_cvt_u16_f16_e32 v4, v3
	global_store_short v[0:1], v4, off
.LBB199_1683:
	s_mov_b64 s[10:11], 0
.LBB199_1684:
	s_andn2_b64 vcc, exec, s[10:11]
	s_cbranch_vccnz .LBB199_1692
; %bb.1685:
	v_cvt_f32_f16_e32 v4, v3
	s_mov_b32 s10, 0x43800000
	v_mov_b32_e32 v8, 0x80
	v_and_b32_e32 v7, 0x7fffffff, v4
	v_cmp_gt_u32_e32 vcc, s10, v7
	s_and_saveexec_b64 s[10:11], vcc
	s_cbranch_execz .LBB199_1691
; %bb.1686:
	s_mov_b32 s12, 0x3bffffff
	v_cmp_lt_u32_e32 vcc, s12, v7
	s_mov_b64 s[12:13], 0
                                        ; implicit-def: $vgpr7
	s_and_saveexec_b64 s[14:15], vcc
	s_xor_b64 s[14:15], exec, s[14:15]
	s_cbranch_execz .LBB199_2026
; %bb.1687:
	v_bfe_u32 v7, v4, 20, 1
	s_mov_b32 s23, 0x487ffff
	v_add3_u32 v7, v4, v7, s23
	s_mov_b64 s[12:13], exec
	v_lshrrev_b32_e32 v7, 20, v7
	s_andn2_saveexec_b64 s[14:15], s[14:15]
	s_cbranch_execnz .LBB199_2027
.LBB199_1688:
	s_or_b64 exec, exec, s[14:15]
	v_mov_b32_e32 v8, 0
	s_and_saveexec_b64 s[14:15], s[12:13]
.LBB199_1689:
	v_lshrrev_b32_e32 v4, 24, v4
	s_movk_i32 s12, 0x80
	v_and_or_b32 v8, v4, s12, v7
.LBB199_1690:
	s_or_b64 exec, exec, s[14:15]
.LBB199_1691:
	s_or_b64 exec, exec, s[10:11]
	global_store_byte v[0:1], v8, off
.LBB199_1692:
	s_mov_b64 s[10:11], -1
.LBB199_1693:
	s_mov_b64 s[12:13], 0
.LBB199_1694:
	s_and_b64 vcc, exec, s[12:13]
	s_cbranch_vccz .LBB199_1734
; %bb.1695:
	s_cmp_gt_i32 s21, 22
	s_mov_b64 s[4:5], -1
	s_cbranch_scc0 .LBB199_1727
; %bb.1696:
	s_cmp_lt_i32 s21, 24
	s_cbranch_scc1 .LBB199_1716
; %bb.1697:
	s_cmp_gt_i32 s21, 24
	s_cbranch_scc0 .LBB199_1705
; %bb.1698:
	v_cvt_f32_f16_e32 v4, v3
	s_mov_b32 s4, 0x47800000
	v_mov_b32_e32 v8, 0x80
	v_and_b32_e32 v7, 0x7fffffff, v4
	v_cmp_gt_u32_e32 vcc, s4, v7
	s_and_saveexec_b64 s[4:5], vcc
	s_cbranch_execz .LBB199_1704
; %bb.1699:
	s_mov_b32 s10, 0x37ffffff
	v_cmp_lt_u32_e32 vcc, s10, v7
	s_mov_b64 s[10:11], 0
                                        ; implicit-def: $vgpr7
	s_and_saveexec_b64 s[12:13], vcc
	s_xor_b64 s[12:13], exec, s[12:13]
	s_cbranch_execz .LBB199_2029
; %bb.1700:
	v_bfe_u32 v7, v4, 21, 1
	s_mov_b32 s14, 0x88fffff
	v_add3_u32 v7, v4, v7, s14
	s_mov_b64 s[10:11], exec
	v_lshrrev_b32_e32 v7, 21, v7
	s_andn2_saveexec_b64 s[12:13], s[12:13]
	s_cbranch_execnz .LBB199_2030
.LBB199_1701:
	s_or_b64 exec, exec, s[12:13]
	v_mov_b32_e32 v8, 0
	s_and_saveexec_b64 s[12:13], s[10:11]
.LBB199_1702:
	v_lshrrev_b32_e32 v4, 24, v4
	s_movk_i32 s10, 0x80
	v_and_or_b32 v8, v4, s10, v7
.LBB199_1703:
	s_or_b64 exec, exec, s[12:13]
.LBB199_1704:
	s_or_b64 exec, exec, s[4:5]
	s_mov_b64 s[4:5], 0
	global_store_byte v[0:1], v8, off
.LBB199_1705:
	s_and_b64 vcc, exec, s[4:5]
	s_cbranch_vccz .LBB199_1715
; %bb.1706:
	v_cvt_f32_f16_e32 v4, v3
	s_mov_b32 s4, 0x43f00000
                                        ; implicit-def: $vgpr7
	v_and_b32_e32 v8, 0x7fffffff, v4
	v_cmp_gt_u32_e32 vcc, s4, v8
	s_and_saveexec_b64 s[4:5], vcc
	s_xor_b64 s[4:5], exec, s[4:5]
	s_cbranch_execz .LBB199_1712
; %bb.1707:
	s_mov_b32 s10, 0x3c7fffff
	v_cmp_lt_u32_e32 vcc, s10, v8
                                        ; implicit-def: $vgpr7
	s_and_saveexec_b64 s[10:11], vcc
	s_xor_b64 s[10:11], exec, s[10:11]
; %bb.1708:
	v_bfe_u32 v7, v4, 20, 1
	s_mov_b32 s12, 0x407ffff
	v_add3_u32 v7, v4, v7, s12
	v_lshrrev_b32_e32 v8, 20, v7
	v_and_b32_e32 v7, 0xff00000, v7
	s_mov_b32 s12, 0x7f00000
	v_mov_b32_e32 v9, 0x7e
	v_cmp_ne_u32_e32 vcc, s12, v7
	v_cndmask_b32_e32 v7, v9, v8, vcc
; %bb.1709:
	s_andn2_saveexec_b64 s[10:11], s[10:11]
; %bb.1710:
	s_mov_b32 s12, 0x46800000
	v_add_f32_e64 v7, |v4|, s12
; %bb.1711:
	s_or_b64 exec, exec, s[10:11]
                                        ; implicit-def: $vgpr8
.LBB199_1712:
	s_andn2_saveexec_b64 s[4:5], s[4:5]
; %bb.1713:
	s_mov_b32 s10, 0x7f800000
	v_mov_b32_e32 v7, 0x7e
	v_mov_b32_e32 v9, 0x7f
	v_cmp_lt_u32_e32 vcc, s10, v8
	v_cndmask_b32_e32 v7, v7, v9, vcc
; %bb.1714:
	s_or_b64 exec, exec, s[4:5]
	v_lshrrev_b32_e32 v4, 24, v4
	s_movk_i32 s4, 0x80
	v_and_or_b32 v4, v4, s4, v7
	global_store_byte v[0:1], v4, off
.LBB199_1715:
	s_mov_b64 s[4:5], 0
.LBB199_1716:
	s_andn2_b64 vcc, exec, s[4:5]
	s_cbranch_vccnz .LBB199_1726
; %bb.1717:
	v_cvt_f32_f16_e32 v4, v3
	s_mov_b32 s4, 0x47800000
                                        ; implicit-def: $vgpr7
	v_and_b32_e32 v8, 0x7fffffff, v4
	v_cmp_gt_u32_e32 vcc, s4, v8
	s_and_saveexec_b64 s[4:5], vcc
	s_xor_b64 s[4:5], exec, s[4:5]
	s_cbranch_execz .LBB199_1723
; %bb.1718:
	s_mov_b32 s10, 0x387fffff
	v_cmp_lt_u32_e32 vcc, s10, v8
                                        ; implicit-def: $vgpr7
	s_and_saveexec_b64 s[10:11], vcc
	s_xor_b64 s[10:11], exec, s[10:11]
; %bb.1719:
	v_bfe_u32 v7, v4, 21, 1
	s_mov_b32 s12, 0x80fffff
	v_add3_u32 v7, v4, v7, s12
	v_lshrrev_b32_e32 v7, 21, v7
; %bb.1720:
	s_andn2_saveexec_b64 s[10:11], s[10:11]
; %bb.1721:
	s_mov_b32 s12, 0x43000000
	v_add_f32_e64 v7, |v4|, s12
; %bb.1722:
	s_or_b64 exec, exec, s[10:11]
                                        ; implicit-def: $vgpr8
.LBB199_1723:
	s_andn2_saveexec_b64 s[4:5], s[4:5]
; %bb.1724:
	s_mov_b32 s10, 0x7f800000
	v_mov_b32_e32 v7, 0x7c
	v_mov_b32_e32 v9, 0x7f
	v_cmp_lt_u32_e32 vcc, s10, v8
	v_cndmask_b32_e32 v7, v7, v9, vcc
; %bb.1725:
	s_or_b64 exec, exec, s[4:5]
	v_lshrrev_b32_e32 v4, 24, v4
	s_movk_i32 s4, 0x80
	v_and_or_b32 v4, v4, s4, v7
	global_store_byte v[0:1], v4, off
.LBB199_1726:
	s_mov_b64 s[4:5], 0
	s_mov_b64 s[10:11], -1
.LBB199_1727:
	s_andn2_b64 vcc, exec, s[4:5]
	s_mov_b64 s[4:5], 0
	s_cbranch_vccnz .LBB199_1734
; %bb.1728:
	s_cmp_gt_i32 s21, 14
	s_mov_b64 s[12:13], -1
	s_cbranch_scc0 .LBB199_1732
; %bb.1729:
	s_cmp_eq_u32 s21, 15
	s_mov_b64 s[2:3], -1
	s_cbranch_scc0 .LBB199_1731
; %bb.1730:
	v_cvt_f32_f16_e32 v4, v3
	s_movk_i32 s2, 0x7fff
	v_cmp_o_f16_e32 vcc, v3, v3
	v_mov_b32_e32 v7, 0x7fc0
	v_bfe_u32 v8, v4, 16, 1
	v_add3_u32 v4, v4, v8, s2
	v_cndmask_b32_sdwa v4, v7, v4, vcc dst_sel:DWORD dst_unused:UNUSED_PAD src0_sel:DWORD src1_sel:WORD_1
	global_store_short v[0:1], v4, off
	s_mov_b64 s[2:3], 0
	s_mov_b64 s[10:11], -1
.LBB199_1731:
	s_mov_b64 s[12:13], 0
.LBB199_1732:
	s_and_b64 vcc, exec, s[12:13]
	s_cbranch_vccz .LBB199_1734
; %bb.1733:
	s_cmp_lg_u32 s21, 11
	s_mov_b64 s[4:5], -1
	s_cselect_b64 s[2:3], -1, 0
.LBB199_1734:
	s_and_b64 vcc, exec, s[2:3]
	s_cbranch_vccnz .LBB199_2028
; %bb.1735:
	s_andn2_b64 vcc, exec, s[4:5]
	s_cbranch_vccnz .LBB199_1737
.LBB199_1736:
	v_and_b32_e32 v4, 0x7fff, v3
	v_cmp_ne_u16_e32 vcc, 0, v4
	v_cndmask_b32_e64 v4, 0, 1, vcc
	s_mov_b64 s[10:11], -1
	global_store_byte v[0:1], v4, off
.LBB199_1737:
	s_mov_b64 s[2:3], 0
	s_branch .LBB199_1739
.LBB199_1738:
	s_mov_b64 s[2:3], -1
	s_mov_b64 s[10:11], 0
.LBB199_1739:
	s_and_b64 vcc, exec, s[2:3]
	s_cbranch_vccz .LBB199_1778
; %bb.1740:
	s_and_b32 s4, 0xffff, s22
	s_cmp_lt_i32 s4, 5
	s_mov_b64 s[2:3], -1
	s_cbranch_scc1 .LBB199_1761
; %bb.1741:
	s_cmp_lt_i32 s4, 8
	s_cbranch_scc1 .LBB199_1751
; %bb.1742:
	s_cmp_lt_i32 s4, 9
	s_cbranch_scc1 .LBB199_1748
; %bb.1743:
	s_cmp_gt_i32 s4, 9
	s_cbranch_scc0 .LBB199_1745
; %bb.1744:
	v_cvt_f32_f16_e32 v4, v3
	v_mov_b32_e32 v9, 0
	v_mov_b32_e32 v10, v9
	s_mov_b64 s[2:3], 0
	v_cvt_f64_f32_e32 v[7:8], v4
	global_store_dwordx4 v[0:1], v[7:10], off
.LBB199_1745:
	s_andn2_b64 vcc, exec, s[2:3]
	s_cbranch_vccnz .LBB199_1747
; %bb.1746:
	v_cvt_f32_f16_e32 v7, v3
	v_mov_b32_e32 v8, 0
	global_store_dwordx2 v[0:1], v[7:8], off
.LBB199_1747:
	s_mov_b64 s[2:3], 0
.LBB199_1748:
	s_andn2_b64 vcc, exec, s[2:3]
	s_cbranch_vccnz .LBB199_1750
; %bb.1749:
	v_and_b32_e32 v4, 0xffff, v3
	global_store_dword v[0:1], v4, off
.LBB199_1750:
	s_mov_b64 s[2:3], 0
.LBB199_1751:
	s_andn2_b64 vcc, exec, s[2:3]
	s_cbranch_vccnz .LBB199_1760
; %bb.1752:
	s_cmp_lt_i32 s4, 6
	s_mov_b64 s[2:3], -1
	s_cbranch_scc1 .LBB199_1758
; %bb.1753:
	s_cmp_gt_i32 s4, 6
	s_cbranch_scc0 .LBB199_1755
; %bb.1754:
	v_cvt_f32_f16_e32 v4, v3
	s_mov_b64 s[2:3], 0
	v_cvt_f64_f32_e32 v[7:8], v4
	global_store_dwordx2 v[0:1], v[7:8], off
.LBB199_1755:
	s_andn2_b64 vcc, exec, s[2:3]
	s_cbranch_vccnz .LBB199_1757
; %bb.1756:
	v_cvt_f32_f16_e32 v4, v3
	global_store_dword v[0:1], v4, off
.LBB199_1757:
	s_mov_b64 s[2:3], 0
.LBB199_1758:
	s_andn2_b64 vcc, exec, s[2:3]
	s_cbranch_vccnz .LBB199_1760
; %bb.1759:
	global_store_short v[0:1], v3, off
.LBB199_1760:
	s_mov_b64 s[2:3], 0
.LBB199_1761:
	s_andn2_b64 vcc, exec, s[2:3]
	s_cbranch_vccnz .LBB199_1777
; %bb.1762:
	s_cmp_lt_i32 s4, 2
	s_mov_b64 s[2:3], -1
	s_cbranch_scc1 .LBB199_1772
; %bb.1763:
	s_cmp_lt_i32 s4, 3
	s_cbranch_scc1 .LBB199_1769
; %bb.1764:
	s_cmp_gt_i32 s4, 3
	s_cbranch_scc0 .LBB199_1766
; %bb.1765:
	v_cvt_f32_f16_e32 v4, v3
	s_mov_b64 s[2:3], 0
	v_cvt_i32_f32_e32 v7, v4
	v_ashrrev_i32_e32 v8, 31, v7
	global_store_dwordx2 v[0:1], v[7:8], off
.LBB199_1766:
	s_andn2_b64 vcc, exec, s[2:3]
	s_cbranch_vccnz .LBB199_1768
; %bb.1767:
	v_cvt_f32_f16_e32 v4, v3
	v_cvt_i32_f32_e32 v4, v4
	global_store_dword v[0:1], v4, off
.LBB199_1768:
	s_mov_b64 s[2:3], 0
.LBB199_1769:
	s_andn2_b64 vcc, exec, s[2:3]
	s_cbranch_vccnz .LBB199_1771
; %bb.1770:
	v_cvt_i16_f16_e32 v4, v3
	global_store_short v[0:1], v4, off
.LBB199_1771:
	s_mov_b64 s[2:3], 0
.LBB199_1772:
	s_andn2_b64 vcc, exec, s[2:3]
	s_cbranch_vccnz .LBB199_1777
; %bb.1773:
	s_cmp_gt_i32 s4, 0
	s_mov_b64 s[2:3], -1
	s_cbranch_scc0 .LBB199_1775
; %bb.1774:
	v_cvt_i16_f16_e32 v4, v3
	global_store_byte v[0:1], v4, off
	s_mov_b64 s[2:3], 0
.LBB199_1775:
	s_andn2_b64 vcc, exec, s[2:3]
	s_cbranch_vccnz .LBB199_1777
; %bb.1776:
	v_cvt_f32_f16_e32 v3, v3
	v_cvt_i32_f32_e32 v3, v3
	global_store_byte v[0:1], v3, off
.LBB199_1777:
	s_mov_b64 s[10:11], -1
.LBB199_1778:
	s_andn2_b64 vcc, exec, s[10:11]
	s_cbranch_vccnz .LBB199_1974
; %bb.1779:
	v_mov_b32_e32 v0, s33
	v_add_u32_e32 v2, s20, v2
	v_cndmask_b32_e64 v3, v5, v0, s[0:1]
	v_ashrrev_i32_e32 v1, 31, v2
	v_mov_b32_e32 v4, s9
	v_add_co_u32_e32 v0, vcc, s8, v2
	s_cmp_lt_i32 s22, 11
	v_addc_co_u32_e32 v1, vcc, v4, v1, vcc
	s_cbranch_scc1 .LBB199_1857
; %bb.1780:
	s_and_b32 s21, 0xffff, s22
	s_mov_b64 s[12:13], -1
	s_mov_b64 s[4:5], 0
	s_cmp_gt_i32 s21, 25
	s_mov_b64 s[10:11], 0
	s_mov_b64 s[2:3], 0
	s_cbranch_scc0 .LBB199_1813
; %bb.1781:
	s_cmp_gt_i32 s21, 28
	s_cbranch_scc0 .LBB199_1796
; %bb.1782:
	s_cmp_gt_i32 s21, 43
	;; [unrolled: 3-line block ×3, first 2 shown]
	s_cbranch_scc0 .LBB199_1786
; %bb.1784:
	s_mov_b64 s[2:3], -1
	s_mov_b64 s[12:13], 0
	s_cmp_eq_u32 s21, 46
	s_cbranch_scc0 .LBB199_1786
; %bb.1785:
	v_cvt_f32_f16_e32 v4, v3
	s_movk_i32 s2, 0x7fff
	v_cmp_o_f16_e32 vcc, v3, v3
	v_mov_b32_e32 v5, 0x7fc0
	v_bfe_u32 v7, v4, 16, 1
	v_add3_u32 v4, v4, v7, s2
	v_cndmask_b32_sdwa v4, v5, v4, vcc dst_sel:DWORD dst_unused:UNUSED_PAD src0_sel:DWORD src1_sel:WORD_1
	global_store_dword v[0:1], v4, off
	s_mov_b64 s[2:3], 0
	s_mov_b64 s[10:11], -1
.LBB199_1786:
	s_and_b64 vcc, exec, s[12:13]
	s_cbranch_vccz .LBB199_1791
; %bb.1787:
	s_cmp_eq_u32 s21, 44
	s_mov_b64 s[2:3], -1
	s_cbranch_scc0 .LBB199_1791
; %bb.1788:
	v_cvt_f32_f16_e32 v4, v3
	s_movk_i32 s2, 0xff
	v_mov_b32_e32 v7, 0xff
	v_bfe_u32 v5, v4, 23, 8
	v_cmp_ne_u32_e32 vcc, s2, v5
	s_and_saveexec_b64 s[10:11], vcc
; %bb.1789:
	s_mov_b32 s2, 0x3fffff
	v_lshrrev_b32_e32 v7, 23, v4
	v_and_b32_e32 v8, 0x400000, v4
	v_and_or_b32 v4, v4, s2, v5
	v_cmp_ne_u32_e32 vcc, 0, v8
	v_cmp_ne_u32_e64 s[2:3], 0, v4
	s_and_b64 s[2:3], vcc, s[2:3]
	v_cndmask_b32_e64 v4, 0, 1, s[2:3]
	v_add_u32_e32 v7, v7, v4
; %bb.1790:
	s_or_b64 exec, exec, s[10:11]
	s_mov_b64 s[2:3], 0
	s_mov_b64 s[10:11], -1
	global_store_byte v[0:1], v7, off
.LBB199_1791:
	s_mov_b64 s[12:13], 0
.LBB199_1792:
	s_and_b64 vcc, exec, s[12:13]
	s_cbranch_vccz .LBB199_1795
; %bb.1793:
	s_cmp_eq_u32 s21, 29
	s_mov_b64 s[2:3], -1
	s_cbranch_scc0 .LBB199_1795
; %bb.1794:
	v_cvt_f32_f16_e32 v4, v3
	v_mov_b32_e32 v5, 0
	s_mov_b64 s[2:3], 0
	s_mov_b64 s[10:11], -1
	v_cvt_u32_f32_e32 v4, v4
	global_store_dwordx2 v[0:1], v[4:5], off
.LBB199_1795:
	s_mov_b64 s[12:13], 0
.LBB199_1796:
	s_and_b64 vcc, exec, s[12:13]
	s_cbranch_vccz .LBB199_1812
; %bb.1797:
	s_cmp_lt_i32 s21, 27
	s_mov_b64 s[10:11], -1
	s_cbranch_scc1 .LBB199_1803
; %bb.1798:
	s_cmp_gt_i32 s21, 27
	s_cbranch_scc0 .LBB199_1800
; %bb.1799:
	v_cvt_f32_f16_e32 v4, v3
	s_mov_b64 s[10:11], 0
	v_cvt_u32_f32_e32 v4, v4
	global_store_dword v[0:1], v4, off
.LBB199_1800:
	s_andn2_b64 vcc, exec, s[10:11]
	s_cbranch_vccnz .LBB199_1802
; %bb.1801:
	v_cvt_u16_f16_e32 v4, v3
	global_store_short v[0:1], v4, off
.LBB199_1802:
	s_mov_b64 s[10:11], 0
.LBB199_1803:
	s_andn2_b64 vcc, exec, s[10:11]
	s_cbranch_vccnz .LBB199_1811
; %bb.1804:
	v_cvt_f32_f16_e32 v4, v3
	s_mov_b32 s10, 0x43800000
	v_mov_b32_e32 v7, 0x80
	v_and_b32_e32 v5, 0x7fffffff, v4
	v_cmp_gt_u32_e32 vcc, s10, v5
	s_and_saveexec_b64 s[10:11], vcc
	s_cbranch_execz .LBB199_1810
; %bb.1805:
	s_mov_b32 s12, 0x3bffffff
	v_cmp_lt_u32_e32 vcc, s12, v5
	s_mov_b64 s[12:13], 0
                                        ; implicit-def: $vgpr5
	s_and_saveexec_b64 s[14:15], vcc
	s_xor_b64 s[14:15], exec, s[14:15]
	s_cbranch_execz .LBB199_2031
; %bb.1806:
	v_bfe_u32 v5, v4, 20, 1
	s_mov_b32 s23, 0x487ffff
	v_add3_u32 v5, v4, v5, s23
	s_mov_b64 s[12:13], exec
	v_lshrrev_b32_e32 v5, 20, v5
	s_andn2_saveexec_b64 s[14:15], s[14:15]
	s_cbranch_execnz .LBB199_2032
.LBB199_1807:
	s_or_b64 exec, exec, s[14:15]
	v_mov_b32_e32 v7, 0
	s_and_saveexec_b64 s[14:15], s[12:13]
.LBB199_1808:
	v_lshrrev_b32_e32 v4, 24, v4
	s_movk_i32 s12, 0x80
	v_and_or_b32 v7, v4, s12, v5
.LBB199_1809:
	s_or_b64 exec, exec, s[14:15]
.LBB199_1810:
	s_or_b64 exec, exec, s[10:11]
	global_store_byte v[0:1], v7, off
.LBB199_1811:
	s_mov_b64 s[10:11], -1
.LBB199_1812:
	s_mov_b64 s[12:13], 0
.LBB199_1813:
	s_and_b64 vcc, exec, s[12:13]
	s_cbranch_vccz .LBB199_1853
; %bb.1814:
	s_cmp_gt_i32 s21, 22
	s_mov_b64 s[4:5], -1
	s_cbranch_scc0 .LBB199_1846
; %bb.1815:
	s_cmp_lt_i32 s21, 24
	s_cbranch_scc1 .LBB199_1835
; %bb.1816:
	s_cmp_gt_i32 s21, 24
	s_cbranch_scc0 .LBB199_1824
; %bb.1817:
	v_cvt_f32_f16_e32 v4, v3
	s_mov_b32 s4, 0x47800000
	v_mov_b32_e32 v7, 0x80
	v_and_b32_e32 v5, 0x7fffffff, v4
	v_cmp_gt_u32_e32 vcc, s4, v5
	s_and_saveexec_b64 s[4:5], vcc
	s_cbranch_execz .LBB199_1823
; %bb.1818:
	s_mov_b32 s10, 0x37ffffff
	v_cmp_lt_u32_e32 vcc, s10, v5
	s_mov_b64 s[10:11], 0
                                        ; implicit-def: $vgpr5
	s_and_saveexec_b64 s[12:13], vcc
	s_xor_b64 s[12:13], exec, s[12:13]
	s_cbranch_execz .LBB199_2034
; %bb.1819:
	v_bfe_u32 v5, v4, 21, 1
	s_mov_b32 s14, 0x88fffff
	v_add3_u32 v5, v4, v5, s14
	s_mov_b64 s[10:11], exec
	v_lshrrev_b32_e32 v5, 21, v5
	s_andn2_saveexec_b64 s[12:13], s[12:13]
	s_cbranch_execnz .LBB199_2035
.LBB199_1820:
	s_or_b64 exec, exec, s[12:13]
	v_mov_b32_e32 v7, 0
	s_and_saveexec_b64 s[12:13], s[10:11]
.LBB199_1821:
	v_lshrrev_b32_e32 v4, 24, v4
	s_movk_i32 s10, 0x80
	v_and_or_b32 v7, v4, s10, v5
.LBB199_1822:
	s_or_b64 exec, exec, s[12:13]
.LBB199_1823:
	s_or_b64 exec, exec, s[4:5]
	s_mov_b64 s[4:5], 0
	global_store_byte v[0:1], v7, off
.LBB199_1824:
	s_and_b64 vcc, exec, s[4:5]
	s_cbranch_vccz .LBB199_1834
; %bb.1825:
	v_cvt_f32_f16_e32 v4, v3
	s_mov_b32 s4, 0x43f00000
                                        ; implicit-def: $vgpr5
	v_and_b32_e32 v7, 0x7fffffff, v4
	v_cmp_gt_u32_e32 vcc, s4, v7
	s_and_saveexec_b64 s[4:5], vcc
	s_xor_b64 s[4:5], exec, s[4:5]
	s_cbranch_execz .LBB199_1831
; %bb.1826:
	s_mov_b32 s10, 0x3c7fffff
	v_cmp_lt_u32_e32 vcc, s10, v7
                                        ; implicit-def: $vgpr5
	s_and_saveexec_b64 s[10:11], vcc
	s_xor_b64 s[10:11], exec, s[10:11]
; %bb.1827:
	v_bfe_u32 v5, v4, 20, 1
	s_mov_b32 s12, 0x407ffff
	v_add3_u32 v5, v4, v5, s12
	v_lshrrev_b32_e32 v7, 20, v5
	v_and_b32_e32 v5, 0xff00000, v5
	s_mov_b32 s12, 0x7f00000
	v_mov_b32_e32 v8, 0x7e
	v_cmp_ne_u32_e32 vcc, s12, v5
	v_cndmask_b32_e32 v5, v8, v7, vcc
; %bb.1828:
	s_andn2_saveexec_b64 s[10:11], s[10:11]
; %bb.1829:
	s_mov_b32 s12, 0x46800000
	v_add_f32_e64 v5, |v4|, s12
; %bb.1830:
	s_or_b64 exec, exec, s[10:11]
                                        ; implicit-def: $vgpr7
.LBB199_1831:
	s_andn2_saveexec_b64 s[4:5], s[4:5]
; %bb.1832:
	s_mov_b32 s10, 0x7f800000
	v_mov_b32_e32 v5, 0x7e
	v_mov_b32_e32 v8, 0x7f
	v_cmp_lt_u32_e32 vcc, s10, v7
	v_cndmask_b32_e32 v5, v5, v8, vcc
; %bb.1833:
	s_or_b64 exec, exec, s[4:5]
	v_lshrrev_b32_e32 v4, 24, v4
	s_movk_i32 s4, 0x80
	v_and_or_b32 v4, v4, s4, v5
	global_store_byte v[0:1], v4, off
.LBB199_1834:
	s_mov_b64 s[4:5], 0
.LBB199_1835:
	s_andn2_b64 vcc, exec, s[4:5]
	s_cbranch_vccnz .LBB199_1845
; %bb.1836:
	v_cvt_f32_f16_e32 v4, v3
	s_mov_b32 s4, 0x47800000
                                        ; implicit-def: $vgpr5
	v_and_b32_e32 v7, 0x7fffffff, v4
	v_cmp_gt_u32_e32 vcc, s4, v7
	s_and_saveexec_b64 s[4:5], vcc
	s_xor_b64 s[4:5], exec, s[4:5]
	s_cbranch_execz .LBB199_1842
; %bb.1837:
	s_mov_b32 s10, 0x387fffff
	v_cmp_lt_u32_e32 vcc, s10, v7
                                        ; implicit-def: $vgpr5
	s_and_saveexec_b64 s[10:11], vcc
	s_xor_b64 s[10:11], exec, s[10:11]
; %bb.1838:
	v_bfe_u32 v5, v4, 21, 1
	s_mov_b32 s12, 0x80fffff
	v_add3_u32 v5, v4, v5, s12
	v_lshrrev_b32_e32 v5, 21, v5
; %bb.1839:
	s_andn2_saveexec_b64 s[10:11], s[10:11]
; %bb.1840:
	s_mov_b32 s12, 0x43000000
	v_add_f32_e64 v5, |v4|, s12
; %bb.1841:
	s_or_b64 exec, exec, s[10:11]
                                        ; implicit-def: $vgpr7
.LBB199_1842:
	s_andn2_saveexec_b64 s[4:5], s[4:5]
; %bb.1843:
	s_mov_b32 s10, 0x7f800000
	v_mov_b32_e32 v5, 0x7c
	v_mov_b32_e32 v8, 0x7f
	v_cmp_lt_u32_e32 vcc, s10, v7
	v_cndmask_b32_e32 v5, v5, v8, vcc
; %bb.1844:
	s_or_b64 exec, exec, s[4:5]
	v_lshrrev_b32_e32 v4, 24, v4
	s_movk_i32 s4, 0x80
	v_and_or_b32 v4, v4, s4, v5
	global_store_byte v[0:1], v4, off
.LBB199_1845:
	s_mov_b64 s[4:5], 0
	s_mov_b64 s[10:11], -1
.LBB199_1846:
	s_andn2_b64 vcc, exec, s[4:5]
	s_mov_b64 s[4:5], 0
	s_cbranch_vccnz .LBB199_1853
; %bb.1847:
	s_cmp_gt_i32 s21, 14
	s_mov_b64 s[12:13], -1
	s_cbranch_scc0 .LBB199_1851
; %bb.1848:
	s_cmp_eq_u32 s21, 15
	s_mov_b64 s[2:3], -1
	s_cbranch_scc0 .LBB199_1850
; %bb.1849:
	v_cvt_f32_f16_e32 v4, v3
	s_movk_i32 s2, 0x7fff
	v_cmp_o_f16_e32 vcc, v3, v3
	v_mov_b32_e32 v5, 0x7fc0
	v_bfe_u32 v7, v4, 16, 1
	v_add3_u32 v4, v4, v7, s2
	v_cndmask_b32_sdwa v4, v5, v4, vcc dst_sel:DWORD dst_unused:UNUSED_PAD src0_sel:DWORD src1_sel:WORD_1
	global_store_short v[0:1], v4, off
	s_mov_b64 s[2:3], 0
	s_mov_b64 s[10:11], -1
.LBB199_1850:
	s_mov_b64 s[12:13], 0
.LBB199_1851:
	s_and_b64 vcc, exec, s[12:13]
	s_cbranch_vccz .LBB199_1853
; %bb.1852:
	s_cmp_lg_u32 s21, 11
	s_mov_b64 s[4:5], -1
	s_cselect_b64 s[2:3], -1, 0
.LBB199_1853:
	s_and_b64 vcc, exec, s[2:3]
	s_cbranch_vccnz .LBB199_2033
; %bb.1854:
	s_andn2_b64 vcc, exec, s[4:5]
	s_cbranch_vccnz .LBB199_1856
.LBB199_1855:
	v_and_b32_e32 v4, 0x7fff, v3
	v_cmp_ne_u16_e32 vcc, 0, v4
	v_cndmask_b32_e64 v4, 0, 1, vcc
	s_mov_b64 s[10:11], -1
	global_store_byte v[0:1], v4, off
.LBB199_1856:
	s_mov_b64 s[2:3], 0
	s_branch .LBB199_1858
.LBB199_1857:
	s_mov_b64 s[2:3], -1
	s_mov_b64 s[10:11], 0
.LBB199_1858:
	s_and_b64 vcc, exec, s[2:3]
	s_cbranch_vccz .LBB199_1897
; %bb.1859:
	s_and_b32 s4, 0xffff, s22
	s_cmp_lt_i32 s4, 5
	s_mov_b64 s[2:3], -1
	s_cbranch_scc1 .LBB199_1880
; %bb.1860:
	s_cmp_lt_i32 s4, 8
	s_cbranch_scc1 .LBB199_1870
; %bb.1861:
	s_cmp_lt_i32 s4, 9
	s_cbranch_scc1 .LBB199_1867
; %bb.1862:
	s_cmp_gt_i32 s4, 9
	s_cbranch_scc0 .LBB199_1864
; %bb.1863:
	v_cvt_f32_f16_e32 v4, v3
	v_mov_b32_e32 v9, 0
	v_mov_b32_e32 v10, v9
	s_mov_b64 s[2:3], 0
	v_cvt_f64_f32_e32 v[7:8], v4
	global_store_dwordx4 v[0:1], v[7:10], off
.LBB199_1864:
	s_andn2_b64 vcc, exec, s[2:3]
	s_cbranch_vccnz .LBB199_1866
; %bb.1865:
	v_cvt_f32_f16_e32 v4, v3
	v_mov_b32_e32 v5, 0
	global_store_dwordx2 v[0:1], v[4:5], off
.LBB199_1866:
	s_mov_b64 s[2:3], 0
.LBB199_1867:
	s_andn2_b64 vcc, exec, s[2:3]
	s_cbranch_vccnz .LBB199_1869
; %bb.1868:
	v_and_b32_e32 v4, 0xffff, v3
	global_store_dword v[0:1], v4, off
.LBB199_1869:
	s_mov_b64 s[2:3], 0
.LBB199_1870:
	s_andn2_b64 vcc, exec, s[2:3]
	s_cbranch_vccnz .LBB199_1879
; %bb.1871:
	s_cmp_lt_i32 s4, 6
	s_mov_b64 s[2:3], -1
	s_cbranch_scc1 .LBB199_1877
; %bb.1872:
	s_cmp_gt_i32 s4, 6
	s_cbranch_scc0 .LBB199_1874
; %bb.1873:
	v_cvt_f32_f16_e32 v4, v3
	s_mov_b64 s[2:3], 0
	v_cvt_f64_f32_e32 v[4:5], v4
	global_store_dwordx2 v[0:1], v[4:5], off
.LBB199_1874:
	s_andn2_b64 vcc, exec, s[2:3]
	s_cbranch_vccnz .LBB199_1876
; %bb.1875:
	v_cvt_f32_f16_e32 v4, v3
	global_store_dword v[0:1], v4, off
.LBB199_1876:
	s_mov_b64 s[2:3], 0
.LBB199_1877:
	s_andn2_b64 vcc, exec, s[2:3]
	s_cbranch_vccnz .LBB199_1879
; %bb.1878:
	global_store_short v[0:1], v3, off
.LBB199_1879:
	s_mov_b64 s[2:3], 0
.LBB199_1880:
	s_andn2_b64 vcc, exec, s[2:3]
	s_cbranch_vccnz .LBB199_1896
; %bb.1881:
	s_cmp_lt_i32 s4, 2
	s_mov_b64 s[2:3], -1
	s_cbranch_scc1 .LBB199_1891
; %bb.1882:
	s_cmp_lt_i32 s4, 3
	s_cbranch_scc1 .LBB199_1888
; %bb.1883:
	s_cmp_gt_i32 s4, 3
	s_cbranch_scc0 .LBB199_1885
; %bb.1884:
	v_cvt_f32_f16_e32 v4, v3
	s_mov_b64 s[2:3], 0
	v_cvt_i32_f32_e32 v4, v4
	v_ashrrev_i32_e32 v5, 31, v4
	global_store_dwordx2 v[0:1], v[4:5], off
.LBB199_1885:
	s_andn2_b64 vcc, exec, s[2:3]
	s_cbranch_vccnz .LBB199_1887
; %bb.1886:
	v_cvt_f32_f16_e32 v4, v3
	v_cvt_i32_f32_e32 v4, v4
	global_store_dword v[0:1], v4, off
.LBB199_1887:
	s_mov_b64 s[2:3], 0
.LBB199_1888:
	s_andn2_b64 vcc, exec, s[2:3]
	s_cbranch_vccnz .LBB199_1890
; %bb.1889:
	v_cvt_i16_f16_e32 v4, v3
	global_store_short v[0:1], v4, off
.LBB199_1890:
	s_mov_b64 s[2:3], 0
.LBB199_1891:
	s_andn2_b64 vcc, exec, s[2:3]
	s_cbranch_vccnz .LBB199_1896
; %bb.1892:
	s_cmp_gt_i32 s4, 0
	s_mov_b64 s[2:3], -1
	s_cbranch_scc0 .LBB199_1894
; %bb.1893:
	v_cvt_i16_f16_e32 v4, v3
	global_store_byte v[0:1], v4, off
	s_mov_b64 s[2:3], 0
.LBB199_1894:
	s_andn2_b64 vcc, exec, s[2:3]
	s_cbranch_vccnz .LBB199_1896
; %bb.1895:
	v_cvt_f32_f16_e32 v3, v3
	v_cvt_i32_f32_e32 v3, v3
	global_store_byte v[0:1], v3, off
.LBB199_1896:
	s_mov_b64 s[10:11], -1
.LBB199_1897:
	s_andn2_b64 vcc, exec, s[10:11]
	s_cbranch_vccnz .LBB199_1974
; %bb.1898:
	v_mov_b32_e32 v0, s33
	v_cndmask_b32_e64 v3, v6, v0, s[0:1]
	v_add_u32_e32 v0, s20, v2
	v_ashrrev_i32_e32 v1, 31, v0
	v_mov_b32_e32 v2, s9
	v_add_co_u32_e32 v0, vcc, s8, v0
	s_cmp_lt_i32 s22, 11
	v_addc_co_u32_e32 v1, vcc, v2, v1, vcc
	s_cbranch_scc1 .LBB199_2019
; %bb.1899:
	s_and_b32 s12, 0xffff, s22
	s_mov_b64 s[4:5], -1
	s_mov_b64 s[2:3], 0
	s_cmp_gt_i32 s12, 25
	s_mov_b64 s[0:1], 0
	s_cbranch_scc0 .LBB199_1932
; %bb.1900:
	s_cmp_gt_i32 s12, 28
	s_cbranch_scc0 .LBB199_1916
; %bb.1901:
	s_cmp_gt_i32 s12, 43
	;; [unrolled: 3-line block ×3, first 2 shown]
	s_cbranch_scc0 .LBB199_1906
; %bb.1903:
	s_cmp_eq_u32 s12, 46
	s_mov_b64 s[0:1], -1
	s_cbranch_scc0 .LBB199_1905
; %bb.1904:
	v_cvt_f32_f16_e32 v2, v3
	s_movk_i32 s0, 0x7fff
	v_cmp_o_f16_e32 vcc, v3, v3
	v_mov_b32_e32 v4, 0x7fc0
	v_bfe_u32 v5, v2, 16, 1
	v_add3_u32 v2, v2, v5, s0
	v_cndmask_b32_sdwa v2, v4, v2, vcc dst_sel:DWORD dst_unused:UNUSED_PAD src0_sel:DWORD src1_sel:WORD_1
	global_store_dword v[0:1], v2, off
	s_mov_b64 s[0:1], 0
.LBB199_1905:
	s_mov_b64 s[4:5], 0
.LBB199_1906:
	s_and_b64 vcc, exec, s[4:5]
	s_cbranch_vccz .LBB199_1911
; %bb.1907:
	s_cmp_eq_u32 s12, 44
	s_mov_b64 s[0:1], -1
	s_cbranch_scc0 .LBB199_1911
; %bb.1908:
	v_cvt_f32_f16_e32 v2, v3
	s_movk_i32 s0, 0xff
	v_mov_b32_e32 v5, 0xff
	v_bfe_u32 v4, v2, 23, 8
	v_cmp_ne_u32_e32 vcc, s0, v4
	s_and_saveexec_b64 s[4:5], vcc
; %bb.1909:
	s_mov_b32 s0, 0x3fffff
	v_lshrrev_b32_e32 v5, 23, v2
	v_and_b32_e32 v6, 0x400000, v2
	v_and_or_b32 v2, v2, s0, v4
	v_cmp_ne_u32_e32 vcc, 0, v6
	v_cmp_ne_u32_e64 s[0:1], 0, v2
	s_and_b64 s[0:1], vcc, s[0:1]
	v_cndmask_b32_e64 v2, 0, 1, s[0:1]
	v_add_u32_e32 v5, v5, v2
; %bb.1910:
	s_or_b64 exec, exec, s[4:5]
	s_mov_b64 s[0:1], 0
	global_store_byte v[0:1], v5, off
.LBB199_1911:
	s_mov_b64 s[4:5], 0
.LBB199_1912:
	s_and_b64 vcc, exec, s[4:5]
	s_cbranch_vccz .LBB199_1915
; %bb.1913:
	s_cmp_eq_u32 s12, 29
	s_mov_b64 s[0:1], -1
	s_cbranch_scc0 .LBB199_1915
; %bb.1914:
	v_cvt_f32_f16_e32 v2, v3
	v_mov_b32_e32 v5, 0
	s_mov_b64 s[0:1], 0
	v_cvt_u32_f32_e32 v4, v2
	global_store_dwordx2 v[0:1], v[4:5], off
.LBB199_1915:
	s_mov_b64 s[4:5], 0
.LBB199_1916:
	s_and_b64 vcc, exec, s[4:5]
	s_cbranch_vccz .LBB199_1931
; %bb.1917:
	s_cmp_lt_i32 s12, 27
	s_mov_b64 s[4:5], -1
	s_cbranch_scc1 .LBB199_1923
; %bb.1918:
	s_cmp_gt_i32 s12, 27
	s_cbranch_scc0 .LBB199_1920
; %bb.1919:
	v_cvt_f32_f16_e32 v2, v3
	s_mov_b64 s[4:5], 0
	v_cvt_u32_f32_e32 v2, v2
	global_store_dword v[0:1], v2, off
.LBB199_1920:
	s_andn2_b64 vcc, exec, s[4:5]
	s_cbranch_vccnz .LBB199_1922
; %bb.1921:
	v_cvt_u16_f16_e32 v2, v3
	global_store_short v[0:1], v2, off
.LBB199_1922:
	s_mov_b64 s[4:5], 0
.LBB199_1923:
	s_andn2_b64 vcc, exec, s[4:5]
	s_cbranch_vccnz .LBB199_1931
; %bb.1924:
	v_cvt_f32_f16_e32 v2, v3
	s_mov_b32 s4, 0x43800000
	v_mov_b32_e32 v5, 0x80
	v_and_b32_e32 v4, 0x7fffffff, v2
	v_cmp_gt_u32_e32 vcc, s4, v4
	s_and_saveexec_b64 s[4:5], vcc
	s_cbranch_execz .LBB199_1930
; %bb.1925:
	s_mov_b32 s8, 0x3bffffff
	v_cmp_lt_u32_e32 vcc, s8, v4
	s_mov_b64 s[8:9], 0
                                        ; implicit-def: $vgpr4
	s_and_saveexec_b64 s[10:11], vcc
	s_xor_b64 s[10:11], exec, s[10:11]
	s_cbranch_execz .LBB199_2036
; %bb.1926:
	v_bfe_u32 v4, v2, 20, 1
	s_mov_b32 s13, 0x487ffff
	v_add3_u32 v4, v2, v4, s13
	s_mov_b64 s[8:9], exec
	v_lshrrev_b32_e32 v4, 20, v4
	s_andn2_saveexec_b64 s[10:11], s[10:11]
	s_cbranch_execnz .LBB199_2037
.LBB199_1927:
	s_or_b64 exec, exec, s[10:11]
	v_mov_b32_e32 v5, 0
	s_and_saveexec_b64 s[10:11], s[8:9]
.LBB199_1928:
	v_lshrrev_b32_e32 v2, 24, v2
	s_movk_i32 s8, 0x80
	v_and_or_b32 v5, v2, s8, v4
.LBB199_1929:
	s_or_b64 exec, exec, s[10:11]
.LBB199_1930:
	s_or_b64 exec, exec, s[4:5]
	global_store_byte v[0:1], v5, off
.LBB199_1931:
	s_mov_b64 s[4:5], 0
.LBB199_1932:
	s_and_b64 vcc, exec, s[4:5]
	s_cbranch_vccz .LBB199_1972
; %bb.1933:
	s_cmp_gt_i32 s12, 22
	s_mov_b64 s[2:3], -1
	s_cbranch_scc0 .LBB199_1965
; %bb.1934:
	s_cmp_lt_i32 s12, 24
	s_cbranch_scc1 .LBB199_1954
; %bb.1935:
	s_cmp_gt_i32 s12, 24
	s_cbranch_scc0 .LBB199_1943
; %bb.1936:
	v_cvt_f32_f16_e32 v2, v3
	s_mov_b32 s2, 0x47800000
	v_mov_b32_e32 v5, 0x80
	v_and_b32_e32 v4, 0x7fffffff, v2
	v_cmp_gt_u32_e32 vcc, s2, v4
	s_and_saveexec_b64 s[2:3], vcc
	s_cbranch_execz .LBB199_1942
; %bb.1937:
	s_mov_b32 s4, 0x37ffffff
	v_cmp_lt_u32_e32 vcc, s4, v4
	s_mov_b64 s[4:5], 0
                                        ; implicit-def: $vgpr4
	s_and_saveexec_b64 s[8:9], vcc
	s_xor_b64 s[8:9], exec, s[8:9]
	s_cbranch_execz .LBB199_2039
; %bb.1938:
	v_bfe_u32 v4, v2, 21, 1
	s_mov_b32 s10, 0x88fffff
	v_add3_u32 v4, v2, v4, s10
	s_mov_b64 s[4:5], exec
	v_lshrrev_b32_e32 v4, 21, v4
	s_andn2_saveexec_b64 s[8:9], s[8:9]
	s_cbranch_execnz .LBB199_2040
.LBB199_1939:
	s_or_b64 exec, exec, s[8:9]
	v_mov_b32_e32 v5, 0
	s_and_saveexec_b64 s[8:9], s[4:5]
.LBB199_1940:
	v_lshrrev_b32_e32 v2, 24, v2
	s_movk_i32 s4, 0x80
	v_and_or_b32 v5, v2, s4, v4
.LBB199_1941:
	s_or_b64 exec, exec, s[8:9]
.LBB199_1942:
	s_or_b64 exec, exec, s[2:3]
	s_mov_b64 s[2:3], 0
	global_store_byte v[0:1], v5, off
.LBB199_1943:
	s_and_b64 vcc, exec, s[2:3]
	s_cbranch_vccz .LBB199_1953
; %bb.1944:
	v_cvt_f32_f16_e32 v2, v3
	s_mov_b32 s2, 0x43f00000
                                        ; implicit-def: $vgpr4
	v_and_b32_e32 v5, 0x7fffffff, v2
	v_cmp_gt_u32_e32 vcc, s2, v5
	s_and_saveexec_b64 s[2:3], vcc
	s_xor_b64 s[2:3], exec, s[2:3]
	s_cbranch_execz .LBB199_1950
; %bb.1945:
	s_mov_b32 s4, 0x3c7fffff
	v_cmp_lt_u32_e32 vcc, s4, v5
                                        ; implicit-def: $vgpr4
	s_and_saveexec_b64 s[4:5], vcc
	s_xor_b64 s[4:5], exec, s[4:5]
; %bb.1946:
	v_bfe_u32 v4, v2, 20, 1
	s_mov_b32 s8, 0x407ffff
	v_add3_u32 v4, v2, v4, s8
	v_lshrrev_b32_e32 v5, 20, v4
	v_and_b32_e32 v4, 0xff00000, v4
	s_mov_b32 s8, 0x7f00000
	v_mov_b32_e32 v6, 0x7e
	v_cmp_ne_u32_e32 vcc, s8, v4
	v_cndmask_b32_e32 v4, v6, v5, vcc
; %bb.1947:
	s_andn2_saveexec_b64 s[4:5], s[4:5]
; %bb.1948:
	s_mov_b32 s8, 0x46800000
	v_add_f32_e64 v4, |v2|, s8
; %bb.1949:
	s_or_b64 exec, exec, s[4:5]
                                        ; implicit-def: $vgpr5
.LBB199_1950:
	s_andn2_saveexec_b64 s[2:3], s[2:3]
; %bb.1951:
	s_mov_b32 s4, 0x7f800000
	v_mov_b32_e32 v4, 0x7e
	v_mov_b32_e32 v6, 0x7f
	v_cmp_lt_u32_e32 vcc, s4, v5
	v_cndmask_b32_e32 v4, v4, v6, vcc
; %bb.1952:
	s_or_b64 exec, exec, s[2:3]
	v_lshrrev_b32_e32 v2, 24, v2
	s_movk_i32 s2, 0x80
	v_and_or_b32 v2, v2, s2, v4
	global_store_byte v[0:1], v2, off
.LBB199_1953:
	s_mov_b64 s[2:3], 0
.LBB199_1954:
	s_andn2_b64 vcc, exec, s[2:3]
	s_cbranch_vccnz .LBB199_1964
; %bb.1955:
	v_cvt_f32_f16_e32 v2, v3
	s_mov_b32 s2, 0x47800000
                                        ; implicit-def: $vgpr4
	v_and_b32_e32 v5, 0x7fffffff, v2
	v_cmp_gt_u32_e32 vcc, s2, v5
	s_and_saveexec_b64 s[2:3], vcc
	s_xor_b64 s[2:3], exec, s[2:3]
	s_cbranch_execz .LBB199_1961
; %bb.1956:
	s_mov_b32 s4, 0x387fffff
	v_cmp_lt_u32_e32 vcc, s4, v5
                                        ; implicit-def: $vgpr4
	s_and_saveexec_b64 s[4:5], vcc
	s_xor_b64 s[4:5], exec, s[4:5]
; %bb.1957:
	v_bfe_u32 v4, v2, 21, 1
	s_mov_b32 s8, 0x80fffff
	v_add3_u32 v4, v2, v4, s8
	v_lshrrev_b32_e32 v4, 21, v4
; %bb.1958:
	s_andn2_saveexec_b64 s[4:5], s[4:5]
; %bb.1959:
	s_mov_b32 s8, 0x43000000
	v_add_f32_e64 v4, |v2|, s8
; %bb.1960:
	s_or_b64 exec, exec, s[4:5]
                                        ; implicit-def: $vgpr5
.LBB199_1961:
	s_andn2_saveexec_b64 s[2:3], s[2:3]
; %bb.1962:
	s_mov_b32 s4, 0x7f800000
	v_mov_b32_e32 v4, 0x7c
	v_mov_b32_e32 v6, 0x7f
	v_cmp_lt_u32_e32 vcc, s4, v5
	v_cndmask_b32_e32 v4, v4, v6, vcc
; %bb.1963:
	s_or_b64 exec, exec, s[2:3]
	v_lshrrev_b32_e32 v2, 24, v2
	s_movk_i32 s2, 0x80
	v_and_or_b32 v2, v2, s2, v4
	global_store_byte v[0:1], v2, off
.LBB199_1964:
	s_mov_b64 s[2:3], 0
.LBB199_1965:
	s_andn2_b64 vcc, exec, s[2:3]
	s_mov_b64 s[2:3], 0
	s_cbranch_vccnz .LBB199_1972
; %bb.1966:
	s_cmp_gt_i32 s12, 14
	s_mov_b64 s[4:5], -1
	s_cbranch_scc0 .LBB199_1970
; %bb.1967:
	s_cmp_eq_u32 s12, 15
	s_mov_b64 s[0:1], -1
	s_cbranch_scc0 .LBB199_1969
; %bb.1968:
	v_cvt_f32_f16_e32 v2, v3
	s_movk_i32 s0, 0x7fff
	v_cmp_o_f16_e32 vcc, v3, v3
	v_mov_b32_e32 v4, 0x7fc0
	v_bfe_u32 v5, v2, 16, 1
	v_add3_u32 v2, v2, v5, s0
	v_cndmask_b32_sdwa v2, v4, v2, vcc dst_sel:DWORD dst_unused:UNUSED_PAD src0_sel:DWORD src1_sel:WORD_1
	global_store_short v[0:1], v2, off
	s_mov_b64 s[0:1], 0
.LBB199_1969:
	s_mov_b64 s[4:5], 0
.LBB199_1970:
	s_and_b64 vcc, exec, s[4:5]
	s_cbranch_vccz .LBB199_1972
; %bb.1971:
	s_cmp_lg_u32 s12, 11
	s_mov_b64 s[2:3], -1
	s_cselect_b64 s[0:1], -1, 0
.LBB199_1972:
	s_and_b64 vcc, exec, s[0:1]
	s_cbranch_vccnz .LBB199_2038
.LBB199_1973:
	s_mov_b64 s[0:1], 0
	s_branch .LBB199_1975
.LBB199_1974:
	s_mov_b64 s[0:1], 0
	s_mov_b64 s[2:3], 0
                                        ; implicit-def: $sgpr22
                                        ; implicit-def: $vgpr0_vgpr1
                                        ; implicit-def: $vgpr3
.LBB199_1975:
	s_and_b64 s[4:5], s[2:3], exec
	s_andn2_b64 s[2:3], s[16:17], exec
	s_and_b64 s[8:9], s[18:19], exec
	s_and_b64 s[0:1], s[0:1], exec
	s_or_b64 s[16:17], s[2:3], s[8:9]
.LBB199_1976:
	s_or_b64 exec, exec, s[6:7]
	s_and_saveexec_b64 s[2:3], s[16:17]
	s_cbranch_execz .LBB199_1979
; %bb.1977:
	; divergent unreachable
	s_or_b64 exec, exec, s[2:3]
	s_and_saveexec_b64 s[2:3], s[4:5]
	s_xor_b64 s[2:3], exec, s[2:3]
	s_cbranch_execnz .LBB199_1980
.LBB199_1978:
	s_or_b64 exec, exec, s[2:3]
	s_and_saveexec_b64 s[2:3], s[0:1]
	s_cbranch_execnz .LBB199_1981
	s_branch .LBB199_2018
.LBB199_1979:
	s_or_b64 exec, exec, s[2:3]
	s_and_saveexec_b64 s[2:3], s[4:5]
	s_xor_b64 s[2:3], exec, s[2:3]
	s_cbranch_execz .LBB199_1978
.LBB199_1980:
	s_waitcnt vmcnt(0)
	v_and_b32_e32 v2, 0x7fff, v3
	v_cmp_ne_u16_e32 vcc, 0, v2
	v_cndmask_b32_e64 v2, 0, 1, vcc
	global_store_byte v[0:1], v2, off
	s_or_b64 exec, exec, s[2:3]
	s_and_saveexec_b64 s[2:3], s[0:1]
	s_cbranch_execz .LBB199_2018
.LBB199_1981:
	s_sext_i32_i16 s2, s22
	s_cmp_lt_i32 s2, 5
	s_mov_b64 s[0:1], -1
	s_cbranch_scc1 .LBB199_2002
; %bb.1982:
	s_cmp_lt_i32 s2, 8
	s_cbranch_scc1 .LBB199_1992
; %bb.1983:
	s_cmp_lt_i32 s2, 9
	s_cbranch_scc1 .LBB199_1989
; %bb.1984:
	s_cmp_gt_i32 s2, 9
	s_cbranch_scc0 .LBB199_1986
; %bb.1985:
	s_waitcnt vmcnt(0)
	v_cvt_f32_f16_e32 v2, v3
	v_mov_b32_e32 v6, 0
	v_mov_b32_e32 v7, v6
	s_mov_b64 s[0:1], 0
	v_cvt_f64_f32_e32 v[4:5], v2
	global_store_dwordx4 v[0:1], v[4:7], off
.LBB199_1986:
	s_andn2_b64 vcc, exec, s[0:1]
	s_cbranch_vccnz .LBB199_1988
; %bb.1987:
	s_waitcnt vmcnt(0)
	v_cvt_f32_f16_e32 v4, v3
	v_mov_b32_e32 v5, 0
	global_store_dwordx2 v[0:1], v[4:5], off
.LBB199_1988:
	s_mov_b64 s[0:1], 0
.LBB199_1989:
	s_andn2_b64 vcc, exec, s[0:1]
	s_cbranch_vccnz .LBB199_1991
; %bb.1990:
	s_waitcnt vmcnt(0)
	v_and_b32_e32 v2, 0xffff, v3
	global_store_dword v[0:1], v2, off
.LBB199_1991:
	s_mov_b64 s[0:1], 0
.LBB199_1992:
	s_andn2_b64 vcc, exec, s[0:1]
	s_cbranch_vccnz .LBB199_2001
; %bb.1993:
	s_sext_i32_i16 s2, s22
	s_cmp_lt_i32 s2, 6
	s_mov_b64 s[0:1], -1
	s_cbranch_scc1 .LBB199_1999
; %bb.1994:
	s_cmp_gt_i32 s2, 6
	s_cbranch_scc0 .LBB199_1996
; %bb.1995:
	s_waitcnt vmcnt(0)
	v_cvt_f32_f16_e32 v2, v3
	s_mov_b64 s[0:1], 0
	v_cvt_f64_f32_e32 v[4:5], v2
	global_store_dwordx2 v[0:1], v[4:5], off
.LBB199_1996:
	s_andn2_b64 vcc, exec, s[0:1]
	s_cbranch_vccnz .LBB199_1998
; %bb.1997:
	s_waitcnt vmcnt(0)
	v_cvt_f32_f16_e32 v2, v3
	global_store_dword v[0:1], v2, off
.LBB199_1998:
	s_mov_b64 s[0:1], 0
.LBB199_1999:
	s_andn2_b64 vcc, exec, s[0:1]
	s_cbranch_vccnz .LBB199_2001
; %bb.2000:
	s_waitcnt vmcnt(0)
	global_store_short v[0:1], v3, off
.LBB199_2001:
	s_mov_b64 s[0:1], 0
.LBB199_2002:
	s_andn2_b64 vcc, exec, s[0:1]
	s_cbranch_vccnz .LBB199_2018
; %bb.2003:
	s_sext_i32_i16 s2, s22
	s_cmp_lt_i32 s2, 2
	s_mov_b64 s[0:1], -1
	s_cbranch_scc1 .LBB199_2013
; %bb.2004:
	s_cmp_lt_i32 s2, 3
	s_cbranch_scc1 .LBB199_2010
; %bb.2005:
	s_cmp_gt_i32 s2, 3
	s_cbranch_scc0 .LBB199_2007
; %bb.2006:
	s_waitcnt vmcnt(0)
	v_cvt_f32_f16_e32 v2, v3
	s_mov_b64 s[0:1], 0
	v_cvt_i32_f32_e32 v4, v2
	v_ashrrev_i32_e32 v5, 31, v4
	global_store_dwordx2 v[0:1], v[4:5], off
.LBB199_2007:
	s_andn2_b64 vcc, exec, s[0:1]
	s_cbranch_vccnz .LBB199_2009
; %bb.2008:
	s_waitcnt vmcnt(0)
	v_cvt_f32_f16_e32 v2, v3
	v_cvt_i32_f32_e32 v2, v2
	global_store_dword v[0:1], v2, off
.LBB199_2009:
	s_mov_b64 s[0:1], 0
.LBB199_2010:
	s_andn2_b64 vcc, exec, s[0:1]
	s_cbranch_vccnz .LBB199_2012
; %bb.2011:
	s_waitcnt vmcnt(0)
	v_cvt_i16_f16_e32 v2, v3
	global_store_short v[0:1], v2, off
.LBB199_2012:
	s_mov_b64 s[0:1], 0
.LBB199_2013:
	s_andn2_b64 vcc, exec, s[0:1]
	s_cbranch_vccnz .LBB199_2018
; %bb.2014:
	s_sext_i32_i16 s0, s22
	s_cmp_gt_i32 s0, 0
	s_mov_b64 s[0:1], -1
	s_cbranch_scc0 .LBB199_2016
; %bb.2015:
	s_waitcnt vmcnt(0)
	v_cvt_i16_f16_e32 v2, v3
	global_store_byte v[0:1], v2, off
	s_mov_b64 s[0:1], 0
.LBB199_2016:
	s_andn2_b64 vcc, exec, s[0:1]
	s_cbranch_vccnz .LBB199_2018
; %bb.2017:
	s_waitcnt vmcnt(0)
	v_cvt_f32_f16_e32 v2, v3
	v_cvt_i32_f32_e32 v2, v2
	global_store_byte v[0:1], v2, off
	s_endpgm
.LBB199_2018:
	s_endpgm
.LBB199_2019:
	s_mov_b64 s[2:3], 0
	s_mov_b64 s[0:1], -1
	s_branch .LBB199_1975
.LBB199_2020:
	s_trap 2
	s_or_b64 s[18:19], s[18:19], exec
	s_cbranch_execz .LBB199_1489
	s_branch .LBB199_1490
.LBB199_2021:
	s_andn2_saveexec_b64 s[20:21], s[20:21]
	s_cbranch_execz .LBB199_1569
.LBB199_2022:
	s_mov_b32 s23, 0x46000000
	v_add_f32_e64 v8, |v7|, s23
	v_and_b32_e32 v8, 0xff, v8
	v_cmp_ne_u32_e32 vcc, 0, v8
	s_andn2_b64 s[14:15], s[14:15], exec
	s_and_b64 s[24:25], vcc, exec
	s_or_b64 s[14:15], s[14:15], s[24:25]
	s_or_b64 exec, exec, s[20:21]
	v_mov_b32_e32 v9, 0
	s_and_saveexec_b64 s[20:21], s[14:15]
	s_cbranch_execnz .LBB199_1570
	s_branch .LBB199_1571
.LBB199_2023:
	s_trap 2
	s_or_b64 s[18:19], s[18:19], exec
	s_cbranch_execz .LBB199_1617
	s_branch .LBB199_1618
.LBB199_2024:
	s_andn2_saveexec_b64 s[14:15], s[14:15]
	s_cbranch_execz .LBB199_1582
.LBB199_2025:
	s_mov_b32 s20, 0x42800000
	v_add_f32_e64 v8, |v7|, s20
	v_and_b32_e32 v8, 0xff, v8
	v_cmp_ne_u32_e32 vcc, 0, v8
	s_andn2_b64 s[10:11], s[10:11], exec
	s_and_b64 s[20:21], vcc, exec
	s_or_b64 s[10:11], s[10:11], s[20:21]
	s_or_b64 exec, exec, s[14:15]
	v_mov_b32_e32 v9, 0
	s_and_saveexec_b64 s[14:15], s[10:11]
	s_cbranch_execnz .LBB199_1583
	s_branch .LBB199_1584
.LBB199_2026:
	s_andn2_saveexec_b64 s[14:15], s[14:15]
	s_cbranch_execz .LBB199_1688
.LBB199_2027:
	s_mov_b32 s23, 0x46000000
	v_add_f32_e64 v7, |v4|, s23
	v_and_b32_e32 v7, 0xff, v7
	v_cmp_ne_u32_e32 vcc, 0, v7
	s_andn2_b64 s[12:13], s[12:13], exec
	s_and_b64 s[24:25], vcc, exec
	s_or_b64 s[12:13], s[12:13], s[24:25]
	s_or_b64 exec, exec, s[14:15]
	v_mov_b32_e32 v8, 0
	s_and_saveexec_b64 s[14:15], s[12:13]
	s_cbranch_execnz .LBB199_1689
	s_branch .LBB199_1690
.LBB199_2028:
	s_trap 2
	s_or_b64 s[18:19], s[18:19], exec
	s_cbranch_execz .LBB199_1736
	s_branch .LBB199_1737
.LBB199_2029:
	s_andn2_saveexec_b64 s[12:13], s[12:13]
	s_cbranch_execz .LBB199_1701
.LBB199_2030:
	s_mov_b32 s14, 0x42800000
	v_add_f32_e64 v7, |v4|, s14
	v_and_b32_e32 v7, 0xff, v7
	v_cmp_ne_u32_e32 vcc, 0, v7
	s_andn2_b64 s[10:11], s[10:11], exec
	s_and_b64 s[14:15], vcc, exec
	s_or_b64 s[10:11], s[10:11], s[14:15]
	s_or_b64 exec, exec, s[12:13]
	v_mov_b32_e32 v8, 0
	s_and_saveexec_b64 s[12:13], s[10:11]
	s_cbranch_execnz .LBB199_1702
	s_branch .LBB199_1703
.LBB199_2031:
	s_andn2_saveexec_b64 s[14:15], s[14:15]
	s_cbranch_execz .LBB199_1807
.LBB199_2032:
	s_mov_b32 s23, 0x46000000
	v_add_f32_e64 v5, |v4|, s23
	v_and_b32_e32 v5, 0xff, v5
	v_cmp_ne_u32_e32 vcc, 0, v5
	s_andn2_b64 s[12:13], s[12:13], exec
	s_and_b64 s[24:25], vcc, exec
	s_or_b64 s[12:13], s[12:13], s[24:25]
	s_or_b64 exec, exec, s[14:15]
	v_mov_b32_e32 v7, 0
	s_and_saveexec_b64 s[14:15], s[12:13]
	s_cbranch_execnz .LBB199_1808
	s_branch .LBB199_1809
.LBB199_2033:
	s_trap 2
	s_or_b64 s[18:19], s[18:19], exec
	s_cbranch_execz .LBB199_1855
	s_branch .LBB199_1856
.LBB199_2034:
	s_andn2_saveexec_b64 s[12:13], s[12:13]
	s_cbranch_execz .LBB199_1820
.LBB199_2035:
	s_mov_b32 s14, 0x42800000
	v_add_f32_e64 v5, |v4|, s14
	v_and_b32_e32 v5, 0xff, v5
	v_cmp_ne_u32_e32 vcc, 0, v5
	s_andn2_b64 s[10:11], s[10:11], exec
	s_and_b64 s[14:15], vcc, exec
	s_or_b64 s[10:11], s[10:11], s[14:15]
	s_or_b64 exec, exec, s[12:13]
	v_mov_b32_e32 v7, 0
	s_and_saveexec_b64 s[12:13], s[10:11]
	s_cbranch_execnz .LBB199_1821
	s_branch .LBB199_1822
.LBB199_2036:
	s_andn2_saveexec_b64 s[10:11], s[10:11]
	s_cbranch_execz .LBB199_1927
.LBB199_2037:
	s_mov_b32 s13, 0x46000000
	v_add_f32_e64 v4, |v2|, s13
	v_and_b32_e32 v4, 0xff, v4
	v_cmp_ne_u32_e32 vcc, 0, v4
	s_andn2_b64 s[8:9], s[8:9], exec
	s_and_b64 s[14:15], vcc, exec
	s_or_b64 s[8:9], s[8:9], s[14:15]
	s_or_b64 exec, exec, s[10:11]
	v_mov_b32_e32 v5, 0
	s_and_saveexec_b64 s[10:11], s[8:9]
	s_cbranch_execnz .LBB199_1928
	s_branch .LBB199_1929
.LBB199_2038:
	s_mov_b64 s[2:3], 0
	s_or_b64 s[18:19], s[18:19], exec
	s_trap 2
	s_branch .LBB199_1973
.LBB199_2039:
	s_andn2_saveexec_b64 s[8:9], s[8:9]
	s_cbranch_execz .LBB199_1939
.LBB199_2040:
	s_mov_b32 s10, 0x42800000
	v_add_f32_e64 v4, |v2|, s10
	v_and_b32_e32 v4, 0xff, v4
	v_cmp_ne_u32_e32 vcc, 0, v4
	s_andn2_b64 s[4:5], s[4:5], exec
	s_and_b64 s[10:11], vcc, exec
	s_or_b64 s[4:5], s[4:5], s[10:11]
	s_or_b64 exec, exec, s[8:9]
	v_mov_b32_e32 v5, 0
	s_and_saveexec_b64 s[8:9], s[4:5]
	s_cbranch_execnz .LBB199_1940
	s_branch .LBB199_1941
	.section	.rodata,"a",@progbits
	.p2align	6, 0x0
	.amdhsa_kernel _ZN2at6native32elementwise_kernel_manual_unrollILi128ELi4EZNS0_15gpu_kernel_implINS0_13AUnaryFunctorIN3c104HalfES5_S5_ZNS0_12_GLOBAL__N_121threshold_kernel_implIS5_EEvRNS_18TensorIteratorBaseET_SA_EUlS5_S5_E_EEEEvS9_RKSA_EUlibE_EEviT1_
		.amdhsa_group_segment_fixed_size 0
		.amdhsa_private_segment_fixed_size 0
		.amdhsa_kernarg_size 40
		.amdhsa_user_sgpr_count 6
		.amdhsa_user_sgpr_private_segment_buffer 1
		.amdhsa_user_sgpr_dispatch_ptr 0
		.amdhsa_user_sgpr_queue_ptr 0
		.amdhsa_user_sgpr_kernarg_segment_ptr 1
		.amdhsa_user_sgpr_dispatch_id 0
		.amdhsa_user_sgpr_flat_scratch_init 0
		.amdhsa_user_sgpr_private_segment_size 0
		.amdhsa_uses_dynamic_stack 0
		.amdhsa_system_sgpr_private_segment_wavefront_offset 0
		.amdhsa_system_sgpr_workgroup_id_x 1
		.amdhsa_system_sgpr_workgroup_id_y 0
		.amdhsa_system_sgpr_workgroup_id_z 0
		.amdhsa_system_sgpr_workgroup_info 0
		.amdhsa_system_vgpr_workitem_id 0
		.amdhsa_next_free_vgpr 14
		.amdhsa_next_free_sgpr 49
		.amdhsa_reserve_vcc 1
		.amdhsa_reserve_flat_scratch 0
		.amdhsa_float_round_mode_32 0
		.amdhsa_float_round_mode_16_64 0
		.amdhsa_float_denorm_mode_32 3
		.amdhsa_float_denorm_mode_16_64 3
		.amdhsa_dx10_clamp 1
		.amdhsa_ieee_mode 1
		.amdhsa_fp16_overflow 0
		.amdhsa_exception_fp_ieee_invalid_op 0
		.amdhsa_exception_fp_denorm_src 0
		.amdhsa_exception_fp_ieee_div_zero 0
		.amdhsa_exception_fp_ieee_overflow 0
		.amdhsa_exception_fp_ieee_underflow 0
		.amdhsa_exception_fp_ieee_inexact 0
		.amdhsa_exception_int_div_zero 0
	.end_amdhsa_kernel
	.section	.text._ZN2at6native32elementwise_kernel_manual_unrollILi128ELi4EZNS0_15gpu_kernel_implINS0_13AUnaryFunctorIN3c104HalfES5_S5_ZNS0_12_GLOBAL__N_121threshold_kernel_implIS5_EEvRNS_18TensorIteratorBaseET_SA_EUlS5_S5_E_EEEEvS9_RKSA_EUlibE_EEviT1_,"axG",@progbits,_ZN2at6native32elementwise_kernel_manual_unrollILi128ELi4EZNS0_15gpu_kernel_implINS0_13AUnaryFunctorIN3c104HalfES5_S5_ZNS0_12_GLOBAL__N_121threshold_kernel_implIS5_EEvRNS_18TensorIteratorBaseET_SA_EUlS5_S5_E_EEEEvS9_RKSA_EUlibE_EEviT1_,comdat
.Lfunc_end199:
	.size	_ZN2at6native32elementwise_kernel_manual_unrollILi128ELi4EZNS0_15gpu_kernel_implINS0_13AUnaryFunctorIN3c104HalfES5_S5_ZNS0_12_GLOBAL__N_121threshold_kernel_implIS5_EEvRNS_18TensorIteratorBaseET_SA_EUlS5_S5_E_EEEEvS9_RKSA_EUlibE_EEviT1_, .Lfunc_end199-_ZN2at6native32elementwise_kernel_manual_unrollILi128ELi4EZNS0_15gpu_kernel_implINS0_13AUnaryFunctorIN3c104HalfES5_S5_ZNS0_12_GLOBAL__N_121threshold_kernel_implIS5_EEvRNS_18TensorIteratorBaseET_SA_EUlS5_S5_E_EEEEvS9_RKSA_EUlibE_EEviT1_
                                        ; -- End function
	.set _ZN2at6native32elementwise_kernel_manual_unrollILi128ELi4EZNS0_15gpu_kernel_implINS0_13AUnaryFunctorIN3c104HalfES5_S5_ZNS0_12_GLOBAL__N_121threshold_kernel_implIS5_EEvRNS_18TensorIteratorBaseET_SA_EUlS5_S5_E_EEEEvS9_RKSA_EUlibE_EEviT1_.num_vgpr, 14
	.set _ZN2at6native32elementwise_kernel_manual_unrollILi128ELi4EZNS0_15gpu_kernel_implINS0_13AUnaryFunctorIN3c104HalfES5_S5_ZNS0_12_GLOBAL__N_121threshold_kernel_implIS5_EEvRNS_18TensorIteratorBaseET_SA_EUlS5_S5_E_EEEEvS9_RKSA_EUlibE_EEviT1_.num_agpr, 0
	.set _ZN2at6native32elementwise_kernel_manual_unrollILi128ELi4EZNS0_15gpu_kernel_implINS0_13AUnaryFunctorIN3c104HalfES5_S5_ZNS0_12_GLOBAL__N_121threshold_kernel_implIS5_EEvRNS_18TensorIteratorBaseET_SA_EUlS5_S5_E_EEEEvS9_RKSA_EUlibE_EEviT1_.numbered_sgpr, 49
	.set _ZN2at6native32elementwise_kernel_manual_unrollILi128ELi4EZNS0_15gpu_kernel_implINS0_13AUnaryFunctorIN3c104HalfES5_S5_ZNS0_12_GLOBAL__N_121threshold_kernel_implIS5_EEvRNS_18TensorIteratorBaseET_SA_EUlS5_S5_E_EEEEvS9_RKSA_EUlibE_EEviT1_.num_named_barrier, 0
	.set _ZN2at6native32elementwise_kernel_manual_unrollILi128ELi4EZNS0_15gpu_kernel_implINS0_13AUnaryFunctorIN3c104HalfES5_S5_ZNS0_12_GLOBAL__N_121threshold_kernel_implIS5_EEvRNS_18TensorIteratorBaseET_SA_EUlS5_S5_E_EEEEvS9_RKSA_EUlibE_EEviT1_.private_seg_size, 0
	.set _ZN2at6native32elementwise_kernel_manual_unrollILi128ELi4EZNS0_15gpu_kernel_implINS0_13AUnaryFunctorIN3c104HalfES5_S5_ZNS0_12_GLOBAL__N_121threshold_kernel_implIS5_EEvRNS_18TensorIteratorBaseET_SA_EUlS5_S5_E_EEEEvS9_RKSA_EUlibE_EEviT1_.uses_vcc, 1
	.set _ZN2at6native32elementwise_kernel_manual_unrollILi128ELi4EZNS0_15gpu_kernel_implINS0_13AUnaryFunctorIN3c104HalfES5_S5_ZNS0_12_GLOBAL__N_121threshold_kernel_implIS5_EEvRNS_18TensorIteratorBaseET_SA_EUlS5_S5_E_EEEEvS9_RKSA_EUlibE_EEviT1_.uses_flat_scratch, 0
	.set _ZN2at6native32elementwise_kernel_manual_unrollILi128ELi4EZNS0_15gpu_kernel_implINS0_13AUnaryFunctorIN3c104HalfES5_S5_ZNS0_12_GLOBAL__N_121threshold_kernel_implIS5_EEvRNS_18TensorIteratorBaseET_SA_EUlS5_S5_E_EEEEvS9_RKSA_EUlibE_EEviT1_.has_dyn_sized_stack, 0
	.set _ZN2at6native32elementwise_kernel_manual_unrollILi128ELi4EZNS0_15gpu_kernel_implINS0_13AUnaryFunctorIN3c104HalfES5_S5_ZNS0_12_GLOBAL__N_121threshold_kernel_implIS5_EEvRNS_18TensorIteratorBaseET_SA_EUlS5_S5_E_EEEEvS9_RKSA_EUlibE_EEviT1_.has_recursion, 0
	.set _ZN2at6native32elementwise_kernel_manual_unrollILi128ELi4EZNS0_15gpu_kernel_implINS0_13AUnaryFunctorIN3c104HalfES5_S5_ZNS0_12_GLOBAL__N_121threshold_kernel_implIS5_EEvRNS_18TensorIteratorBaseET_SA_EUlS5_S5_E_EEEEvS9_RKSA_EUlibE_EEviT1_.has_indirect_call, 0
	.section	.AMDGPU.csdata,"",@progbits
; Kernel info:
; codeLenInByte = 35636
; TotalNumSgprs: 53
; NumVgprs: 14
; ScratchSize: 0
; MemoryBound: 0
; FloatMode: 240
; IeeeMode: 1
; LDSByteSize: 0 bytes/workgroup (compile time only)
; SGPRBlocks: 6
; VGPRBlocks: 3
; NumSGPRsForWavesPerEU: 53
; NumVGPRsForWavesPerEU: 14
; Occupancy: 10
; WaveLimiterHint : 0
; COMPUTE_PGM_RSRC2:SCRATCH_EN: 0
; COMPUTE_PGM_RSRC2:USER_SGPR: 6
; COMPUTE_PGM_RSRC2:TRAP_HANDLER: 0
; COMPUTE_PGM_RSRC2:TGID_X_EN: 1
; COMPUTE_PGM_RSRC2:TGID_Y_EN: 0
; COMPUTE_PGM_RSRC2:TGID_Z_EN: 0
; COMPUTE_PGM_RSRC2:TIDIG_COMP_CNT: 0
	.section	.text._ZN2at6native32elementwise_kernel_manual_unrollILi128ELi4EZNS0_15gpu_kernel_implINS0_13AUnaryFunctorIN3c104HalfES5_S5_ZNS0_12_GLOBAL__N_121threshold_kernel_implIS5_EEvRNS_18TensorIteratorBaseET_SA_EUlS5_S5_E_EEEEvS9_RKSA_EUlibE0_EEviT1_,"axG",@progbits,_ZN2at6native32elementwise_kernel_manual_unrollILi128ELi4EZNS0_15gpu_kernel_implINS0_13AUnaryFunctorIN3c104HalfES5_S5_ZNS0_12_GLOBAL__N_121threshold_kernel_implIS5_EEvRNS_18TensorIteratorBaseET_SA_EUlS5_S5_E_EEEEvS9_RKSA_EUlibE0_EEviT1_,comdat
	.globl	_ZN2at6native32elementwise_kernel_manual_unrollILi128ELi4EZNS0_15gpu_kernel_implINS0_13AUnaryFunctorIN3c104HalfES5_S5_ZNS0_12_GLOBAL__N_121threshold_kernel_implIS5_EEvRNS_18TensorIteratorBaseET_SA_EUlS5_S5_E_EEEEvS9_RKSA_EUlibE0_EEviT1_ ; -- Begin function _ZN2at6native32elementwise_kernel_manual_unrollILi128ELi4EZNS0_15gpu_kernel_implINS0_13AUnaryFunctorIN3c104HalfES5_S5_ZNS0_12_GLOBAL__N_121threshold_kernel_implIS5_EEvRNS_18TensorIteratorBaseET_SA_EUlS5_S5_E_EEEEvS9_RKSA_EUlibE0_EEviT1_
	.p2align	8
	.type	_ZN2at6native32elementwise_kernel_manual_unrollILi128ELi4EZNS0_15gpu_kernel_implINS0_13AUnaryFunctorIN3c104HalfES5_S5_ZNS0_12_GLOBAL__N_121threshold_kernel_implIS5_EEvRNS_18TensorIteratorBaseET_SA_EUlS5_S5_E_EEEEvS9_RKSA_EUlibE0_EEviT1_,@function
_ZN2at6native32elementwise_kernel_manual_unrollILi128ELi4EZNS0_15gpu_kernel_implINS0_13AUnaryFunctorIN3c104HalfES5_S5_ZNS0_12_GLOBAL__N_121threshold_kernel_implIS5_EEvRNS_18TensorIteratorBaseET_SA_EUlS5_S5_E_EEEEvS9_RKSA_EUlibE0_EEviT1_: ; @_ZN2at6native32elementwise_kernel_manual_unrollILi128ELi4EZNS0_15gpu_kernel_implINS0_13AUnaryFunctorIN3c104HalfES5_S5_ZNS0_12_GLOBAL__N_121threshold_kernel_implIS5_EEvRNS_18TensorIteratorBaseET_SA_EUlS5_S5_E_EEEEvS9_RKSA_EUlibE0_EEviT1_
; %bb.0:
	s_load_dword s72, s[4:5], 0x0
	s_load_dword s33, s[4:5], 0x8
	s_add_u32 s34, s4, 8
	s_addc_u32 s35, s5, 0
	v_lshl_or_b32 v8, s6, 9, v0
	v_or_b32_e32 v15, 0x180, v8
	s_waitcnt lgkmcnt(0)
	s_add_i32 s74, s33, -1
	s_cmp_gt_u32 s74, 1
	v_cmp_le_i32_e32 vcc, s72, v15
	s_cselect_b64 s[44:45], -1, 0
	s_mov_b64 s[6:7], 0
	s_mov_b64 s[28:29], 0
	s_and_saveexec_b64 s[0:1], vcc
	s_xor_b64 s[46:47], exec, s[0:1]
	s_cbranch_execz .LBB200_1086
; %bb.1:
	s_load_dword s2, s[4:5], 0x164
	s_cmp_lg_u32 s33, 0
	s_load_dwordx4 s[28:31], s[34:35], 0x4
	s_load_dwordx2 s[48:49], s[34:35], 0x14
	s_load_dwordx2 s[0:1], s[34:35], 0x158
	s_load_dwordx4 s[36:39], s[34:35], 0xc4
	s_load_dwordx4 s[24:27], s[34:35], 0x148
	s_cselect_b64 s[54:55], -1, 0
	s_add_u32 s52, s34, 0xc4
	s_addc_u32 s53, s35, 0
	s_min_u32 s78, s74, 15
	s_cmp_gt_u32 s33, 1
	s_waitcnt lgkmcnt(0)
	v_mov_b32_e32 v0, s0
	s_cselect_b64 s[50:51], -1, 0
	s_lshr_b32 s75, s2, 16
	s_lshr_b32 s77, s2, 24
	;; [unrolled: 1-line block ×3, first 2 shown]
	v_cmp_le_f16_e64 s[0:1], s1, v0
	v_cmp_gt_i32_e32 vcc, s72, v8
	s_mov_b64 s[2:3], -1
	s_mov_b64 s[64:65], 0
	s_mov_b64 s[58:59], 0
	;; [unrolled: 1-line block ×3, first 2 shown]
	s_and_saveexec_b64 s[60:61], vcc
	s_cbranch_execz .LBB200_266
; %bb.2:
	s_andn2_b64 vcc, exec, s[44:45]
	s_cbranch_vccnz .LBB200_7
; %bb.3:
	s_andn2_b64 vcc, exec, s[54:55]
	s_cbranch_vccnz .LBB200_8
; %bb.4:
	s_add_i32 s59, s78, 1
	s_cmp_eq_u32 s74, 2
	s_cbranch_scc1 .LBB200_9
; %bb.5:
	s_and_b32 s58, s59, 28
	v_mov_b32_e32 v2, 0
	s_mov_b32 s62, 0
	s_mov_b64 s[2:3], s[34:35]
	s_mov_b64 s[56:57], s[52:53]
	v_mov_b32_e32 v0, 0
	v_mov_b32_e32 v1, v8
.LBB200_6:                              ; =>This Inner Loop Header: Depth=1
	s_load_dwordx8 s[16:23], s[2:3], 0x4
	s_load_dwordx4 s[40:43], s[2:3], 0x24
	s_load_dwordx8 s[8:15], s[56:57], 0x0
	s_add_u32 s2, s2, 48
	s_addc_u32 s3, s3, 0
	s_waitcnt lgkmcnt(0)
	v_mul_hi_u32 v3, s17, v1
	s_add_i32 s62, s62, 4
	s_add_u32 s56, s56, 32
	s_addc_u32 s57, s57, 0
	v_add_u32_e32 v3, v1, v3
	v_lshrrev_b32_e32 v3, s18, v3
	v_mul_lo_u32 v4, v3, s16
	v_mul_hi_u32 v5, s20, v3
	s_cmp_lg_u32 s58, s62
	v_sub_u32_e32 v1, v1, v4
	v_add_u32_e32 v4, v3, v5
	v_mul_lo_u32 v5, v1, s8
	v_mul_lo_u32 v6, v1, s9
	v_lshrrev_b32_e32 v1, s21, v4
	v_mul_lo_u32 v4, v1, s19
	v_mul_hi_u32 v7, s23, v1
	v_sub_u32_e32 v3, v3, v4
	v_add_u32_e32 v4, v1, v7
	v_lshrrev_b32_e32 v4, s40, v4
	v_mul_hi_u32 v9, s42, v4
	v_mul_lo_u32 v10, v4, s22
	v_mul_lo_u32 v7, v3, s10
	;; [unrolled: 1-line block ×3, first 2 shown]
	v_sub_u32_e32 v10, v1, v10
	v_add_u32_e32 v1, v4, v9
	v_lshrrev_b32_e32 v1, s43, v1
	v_mul_lo_u32 v9, v1, s41
	v_mul_lo_u32 v11, v10, s12
	;; [unrolled: 1-line block ×3, first 2 shown]
	v_add3_u32 v0, v5, v0, v7
	v_sub_u32_e32 v4, v4, v9
	v_mul_lo_u32 v9, v4, s14
	v_mul_lo_u32 v4, v4, s15
	v_add3_u32 v2, v6, v2, v3
	v_add3_u32 v0, v11, v0, v9
	;; [unrolled: 1-line block ×3, first 2 shown]
	s_cbranch_scc1 .LBB200_6
	s_branch .LBB200_10
.LBB200_7:
                                        ; implicit-def: $vgpr0
                                        ; implicit-def: $vgpr2
	s_andn2_b64 vcc, exec, s[2:3]
	s_cbranch_vccz .LBB200_14
	s_branch .LBB200_16
.LBB200_8:
	v_mov_b32_e32 v0, 0
	v_mov_b32_e32 v2, 0
	s_branch .LBB200_13
.LBB200_9:
	s_mov_b32 s58, 0
	v_mov_b32_e32 v0, 0
	v_mov_b32_e32 v2, 0
	;; [unrolled: 1-line block ×3, first 2 shown]
.LBB200_10:
	s_and_b32 s10, s59, 3
	s_cmp_eq_u32 s10, 0
	s_cbranch_scc1 .LBB200_13
; %bb.11:
	s_lshl_b32 s2, s58, 3
	s_add_u32 s2, s34, s2
	s_addc_u32 s3, s35, 0
	s_add_u32 s2, s2, 0xc4
	s_addc_u32 s3, s3, 0
	s_mul_i32 s8, s58, 12
	s_add_u32 s8, s34, s8
	s_addc_u32 s9, s35, 0
.LBB200_12:                             ; =>This Inner Loop Header: Depth=1
	s_load_dwordx2 s[12:13], s[8:9], 0x4
	s_load_dword s11, s[8:9], 0xc
	s_load_dwordx2 s[14:15], s[2:3], 0x0
	s_add_u32 s8, s8, 12
	s_addc_u32 s9, s9, 0
	s_waitcnt lgkmcnt(0)
	v_mul_hi_u32 v3, s13, v1
	s_add_u32 s2, s2, 8
	s_addc_u32 s3, s3, 0
	s_add_i32 s10, s10, -1
	v_add_u32_e32 v3, v1, v3
	v_lshrrev_b32_e32 v4, s11, v3
	v_mul_lo_u32 v3, v4, s12
	s_cmp_lg_u32 s10, 0
	v_sub_u32_e32 v3, v1, v3
	v_mad_u64_u32 v[0:1], s[12:13], v3, s14, v[0:1]
	v_mad_u64_u32 v[2:3], s[12:13], v3, s15, v[2:3]
	v_mov_b32_e32 v1, v4
	s_cbranch_scc1 .LBB200_12
.LBB200_13:
	s_cbranch_execnz .LBB200_16
.LBB200_14:
	v_mul_hi_u32 v0, s29, v8
	s_andn2_b64 vcc, exec, s[50:51]
	v_add_u32_e32 v0, v8, v0
	v_lshrrev_b32_e32 v1, s30, v0
	v_mul_lo_u32 v0, v1, s28
	v_sub_u32_e32 v2, v8, v0
	v_mul_lo_u32 v0, v2, s36
	v_mul_lo_u32 v2, v2, s37
	s_cbranch_vccnz .LBB200_16
; %bb.15:
	v_mul_hi_u32 v3, s48, v1
	v_add_u32_e32 v3, v1, v3
	v_lshrrev_b32_e32 v3, s49, v3
	v_mul_lo_u32 v3, v3, s31
	v_sub_u32_e32 v3, v1, v3
	v_mad_u64_u32 v[0:1], s[2:3], v3, s38, v[0:1]
	v_mad_u64_u32 v[2:3], s[2:3], v3, s39, v[2:3]
.LBB200_16:
	v_mov_b32_e32 v3, s27
	s_and_b32 s14, 0xffff, s77
	v_add_co_u32_e32 v1, vcc, s26, v2
	s_cmp_lt_i32 s14, 11
	v_addc_co_u32_e32 v2, vcc, 0, v3, vcc
	s_cbranch_scc1 .LBB200_23
; %bb.17:
	s_cmp_gt_i32 s14, 25
	s_cbranch_scc0 .LBB200_32
; %bb.18:
	s_cmp_gt_i32 s14, 28
	s_cbranch_scc0 .LBB200_35
	;; [unrolled: 3-line block ×4, first 2 shown]
; %bb.21:
	s_cmp_eq_u32 s14, 46
	s_mov_b64 s[10:11], 0
	s_cbranch_scc0 .LBB200_41
; %bb.22:
	global_load_dword v3, v[1:2], off
	s_mov_b64 s[2:3], -1
	s_mov_b64 s[8:9], 0
	s_waitcnt vmcnt(0)
	v_lshlrev_b32_e32 v3, 16, v3
	v_cvt_f16_f32_e32 v3, v3
	s_branch .LBB200_43
.LBB200_23:
	s_mov_b64 s[8:9], 0
                                        ; implicit-def: $vgpr3
	s_mov_b64 s[2:3], 0
	s_cbranch_execnz .LBB200_216
.LBB200_24:
	s_andn2_b64 vcc, exec, s[2:3]
	s_cbranch_vccnz .LBB200_263
.LBB200_25:
	v_mov_b32_e32 v1, s76
	s_waitcnt vmcnt(0)
	v_cndmask_b32_e64 v2, v3, v1, s[0:1]
	v_mov_b32_e32 v1, s25
	s_and_b32 s16, s75, 0xff
	v_add_co_u32_e32 v0, vcc, s24, v0
	s_cmp_lt_i32 s16, 11
	v_addc_co_u32_e32 v1, vcc, 0, v1, vcc
	s_cbranch_scc1 .LBB200_33
; %bb.26:
	s_and_b32 s17, 0xffff, s16
	s_cmp_gt_i32 s17, 25
	s_cbranch_scc0 .LBB200_36
; %bb.27:
	s_cmp_gt_i32 s17, 28
	s_cbranch_scc0 .LBB200_38
; %bb.28:
	;; [unrolled: 3-line block ×4, first 2 shown]
	s_mov_b64 s[12:13], 0
	s_mov_b64 s[2:3], -1
	s_cmp_eq_u32 s17, 46
	s_mov_b64 s[10:11], 0
	s_cbranch_scc0 .LBB200_47
; %bb.31:
	v_cvt_f32_f16_e32 v3, v2
	s_movk_i32 s2, 0x7fff
	v_cmp_o_f16_e32 vcc, v2, v2
	v_mov_b32_e32 v4, 0x7fc0
	v_bfe_u32 v5, v3, 16, 1
	v_add3_u32 v3, v3, v5, s2
	v_cndmask_b32_sdwa v3, v4, v3, vcc dst_sel:DWORD dst_unused:UNUSED_PAD src0_sel:DWORD src1_sel:WORD_1
	global_store_dword v[0:1], v3, off
	s_mov_b64 s[10:11], -1
	s_mov_b64 s[2:3], 0
	s_branch .LBB200_47
.LBB200_32:
	s_mov_b64 s[8:9], 0
	s_mov_b64 s[2:3], 0
                                        ; implicit-def: $vgpr3
	s_cbranch_execnz .LBB200_181
	s_branch .LBB200_215
.LBB200_33:
	s_mov_b64 s[2:3], 0
	s_mov_b64 s[10:11], 0
	s_cbranch_execnz .LBB200_116
.LBB200_34:
	s_andn2_b64 vcc, exec, s[10:11]
	s_cbranch_vccnz .LBB200_264
	s_branch .LBB200_154
.LBB200_35:
	s_mov_b64 s[10:11], -1
	s_mov_b64 s[8:9], 0
	s_mov_b64 s[2:3], 0
                                        ; implicit-def: $vgpr3
	s_branch .LBB200_162
.LBB200_36:
	s_mov_b64 s[12:13], -1
	s_mov_b64 s[2:3], 0
	s_mov_b64 s[10:11], 0
	s_branch .LBB200_74
.LBB200_37:
	s_mov_b64 s[10:11], -1
	s_mov_b64 s[8:9], 0
	s_mov_b64 s[2:3], 0
                                        ; implicit-def: $vgpr3
	s_branch .LBB200_157
.LBB200_38:
	s_mov_b64 s[12:13], -1
	s_mov_b64 s[2:3], 0
	s_mov_b64 s[10:11], 0
	s_branch .LBB200_57
.LBB200_39:
	s_mov_b64 s[10:11], -1
	s_mov_b64 s[8:9], 0
	s_branch .LBB200_42
.LBB200_40:
	s_mov_b64 s[12:13], -1
	s_mov_b64 s[2:3], 0
	s_mov_b64 s[10:11], 0
	s_branch .LBB200_53
.LBB200_41:
	s_mov_b64 s[8:9], -1
.LBB200_42:
	s_mov_b64 s[2:3], 0
                                        ; implicit-def: $vgpr3
.LBB200_43:
	s_and_b64 vcc, exec, s[10:11]
	s_cbranch_vccz .LBB200_156
; %bb.44:
	s_cmp_eq_u32 s14, 44
	s_cbranch_scc0 .LBB200_155
; %bb.45:
	global_load_ubyte v3, v[1:2], off
	s_movk_i32 s8, 0xff
	v_mov_b32_e32 v5, 0x7e00
	s_mov_b64 s[2:3], -1
	s_waitcnt vmcnt(0)
	v_lshlrev_b32_e32 v4, 23, v3
	v_cvt_f16_f32_e32 v4, v4
	v_cmp_ne_u32_e32 vcc, s8, v3
	s_mov_b64 s[8:9], 0
	v_cndmask_b32_e32 v4, v5, v4, vcc
	v_cmp_ne_u32_e32 vcc, 0, v3
	v_cndmask_b32_e32 v3, 0, v4, vcc
	s_branch .LBB200_156
.LBB200_46:
	s_mov_b64 s[12:13], -1
	s_mov_b64 s[2:3], 0
	s_mov_b64 s[10:11], 0
.LBB200_47:
	s_and_b64 vcc, exec, s[12:13]
	s_cbranch_vccz .LBB200_52
; %bb.48:
	s_cmp_eq_u32 s17, 44
	s_mov_b64 s[2:3], -1
	s_cbranch_scc0 .LBB200_52
; %bb.49:
	v_cvt_f32_f16_e32 v3, v2
	s_movk_i32 s2, 0xff
	v_mov_b32_e32 v5, 0xff
	v_bfe_u32 v4, v3, 23, 8
	v_cmp_ne_u32_e32 vcc, s2, v4
	s_and_saveexec_b64 s[10:11], vcc
; %bb.50:
	s_mov_b32 s2, 0x3fffff
	v_lshrrev_b32_e32 v5, 23, v3
	v_and_b32_e32 v6, 0x400000, v3
	v_and_or_b32 v3, v3, s2, v4
	v_cmp_ne_u32_e32 vcc, 0, v6
	v_cmp_ne_u32_e64 s[2:3], 0, v3
	s_and_b64 s[2:3], vcc, s[2:3]
	v_cndmask_b32_e64 v3, 0, 1, s[2:3]
	v_add_u32_e32 v5, v5, v3
; %bb.51:
	s_or_b64 exec, exec, s[10:11]
	s_mov_b64 s[10:11], -1
	s_mov_b64 s[2:3], 0
	global_store_byte v[0:1], v5, off
.LBB200_52:
	s_mov_b64 s[12:13], 0
.LBB200_53:
	s_and_b64 vcc, exec, s[12:13]
	s_cbranch_vccz .LBB200_56
; %bb.54:
	s_cmp_eq_u32 s17, 29
	s_mov_b64 s[2:3], -1
	s_cbranch_scc0 .LBB200_56
; %bb.55:
	v_cvt_f32_f16_e32 v3, v2
	v_mov_b32_e32 v4, 0
	s_mov_b64 s[10:11], -1
	s_mov_b64 s[2:3], 0
	v_cvt_u32_f32_e32 v3, v3
	s_mov_b64 s[12:13], 0
	global_store_dwordx2 v[0:1], v[3:4], off
	s_branch .LBB200_57
.LBB200_56:
	s_mov_b64 s[12:13], 0
.LBB200_57:
	s_and_b64 vcc, exec, s[12:13]
	s_cbranch_vccz .LBB200_73
; %bb.58:
	s_cmp_lt_i32 s17, 27
	s_mov_b64 s[10:11], -1
	s_cbranch_scc1 .LBB200_64
; %bb.59:
	s_cmp_gt_i32 s17, 27
	s_cbranch_scc0 .LBB200_61
; %bb.60:
	v_cvt_f32_f16_e32 v3, v2
	s_mov_b64 s[10:11], 0
	v_cvt_u32_f32_e32 v3, v3
	global_store_dword v[0:1], v3, off
.LBB200_61:
	s_andn2_b64 vcc, exec, s[10:11]
	s_cbranch_vccnz .LBB200_63
; %bb.62:
	v_cvt_u16_f16_e32 v3, v2
	global_store_short v[0:1], v3, off
.LBB200_63:
	s_mov_b64 s[10:11], 0
.LBB200_64:
	s_andn2_b64 vcc, exec, s[10:11]
	s_cbranch_vccnz .LBB200_72
; %bb.65:
	v_cvt_f32_f16_e32 v3, v2
	s_mov_b32 s10, 0x43800000
	v_mov_b32_e32 v5, 0x80
	v_and_b32_e32 v4, 0x7fffffff, v3
	v_cmp_gt_u32_e32 vcc, s10, v4
	s_and_saveexec_b64 s[10:11], vcc
	s_cbranch_execz .LBB200_71
; %bb.66:
	s_mov_b32 s12, 0x3bffffff
	v_cmp_lt_u32_e32 vcc, s12, v4
	s_mov_b64 s[12:13], 0
                                        ; implicit-def: $vgpr4
	s_and_saveexec_b64 s[14:15], vcc
	s_xor_b64 s[14:15], exec, s[14:15]
	s_cbranch_execz .LBB200_307
; %bb.67:
	v_bfe_u32 v4, v3, 20, 1
	s_mov_b32 s18, 0x487ffff
	v_add3_u32 v4, v3, v4, s18
	s_mov_b64 s[12:13], exec
	v_lshrrev_b32_e32 v4, 20, v4
	s_andn2_saveexec_b64 s[14:15], s[14:15]
	s_cbranch_execnz .LBB200_308
.LBB200_68:
	s_or_b64 exec, exec, s[14:15]
	v_mov_b32_e32 v5, 0
	s_and_saveexec_b64 s[14:15], s[12:13]
.LBB200_69:
	v_lshrrev_b32_e32 v3, 24, v3
	s_movk_i32 s12, 0x80
	v_and_or_b32 v5, v3, s12, v4
.LBB200_70:
	s_or_b64 exec, exec, s[14:15]
.LBB200_71:
	s_or_b64 exec, exec, s[10:11]
	global_store_byte v[0:1], v5, off
.LBB200_72:
	s_mov_b64 s[10:11], -1
.LBB200_73:
	s_mov_b64 s[12:13], 0
.LBB200_74:
	s_and_b64 vcc, exec, s[12:13]
	s_cbranch_vccz .LBB200_115
; %bb.75:
	s_cmp_gt_i32 s17, 22
	s_mov_b64 s[12:13], -1
	s_cbranch_scc0 .LBB200_107
; %bb.76:
	s_cmp_lt_i32 s17, 24
	s_mov_b64 s[10:11], -1
	s_cbranch_scc1 .LBB200_96
; %bb.77:
	s_cmp_gt_i32 s17, 24
	s_cbranch_scc0 .LBB200_85
; %bb.78:
	v_cvt_f32_f16_e32 v3, v2
	s_mov_b32 s10, 0x47800000
	v_mov_b32_e32 v5, 0x80
	v_and_b32_e32 v4, 0x7fffffff, v3
	v_cmp_gt_u32_e32 vcc, s10, v4
	s_and_saveexec_b64 s[10:11], vcc
	s_cbranch_execz .LBB200_84
; %bb.79:
	s_mov_b32 s12, 0x37ffffff
	v_cmp_lt_u32_e32 vcc, s12, v4
	s_mov_b64 s[12:13], 0
                                        ; implicit-def: $vgpr4
	s_and_saveexec_b64 s[14:15], vcc
	s_xor_b64 s[14:15], exec, s[14:15]
	s_cbranch_execz .LBB200_311
; %bb.80:
	v_bfe_u32 v4, v3, 21, 1
	s_mov_b32 s18, 0x88fffff
	v_add3_u32 v4, v3, v4, s18
	s_mov_b64 s[12:13], exec
	v_lshrrev_b32_e32 v4, 21, v4
	s_andn2_saveexec_b64 s[14:15], s[14:15]
	s_cbranch_execnz .LBB200_312
.LBB200_81:
	s_or_b64 exec, exec, s[14:15]
	v_mov_b32_e32 v5, 0
	s_and_saveexec_b64 s[14:15], s[12:13]
.LBB200_82:
	v_lshrrev_b32_e32 v3, 24, v3
	s_movk_i32 s12, 0x80
	v_and_or_b32 v5, v3, s12, v4
.LBB200_83:
	s_or_b64 exec, exec, s[14:15]
.LBB200_84:
	s_or_b64 exec, exec, s[10:11]
	s_mov_b64 s[10:11], 0
	global_store_byte v[0:1], v5, off
.LBB200_85:
	s_and_b64 vcc, exec, s[10:11]
	s_cbranch_vccz .LBB200_95
; %bb.86:
	v_cvt_f32_f16_e32 v3, v2
	s_mov_b32 s10, 0x43f00000
                                        ; implicit-def: $vgpr4
	v_and_b32_e32 v5, 0x7fffffff, v3
	v_cmp_gt_u32_e32 vcc, s10, v5
	s_and_saveexec_b64 s[10:11], vcc
	s_xor_b64 s[10:11], exec, s[10:11]
	s_cbranch_execz .LBB200_92
; %bb.87:
	s_mov_b32 s12, 0x3c7fffff
	v_cmp_lt_u32_e32 vcc, s12, v5
                                        ; implicit-def: $vgpr4
	s_and_saveexec_b64 s[12:13], vcc
	s_xor_b64 s[12:13], exec, s[12:13]
; %bb.88:
	v_bfe_u32 v4, v3, 20, 1
	s_mov_b32 s14, 0x407ffff
	v_add3_u32 v4, v3, v4, s14
	v_lshrrev_b32_e32 v5, 20, v4
	v_and_b32_e32 v4, 0xff00000, v4
	s_mov_b32 s14, 0x7f00000
	v_mov_b32_e32 v6, 0x7e
	v_cmp_ne_u32_e32 vcc, s14, v4
	v_cndmask_b32_e32 v4, v6, v5, vcc
; %bb.89:
	s_andn2_saveexec_b64 s[12:13], s[12:13]
; %bb.90:
	s_mov_b32 s14, 0x46800000
	v_add_f32_e64 v4, |v3|, s14
; %bb.91:
	s_or_b64 exec, exec, s[12:13]
                                        ; implicit-def: $vgpr5
.LBB200_92:
	s_andn2_saveexec_b64 s[10:11], s[10:11]
; %bb.93:
	s_mov_b32 s12, 0x7f800000
	v_mov_b32_e32 v4, 0x7e
	v_mov_b32_e32 v6, 0x7f
	v_cmp_lt_u32_e32 vcc, s12, v5
	v_cndmask_b32_e32 v4, v4, v6, vcc
; %bb.94:
	s_or_b64 exec, exec, s[10:11]
	v_lshrrev_b32_e32 v3, 24, v3
	s_movk_i32 s10, 0x80
	v_and_or_b32 v3, v3, s10, v4
	global_store_byte v[0:1], v3, off
.LBB200_95:
	s_mov_b64 s[10:11], 0
.LBB200_96:
	s_andn2_b64 vcc, exec, s[10:11]
	s_cbranch_vccnz .LBB200_106
; %bb.97:
	v_cvt_f32_f16_e32 v3, v2
	s_mov_b32 s10, 0x47800000
                                        ; implicit-def: $vgpr4
	v_and_b32_e32 v5, 0x7fffffff, v3
	v_cmp_gt_u32_e32 vcc, s10, v5
	s_and_saveexec_b64 s[10:11], vcc
	s_xor_b64 s[10:11], exec, s[10:11]
	s_cbranch_execz .LBB200_103
; %bb.98:
	s_mov_b32 s12, 0x387fffff
	v_cmp_lt_u32_e32 vcc, s12, v5
                                        ; implicit-def: $vgpr4
	s_and_saveexec_b64 s[12:13], vcc
	s_xor_b64 s[12:13], exec, s[12:13]
; %bb.99:
	v_bfe_u32 v4, v3, 21, 1
	s_mov_b32 s14, 0x80fffff
	v_add3_u32 v4, v3, v4, s14
	v_lshrrev_b32_e32 v4, 21, v4
; %bb.100:
	s_andn2_saveexec_b64 s[12:13], s[12:13]
; %bb.101:
	s_mov_b32 s14, 0x43000000
	v_add_f32_e64 v4, |v3|, s14
; %bb.102:
	s_or_b64 exec, exec, s[12:13]
                                        ; implicit-def: $vgpr5
.LBB200_103:
	s_andn2_saveexec_b64 s[10:11], s[10:11]
; %bb.104:
	s_mov_b32 s12, 0x7f800000
	v_mov_b32_e32 v4, 0x7c
	v_mov_b32_e32 v6, 0x7f
	v_cmp_lt_u32_e32 vcc, s12, v5
	v_cndmask_b32_e32 v4, v4, v6, vcc
; %bb.105:
	s_or_b64 exec, exec, s[10:11]
	v_lshrrev_b32_e32 v3, 24, v3
	s_movk_i32 s10, 0x80
	v_and_or_b32 v3, v3, s10, v4
	global_store_byte v[0:1], v3, off
.LBB200_106:
	s_mov_b64 s[12:13], 0
	s_mov_b64 s[10:11], -1
.LBB200_107:
	s_andn2_b64 vcc, exec, s[12:13]
	s_cbranch_vccnz .LBB200_115
; %bb.108:
	s_cmp_gt_i32 s17, 14
	s_mov_b64 s[12:13], -1
	s_cbranch_scc0 .LBB200_112
; %bb.109:
	s_cmp_eq_u32 s17, 15
	s_mov_b64 s[2:3], -1
	s_cbranch_scc0 .LBB200_111
; %bb.110:
	v_cvt_f32_f16_e32 v3, v2
	s_movk_i32 s2, 0x7fff
	v_cmp_o_f16_e32 vcc, v2, v2
	v_mov_b32_e32 v4, 0x7fc0
	v_bfe_u32 v5, v3, 16, 1
	v_add3_u32 v3, v3, v5, s2
	v_cndmask_b32_sdwa v3, v4, v3, vcc dst_sel:DWORD dst_unused:UNUSED_PAD src0_sel:DWORD src1_sel:WORD_1
	global_store_short v[0:1], v3, off
	s_mov_b64 s[10:11], -1
	s_mov_b64 s[2:3], 0
.LBB200_111:
	s_mov_b64 s[12:13], 0
.LBB200_112:
	s_and_b64 vcc, exec, s[12:13]
	s_cbranch_vccz .LBB200_115
; %bb.113:
	s_cmp_eq_u32 s17, 11
	s_mov_b64 s[2:3], -1
	s_cbranch_scc0 .LBB200_115
; %bb.114:
	v_and_b32_e32 v3, 0x7fff, v2
	v_cmp_ne_u16_e32 vcc, 0, v3
	v_cndmask_b32_e64 v3, 0, 1, vcc
	s_mov_b64 s[10:11], -1
	s_mov_b64 s[2:3], 0
	global_store_byte v[0:1], v3, off
.LBB200_115:
	s_branch .LBB200_34
.LBB200_116:
	s_and_b32 s12, 0xffff, s16
	s_cmp_lt_i32 s12, 5
	s_mov_b64 s[10:11], -1
	s_cbranch_scc1 .LBB200_137
; %bb.117:
	s_cmp_lt_i32 s12, 8
	s_cbranch_scc1 .LBB200_127
; %bb.118:
	s_cmp_lt_i32 s12, 9
	s_cbranch_scc1 .LBB200_124
; %bb.119:
	s_cmp_gt_i32 s12, 9
	s_cbranch_scc0 .LBB200_121
; %bb.120:
	v_cvt_f32_f16_e32 v3, v2
	v_mov_b32_e32 v5, 0
	v_mov_b32_e32 v6, v5
	s_mov_b64 s[10:11], 0
	v_cvt_f64_f32_e32 v[3:4], v3
	global_store_dwordx4 v[0:1], v[3:6], off
.LBB200_121:
	s_andn2_b64 vcc, exec, s[10:11]
	s_cbranch_vccnz .LBB200_123
; %bb.122:
	v_cvt_f32_f16_e32 v3, v2
	v_mov_b32_e32 v4, 0
	global_store_dwordx2 v[0:1], v[3:4], off
.LBB200_123:
	s_mov_b64 s[10:11], 0
.LBB200_124:
	s_andn2_b64 vcc, exec, s[10:11]
	s_cbranch_vccnz .LBB200_126
; %bb.125:
	v_and_b32_e32 v3, 0xffff, v2
	global_store_dword v[0:1], v3, off
.LBB200_126:
	s_mov_b64 s[10:11], 0
.LBB200_127:
	s_andn2_b64 vcc, exec, s[10:11]
	s_cbranch_vccnz .LBB200_136
; %bb.128:
	s_cmp_lt_i32 s12, 6
	s_mov_b64 s[10:11], -1
	s_cbranch_scc1 .LBB200_134
; %bb.129:
	s_cmp_gt_i32 s12, 6
	s_cbranch_scc0 .LBB200_131
; %bb.130:
	v_cvt_f32_f16_e32 v3, v2
	s_mov_b64 s[10:11], 0
	v_cvt_f64_f32_e32 v[3:4], v3
	global_store_dwordx2 v[0:1], v[3:4], off
.LBB200_131:
	s_andn2_b64 vcc, exec, s[10:11]
	s_cbranch_vccnz .LBB200_133
; %bb.132:
	v_cvt_f32_f16_e32 v3, v2
	global_store_dword v[0:1], v3, off
.LBB200_133:
	s_mov_b64 s[10:11], 0
.LBB200_134:
	s_andn2_b64 vcc, exec, s[10:11]
	s_cbranch_vccnz .LBB200_136
; %bb.135:
	global_store_short v[0:1], v2, off
.LBB200_136:
	s_mov_b64 s[10:11], 0
.LBB200_137:
	s_andn2_b64 vcc, exec, s[10:11]
	s_cbranch_vccnz .LBB200_153
; %bb.138:
	s_cmp_lt_i32 s12, 2
	s_mov_b64 s[10:11], -1
	s_cbranch_scc1 .LBB200_148
; %bb.139:
	s_cmp_lt_i32 s12, 3
	s_cbranch_scc1 .LBB200_145
; %bb.140:
	s_cmp_gt_i32 s12, 3
	s_cbranch_scc0 .LBB200_142
; %bb.141:
	v_cvt_f32_f16_e32 v3, v2
	s_mov_b64 s[10:11], 0
	v_cvt_i32_f32_e32 v3, v3
	v_ashrrev_i32_e32 v4, 31, v3
	global_store_dwordx2 v[0:1], v[3:4], off
.LBB200_142:
	s_andn2_b64 vcc, exec, s[10:11]
	s_cbranch_vccnz .LBB200_144
; %bb.143:
	v_cvt_f32_f16_e32 v3, v2
	v_cvt_i32_f32_e32 v3, v3
	global_store_dword v[0:1], v3, off
.LBB200_144:
	s_mov_b64 s[10:11], 0
.LBB200_145:
	s_andn2_b64 vcc, exec, s[10:11]
	s_cbranch_vccnz .LBB200_147
; %bb.146:
	v_cvt_i16_f16_e32 v3, v2
	global_store_short v[0:1], v3, off
.LBB200_147:
	s_mov_b64 s[10:11], 0
.LBB200_148:
	s_andn2_b64 vcc, exec, s[10:11]
	s_cbranch_vccnz .LBB200_153
; %bb.149:
	s_cmp_gt_i32 s12, 0
	s_mov_b64 s[10:11], -1
	s_cbranch_scc0 .LBB200_151
; %bb.150:
	v_cvt_i16_f16_e32 v3, v2
	global_store_byte v[0:1], v3, off
	s_mov_b64 s[10:11], 0
.LBB200_151:
	s_andn2_b64 vcc, exec, s[10:11]
	s_cbranch_vccnz .LBB200_153
; %bb.152:
	v_cvt_f32_f16_e32 v2, v2
	v_cvt_i32_f32_e32 v2, v2
	global_store_byte v[0:1], v2, off
.LBB200_153:
.LBB200_154:
	v_add_u32_e32 v8, 0x80, v8
	s_mov_b64 s[10:11], -1
	s_branch .LBB200_265
.LBB200_155:
	s_mov_b64 s[8:9], -1
                                        ; implicit-def: $vgpr3
.LBB200_156:
	s_mov_b64 s[10:11], 0
.LBB200_157:
	s_and_b64 vcc, exec, s[10:11]
	s_cbranch_vccz .LBB200_161
; %bb.158:
	s_cmp_eq_u32 s14, 29
	s_cbranch_scc0 .LBB200_160
; %bb.159:
	global_load_dwordx2 v[3:4], v[1:2], off
	s_mov_b64 s[2:3], -1
	s_mov_b64 s[8:9], 0
	s_mov_b64 s[10:11], 0
	s_waitcnt vmcnt(0)
	v_ffbh_u32_e32 v5, v4
	v_min_u32_e32 v5, 32, v5
	v_lshlrev_b64 v[3:4], v5, v[3:4]
	v_min_u32_e32 v3, 1, v3
	v_or_b32_e32 v3, v4, v3
	v_cvt_f32_u32_e32 v3, v3
	v_sub_u32_e32 v4, 32, v5
	v_ldexp_f32 v3, v3, v4
	v_cvt_f16_f32_e32 v3, v3
	s_branch .LBB200_162
.LBB200_160:
	s_mov_b64 s[8:9], -1
                                        ; implicit-def: $vgpr3
.LBB200_161:
	s_mov_b64 s[10:11], 0
.LBB200_162:
	s_and_b64 vcc, exec, s[10:11]
	s_cbranch_vccz .LBB200_180
; %bb.163:
	s_cmp_lt_i32 s14, 27
	s_cbranch_scc1 .LBB200_166
; %bb.164:
	s_cmp_gt_i32 s14, 27
	s_cbranch_scc0 .LBB200_167
; %bb.165:
	global_load_dword v3, v[1:2], off
	s_mov_b64 s[2:3], 0
	s_waitcnt vmcnt(0)
	v_cvt_f32_u32_e32 v3, v3
	v_cvt_f16_f32_e32 v3, v3
	s_branch .LBB200_168
.LBB200_166:
	s_mov_b64 s[2:3], -1
                                        ; implicit-def: $vgpr3
	s_branch .LBB200_171
.LBB200_167:
	s_mov_b64 s[2:3], -1
                                        ; implicit-def: $vgpr3
.LBB200_168:
	s_andn2_b64 vcc, exec, s[2:3]
	s_cbranch_vccnz .LBB200_170
; %bb.169:
	global_load_ushort v3, v[1:2], off
	s_waitcnt vmcnt(0)
	v_cvt_f16_u16_e32 v3, v3
.LBB200_170:
	s_mov_b64 s[2:3], 0
.LBB200_171:
	s_andn2_b64 vcc, exec, s[2:3]
	s_cbranch_vccnz .LBB200_179
; %bb.172:
	global_load_ubyte v4, v[1:2], off
	s_movk_i32 s2, 0x7f
	s_waitcnt vmcnt(0)
	v_cmp_lt_i16_e32 vcc, s2, v4
	s_mov_b64 s[2:3], 0
	s_and_saveexec_b64 s[10:11], vcc
	s_xor_b64 s[10:11], exec, s[10:11]
	s_cbranch_execz .LBB200_192
; %bb.173:
	s_movk_i32 s2, 0x80
	v_cmp_eq_u16_e32 vcc, s2, v4
	s_mov_b64 s[2:3], -1
	s_and_saveexec_b64 s[12:13], vcc
; %bb.174:
	s_xor_b64 s[2:3], exec, -1
; %bb.175:
	s_or_b64 exec, exec, s[12:13]
	s_and_b64 s[2:3], s[2:3], exec
	s_or_saveexec_b64 s[10:11], s[10:11]
	v_mov_b32_e32 v3, 0x7e00
	s_xor_b64 exec, exec, s[10:11]
	s_cbranch_execnz .LBB200_193
.LBB200_176:
	s_or_b64 exec, exec, s[10:11]
	s_and_saveexec_b64 s[10:11], s[2:3]
	s_cbranch_execz .LBB200_178
.LBB200_177:
	v_lshlrev_b32_e32 v3, 24, v4
	v_and_b32_e32 v4, 0xffff, v4
	v_and_b32_e32 v5, 7, v4
	v_ffbh_u32_e32 v7, v5
	v_min_u32_e32 v7, 32, v7
	v_subrev_u32_e32 v9, 28, v7
	v_bfe_u32 v6, v4, 3, 4
	v_lshlrev_b32_e32 v4, v9, v4
	v_sub_u32_e32 v7, 29, v7
	v_and_b32_e32 v4, 7, v4
	v_cmp_eq_u32_e32 vcc, 0, v6
	v_cndmask_b32_e32 v6, v6, v7, vcc
	v_cndmask_b32_e32 v4, v5, v4, vcc
	v_mov_b32_e32 v5, 0x3b800000
	v_lshlrev_b32_e32 v4, 20, v4
	v_and_b32_e32 v3, 0x80000000, v3
	v_lshl_add_u32 v5, v6, 23, v5
	v_or3_b32 v3, v3, v5, v4
	v_cvt_f16_f32_e32 v3, v3
.LBB200_178:
	s_or_b64 exec, exec, s[10:11]
.LBB200_179:
	s_mov_b64 s[2:3], -1
.LBB200_180:
	s_branch .LBB200_215
.LBB200_181:
	s_cmp_gt_i32 s14, 22
	s_cbranch_scc0 .LBB200_191
; %bb.182:
	s_cmp_lt_i32 s14, 24
	s_cbranch_scc1 .LBB200_194
; %bb.183:
	s_cmp_gt_i32 s14, 24
	s_cbranch_scc0 .LBB200_195
; %bb.184:
	global_load_ubyte v4, v[1:2], off
	s_movk_i32 s2, 0x7f
	s_waitcnt vmcnt(0)
	v_cmp_lt_i16_e32 vcc, s2, v4
	s_mov_b64 s[2:3], 0
	s_and_saveexec_b64 s[10:11], vcc
	s_xor_b64 s[10:11], exec, s[10:11]
	s_cbranch_execz .LBB200_207
; %bb.185:
	s_movk_i32 s2, 0x80
	v_cmp_eq_u16_e32 vcc, s2, v4
	s_mov_b64 s[2:3], -1
	s_and_saveexec_b64 s[12:13], vcc
; %bb.186:
	s_xor_b64 s[2:3], exec, -1
; %bb.187:
	s_or_b64 exec, exec, s[12:13]
	s_and_b64 s[2:3], s[2:3], exec
	s_or_saveexec_b64 s[10:11], s[10:11]
	v_mov_b32_e32 v3, 0x7e00
	s_xor_b64 exec, exec, s[10:11]
	s_cbranch_execnz .LBB200_208
.LBB200_188:
	s_or_b64 exec, exec, s[10:11]
	s_and_saveexec_b64 s[10:11], s[2:3]
	s_cbranch_execz .LBB200_190
.LBB200_189:
	v_lshlrev_b32_e32 v3, 24, v4
	v_and_b32_e32 v4, 0xffff, v4
	v_and_b32_e32 v5, 3, v4
	v_ffbh_u32_e32 v7, v5
	v_min_u32_e32 v7, 32, v7
	v_subrev_u32_e32 v9, 29, v7
	v_bfe_u32 v6, v4, 2, 5
	v_lshlrev_b32_e32 v4, v9, v4
	v_sub_u32_e32 v7, 30, v7
	v_and_b32_e32 v4, 3, v4
	v_cmp_eq_u32_e32 vcc, 0, v6
	v_cndmask_b32_e32 v6, v6, v7, vcc
	v_cndmask_b32_e32 v4, v5, v4, vcc
	v_mov_b32_e32 v5, 0x37800000
	v_lshlrev_b32_e32 v4, 21, v4
	v_and_b32_e32 v3, 0x80000000, v3
	v_lshl_add_u32 v5, v6, 23, v5
	v_or3_b32 v3, v3, v5, v4
	v_cvt_f16_f32_e32 v3, v3
.LBB200_190:
	s_or_b64 exec, exec, s[10:11]
	s_mov_b64 s[2:3], 0
	s_branch .LBB200_196
.LBB200_191:
	s_mov_b64 s[10:11], -1
                                        ; implicit-def: $vgpr3
	s_branch .LBB200_202
.LBB200_192:
	s_or_saveexec_b64 s[10:11], s[10:11]
	v_mov_b32_e32 v3, 0x7e00
	s_xor_b64 exec, exec, s[10:11]
	s_cbranch_execz .LBB200_176
.LBB200_193:
	v_cmp_ne_u16_e32 vcc, 0, v4
	s_andn2_b64 s[2:3], s[2:3], exec
	s_and_b64 s[12:13], vcc, exec
	s_or_b64 s[2:3], s[2:3], s[12:13]
	v_mov_b32_e32 v3, v4
	s_or_b64 exec, exec, s[10:11]
	s_and_saveexec_b64 s[10:11], s[2:3]
	s_cbranch_execnz .LBB200_177
	s_branch .LBB200_178
.LBB200_194:
	s_mov_b64 s[2:3], -1
                                        ; implicit-def: $vgpr3
	s_branch .LBB200_199
.LBB200_195:
	s_mov_b64 s[2:3], -1
                                        ; implicit-def: $vgpr3
.LBB200_196:
	s_and_b64 vcc, exec, s[2:3]
	s_cbranch_vccz .LBB200_198
; %bb.197:
	global_load_ubyte v3, v[1:2], off
	s_mov_b32 s2, 0x7f800000
	s_waitcnt vmcnt(0)
	v_lshlrev_b32_e32 v3, 24, v3
	v_and_b32_e32 v4, 0x7f000000, v3
	v_ffbh_u32_e32 v5, v4
	v_min_u32_e32 v5, 32, v5
	v_sub_u32_e64 v5, v5, 4 clamp
	v_lshlrev_b32_e32 v7, v5, v4
	v_lshlrev_b32_e32 v5, 23, v5
	v_lshrrev_b32_e32 v7, 4, v7
	v_add_u32_e32 v6, 0x1000000, v4
	v_sub_u32_e32 v5, v7, v5
	v_ashrrev_i32_e32 v6, 8, v6
	v_add_u32_e32 v5, 0x3c000000, v5
	v_and_or_b32 v5, v6, s2, v5
	v_cmp_ne_u32_e32 vcc, 0, v4
	v_cndmask_b32_e32 v4, 0, v5, vcc
	s_brev_b32 s2, 1
	v_and_or_b32 v3, v3, s2, v4
	v_cvt_f16_f32_e32 v3, v3
.LBB200_198:
	s_mov_b64 s[2:3], 0
.LBB200_199:
	s_andn2_b64 vcc, exec, s[2:3]
	s_cbranch_vccnz .LBB200_201
; %bb.200:
	global_load_ubyte v3, v[1:2], off
	s_movk_i32 s2, 0x7f00
	s_brev_b32 s3, 16
	s_waitcnt vmcnt(0)
	v_lshlrev_b16_e32 v4, 8, v3
	v_lshlrev_b32_e32 v3, 25, v3
	v_lshrrev_b32_e32 v5, 4, v3
	v_and_or_b32 v6, v4, s2, 0.5
	v_or_b32_e32 v5, 0x70000000, v5
	v_add_f32_e32 v6, -0.5, v6
	v_mul_f32_e32 v5, 0x7800000, v5
	v_cmp_gt_u32_e32 vcc, s3, v3
	v_bfe_i32 v4, v4, 0, 16
	v_cndmask_b32_e32 v3, v5, v6, vcc
	s_brev_b32 s2, 1
	v_and_or_b32 v3, v4, s2, v3
	v_cvt_f16_f32_e32 v3, v3
.LBB200_201:
	s_mov_b64 s[10:11], 0
	s_mov_b64 s[2:3], -1
.LBB200_202:
	s_andn2_b64 vcc, exec, s[10:11]
	s_cbranch_vccnz .LBB200_215
; %bb.203:
	s_cmp_gt_i32 s14, 14
	s_cbranch_scc0 .LBB200_206
; %bb.204:
	s_cmp_eq_u32 s14, 15
	s_cbranch_scc0 .LBB200_209
; %bb.205:
	global_load_ushort v3, v[1:2], off
	s_mov_b64 s[2:3], -1
	s_mov_b64 s[8:9], 0
	s_waitcnt vmcnt(0)
	v_lshlrev_b32_e32 v3, 16, v3
	v_cvt_f16_f32_e32 v3, v3
	s_branch .LBB200_210
.LBB200_206:
	s_mov_b64 s[10:11], -1
                                        ; implicit-def: $vgpr3
	s_branch .LBB200_211
.LBB200_207:
	s_or_saveexec_b64 s[10:11], s[10:11]
	v_mov_b32_e32 v3, 0x7e00
	s_xor_b64 exec, exec, s[10:11]
	s_cbranch_execz .LBB200_188
.LBB200_208:
	v_cmp_ne_u16_e32 vcc, 0, v4
	s_andn2_b64 s[2:3], s[2:3], exec
	s_and_b64 s[12:13], vcc, exec
	s_or_b64 s[2:3], s[2:3], s[12:13]
	v_mov_b32_e32 v3, v4
	s_or_b64 exec, exec, s[10:11]
	s_and_saveexec_b64 s[10:11], s[2:3]
	s_cbranch_execnz .LBB200_189
	s_branch .LBB200_190
.LBB200_209:
	s_mov_b64 s[8:9], -1
                                        ; implicit-def: $vgpr3
.LBB200_210:
	s_mov_b64 s[10:11], 0
.LBB200_211:
	s_and_b64 vcc, exec, s[10:11]
	s_cbranch_vccz .LBB200_215
; %bb.212:
	s_cmp_eq_u32 s14, 11
	s_cbranch_scc0 .LBB200_214
; %bb.213:
	global_load_ubyte v3, v[1:2], off
	v_mov_b32_e32 v4, 0x3c00
	s_mov_b64 s[2:3], -1
	s_mov_b64 s[8:9], 0
	s_waitcnt vmcnt(0)
	v_cmp_ne_u16_e32 vcc, 0, v3
	v_cndmask_b32_e32 v3, 0, v4, vcc
	s_branch .LBB200_215
.LBB200_214:
	s_mov_b64 s[8:9], -1
                                        ; implicit-def: $vgpr3
.LBB200_215:
	s_branch .LBB200_24
.LBB200_216:
	s_cmp_lt_i32 s14, 5
	s_cbranch_scc1 .LBB200_221
; %bb.217:
	s_cmp_lt_i32 s14, 8
	s_cbranch_scc1 .LBB200_222
; %bb.218:
	;; [unrolled: 3-line block ×3, first 2 shown]
	s_cmp_gt_i32 s14, 9
	s_cbranch_scc0 .LBB200_224
; %bb.220:
	global_load_dwordx2 v[3:4], v[1:2], off
	s_movk_i32 s2, 0x1ff
	s_movk_i32 s3, 0xffe
	v_mov_b32_e32 v5, 0x7c00
	v_mov_b32_e32 v6, 0x7e00
	s_movk_i32 s10, 0x40f
	s_mov_b32 s11, 0x8000
	s_waitcnt vmcnt(0)
	v_and_or_b32 v3, v4, s2, v3
	v_cmp_ne_u32_e32 vcc, 0, v3
	v_lshrrev_b32_e32 v7, 8, v4
	v_bfe_u32 v9, v4, 20, 11
	v_cndmask_b32_e64 v3, 0, 1, vcc
	v_sub_u32_e32 v10, 0x3f1, v9
	v_and_or_b32 v3, v7, s3, v3
	v_add_u32_e32 v9, 0xfffffc10, v9
	v_med3_i32 v7, v10, 0, 13
	v_or_b32_e32 v10, 0x1000, v3
	v_cmp_ne_u32_e32 vcc, 0, v3
	v_lshl_or_b32 v11, v9, 12, v3
	v_cndmask_b32_e32 v3, v5, v6, vcc
	v_lshrrev_b32_e32 v6, v7, v10
	v_lshlrev_b32_e32 v7, v7, v6
	v_cmp_ne_u32_e32 vcc, v7, v10
	v_cndmask_b32_e64 v7, 0, 1, vcc
	v_or_b32_e32 v6, v6, v7
	v_cmp_gt_i32_e32 vcc, 1, v9
	v_cndmask_b32_e32 v6, v11, v6, vcc
	v_and_b32_e32 v7, 7, v6
	v_cmp_lt_i32_e32 vcc, 5, v7
	v_cndmask_b32_e64 v10, 0, 1, vcc
	v_cmp_eq_u32_e32 vcc, 3, v7
	v_cndmask_b32_e64 v7, 0, 1, vcc
	v_lshrrev_b32_e32 v6, 2, v6
	v_or_b32_e32 v7, v7, v10
	v_add_u32_e32 v6, v6, v7
	v_cmp_gt_i32_e32 vcc, 31, v9
	v_cndmask_b32_e32 v5, v5, v6, vcc
	v_cmp_eq_u32_e32 vcc, s10, v9
	v_lshrrev_b32_e32 v4, 16, v4
	v_cndmask_b32_e32 v3, v5, v3, vcc
	v_and_or_b32 v3, v4, s11, v3
	s_mov_b64 s[2:3], 0
	s_branch .LBB200_225
.LBB200_221:
                                        ; implicit-def: $vgpr3
	s_branch .LBB200_243
.LBB200_222:
	s_mov_b64 s[2:3], -1
                                        ; implicit-def: $vgpr3
	s_branch .LBB200_231
.LBB200_223:
	s_mov_b64 s[2:3], -1
                                        ; implicit-def: $vgpr3
	s_branch .LBB200_228
.LBB200_224:
	s_mov_b64 s[2:3], -1
                                        ; implicit-def: $vgpr3
.LBB200_225:
	s_andn2_b64 vcc, exec, s[2:3]
	s_cbranch_vccnz .LBB200_227
; %bb.226:
	global_load_dword v3, v[1:2], off
	s_waitcnt vmcnt(0)
	v_cvt_f16_f32_e32 v3, v3
.LBB200_227:
	s_mov_b64 s[2:3], 0
.LBB200_228:
	s_andn2_b64 vcc, exec, s[2:3]
	s_cbranch_vccnz .LBB200_230
; %bb.229:
	global_load_dword v3, v[1:2], off
.LBB200_230:
	s_mov_b64 s[2:3], 0
.LBB200_231:
	s_andn2_b64 vcc, exec, s[2:3]
	s_cbranch_vccnz .LBB200_242
; %bb.232:
	s_cmp_lt_i32 s14, 6
	s_cbranch_scc1 .LBB200_235
; %bb.233:
	s_cmp_gt_i32 s14, 6
	s_cbranch_scc0 .LBB200_236
; %bb.234:
	global_load_dwordx2 v[3:4], v[1:2], off
	s_movk_i32 s2, 0x1ff
	s_movk_i32 s3, 0xffe
	v_mov_b32_e32 v5, 0x7c00
	v_mov_b32_e32 v6, 0x7e00
	s_movk_i32 s10, 0x40f
	s_mov_b32 s11, 0x8000
	s_waitcnt vmcnt(0)
	v_and_or_b32 v3, v4, s2, v3
	v_cmp_ne_u32_e32 vcc, 0, v3
	v_lshrrev_b32_e32 v7, 8, v4
	v_bfe_u32 v9, v4, 20, 11
	v_cndmask_b32_e64 v3, 0, 1, vcc
	v_sub_u32_e32 v10, 0x3f1, v9
	v_and_or_b32 v3, v7, s3, v3
	v_add_u32_e32 v9, 0xfffffc10, v9
	v_med3_i32 v7, v10, 0, 13
	v_or_b32_e32 v10, 0x1000, v3
	v_cmp_ne_u32_e32 vcc, 0, v3
	v_lshl_or_b32 v11, v9, 12, v3
	v_cndmask_b32_e32 v3, v5, v6, vcc
	v_lshrrev_b32_e32 v6, v7, v10
	v_lshlrev_b32_e32 v7, v7, v6
	v_cmp_ne_u32_e32 vcc, v7, v10
	v_cndmask_b32_e64 v7, 0, 1, vcc
	v_or_b32_e32 v6, v6, v7
	v_cmp_gt_i32_e32 vcc, 1, v9
	v_cndmask_b32_e32 v6, v11, v6, vcc
	v_and_b32_e32 v7, 7, v6
	v_cmp_lt_i32_e32 vcc, 5, v7
	v_cndmask_b32_e64 v10, 0, 1, vcc
	v_cmp_eq_u32_e32 vcc, 3, v7
	v_cndmask_b32_e64 v7, 0, 1, vcc
	v_lshrrev_b32_e32 v6, 2, v6
	v_or_b32_e32 v7, v7, v10
	v_add_u32_e32 v6, v6, v7
	v_cmp_gt_i32_e32 vcc, 31, v9
	v_cndmask_b32_e32 v5, v5, v6, vcc
	v_cmp_eq_u32_e32 vcc, s10, v9
	v_lshrrev_b32_e32 v4, 16, v4
	v_cndmask_b32_e32 v3, v5, v3, vcc
	v_and_or_b32 v3, v4, s11, v3
	s_mov_b64 s[2:3], 0
	s_branch .LBB200_237
.LBB200_235:
	s_mov_b64 s[2:3], -1
                                        ; implicit-def: $vgpr3
	s_branch .LBB200_240
.LBB200_236:
	s_mov_b64 s[2:3], -1
                                        ; implicit-def: $vgpr3
.LBB200_237:
	s_andn2_b64 vcc, exec, s[2:3]
	s_cbranch_vccnz .LBB200_239
; %bb.238:
	global_load_dword v3, v[1:2], off
	s_waitcnt vmcnt(0)
	v_cvt_f16_f32_e32 v3, v3
.LBB200_239:
	s_mov_b64 s[2:3], 0
.LBB200_240:
	s_andn2_b64 vcc, exec, s[2:3]
	s_cbranch_vccnz .LBB200_242
; %bb.241:
	global_load_ushort v3, v[1:2], off
.LBB200_242:
	s_cbranch_execnz .LBB200_262
.LBB200_243:
	s_cmp_lt_i32 s14, 2
	s_cbranch_scc1 .LBB200_247
; %bb.244:
	s_cmp_lt_i32 s14, 3
	s_cbranch_scc1 .LBB200_248
; %bb.245:
	s_cmp_gt_i32 s14, 3
	s_cbranch_scc0 .LBB200_249
; %bb.246:
	global_load_dwordx2 v[3:4], v[1:2], off
	s_mov_b64 s[2:3], 0
	s_waitcnt vmcnt(0)
	v_xor_b32_e32 v6, v3, v4
	v_ffbh_i32_e32 v5, v4
	v_ashrrev_i32_e32 v6, 31, v6
	v_add_u32_e32 v5, -1, v5
	v_add_u32_e32 v6, 32, v6
	v_min_u32_e32 v5, v5, v6
	v_lshlrev_b64 v[3:4], v5, v[3:4]
	v_min_u32_e32 v3, 1, v3
	v_or_b32_e32 v3, v4, v3
	v_cvt_f32_i32_e32 v3, v3
	v_sub_u32_e32 v4, 32, v5
	v_ldexp_f32 v3, v3, v4
	v_cvt_f16_f32_e32 v3, v3
	s_branch .LBB200_250
.LBB200_247:
	s_mov_b64 s[2:3], -1
                                        ; implicit-def: $vgpr3
	s_branch .LBB200_256
.LBB200_248:
	s_mov_b64 s[2:3], -1
                                        ; implicit-def: $vgpr3
	s_branch .LBB200_253
.LBB200_249:
	s_mov_b64 s[2:3], -1
                                        ; implicit-def: $vgpr3
.LBB200_250:
	s_andn2_b64 vcc, exec, s[2:3]
	s_cbranch_vccnz .LBB200_252
; %bb.251:
	global_load_dword v3, v[1:2], off
	s_waitcnt vmcnt(0)
	v_cvt_f32_i32_e32 v3, v3
	v_cvt_f16_f32_e32 v3, v3
.LBB200_252:
	s_mov_b64 s[2:3], 0
.LBB200_253:
	s_andn2_b64 vcc, exec, s[2:3]
	s_cbranch_vccnz .LBB200_255
; %bb.254:
	global_load_ushort v3, v[1:2], off
	s_waitcnt vmcnt(0)
	v_cvt_f16_i16_e32 v3, v3
.LBB200_255:
	s_mov_b64 s[2:3], 0
.LBB200_256:
	s_andn2_b64 vcc, exec, s[2:3]
	s_cbranch_vccnz .LBB200_262
; %bb.257:
	s_cmp_gt_i32 s14, 0
	s_cbranch_scc0 .LBB200_259
; %bb.258:
	global_load_sbyte v3, v[1:2], off
	s_mov_b64 s[2:3], 0
	s_waitcnt vmcnt(0)
	v_cvt_f16_i16_e32 v3, v3
	s_branch .LBB200_260
.LBB200_259:
	s_mov_b64 s[2:3], -1
                                        ; implicit-def: $vgpr3
.LBB200_260:
	s_andn2_b64 vcc, exec, s[2:3]
	s_cbranch_vccnz .LBB200_262
; %bb.261:
	global_load_ubyte v1, v[1:2], off
	s_waitcnt vmcnt(0)
	v_cvt_f16_u16_e32 v3, v1
.LBB200_262:
	s_branch .LBB200_25
.LBB200_263:
	s_mov_b64 s[2:3], 0
.LBB200_264:
	s_mov_b64 s[10:11], 0
                                        ; implicit-def: $vgpr8
.LBB200_265:
	s_and_b64 s[56:57], s[2:3], exec
	s_and_b64 s[58:59], s[8:9], exec
	s_orn2_b64 s[2:3], s[10:11], exec
.LBB200_266:
	s_or_b64 exec, exec, s[60:61]
	s_mov_b64 s[12:13], 0
	s_mov_b64 s[10:11], 0
                                        ; implicit-def: $vgpr1_vgpr2
                                        ; implicit-def: $vgpr0
                                        ; implicit-def: $vgpr4
	s_and_saveexec_b64 s[60:61], s[2:3]
	s_cbranch_execz .LBB200_273
; %bb.267:
	v_cmp_gt_i32_e32 vcc, s72, v8
	s_mov_b64 s[2:3], -1
	s_mov_b64 s[62:63], s[58:59]
	s_mov_b64 s[64:65], s[56:57]
	s_and_saveexec_b64 s[66:67], vcc
	s_cbranch_execz .LBB200_542
; %bb.268:
	s_andn2_b64 vcc, exec, s[44:45]
	s_cbranch_vccnz .LBB200_276
; %bb.269:
	s_andn2_b64 vcc, exec, s[54:55]
	s_cbranch_vccnz .LBB200_277
; %bb.270:
	s_add_i32 s65, s78, 1
	s_cmp_eq_u32 s74, 2
	s_cbranch_scc1 .LBB200_278
; %bb.271:
	s_and_b32 s64, s65, 28
	v_mov_b32_e32 v2, 0
	s_mov_b32 s68, 0
	s_mov_b64 s[2:3], s[34:35]
	s_mov_b64 s[62:63], s[52:53]
	v_mov_b32_e32 v0, 0
	v_mov_b32_e32 v1, v8
.LBB200_272:                            ; =>This Inner Loop Header: Depth=1
	s_load_dwordx8 s[16:23], s[2:3], 0x4
	s_load_dwordx4 s[40:43], s[2:3], 0x24
	s_load_dwordx8 s[8:15], s[62:63], 0x0
	s_add_u32 s2, s2, 48
	s_addc_u32 s3, s3, 0
	s_waitcnt vmcnt(0) lgkmcnt(0)
	v_mul_hi_u32 v3, s17, v1
	s_add_i32 s68, s68, 4
	s_add_u32 s62, s62, 32
	s_addc_u32 s63, s63, 0
	v_add_u32_e32 v3, v1, v3
	v_lshrrev_b32_e32 v3, s18, v3
	v_mul_lo_u32 v4, v3, s16
	v_mul_hi_u32 v5, s20, v3
	s_cmp_eq_u32 s64, s68
	v_sub_u32_e32 v1, v1, v4
	v_add_u32_e32 v4, v3, v5
	v_mul_lo_u32 v5, v1, s8
	v_mul_lo_u32 v6, v1, s9
	v_lshrrev_b32_e32 v1, s21, v4
	v_mul_lo_u32 v4, v1, s19
	v_mul_hi_u32 v7, s23, v1
	v_sub_u32_e32 v3, v3, v4
	v_add_u32_e32 v4, v1, v7
	v_lshrrev_b32_e32 v4, s40, v4
	v_mul_hi_u32 v9, s42, v4
	v_mul_lo_u32 v10, v4, s22
	v_mul_lo_u32 v7, v3, s10
	;; [unrolled: 1-line block ×3, first 2 shown]
	v_sub_u32_e32 v10, v1, v10
	v_add_u32_e32 v1, v4, v9
	v_lshrrev_b32_e32 v1, s43, v1
	v_mul_lo_u32 v9, v1, s41
	v_mul_lo_u32 v11, v10, s12
	;; [unrolled: 1-line block ×3, first 2 shown]
	v_add3_u32 v0, v5, v0, v7
	v_sub_u32_e32 v4, v4, v9
	v_mul_lo_u32 v9, v4, s14
	v_mul_lo_u32 v4, v4, s15
	v_add3_u32 v2, v6, v2, v3
	v_add3_u32 v0, v11, v0, v9
	v_add3_u32 v2, v10, v2, v4
	s_cbranch_scc0 .LBB200_272
	s_branch .LBB200_279
.LBB200_273:
	s_or_b64 exec, exec, s[60:61]
	s_mov_b64 s[2:3], 0
	s_and_saveexec_b64 s[8:9], s[58:59]
	s_cbranch_execnz .LBB200_918
.LBB200_274:
	s_or_b64 exec, exec, s[8:9]
	s_and_saveexec_b64 s[8:9], s[64:65]
	s_xor_b64 s[8:9], exec, s[8:9]
	s_cbranch_execz .LBB200_919
.LBB200_275:
	global_load_ubyte v3, v[1:2], off
	v_mov_b32_e32 v4, 0x3c00
	s_or_b64 s[10:11], s[10:11], exec
	s_waitcnt vmcnt(0)
	v_cmp_ne_u16_e32 vcc, 0, v3
	v_cndmask_b32_e32 v4, 0, v4, vcc
	s_or_b64 exec, exec, s[8:9]
	s_and_saveexec_b64 s[8:9], s[12:13]
	s_cbranch_execz .LBB200_965
	s_branch .LBB200_920
.LBB200_276:
                                        ; implicit-def: $vgpr0
                                        ; implicit-def: $vgpr2
	s_andn2_b64 vcc, exec, s[2:3]
	s_cbranch_vccz .LBB200_283
	s_branch .LBB200_285
.LBB200_277:
	v_mov_b32_e32 v0, 0
	v_mov_b32_e32 v2, 0
	s_branch .LBB200_282
.LBB200_278:
	s_mov_b32 s64, 0
	v_mov_b32_e32 v0, 0
	v_mov_b32_e32 v2, 0
	;; [unrolled: 1-line block ×3, first 2 shown]
.LBB200_279:
	s_and_b32 s10, s65, 3
	s_cmp_eq_u32 s10, 0
	s_cbranch_scc1 .LBB200_282
; %bb.280:
	s_lshl_b32 s2, s64, 3
	s_add_u32 s2, s34, s2
	s_addc_u32 s3, s35, 0
	s_add_u32 s2, s2, 0xc4
	s_addc_u32 s3, s3, 0
	s_mul_i32 s8, s64, 12
	s_add_u32 s8, s34, s8
	s_addc_u32 s9, s35, 0
.LBB200_281:                            ; =>This Inner Loop Header: Depth=1
	s_load_dwordx2 s[12:13], s[8:9], 0x4
	s_load_dword s11, s[8:9], 0xc
	s_load_dwordx2 s[14:15], s[2:3], 0x0
	s_add_u32 s8, s8, 12
	s_addc_u32 s9, s9, 0
	s_waitcnt vmcnt(0) lgkmcnt(0)
	v_mul_hi_u32 v3, s13, v1
	s_add_u32 s2, s2, 8
	s_addc_u32 s3, s3, 0
	s_add_i32 s10, s10, -1
	v_add_u32_e32 v3, v1, v3
	v_lshrrev_b32_e32 v4, s11, v3
	v_mul_lo_u32 v3, v4, s12
	s_cmp_lg_u32 s10, 0
	v_sub_u32_e32 v3, v1, v3
	v_mad_u64_u32 v[0:1], s[12:13], v3, s14, v[0:1]
	v_mad_u64_u32 v[2:3], s[12:13], v3, s15, v[2:3]
	v_mov_b32_e32 v1, v4
	s_cbranch_scc1 .LBB200_281
.LBB200_282:
	s_cbranch_execnz .LBB200_285
.LBB200_283:
	v_mul_hi_u32 v0, s29, v8
	s_andn2_b64 vcc, exec, s[50:51]
	v_add_u32_e32 v0, v8, v0
	v_lshrrev_b32_e32 v1, s30, v0
	v_mul_lo_u32 v0, v1, s28
	v_sub_u32_e32 v2, v8, v0
	v_mul_lo_u32 v0, v2, s36
	v_mul_lo_u32 v2, v2, s37
	s_cbranch_vccnz .LBB200_285
; %bb.284:
	s_waitcnt vmcnt(0)
	v_mul_hi_u32 v3, s48, v1
	v_add_u32_e32 v3, v1, v3
	v_lshrrev_b32_e32 v3, s49, v3
	v_mul_lo_u32 v3, v3, s31
	v_sub_u32_e32 v3, v1, v3
	v_mad_u64_u32 v[0:1], s[2:3], v3, s38, v[0:1]
	v_mad_u64_u32 v[2:3], s[2:3], v3, s39, v[2:3]
.LBB200_285:
	s_waitcnt vmcnt(0)
	v_mov_b32_e32 v3, s27
	s_and_b32 s14, 0xffff, s77
	v_add_co_u32_e32 v1, vcc, s26, v2
	s_cmp_lt_i32 s14, 11
	v_addc_co_u32_e32 v2, vcc, 0, v3, vcc
	s_cbranch_scc1 .LBB200_292
; %bb.286:
	s_cmp_gt_i32 s14, 25
	s_cbranch_scc0 .LBB200_301
; %bb.287:
	s_cmp_gt_i32 s14, 28
	s_cbranch_scc0 .LBB200_303
; %bb.288:
	s_cmp_gt_i32 s14, 43
	s_cbranch_scc0 .LBB200_305
; %bb.289:
	s_cmp_gt_i32 s14, 45
	s_cbranch_scc0 .LBB200_309
; %bb.290:
	s_cmp_eq_u32 s14, 46
	s_mov_b64 s[10:11], 0
	s_cbranch_scc0 .LBB200_313
; %bb.291:
	global_load_dword v3, v[1:2], off
	s_mov_b64 s[2:3], -1
	s_mov_b64 s[8:9], 0
	s_waitcnt vmcnt(0)
	v_lshlrev_b32_e32 v3, 16, v3
	v_cvt_f16_f32_e32 v3, v3
	s_branch .LBB200_314
.LBB200_292:
	s_mov_b64 s[2:3], 0
                                        ; implicit-def: $vgpr3
	s_mov_b64 s[8:9], s[58:59]
	s_cbranch_execnz .LBB200_491
.LBB200_293:
	s_andn2_b64 vcc, exec, s[2:3]
	s_cbranch_vccnz .LBB200_539
.LBB200_294:
	v_mov_b32_e32 v1, s76
	s_waitcnt vmcnt(0)
	v_cndmask_b32_e64 v2, v3, v1, s[0:1]
	v_mov_b32_e32 v1, s25
	s_and_b32 s16, s75, 0xff
	v_add_co_u32_e32 v0, vcc, s24, v0
	s_cmp_lt_i32 s16, 11
	v_addc_co_u32_e32 v1, vcc, 0, v1, vcc
	s_cbranch_scc1 .LBB200_302
; %bb.295:
	s_and_b32 s17, 0xffff, s16
	s_cmp_gt_i32 s17, 25
	s_cbranch_scc0 .LBB200_304
; %bb.296:
	s_cmp_gt_i32 s17, 28
	s_cbranch_scc0 .LBB200_306
; %bb.297:
	;; [unrolled: 3-line block ×4, first 2 shown]
	s_mov_b64 s[12:13], 0
	s_mov_b64 s[2:3], -1
	s_cmp_eq_u32 s17, 46
	s_mov_b64 s[10:11], 0
	s_cbranch_scc0 .LBB200_318
; %bb.300:
	v_cvt_f32_f16_e32 v3, v2
	s_movk_i32 s2, 0x7fff
	v_cmp_o_f16_e32 vcc, v2, v2
	v_mov_b32_e32 v4, 0x7fc0
	v_bfe_u32 v5, v3, 16, 1
	v_add3_u32 v3, v3, v5, s2
	v_cndmask_b32_sdwa v3, v4, v3, vcc dst_sel:DWORD dst_unused:UNUSED_PAD src0_sel:DWORD src1_sel:WORD_1
	global_store_dword v[0:1], v3, off
	s_mov_b64 s[10:11], -1
	s_mov_b64 s[2:3], 0
	s_branch .LBB200_318
.LBB200_301:
	s_mov_b64 s[10:11], -1
	s_mov_b64 s[2:3], 0
	s_mov_b64 s[8:9], s[58:59]
                                        ; implicit-def: $vgpr3
	s_branch .LBB200_455
.LBB200_302:
	s_mov_b64 s[12:13], -1
	s_mov_b64 s[10:11], 0
	s_mov_b64 s[2:3], s[56:57]
	s_branch .LBB200_387
.LBB200_303:
	s_mov_b64 s[10:11], -1
	s_mov_b64 s[2:3], 0
	s_mov_b64 s[8:9], s[58:59]
                                        ; implicit-def: $vgpr3
	s_branch .LBB200_436
.LBB200_304:
	s_mov_b64 s[12:13], -1
	s_mov_b64 s[10:11], 0
	s_mov_b64 s[2:3], s[56:57]
	s_branch .LBB200_345
.LBB200_305:
	s_mov_b64 s[10:11], -1
	s_mov_b64 s[2:3], 0
	s_mov_b64 s[8:9], s[58:59]
                                        ; implicit-def: $vgpr3
	s_branch .LBB200_431
.LBB200_306:
	s_mov_b64 s[12:13], -1
	s_mov_b64 s[10:11], 0
	s_mov_b64 s[2:3], s[56:57]
	s_branch .LBB200_328
.LBB200_307:
	s_andn2_saveexec_b64 s[14:15], s[14:15]
	s_cbranch_execz .LBB200_68
.LBB200_308:
	s_mov_b32 s18, 0x46000000
	v_add_f32_e64 v4, |v3|, s18
	v_and_b32_e32 v4, 0xff, v4
	v_cmp_ne_u32_e32 vcc, 0, v4
	s_andn2_b64 s[12:13], s[12:13], exec
	s_and_b64 s[18:19], vcc, exec
	s_or_b64 s[12:13], s[12:13], s[18:19]
	s_or_b64 exec, exec, s[14:15]
	v_mov_b32_e32 v5, 0
	s_and_saveexec_b64 s[14:15], s[12:13]
	s_cbranch_execnz .LBB200_69
	s_branch .LBB200_70
.LBB200_309:
	s_mov_b64 s[10:11], -1
	s_mov_b64 s[2:3], 0
	s_mov_b64 s[8:9], s[58:59]
                                        ; implicit-def: $vgpr3
	s_branch .LBB200_314
.LBB200_310:
	s_mov_b64 s[12:13], -1
	s_mov_b64 s[10:11], 0
	s_mov_b64 s[2:3], s[56:57]
	s_branch .LBB200_324
.LBB200_311:
	s_andn2_saveexec_b64 s[14:15], s[14:15]
	s_cbranch_execz .LBB200_81
.LBB200_312:
	s_mov_b32 s18, 0x42800000
	v_add_f32_e64 v4, |v3|, s18
	v_and_b32_e32 v4, 0xff, v4
	v_cmp_ne_u32_e32 vcc, 0, v4
	s_andn2_b64 s[12:13], s[12:13], exec
	s_and_b64 s[18:19], vcc, exec
	s_or_b64 s[12:13], s[12:13], s[18:19]
	s_or_b64 exec, exec, s[14:15]
	v_mov_b32_e32 v5, 0
	s_and_saveexec_b64 s[14:15], s[12:13]
	s_cbranch_execnz .LBB200_82
	s_branch .LBB200_83
.LBB200_313:
	s_mov_b64 s[8:9], -1
                                        ; implicit-def: $vgpr3
	s_mov_b64 s[2:3], 0
.LBB200_314:
	s_and_b64 vcc, exec, s[10:11]
	s_cbranch_vccz .LBB200_430
; %bb.315:
	s_cmp_eq_u32 s14, 44
	s_cbranch_scc0 .LBB200_429
; %bb.316:
	global_load_ubyte v3, v[1:2], off
	s_movk_i32 s8, 0xff
	v_mov_b32_e32 v5, 0x7e00
	s_mov_b64 s[2:3], -1
	s_waitcnt vmcnt(0)
	v_lshlrev_b32_e32 v4, 23, v3
	v_cvt_f16_f32_e32 v4, v4
	v_cmp_ne_u32_e32 vcc, s8, v3
	s_mov_b64 s[8:9], 0
	v_cndmask_b32_e32 v4, v5, v4, vcc
	v_cmp_ne_u32_e32 vcc, 0, v3
	v_cndmask_b32_e32 v3, 0, v4, vcc
	s_branch .LBB200_430
.LBB200_317:
	s_mov_b64 s[12:13], -1
	s_mov_b64 s[10:11], 0
	s_mov_b64 s[2:3], s[56:57]
.LBB200_318:
	s_and_b64 vcc, exec, s[12:13]
	s_cbranch_vccz .LBB200_323
; %bb.319:
	s_cmp_eq_u32 s17, 44
	s_mov_b64 s[2:3], -1
	s_cbranch_scc0 .LBB200_323
; %bb.320:
	v_cvt_f32_f16_e32 v3, v2
	s_movk_i32 s2, 0xff
	v_mov_b32_e32 v5, 0xff
	v_bfe_u32 v4, v3, 23, 8
	v_cmp_ne_u32_e32 vcc, s2, v4
	s_and_saveexec_b64 s[10:11], vcc
; %bb.321:
	s_mov_b32 s2, 0x3fffff
	v_lshrrev_b32_e32 v5, 23, v3
	v_and_b32_e32 v6, 0x400000, v3
	v_and_or_b32 v3, v3, s2, v4
	v_cmp_ne_u32_e32 vcc, 0, v6
	v_cmp_ne_u32_e64 s[2:3], 0, v3
	s_and_b64 s[2:3], vcc, s[2:3]
	v_cndmask_b32_e64 v3, 0, 1, s[2:3]
	v_add_u32_e32 v5, v5, v3
; %bb.322:
	s_or_b64 exec, exec, s[10:11]
	s_mov_b64 s[10:11], -1
	s_mov_b64 s[2:3], 0
	global_store_byte v[0:1], v5, off
.LBB200_323:
	s_mov_b64 s[12:13], 0
.LBB200_324:
	s_and_b64 vcc, exec, s[12:13]
	s_cbranch_vccz .LBB200_327
; %bb.325:
	s_cmp_eq_u32 s17, 29
	s_mov_b64 s[2:3], -1
	s_cbranch_scc0 .LBB200_327
; %bb.326:
	v_cvt_f32_f16_e32 v3, v2
	v_mov_b32_e32 v4, 0
	s_mov_b64 s[10:11], -1
	s_mov_b64 s[2:3], 0
	v_cvt_u32_f32_e32 v3, v3
	s_mov_b64 s[12:13], 0
	global_store_dwordx2 v[0:1], v[3:4], off
	s_branch .LBB200_328
.LBB200_327:
	s_mov_b64 s[12:13], 0
.LBB200_328:
	s_and_b64 vcc, exec, s[12:13]
	s_cbranch_vccz .LBB200_344
; %bb.329:
	s_cmp_lt_i32 s17, 27
	s_mov_b64 s[10:11], -1
	s_cbranch_scc1 .LBB200_335
; %bb.330:
	s_cmp_gt_i32 s17, 27
	s_cbranch_scc0 .LBB200_332
; %bb.331:
	v_cvt_f32_f16_e32 v3, v2
	s_mov_b64 s[10:11], 0
	v_cvt_u32_f32_e32 v3, v3
	global_store_dword v[0:1], v3, off
.LBB200_332:
	s_andn2_b64 vcc, exec, s[10:11]
	s_cbranch_vccnz .LBB200_334
; %bb.333:
	v_cvt_u16_f16_e32 v3, v2
	global_store_short v[0:1], v3, off
.LBB200_334:
	s_mov_b64 s[10:11], 0
.LBB200_335:
	s_andn2_b64 vcc, exec, s[10:11]
	s_cbranch_vccnz .LBB200_343
; %bb.336:
	v_cvt_f32_f16_e32 v3, v2
	s_mov_b32 s10, 0x43800000
	v_mov_b32_e32 v5, 0x80
	v_and_b32_e32 v4, 0x7fffffff, v3
	v_cmp_gt_u32_e32 vcc, s10, v4
	s_and_saveexec_b64 s[10:11], vcc
	s_cbranch_execz .LBB200_342
; %bb.337:
	s_mov_b32 s12, 0x3bffffff
	v_cmp_lt_u32_e32 vcc, s12, v4
	s_mov_b64 s[12:13], 0
                                        ; implicit-def: $vgpr4
	s_and_saveexec_b64 s[14:15], vcc
	s_xor_b64 s[14:15], exec, s[14:15]
	s_cbranch_execz .LBB200_570
; %bb.338:
	v_bfe_u32 v4, v3, 20, 1
	s_mov_b32 s18, 0x487ffff
	v_add3_u32 v4, v3, v4, s18
	s_mov_b64 s[12:13], exec
	v_lshrrev_b32_e32 v4, 20, v4
	s_andn2_saveexec_b64 s[14:15], s[14:15]
	s_cbranch_execnz .LBB200_571
.LBB200_339:
	s_or_b64 exec, exec, s[14:15]
	v_mov_b32_e32 v5, 0
	s_and_saveexec_b64 s[14:15], s[12:13]
.LBB200_340:
	v_lshrrev_b32_e32 v3, 24, v3
	s_movk_i32 s12, 0x80
	v_and_or_b32 v5, v3, s12, v4
.LBB200_341:
	s_or_b64 exec, exec, s[14:15]
.LBB200_342:
	s_or_b64 exec, exec, s[10:11]
	global_store_byte v[0:1], v5, off
.LBB200_343:
	s_mov_b64 s[10:11], -1
.LBB200_344:
	s_mov_b64 s[12:13], 0
.LBB200_345:
	s_and_b64 vcc, exec, s[12:13]
	s_cbranch_vccz .LBB200_386
; %bb.346:
	s_cmp_gt_i32 s17, 22
	s_mov_b64 s[12:13], -1
	s_cbranch_scc0 .LBB200_378
; %bb.347:
	s_cmp_lt_i32 s17, 24
	s_mov_b64 s[10:11], -1
	s_cbranch_scc1 .LBB200_367
; %bb.348:
	s_cmp_gt_i32 s17, 24
	s_cbranch_scc0 .LBB200_356
; %bb.349:
	v_cvt_f32_f16_e32 v3, v2
	s_mov_b32 s10, 0x47800000
	v_mov_b32_e32 v5, 0x80
	v_and_b32_e32 v4, 0x7fffffff, v3
	v_cmp_gt_u32_e32 vcc, s10, v4
	s_and_saveexec_b64 s[10:11], vcc
	s_cbranch_execz .LBB200_355
; %bb.350:
	s_mov_b32 s12, 0x37ffffff
	v_cmp_lt_u32_e32 vcc, s12, v4
	s_mov_b64 s[12:13], 0
                                        ; implicit-def: $vgpr4
	s_and_saveexec_b64 s[14:15], vcc
	s_xor_b64 s[14:15], exec, s[14:15]
	s_cbranch_execz .LBB200_573
; %bb.351:
	v_bfe_u32 v4, v3, 21, 1
	s_mov_b32 s18, 0x88fffff
	v_add3_u32 v4, v3, v4, s18
	s_mov_b64 s[12:13], exec
	v_lshrrev_b32_e32 v4, 21, v4
	s_andn2_saveexec_b64 s[14:15], s[14:15]
	s_cbranch_execnz .LBB200_574
.LBB200_352:
	s_or_b64 exec, exec, s[14:15]
	v_mov_b32_e32 v5, 0
	s_and_saveexec_b64 s[14:15], s[12:13]
.LBB200_353:
	v_lshrrev_b32_e32 v3, 24, v3
	s_movk_i32 s12, 0x80
	v_and_or_b32 v5, v3, s12, v4
.LBB200_354:
	s_or_b64 exec, exec, s[14:15]
.LBB200_355:
	s_or_b64 exec, exec, s[10:11]
	s_mov_b64 s[10:11], 0
	global_store_byte v[0:1], v5, off
.LBB200_356:
	s_and_b64 vcc, exec, s[10:11]
	s_cbranch_vccz .LBB200_366
; %bb.357:
	v_cvt_f32_f16_e32 v3, v2
	s_mov_b32 s10, 0x43f00000
                                        ; implicit-def: $vgpr4
	v_and_b32_e32 v5, 0x7fffffff, v3
	v_cmp_gt_u32_e32 vcc, s10, v5
	s_and_saveexec_b64 s[10:11], vcc
	s_xor_b64 s[10:11], exec, s[10:11]
	s_cbranch_execz .LBB200_363
; %bb.358:
	s_mov_b32 s12, 0x3c7fffff
	v_cmp_lt_u32_e32 vcc, s12, v5
                                        ; implicit-def: $vgpr4
	s_and_saveexec_b64 s[12:13], vcc
	s_xor_b64 s[12:13], exec, s[12:13]
; %bb.359:
	v_bfe_u32 v4, v3, 20, 1
	s_mov_b32 s14, 0x407ffff
	v_add3_u32 v4, v3, v4, s14
	v_lshrrev_b32_e32 v5, 20, v4
	v_and_b32_e32 v4, 0xff00000, v4
	s_mov_b32 s14, 0x7f00000
	v_mov_b32_e32 v6, 0x7e
	v_cmp_ne_u32_e32 vcc, s14, v4
	v_cndmask_b32_e32 v4, v6, v5, vcc
; %bb.360:
	s_andn2_saveexec_b64 s[12:13], s[12:13]
; %bb.361:
	s_mov_b32 s14, 0x46800000
	v_add_f32_e64 v4, |v3|, s14
; %bb.362:
	s_or_b64 exec, exec, s[12:13]
                                        ; implicit-def: $vgpr5
.LBB200_363:
	s_andn2_saveexec_b64 s[10:11], s[10:11]
; %bb.364:
	s_mov_b32 s12, 0x7f800000
	v_mov_b32_e32 v4, 0x7e
	v_mov_b32_e32 v6, 0x7f
	v_cmp_lt_u32_e32 vcc, s12, v5
	v_cndmask_b32_e32 v4, v4, v6, vcc
; %bb.365:
	s_or_b64 exec, exec, s[10:11]
	v_lshrrev_b32_e32 v3, 24, v3
	s_movk_i32 s10, 0x80
	v_and_or_b32 v3, v3, s10, v4
	global_store_byte v[0:1], v3, off
.LBB200_366:
	s_mov_b64 s[10:11], 0
.LBB200_367:
	s_andn2_b64 vcc, exec, s[10:11]
	s_cbranch_vccnz .LBB200_377
; %bb.368:
	v_cvt_f32_f16_e32 v3, v2
	s_mov_b32 s10, 0x47800000
                                        ; implicit-def: $vgpr4
	v_and_b32_e32 v5, 0x7fffffff, v3
	v_cmp_gt_u32_e32 vcc, s10, v5
	s_and_saveexec_b64 s[10:11], vcc
	s_xor_b64 s[10:11], exec, s[10:11]
	s_cbranch_execz .LBB200_374
; %bb.369:
	s_mov_b32 s12, 0x387fffff
	v_cmp_lt_u32_e32 vcc, s12, v5
                                        ; implicit-def: $vgpr4
	s_and_saveexec_b64 s[12:13], vcc
	s_xor_b64 s[12:13], exec, s[12:13]
; %bb.370:
	v_bfe_u32 v4, v3, 21, 1
	s_mov_b32 s14, 0x80fffff
	v_add3_u32 v4, v3, v4, s14
	v_lshrrev_b32_e32 v4, 21, v4
; %bb.371:
	s_andn2_saveexec_b64 s[12:13], s[12:13]
; %bb.372:
	s_mov_b32 s14, 0x43000000
	v_add_f32_e64 v4, |v3|, s14
; %bb.373:
	s_or_b64 exec, exec, s[12:13]
                                        ; implicit-def: $vgpr5
.LBB200_374:
	s_andn2_saveexec_b64 s[10:11], s[10:11]
; %bb.375:
	s_mov_b32 s12, 0x7f800000
	v_mov_b32_e32 v4, 0x7c
	v_mov_b32_e32 v6, 0x7f
	v_cmp_lt_u32_e32 vcc, s12, v5
	v_cndmask_b32_e32 v4, v4, v6, vcc
; %bb.376:
	s_or_b64 exec, exec, s[10:11]
	v_lshrrev_b32_e32 v3, 24, v3
	s_movk_i32 s10, 0x80
	v_and_or_b32 v3, v3, s10, v4
	global_store_byte v[0:1], v3, off
.LBB200_377:
	s_mov_b64 s[12:13], 0
	s_mov_b64 s[10:11], -1
.LBB200_378:
	s_andn2_b64 vcc, exec, s[12:13]
	s_cbranch_vccnz .LBB200_386
; %bb.379:
	s_cmp_gt_i32 s17, 14
	s_mov_b64 s[12:13], -1
	s_cbranch_scc0 .LBB200_383
; %bb.380:
	s_cmp_eq_u32 s17, 15
	s_mov_b64 s[2:3], -1
	s_cbranch_scc0 .LBB200_382
; %bb.381:
	v_cvt_f32_f16_e32 v3, v2
	s_movk_i32 s2, 0x7fff
	v_cmp_o_f16_e32 vcc, v2, v2
	v_mov_b32_e32 v4, 0x7fc0
	v_bfe_u32 v5, v3, 16, 1
	v_add3_u32 v3, v3, v5, s2
	v_cndmask_b32_sdwa v3, v4, v3, vcc dst_sel:DWORD dst_unused:UNUSED_PAD src0_sel:DWORD src1_sel:WORD_1
	global_store_short v[0:1], v3, off
	s_mov_b64 s[10:11], -1
	s_mov_b64 s[2:3], 0
.LBB200_382:
	s_mov_b64 s[12:13], 0
.LBB200_383:
	s_and_b64 vcc, exec, s[12:13]
	s_cbranch_vccz .LBB200_386
; %bb.384:
	s_cmp_eq_u32 s17, 11
	s_mov_b64 s[2:3], -1
	s_cbranch_scc0 .LBB200_386
; %bb.385:
	v_and_b32_e32 v3, 0x7fff, v2
	v_cmp_ne_u16_e32 vcc, 0, v3
	v_cndmask_b32_e64 v3, 0, 1, vcc
	s_mov_b64 s[10:11], -1
	s_mov_b64 s[2:3], 0
	global_store_byte v[0:1], v3, off
.LBB200_386:
	s_mov_b64 s[12:13], 0
.LBB200_387:
	s_and_b64 vcc, exec, s[12:13]
	s_cbranch_vccz .LBB200_426
; %bb.388:
	s_and_b32 s12, 0xffff, s16
	s_cmp_lt_i32 s12, 5
	s_mov_b64 s[10:11], -1
	s_cbranch_scc1 .LBB200_409
; %bb.389:
	s_cmp_lt_i32 s12, 8
	s_cbranch_scc1 .LBB200_399
; %bb.390:
	s_cmp_lt_i32 s12, 9
	s_cbranch_scc1 .LBB200_396
; %bb.391:
	s_cmp_gt_i32 s12, 9
	s_cbranch_scc0 .LBB200_393
; %bb.392:
	v_cvt_f32_f16_e32 v3, v2
	v_mov_b32_e32 v5, 0
	v_mov_b32_e32 v6, v5
	s_mov_b64 s[10:11], 0
	v_cvt_f64_f32_e32 v[3:4], v3
	global_store_dwordx4 v[0:1], v[3:6], off
.LBB200_393:
	s_andn2_b64 vcc, exec, s[10:11]
	s_cbranch_vccnz .LBB200_395
; %bb.394:
	v_cvt_f32_f16_e32 v3, v2
	v_mov_b32_e32 v4, 0
	global_store_dwordx2 v[0:1], v[3:4], off
.LBB200_395:
	s_mov_b64 s[10:11], 0
.LBB200_396:
	s_andn2_b64 vcc, exec, s[10:11]
	s_cbranch_vccnz .LBB200_398
; %bb.397:
	v_and_b32_e32 v3, 0xffff, v2
	global_store_dword v[0:1], v3, off
.LBB200_398:
	s_mov_b64 s[10:11], 0
.LBB200_399:
	s_andn2_b64 vcc, exec, s[10:11]
	s_cbranch_vccnz .LBB200_408
; %bb.400:
	s_cmp_lt_i32 s12, 6
	s_mov_b64 s[10:11], -1
	s_cbranch_scc1 .LBB200_406
; %bb.401:
	s_cmp_gt_i32 s12, 6
	s_cbranch_scc0 .LBB200_403
; %bb.402:
	v_cvt_f32_f16_e32 v3, v2
	s_mov_b64 s[10:11], 0
	v_cvt_f64_f32_e32 v[3:4], v3
	global_store_dwordx2 v[0:1], v[3:4], off
.LBB200_403:
	s_andn2_b64 vcc, exec, s[10:11]
	s_cbranch_vccnz .LBB200_405
; %bb.404:
	v_cvt_f32_f16_e32 v3, v2
	global_store_dword v[0:1], v3, off
.LBB200_405:
	s_mov_b64 s[10:11], 0
.LBB200_406:
	s_andn2_b64 vcc, exec, s[10:11]
	s_cbranch_vccnz .LBB200_408
; %bb.407:
	global_store_short v[0:1], v2, off
.LBB200_408:
	s_mov_b64 s[10:11], 0
.LBB200_409:
	s_andn2_b64 vcc, exec, s[10:11]
	s_cbranch_vccnz .LBB200_425
; %bb.410:
	s_cmp_lt_i32 s12, 2
	s_mov_b64 s[10:11], -1
	s_cbranch_scc1 .LBB200_420
; %bb.411:
	s_cmp_lt_i32 s12, 3
	s_cbranch_scc1 .LBB200_417
; %bb.412:
	s_cmp_gt_i32 s12, 3
	s_cbranch_scc0 .LBB200_414
; %bb.413:
	v_cvt_f32_f16_e32 v3, v2
	s_mov_b64 s[10:11], 0
	v_cvt_i32_f32_e32 v3, v3
	v_ashrrev_i32_e32 v4, 31, v3
	global_store_dwordx2 v[0:1], v[3:4], off
.LBB200_414:
	s_andn2_b64 vcc, exec, s[10:11]
	s_cbranch_vccnz .LBB200_416
; %bb.415:
	v_cvt_f32_f16_e32 v3, v2
	v_cvt_i32_f32_e32 v3, v3
	global_store_dword v[0:1], v3, off
.LBB200_416:
	s_mov_b64 s[10:11], 0
.LBB200_417:
	s_andn2_b64 vcc, exec, s[10:11]
	s_cbranch_vccnz .LBB200_419
; %bb.418:
	v_cvt_i16_f16_e32 v3, v2
	global_store_short v[0:1], v3, off
.LBB200_419:
	s_mov_b64 s[10:11], 0
.LBB200_420:
	s_andn2_b64 vcc, exec, s[10:11]
	s_cbranch_vccnz .LBB200_425
; %bb.421:
	s_cmp_gt_i32 s12, 0
	s_mov_b64 s[10:11], -1
	s_cbranch_scc0 .LBB200_423
; %bb.422:
	v_cvt_i16_f16_e32 v3, v2
	s_mov_b64 s[10:11], 0
	global_store_byte v[0:1], v3, off
.LBB200_423:
	s_andn2_b64 vcc, exec, s[10:11]
	s_cbranch_vccnz .LBB200_425
; %bb.424:
	v_cvt_f32_f16_e32 v2, v2
	v_cvt_i32_f32_e32 v2, v2
	global_store_byte v[0:1], v2, off
.LBB200_425:
	s_mov_b64 s[10:11], -1
.LBB200_426:
	s_andn2_b64 vcc, exec, s[10:11]
	s_cbranch_vccnz .LBB200_428
; %bb.427:
	v_add_u32_e32 v8, 0x80, v8
	s_mov_b64 s[10:11], -1
	s_branch .LBB200_541
.LBB200_428:
	s_mov_b64 s[10:11], 0
	s_branch .LBB200_540
.LBB200_429:
	s_mov_b64 s[8:9], -1
                                        ; implicit-def: $vgpr3
.LBB200_430:
	s_mov_b64 s[10:11], 0
.LBB200_431:
	s_and_b64 vcc, exec, s[10:11]
	s_cbranch_vccz .LBB200_435
; %bb.432:
	s_cmp_eq_u32 s14, 29
	s_cbranch_scc0 .LBB200_434
; %bb.433:
	global_load_dwordx2 v[3:4], v[1:2], off
	s_mov_b64 s[2:3], -1
	s_mov_b64 s[8:9], 0
	s_mov_b64 s[10:11], 0
	s_waitcnt vmcnt(0)
	v_ffbh_u32_e32 v5, v4
	v_min_u32_e32 v5, 32, v5
	v_lshlrev_b64 v[3:4], v5, v[3:4]
	v_min_u32_e32 v3, 1, v3
	v_or_b32_e32 v3, v4, v3
	v_cvt_f32_u32_e32 v3, v3
	v_sub_u32_e32 v4, 32, v5
	v_ldexp_f32 v3, v3, v4
	v_cvt_f16_f32_e32 v3, v3
	s_branch .LBB200_436
.LBB200_434:
	s_mov_b64 s[8:9], -1
                                        ; implicit-def: $vgpr3
.LBB200_435:
	s_mov_b64 s[10:11], 0
.LBB200_436:
	s_and_b64 vcc, exec, s[10:11]
	s_cbranch_vccz .LBB200_454
; %bb.437:
	s_cmp_lt_i32 s14, 27
	s_cbranch_scc1 .LBB200_440
; %bb.438:
	s_cmp_gt_i32 s14, 27
	s_cbranch_scc0 .LBB200_441
; %bb.439:
	global_load_dword v3, v[1:2], off
	s_mov_b64 s[2:3], 0
	s_waitcnt vmcnt(0)
	v_cvt_f32_u32_e32 v3, v3
	v_cvt_f16_f32_e32 v3, v3
	s_branch .LBB200_442
.LBB200_440:
	s_mov_b64 s[2:3], -1
                                        ; implicit-def: $vgpr3
	s_branch .LBB200_445
.LBB200_441:
	s_mov_b64 s[2:3], -1
                                        ; implicit-def: $vgpr3
.LBB200_442:
	s_andn2_b64 vcc, exec, s[2:3]
	s_cbranch_vccnz .LBB200_444
; %bb.443:
	global_load_ushort v3, v[1:2], off
	s_waitcnt vmcnt(0)
	v_cvt_f16_u16_e32 v3, v3
.LBB200_444:
	s_mov_b64 s[2:3], 0
.LBB200_445:
	s_andn2_b64 vcc, exec, s[2:3]
	s_cbranch_vccnz .LBB200_453
; %bb.446:
	global_load_ubyte v4, v[1:2], off
	s_movk_i32 s2, 0x7f
	s_waitcnt vmcnt(0)
	v_cmp_lt_i16_e32 vcc, s2, v4
	s_mov_b64 s[2:3], 0
	s_and_saveexec_b64 s[10:11], vcc
	s_xor_b64 s[10:11], exec, s[10:11]
	s_cbranch_execz .LBB200_467
; %bb.447:
	s_movk_i32 s2, 0x80
	v_cmp_eq_u16_e32 vcc, s2, v4
	s_mov_b64 s[2:3], -1
	s_and_saveexec_b64 s[12:13], vcc
; %bb.448:
	s_xor_b64 s[2:3], exec, -1
; %bb.449:
	s_or_b64 exec, exec, s[12:13]
	s_and_b64 s[2:3], s[2:3], exec
	s_or_saveexec_b64 s[10:11], s[10:11]
	v_mov_b32_e32 v3, 0x7e00
	s_xor_b64 exec, exec, s[10:11]
	s_cbranch_execnz .LBB200_468
.LBB200_450:
	s_or_b64 exec, exec, s[10:11]
	s_and_saveexec_b64 s[10:11], s[2:3]
	s_cbranch_execz .LBB200_452
.LBB200_451:
	v_lshlrev_b32_e32 v3, 24, v4
	v_and_b32_e32 v4, 0xffff, v4
	v_and_b32_e32 v5, 7, v4
	v_ffbh_u32_e32 v7, v5
	v_min_u32_e32 v7, 32, v7
	v_subrev_u32_e32 v9, 28, v7
	v_bfe_u32 v6, v4, 3, 4
	v_lshlrev_b32_e32 v4, v9, v4
	v_sub_u32_e32 v7, 29, v7
	v_and_b32_e32 v4, 7, v4
	v_cmp_eq_u32_e32 vcc, 0, v6
	v_cndmask_b32_e32 v6, v6, v7, vcc
	v_cndmask_b32_e32 v4, v5, v4, vcc
	v_mov_b32_e32 v5, 0x3b800000
	v_lshlrev_b32_e32 v4, 20, v4
	v_and_b32_e32 v3, 0x80000000, v3
	v_lshl_add_u32 v5, v6, 23, v5
	v_or3_b32 v3, v3, v5, v4
	v_cvt_f16_f32_e32 v3, v3
.LBB200_452:
	s_or_b64 exec, exec, s[10:11]
.LBB200_453:
	s_mov_b64 s[2:3], -1
.LBB200_454:
	s_mov_b64 s[10:11], 0
.LBB200_455:
	s_and_b64 vcc, exec, s[10:11]
	s_cbranch_vccz .LBB200_490
; %bb.456:
	s_cmp_gt_i32 s14, 22
	s_cbranch_scc0 .LBB200_466
; %bb.457:
	s_cmp_lt_i32 s14, 24
	s_cbranch_scc1 .LBB200_469
; %bb.458:
	s_cmp_gt_i32 s14, 24
	s_cbranch_scc0 .LBB200_470
; %bb.459:
	global_load_ubyte v4, v[1:2], off
	s_movk_i32 s2, 0x7f
	s_waitcnt vmcnt(0)
	v_cmp_lt_i16_e32 vcc, s2, v4
	s_mov_b64 s[2:3], 0
	s_and_saveexec_b64 s[10:11], vcc
	s_xor_b64 s[10:11], exec, s[10:11]
	s_cbranch_execz .LBB200_482
; %bb.460:
	s_movk_i32 s2, 0x80
	v_cmp_eq_u16_e32 vcc, s2, v4
	s_mov_b64 s[2:3], -1
	s_and_saveexec_b64 s[12:13], vcc
; %bb.461:
	s_xor_b64 s[2:3], exec, -1
; %bb.462:
	s_or_b64 exec, exec, s[12:13]
	s_and_b64 s[2:3], s[2:3], exec
	s_or_saveexec_b64 s[10:11], s[10:11]
	v_mov_b32_e32 v3, 0x7e00
	s_xor_b64 exec, exec, s[10:11]
	s_cbranch_execnz .LBB200_483
.LBB200_463:
	s_or_b64 exec, exec, s[10:11]
	s_and_saveexec_b64 s[10:11], s[2:3]
	s_cbranch_execz .LBB200_465
.LBB200_464:
	v_lshlrev_b32_e32 v3, 24, v4
	v_and_b32_e32 v4, 0xffff, v4
	v_and_b32_e32 v5, 3, v4
	v_ffbh_u32_e32 v7, v5
	v_min_u32_e32 v7, 32, v7
	v_subrev_u32_e32 v9, 29, v7
	v_bfe_u32 v6, v4, 2, 5
	v_lshlrev_b32_e32 v4, v9, v4
	v_sub_u32_e32 v7, 30, v7
	v_and_b32_e32 v4, 3, v4
	v_cmp_eq_u32_e32 vcc, 0, v6
	v_cndmask_b32_e32 v6, v6, v7, vcc
	v_cndmask_b32_e32 v4, v5, v4, vcc
	v_mov_b32_e32 v5, 0x37800000
	v_lshlrev_b32_e32 v4, 21, v4
	v_and_b32_e32 v3, 0x80000000, v3
	v_lshl_add_u32 v5, v6, 23, v5
	v_or3_b32 v3, v3, v5, v4
	v_cvt_f16_f32_e32 v3, v3
.LBB200_465:
	s_or_b64 exec, exec, s[10:11]
	s_mov_b64 s[2:3], 0
	s_branch .LBB200_471
.LBB200_466:
	s_mov_b64 s[10:11], -1
                                        ; implicit-def: $vgpr3
	s_branch .LBB200_477
.LBB200_467:
	s_or_saveexec_b64 s[10:11], s[10:11]
	v_mov_b32_e32 v3, 0x7e00
	s_xor_b64 exec, exec, s[10:11]
	s_cbranch_execz .LBB200_450
.LBB200_468:
	v_cmp_ne_u16_e32 vcc, 0, v4
	s_andn2_b64 s[2:3], s[2:3], exec
	s_and_b64 s[12:13], vcc, exec
	s_or_b64 s[2:3], s[2:3], s[12:13]
	v_mov_b32_e32 v3, v4
	s_or_b64 exec, exec, s[10:11]
	s_and_saveexec_b64 s[10:11], s[2:3]
	s_cbranch_execnz .LBB200_451
	s_branch .LBB200_452
.LBB200_469:
	s_mov_b64 s[2:3], -1
                                        ; implicit-def: $vgpr3
	s_branch .LBB200_474
.LBB200_470:
	s_mov_b64 s[2:3], -1
                                        ; implicit-def: $vgpr3
.LBB200_471:
	s_and_b64 vcc, exec, s[2:3]
	s_cbranch_vccz .LBB200_473
; %bb.472:
	global_load_ubyte v3, v[1:2], off
	s_mov_b32 s2, 0x7f800000
	s_waitcnt vmcnt(0)
	v_lshlrev_b32_e32 v3, 24, v3
	v_and_b32_e32 v4, 0x7f000000, v3
	v_ffbh_u32_e32 v5, v4
	v_min_u32_e32 v5, 32, v5
	v_sub_u32_e64 v5, v5, 4 clamp
	v_lshlrev_b32_e32 v7, v5, v4
	v_lshlrev_b32_e32 v5, 23, v5
	v_lshrrev_b32_e32 v7, 4, v7
	v_add_u32_e32 v6, 0x1000000, v4
	v_sub_u32_e32 v5, v7, v5
	v_ashrrev_i32_e32 v6, 8, v6
	v_add_u32_e32 v5, 0x3c000000, v5
	v_and_or_b32 v5, v6, s2, v5
	v_cmp_ne_u32_e32 vcc, 0, v4
	v_cndmask_b32_e32 v4, 0, v5, vcc
	s_brev_b32 s2, 1
	v_and_or_b32 v3, v3, s2, v4
	v_cvt_f16_f32_e32 v3, v3
.LBB200_473:
	s_mov_b64 s[2:3], 0
.LBB200_474:
	s_andn2_b64 vcc, exec, s[2:3]
	s_cbranch_vccnz .LBB200_476
; %bb.475:
	global_load_ubyte v3, v[1:2], off
	s_movk_i32 s2, 0x7f00
	s_brev_b32 s3, 16
	s_waitcnt vmcnt(0)
	v_lshlrev_b16_e32 v4, 8, v3
	v_lshlrev_b32_e32 v3, 25, v3
	v_lshrrev_b32_e32 v5, 4, v3
	v_and_or_b32 v6, v4, s2, 0.5
	v_or_b32_e32 v5, 0x70000000, v5
	v_add_f32_e32 v6, -0.5, v6
	v_mul_f32_e32 v5, 0x7800000, v5
	v_cmp_gt_u32_e32 vcc, s3, v3
	v_bfe_i32 v4, v4, 0, 16
	v_cndmask_b32_e32 v3, v5, v6, vcc
	s_brev_b32 s2, 1
	v_and_or_b32 v3, v4, s2, v3
	v_cvt_f16_f32_e32 v3, v3
.LBB200_476:
	s_mov_b64 s[10:11], 0
	s_mov_b64 s[2:3], -1
.LBB200_477:
	s_andn2_b64 vcc, exec, s[10:11]
	s_cbranch_vccnz .LBB200_490
; %bb.478:
	s_cmp_gt_i32 s14, 14
	s_cbranch_scc0 .LBB200_481
; %bb.479:
	s_cmp_eq_u32 s14, 15
	s_cbranch_scc0 .LBB200_484
; %bb.480:
	global_load_ushort v3, v[1:2], off
	s_mov_b64 s[2:3], -1
	s_mov_b64 s[8:9], 0
	s_waitcnt vmcnt(0)
	v_lshlrev_b32_e32 v3, 16, v3
	v_cvt_f16_f32_e32 v3, v3
	s_branch .LBB200_485
.LBB200_481:
	s_mov_b64 s[10:11], -1
                                        ; implicit-def: $vgpr3
	s_branch .LBB200_486
.LBB200_482:
	s_or_saveexec_b64 s[10:11], s[10:11]
	v_mov_b32_e32 v3, 0x7e00
	s_xor_b64 exec, exec, s[10:11]
	s_cbranch_execz .LBB200_463
.LBB200_483:
	v_cmp_ne_u16_e32 vcc, 0, v4
	s_andn2_b64 s[2:3], s[2:3], exec
	s_and_b64 s[12:13], vcc, exec
	s_or_b64 s[2:3], s[2:3], s[12:13]
	v_mov_b32_e32 v3, v4
	s_or_b64 exec, exec, s[10:11]
	s_and_saveexec_b64 s[10:11], s[2:3]
	s_cbranch_execnz .LBB200_464
	s_branch .LBB200_465
.LBB200_484:
	s_mov_b64 s[8:9], -1
                                        ; implicit-def: $vgpr3
.LBB200_485:
	s_mov_b64 s[10:11], 0
.LBB200_486:
	s_and_b64 vcc, exec, s[10:11]
	s_cbranch_vccz .LBB200_490
; %bb.487:
	s_cmp_eq_u32 s14, 11
	s_cbranch_scc0 .LBB200_489
; %bb.488:
	global_load_ubyte v3, v[1:2], off
	v_mov_b32_e32 v4, 0x3c00
	s_mov_b64 s[2:3], -1
	s_mov_b64 s[8:9], 0
	s_waitcnt vmcnt(0)
	v_cmp_ne_u16_e32 vcc, 0, v3
	v_cndmask_b32_e32 v3, 0, v4, vcc
	s_branch .LBB200_490
.LBB200_489:
	s_mov_b64 s[8:9], -1
                                        ; implicit-def: $vgpr3
.LBB200_490:
	s_branch .LBB200_293
.LBB200_491:
	s_cmp_lt_i32 s14, 5
	s_cbranch_scc1 .LBB200_496
; %bb.492:
	s_cmp_lt_i32 s14, 8
	s_cbranch_scc1 .LBB200_497
; %bb.493:
	;; [unrolled: 3-line block ×3, first 2 shown]
	s_cmp_gt_i32 s14, 9
	s_cbranch_scc0 .LBB200_499
; %bb.495:
	global_load_dwordx2 v[3:4], v[1:2], off
	s_movk_i32 s2, 0x1ff
	s_movk_i32 s3, 0xffe
	v_mov_b32_e32 v5, 0x7c00
	v_mov_b32_e32 v6, 0x7e00
	s_movk_i32 s10, 0x40f
	s_mov_b32 s11, 0x8000
	s_waitcnt vmcnt(0)
	v_and_or_b32 v3, v4, s2, v3
	v_cmp_ne_u32_e32 vcc, 0, v3
	v_lshrrev_b32_e32 v7, 8, v4
	v_bfe_u32 v9, v4, 20, 11
	v_cndmask_b32_e64 v3, 0, 1, vcc
	v_sub_u32_e32 v10, 0x3f1, v9
	v_and_or_b32 v3, v7, s3, v3
	v_add_u32_e32 v9, 0xfffffc10, v9
	v_med3_i32 v7, v10, 0, 13
	v_or_b32_e32 v10, 0x1000, v3
	v_cmp_ne_u32_e32 vcc, 0, v3
	v_lshl_or_b32 v11, v9, 12, v3
	v_cndmask_b32_e32 v3, v5, v6, vcc
	v_lshrrev_b32_e32 v6, v7, v10
	v_lshlrev_b32_e32 v7, v7, v6
	v_cmp_ne_u32_e32 vcc, v7, v10
	v_cndmask_b32_e64 v7, 0, 1, vcc
	v_or_b32_e32 v6, v6, v7
	v_cmp_gt_i32_e32 vcc, 1, v9
	v_cndmask_b32_e32 v6, v11, v6, vcc
	v_and_b32_e32 v7, 7, v6
	v_cmp_lt_i32_e32 vcc, 5, v7
	v_cndmask_b32_e64 v10, 0, 1, vcc
	v_cmp_eq_u32_e32 vcc, 3, v7
	v_cndmask_b32_e64 v7, 0, 1, vcc
	v_lshrrev_b32_e32 v6, 2, v6
	v_or_b32_e32 v7, v7, v10
	v_add_u32_e32 v6, v6, v7
	v_cmp_gt_i32_e32 vcc, 31, v9
	v_cndmask_b32_e32 v5, v5, v6, vcc
	v_cmp_eq_u32_e32 vcc, s10, v9
	v_lshrrev_b32_e32 v4, 16, v4
	v_cndmask_b32_e32 v3, v5, v3, vcc
	v_and_or_b32 v3, v4, s11, v3
	s_mov_b64 s[2:3], 0
	s_branch .LBB200_500
.LBB200_496:
	s_mov_b64 s[2:3], -1
                                        ; implicit-def: $vgpr3
	s_branch .LBB200_518
.LBB200_497:
	s_mov_b64 s[2:3], -1
                                        ; implicit-def: $vgpr3
	s_branch .LBB200_506
.LBB200_498:
	s_mov_b64 s[2:3], -1
                                        ; implicit-def: $vgpr3
	s_branch .LBB200_503
.LBB200_499:
	s_mov_b64 s[2:3], -1
                                        ; implicit-def: $vgpr3
.LBB200_500:
	s_andn2_b64 vcc, exec, s[2:3]
	s_cbranch_vccnz .LBB200_502
; %bb.501:
	global_load_dword v3, v[1:2], off
	s_waitcnt vmcnt(0)
	v_cvt_f16_f32_e32 v3, v3
.LBB200_502:
	s_mov_b64 s[2:3], 0
.LBB200_503:
	s_andn2_b64 vcc, exec, s[2:3]
	s_cbranch_vccnz .LBB200_505
; %bb.504:
	global_load_dword v3, v[1:2], off
.LBB200_505:
	s_mov_b64 s[2:3], 0
.LBB200_506:
	s_andn2_b64 vcc, exec, s[2:3]
	s_cbranch_vccnz .LBB200_517
; %bb.507:
	s_cmp_lt_i32 s14, 6
	s_cbranch_scc1 .LBB200_510
; %bb.508:
	s_cmp_gt_i32 s14, 6
	s_cbranch_scc0 .LBB200_511
; %bb.509:
	global_load_dwordx2 v[3:4], v[1:2], off
	s_movk_i32 s2, 0x1ff
	s_movk_i32 s3, 0xffe
	v_mov_b32_e32 v5, 0x7c00
	v_mov_b32_e32 v6, 0x7e00
	s_movk_i32 s10, 0x40f
	s_mov_b32 s11, 0x8000
	s_waitcnt vmcnt(0)
	v_and_or_b32 v3, v4, s2, v3
	v_cmp_ne_u32_e32 vcc, 0, v3
	v_lshrrev_b32_e32 v7, 8, v4
	v_bfe_u32 v9, v4, 20, 11
	v_cndmask_b32_e64 v3, 0, 1, vcc
	v_sub_u32_e32 v10, 0x3f1, v9
	v_and_or_b32 v3, v7, s3, v3
	v_add_u32_e32 v9, 0xfffffc10, v9
	v_med3_i32 v7, v10, 0, 13
	v_or_b32_e32 v10, 0x1000, v3
	v_cmp_ne_u32_e32 vcc, 0, v3
	v_lshl_or_b32 v11, v9, 12, v3
	v_cndmask_b32_e32 v3, v5, v6, vcc
	v_lshrrev_b32_e32 v6, v7, v10
	v_lshlrev_b32_e32 v7, v7, v6
	v_cmp_ne_u32_e32 vcc, v7, v10
	v_cndmask_b32_e64 v7, 0, 1, vcc
	v_or_b32_e32 v6, v6, v7
	v_cmp_gt_i32_e32 vcc, 1, v9
	v_cndmask_b32_e32 v6, v11, v6, vcc
	v_and_b32_e32 v7, 7, v6
	v_cmp_lt_i32_e32 vcc, 5, v7
	v_cndmask_b32_e64 v10, 0, 1, vcc
	v_cmp_eq_u32_e32 vcc, 3, v7
	v_cndmask_b32_e64 v7, 0, 1, vcc
	v_lshrrev_b32_e32 v6, 2, v6
	v_or_b32_e32 v7, v7, v10
	v_add_u32_e32 v6, v6, v7
	v_cmp_gt_i32_e32 vcc, 31, v9
	v_cndmask_b32_e32 v5, v5, v6, vcc
	v_cmp_eq_u32_e32 vcc, s10, v9
	v_lshrrev_b32_e32 v4, 16, v4
	v_cndmask_b32_e32 v3, v5, v3, vcc
	v_and_or_b32 v3, v4, s11, v3
	s_mov_b64 s[2:3], 0
	s_branch .LBB200_512
.LBB200_510:
	s_mov_b64 s[2:3], -1
                                        ; implicit-def: $vgpr3
	s_branch .LBB200_515
.LBB200_511:
	s_mov_b64 s[2:3], -1
                                        ; implicit-def: $vgpr3
.LBB200_512:
	s_andn2_b64 vcc, exec, s[2:3]
	s_cbranch_vccnz .LBB200_514
; %bb.513:
	global_load_dword v3, v[1:2], off
	s_waitcnt vmcnt(0)
	v_cvt_f16_f32_e32 v3, v3
.LBB200_514:
	s_mov_b64 s[2:3], 0
.LBB200_515:
	s_andn2_b64 vcc, exec, s[2:3]
	s_cbranch_vccnz .LBB200_517
; %bb.516:
	global_load_ushort v3, v[1:2], off
.LBB200_517:
	s_mov_b64 s[2:3], 0
.LBB200_518:
	s_andn2_b64 vcc, exec, s[2:3]
	s_cbranch_vccnz .LBB200_538
; %bb.519:
	s_cmp_lt_i32 s14, 2
	s_cbranch_scc1 .LBB200_523
; %bb.520:
	s_cmp_lt_i32 s14, 3
	s_cbranch_scc1 .LBB200_524
; %bb.521:
	s_cmp_gt_i32 s14, 3
	s_cbranch_scc0 .LBB200_525
; %bb.522:
	global_load_dwordx2 v[3:4], v[1:2], off
	s_mov_b64 s[2:3], 0
	s_waitcnt vmcnt(0)
	v_xor_b32_e32 v6, v3, v4
	v_ffbh_i32_e32 v5, v4
	v_ashrrev_i32_e32 v6, 31, v6
	v_add_u32_e32 v5, -1, v5
	v_add_u32_e32 v6, 32, v6
	v_min_u32_e32 v5, v5, v6
	v_lshlrev_b64 v[3:4], v5, v[3:4]
	v_min_u32_e32 v3, 1, v3
	v_or_b32_e32 v3, v4, v3
	v_cvt_f32_i32_e32 v3, v3
	v_sub_u32_e32 v4, 32, v5
	v_ldexp_f32 v3, v3, v4
	v_cvt_f16_f32_e32 v3, v3
	s_branch .LBB200_526
.LBB200_523:
	s_mov_b64 s[2:3], -1
                                        ; implicit-def: $vgpr3
	s_branch .LBB200_532
.LBB200_524:
	s_mov_b64 s[2:3], -1
                                        ; implicit-def: $vgpr3
	s_branch .LBB200_529
.LBB200_525:
	s_mov_b64 s[2:3], -1
                                        ; implicit-def: $vgpr3
.LBB200_526:
	s_andn2_b64 vcc, exec, s[2:3]
	s_cbranch_vccnz .LBB200_528
; %bb.527:
	global_load_dword v3, v[1:2], off
	s_waitcnt vmcnt(0)
	v_cvt_f32_i32_e32 v3, v3
	v_cvt_f16_f32_e32 v3, v3
.LBB200_528:
	s_mov_b64 s[2:3], 0
.LBB200_529:
	s_andn2_b64 vcc, exec, s[2:3]
	s_cbranch_vccnz .LBB200_531
; %bb.530:
	global_load_ushort v3, v[1:2], off
	s_waitcnt vmcnt(0)
	v_cvt_f16_i16_e32 v3, v3
.LBB200_531:
	s_mov_b64 s[2:3], 0
.LBB200_532:
	s_andn2_b64 vcc, exec, s[2:3]
	s_cbranch_vccnz .LBB200_538
; %bb.533:
	s_cmp_gt_i32 s14, 0
	s_cbranch_scc0 .LBB200_535
; %bb.534:
	global_load_sbyte v3, v[1:2], off
	s_mov_b64 s[2:3], 0
	s_waitcnt vmcnt(0)
	v_cvt_f16_i16_e32 v3, v3
	s_branch .LBB200_536
.LBB200_535:
	s_mov_b64 s[2:3], -1
                                        ; implicit-def: $vgpr3
.LBB200_536:
	s_andn2_b64 vcc, exec, s[2:3]
	s_cbranch_vccnz .LBB200_538
; %bb.537:
	global_load_ubyte v1, v[1:2], off
	s_waitcnt vmcnt(0)
	v_cvt_f16_u16_e32 v3, v1
.LBB200_538:
	s_branch .LBB200_294
.LBB200_539:
	s_mov_b64 s[10:11], 0
	s_mov_b64 s[2:3], s[56:57]
.LBB200_540:
                                        ; implicit-def: $vgpr8
.LBB200_541:
	s_andn2_b64 s[12:13], s[56:57], exec
	s_and_b64 s[2:3], s[2:3], exec
	s_or_b64 s[64:65], s[12:13], s[2:3]
	s_andn2_b64 s[2:3], s[58:59], exec
	s_and_b64 s[8:9], s[8:9], exec
	s_or_b64 s[62:63], s[2:3], s[8:9]
	s_orn2_b64 s[2:3], s[10:11], exec
.LBB200_542:
	s_or_b64 exec, exec, s[66:67]
	s_mov_b64 s[8:9], 0
	s_mov_b64 s[12:13], 0
	;; [unrolled: 1-line block ×3, first 2 shown]
                                        ; implicit-def: $vgpr1_vgpr2
                                        ; implicit-def: $vgpr0
                                        ; implicit-def: $vgpr4
	s_and_saveexec_b64 s[66:67], s[2:3]
	s_cbranch_execz .LBB200_917
; %bb.543:
	v_cmp_gt_i32_e32 vcc, s72, v8
	s_mov_b64 s[10:11], -1
	s_mov_b64 s[2:3], s[62:63]
	s_mov_b64 s[70:71], s[64:65]
	s_and_saveexec_b64 s[68:69], vcc
	s_cbranch_execz .LBB200_817
; %bb.544:
	s_andn2_b64 vcc, exec, s[44:45]
	s_cbranch_vccnz .LBB200_549
; %bb.545:
	s_andn2_b64 vcc, exec, s[54:55]
	s_cbranch_vccnz .LBB200_550
; %bb.546:
	s_add_i32 s79, s78, 1
	s_cmp_eq_u32 s74, 2
	s_cbranch_scc1 .LBB200_551
; %bb.547:
	s_and_b32 s73, s79, 28
	v_mov_b32_e32 v2, 0
	s_mov_b32 s80, 0
	s_mov_b64 s[2:3], s[34:35]
	s_mov_b64 s[70:71], s[52:53]
	v_mov_b32_e32 v0, 0
	v_mov_b32_e32 v1, v8
.LBB200_548:                            ; =>This Inner Loop Header: Depth=1
	s_load_dwordx8 s[16:23], s[2:3], 0x4
	s_load_dwordx4 s[40:43], s[2:3], 0x24
	s_load_dwordx8 s[8:15], s[70:71], 0x0
	s_add_u32 s2, s2, 48
	s_addc_u32 s3, s3, 0
	s_waitcnt vmcnt(0) lgkmcnt(0)
	v_mul_hi_u32 v3, s17, v1
	s_add_i32 s80, s80, 4
	s_add_u32 s70, s70, 32
	s_addc_u32 s71, s71, 0
	v_add_u32_e32 v3, v1, v3
	v_lshrrev_b32_e32 v3, s18, v3
	v_mul_lo_u32 v4, v3, s16
	v_mul_hi_u32 v5, s20, v3
	s_cmp_eq_u32 s73, s80
	v_sub_u32_e32 v1, v1, v4
	v_add_u32_e32 v4, v3, v5
	v_mul_lo_u32 v5, v1, s8
	v_mul_lo_u32 v6, v1, s9
	v_lshrrev_b32_e32 v1, s21, v4
	v_mul_lo_u32 v4, v1, s19
	v_mul_hi_u32 v7, s23, v1
	v_sub_u32_e32 v3, v3, v4
	v_add_u32_e32 v4, v1, v7
	v_lshrrev_b32_e32 v4, s40, v4
	v_mul_hi_u32 v9, s42, v4
	v_mul_lo_u32 v10, v4, s22
	v_mul_lo_u32 v7, v3, s10
	;; [unrolled: 1-line block ×3, first 2 shown]
	v_sub_u32_e32 v10, v1, v10
	v_add_u32_e32 v1, v4, v9
	v_lshrrev_b32_e32 v1, s43, v1
	v_mul_lo_u32 v9, v1, s41
	v_mul_lo_u32 v11, v10, s12
	;; [unrolled: 1-line block ×3, first 2 shown]
	v_add3_u32 v0, v5, v0, v7
	v_sub_u32_e32 v4, v4, v9
	v_mul_lo_u32 v9, v4, s14
	v_mul_lo_u32 v4, v4, s15
	v_add3_u32 v2, v6, v2, v3
	v_add3_u32 v0, v11, v0, v9
	;; [unrolled: 1-line block ×3, first 2 shown]
	s_cbranch_scc0 .LBB200_548
	s_branch .LBB200_552
.LBB200_549:
	s_mov_b64 s[2:3], -1
                                        ; implicit-def: $vgpr0
                                        ; implicit-def: $vgpr2
	s_branch .LBB200_556
.LBB200_550:
	v_mov_b32_e32 v0, 0
	v_mov_b32_e32 v2, 0
	s_branch .LBB200_555
.LBB200_551:
	s_mov_b32 s73, 0
	v_mov_b32_e32 v0, 0
	v_mov_b32_e32 v2, 0
	;; [unrolled: 1-line block ×3, first 2 shown]
.LBB200_552:
	s_and_b32 s10, s79, 3
	s_cmp_eq_u32 s10, 0
	s_cbranch_scc1 .LBB200_555
; %bb.553:
	s_lshl_b32 s2, s73, 3
	s_add_u32 s2, s34, s2
	s_addc_u32 s3, s35, 0
	s_add_u32 s2, s2, 0xc4
	s_addc_u32 s3, s3, 0
	s_mul_i32 s8, s73, 12
	s_add_u32 s8, s34, s8
	s_addc_u32 s9, s35, 0
.LBB200_554:                            ; =>This Inner Loop Header: Depth=1
	s_load_dwordx2 s[12:13], s[8:9], 0x4
	s_load_dword s11, s[8:9], 0xc
	s_load_dwordx2 s[14:15], s[2:3], 0x0
	s_add_u32 s8, s8, 12
	s_addc_u32 s9, s9, 0
	s_waitcnt vmcnt(0) lgkmcnt(0)
	v_mul_hi_u32 v3, s13, v1
	s_add_u32 s2, s2, 8
	s_addc_u32 s3, s3, 0
	s_add_i32 s10, s10, -1
	v_add_u32_e32 v3, v1, v3
	v_lshrrev_b32_e32 v4, s11, v3
	v_mul_lo_u32 v3, v4, s12
	s_cmp_lg_u32 s10, 0
	v_sub_u32_e32 v3, v1, v3
	v_mad_u64_u32 v[0:1], s[12:13], v3, s14, v[0:1]
	v_mad_u64_u32 v[2:3], s[12:13], v3, s15, v[2:3]
	v_mov_b32_e32 v1, v4
	s_cbranch_scc1 .LBB200_554
.LBB200_555:
	s_mov_b64 s[2:3], 0
.LBB200_556:
	s_andn2_b64 vcc, exec, s[2:3]
	s_cbranch_vccnz .LBB200_559
; %bb.557:
	v_mul_hi_u32 v0, s29, v8
	s_andn2_b64 vcc, exec, s[50:51]
	v_add_u32_e32 v0, v8, v0
	v_lshrrev_b32_e32 v1, s30, v0
	v_mul_lo_u32 v0, v1, s28
	v_sub_u32_e32 v2, v8, v0
	v_mul_lo_u32 v0, v2, s36
	v_mul_lo_u32 v2, v2, s37
	s_cbranch_vccnz .LBB200_559
; %bb.558:
	s_waitcnt vmcnt(0)
	v_mul_hi_u32 v3, s48, v1
	v_add_u32_e32 v3, v1, v3
	v_lshrrev_b32_e32 v3, s49, v3
	v_mul_lo_u32 v3, v3, s31
	v_sub_u32_e32 v3, v1, v3
	v_mad_u64_u32 v[0:1], s[2:3], v3, s38, v[0:1]
	v_mad_u64_u32 v[2:3], s[2:3], v3, s39, v[2:3]
.LBB200_559:
	s_waitcnt vmcnt(0)
	v_mov_b32_e32 v3, s27
	s_and_b32 s14, 0xffff, s77
	v_add_co_u32_e32 v1, vcc, s26, v2
	s_cmp_lt_i32 s14, 11
	v_addc_co_u32_e32 v2, vcc, 0, v3, vcc
	s_cbranch_scc1 .LBB200_566
; %bb.560:
	s_cmp_gt_i32 s14, 25
	s_cbranch_scc0 .LBB200_567
; %bb.561:
	s_cmp_gt_i32 s14, 28
	s_cbranch_scc0 .LBB200_568
; %bb.562:
	s_cmp_gt_i32 s14, 43
	s_cbranch_scc0 .LBB200_569
; %bb.563:
	s_cmp_gt_i32 s14, 45
	s_cbranch_scc0 .LBB200_572
; %bb.564:
	s_cmp_eq_u32 s14, 46
	s_mov_b64 s[10:11], 0
	s_cbranch_scc0 .LBB200_575
; %bb.565:
	global_load_dword v3, v[1:2], off
	s_mov_b64 s[2:3], -1
	s_mov_b64 s[8:9], 0
	s_waitcnt vmcnt(0)
	v_lshlrev_b32_e32 v3, 16, v3
	v_cvt_f16_f32_e32 v3, v3
	s_branch .LBB200_576
.LBB200_566:
	s_mov_b64 s[10:11], -1
	s_mov_b64 s[2:3], 0
                                        ; implicit-def: $vgpr3
	s_mov_b64 s[8:9], s[62:63]
	s_branch .LBB200_641
.LBB200_567:
	s_mov_b64 s[10:11], -1
	s_mov_b64 s[2:3], 0
	s_mov_b64 s[8:9], s[62:63]
                                        ; implicit-def: $vgpr3
	s_branch .LBB200_605
.LBB200_568:
	s_mov_b64 s[10:11], -1
	s_mov_b64 s[2:3], 0
	s_mov_b64 s[8:9], s[62:63]
                                        ; implicit-def: $vgpr3
	s_branch .LBB200_586
.LBB200_569:
	s_mov_b64 s[10:11], -1
	s_mov_b64 s[2:3], 0
	s_mov_b64 s[8:9], s[62:63]
                                        ; implicit-def: $vgpr3
	s_branch .LBB200_581
.LBB200_570:
	s_andn2_saveexec_b64 s[14:15], s[14:15]
	s_cbranch_execz .LBB200_339
.LBB200_571:
	s_mov_b32 s18, 0x46000000
	v_add_f32_e64 v4, |v3|, s18
	v_and_b32_e32 v4, 0xff, v4
	v_cmp_ne_u32_e32 vcc, 0, v4
	s_andn2_b64 s[12:13], s[12:13], exec
	s_and_b64 s[18:19], vcc, exec
	s_or_b64 s[12:13], s[12:13], s[18:19]
	s_or_b64 exec, exec, s[14:15]
	v_mov_b32_e32 v5, 0
	s_and_saveexec_b64 s[14:15], s[12:13]
	s_cbranch_execnz .LBB200_340
	s_branch .LBB200_341
.LBB200_572:
	s_mov_b64 s[10:11], -1
	s_mov_b64 s[2:3], 0
	s_mov_b64 s[8:9], s[62:63]
                                        ; implicit-def: $vgpr3
	s_branch .LBB200_576
.LBB200_573:
	s_andn2_saveexec_b64 s[14:15], s[14:15]
	s_cbranch_execz .LBB200_352
.LBB200_574:
	s_mov_b32 s18, 0x42800000
	v_add_f32_e64 v4, |v3|, s18
	v_and_b32_e32 v4, 0xff, v4
	v_cmp_ne_u32_e32 vcc, 0, v4
	s_andn2_b64 s[12:13], s[12:13], exec
	s_and_b64 s[18:19], vcc, exec
	s_or_b64 s[12:13], s[12:13], s[18:19]
	s_or_b64 exec, exec, s[14:15]
	v_mov_b32_e32 v5, 0
	s_and_saveexec_b64 s[14:15], s[12:13]
	s_cbranch_execnz .LBB200_353
	s_branch .LBB200_354
.LBB200_575:
	s_mov_b64 s[8:9], -1
                                        ; implicit-def: $vgpr3
	s_mov_b64 s[2:3], 0
.LBB200_576:
	s_and_b64 vcc, exec, s[10:11]
	s_cbranch_vccz .LBB200_580
; %bb.577:
	s_cmp_eq_u32 s14, 44
	s_cbranch_scc0 .LBB200_579
; %bb.578:
	global_load_ubyte v3, v[1:2], off
	s_movk_i32 s8, 0xff
	v_mov_b32_e32 v5, 0x7e00
	s_mov_b64 s[2:3], -1
	s_waitcnt vmcnt(0)
	v_lshlrev_b32_e32 v4, 23, v3
	v_cvt_f16_f32_e32 v4, v4
	v_cmp_ne_u32_e32 vcc, s8, v3
	s_mov_b64 s[8:9], 0
	v_cndmask_b32_e32 v4, v5, v4, vcc
	v_cmp_ne_u32_e32 vcc, 0, v3
	v_cndmask_b32_e32 v3, 0, v4, vcc
	s_branch .LBB200_580
.LBB200_579:
	s_mov_b64 s[8:9], -1
                                        ; implicit-def: $vgpr3
.LBB200_580:
	s_mov_b64 s[10:11], 0
.LBB200_581:
	s_and_b64 vcc, exec, s[10:11]
	s_cbranch_vccz .LBB200_585
; %bb.582:
	s_cmp_eq_u32 s14, 29
	s_cbranch_scc0 .LBB200_584
; %bb.583:
	global_load_dwordx2 v[3:4], v[1:2], off
	s_mov_b64 s[2:3], -1
	s_mov_b64 s[8:9], 0
	s_mov_b64 s[10:11], 0
	s_waitcnt vmcnt(0)
	v_ffbh_u32_e32 v5, v4
	v_min_u32_e32 v5, 32, v5
	v_lshlrev_b64 v[3:4], v5, v[3:4]
	v_min_u32_e32 v3, 1, v3
	v_or_b32_e32 v3, v4, v3
	v_cvt_f32_u32_e32 v3, v3
	v_sub_u32_e32 v4, 32, v5
	v_ldexp_f32 v3, v3, v4
	v_cvt_f16_f32_e32 v3, v3
	s_branch .LBB200_586
.LBB200_584:
	s_mov_b64 s[8:9], -1
                                        ; implicit-def: $vgpr3
.LBB200_585:
	s_mov_b64 s[10:11], 0
.LBB200_586:
	s_and_b64 vcc, exec, s[10:11]
	s_cbranch_vccz .LBB200_604
; %bb.587:
	s_cmp_lt_i32 s14, 27
	s_cbranch_scc1 .LBB200_590
; %bb.588:
	s_cmp_gt_i32 s14, 27
	s_cbranch_scc0 .LBB200_591
; %bb.589:
	global_load_dword v3, v[1:2], off
	s_mov_b64 s[2:3], 0
	s_waitcnt vmcnt(0)
	v_cvt_f32_u32_e32 v3, v3
	v_cvt_f16_f32_e32 v3, v3
	s_branch .LBB200_592
.LBB200_590:
	s_mov_b64 s[2:3], -1
                                        ; implicit-def: $vgpr3
	s_branch .LBB200_595
.LBB200_591:
	s_mov_b64 s[2:3], -1
                                        ; implicit-def: $vgpr3
.LBB200_592:
	s_andn2_b64 vcc, exec, s[2:3]
	s_cbranch_vccnz .LBB200_594
; %bb.593:
	global_load_ushort v3, v[1:2], off
	s_waitcnt vmcnt(0)
	v_cvt_f16_u16_e32 v3, v3
.LBB200_594:
	s_mov_b64 s[2:3], 0
.LBB200_595:
	s_andn2_b64 vcc, exec, s[2:3]
	s_cbranch_vccnz .LBB200_603
; %bb.596:
	global_load_ubyte v4, v[1:2], off
	s_movk_i32 s2, 0x7f
	s_waitcnt vmcnt(0)
	v_cmp_lt_i16_e32 vcc, s2, v4
	s_mov_b64 s[2:3], 0
	s_and_saveexec_b64 s[10:11], vcc
	s_xor_b64 s[10:11], exec, s[10:11]
	s_cbranch_execz .LBB200_617
; %bb.597:
	s_movk_i32 s2, 0x80
	v_cmp_eq_u16_e32 vcc, s2, v4
	s_mov_b64 s[2:3], -1
	s_and_saveexec_b64 s[12:13], vcc
; %bb.598:
	s_xor_b64 s[2:3], exec, -1
; %bb.599:
	s_or_b64 exec, exec, s[12:13]
	s_and_b64 s[2:3], s[2:3], exec
	s_or_saveexec_b64 s[10:11], s[10:11]
	v_mov_b32_e32 v3, 0x7e00
	s_xor_b64 exec, exec, s[10:11]
	s_cbranch_execnz .LBB200_618
.LBB200_600:
	s_or_b64 exec, exec, s[10:11]
	s_and_saveexec_b64 s[10:11], s[2:3]
	s_cbranch_execz .LBB200_602
.LBB200_601:
	v_lshlrev_b32_e32 v3, 24, v4
	v_and_b32_e32 v4, 0xffff, v4
	v_and_b32_e32 v5, 7, v4
	v_ffbh_u32_e32 v7, v5
	v_min_u32_e32 v7, 32, v7
	v_subrev_u32_e32 v9, 28, v7
	v_bfe_u32 v6, v4, 3, 4
	v_lshlrev_b32_e32 v4, v9, v4
	v_sub_u32_e32 v7, 29, v7
	v_and_b32_e32 v4, 7, v4
	v_cmp_eq_u32_e32 vcc, 0, v6
	v_cndmask_b32_e32 v6, v6, v7, vcc
	v_cndmask_b32_e32 v4, v5, v4, vcc
	v_mov_b32_e32 v5, 0x3b800000
	v_lshlrev_b32_e32 v4, 20, v4
	v_and_b32_e32 v3, 0x80000000, v3
	v_lshl_add_u32 v5, v6, 23, v5
	v_or3_b32 v3, v3, v5, v4
	v_cvt_f16_f32_e32 v3, v3
.LBB200_602:
	s_or_b64 exec, exec, s[10:11]
.LBB200_603:
	s_mov_b64 s[2:3], -1
.LBB200_604:
	s_mov_b64 s[10:11], 0
.LBB200_605:
	s_and_b64 vcc, exec, s[10:11]
	s_cbranch_vccz .LBB200_640
; %bb.606:
	s_cmp_gt_i32 s14, 22
	s_cbranch_scc0 .LBB200_616
; %bb.607:
	s_cmp_lt_i32 s14, 24
	s_cbranch_scc1 .LBB200_619
; %bb.608:
	s_cmp_gt_i32 s14, 24
	s_cbranch_scc0 .LBB200_620
; %bb.609:
	global_load_ubyte v4, v[1:2], off
	s_movk_i32 s2, 0x7f
	s_waitcnt vmcnt(0)
	v_cmp_lt_i16_e32 vcc, s2, v4
	s_mov_b64 s[2:3], 0
	s_and_saveexec_b64 s[10:11], vcc
	s_xor_b64 s[10:11], exec, s[10:11]
	s_cbranch_execz .LBB200_632
; %bb.610:
	s_movk_i32 s2, 0x80
	v_cmp_eq_u16_e32 vcc, s2, v4
	s_mov_b64 s[2:3], -1
	s_and_saveexec_b64 s[12:13], vcc
; %bb.611:
	s_xor_b64 s[2:3], exec, -1
; %bb.612:
	s_or_b64 exec, exec, s[12:13]
	s_and_b64 s[2:3], s[2:3], exec
	s_or_saveexec_b64 s[10:11], s[10:11]
	v_mov_b32_e32 v3, 0x7e00
	s_xor_b64 exec, exec, s[10:11]
	s_cbranch_execnz .LBB200_633
.LBB200_613:
	s_or_b64 exec, exec, s[10:11]
	s_and_saveexec_b64 s[10:11], s[2:3]
	s_cbranch_execz .LBB200_615
.LBB200_614:
	v_lshlrev_b32_e32 v3, 24, v4
	v_and_b32_e32 v4, 0xffff, v4
	v_and_b32_e32 v5, 3, v4
	v_ffbh_u32_e32 v7, v5
	v_min_u32_e32 v7, 32, v7
	v_subrev_u32_e32 v9, 29, v7
	v_bfe_u32 v6, v4, 2, 5
	v_lshlrev_b32_e32 v4, v9, v4
	v_sub_u32_e32 v7, 30, v7
	v_and_b32_e32 v4, 3, v4
	v_cmp_eq_u32_e32 vcc, 0, v6
	v_cndmask_b32_e32 v6, v6, v7, vcc
	v_cndmask_b32_e32 v4, v5, v4, vcc
	v_mov_b32_e32 v5, 0x37800000
	v_lshlrev_b32_e32 v4, 21, v4
	v_and_b32_e32 v3, 0x80000000, v3
	v_lshl_add_u32 v5, v6, 23, v5
	v_or3_b32 v3, v3, v5, v4
	v_cvt_f16_f32_e32 v3, v3
.LBB200_615:
	s_or_b64 exec, exec, s[10:11]
	s_mov_b64 s[2:3], 0
	s_branch .LBB200_621
.LBB200_616:
	s_mov_b64 s[10:11], -1
                                        ; implicit-def: $vgpr3
	s_branch .LBB200_627
.LBB200_617:
	s_or_saveexec_b64 s[10:11], s[10:11]
	v_mov_b32_e32 v3, 0x7e00
	s_xor_b64 exec, exec, s[10:11]
	s_cbranch_execz .LBB200_600
.LBB200_618:
	v_cmp_ne_u16_e32 vcc, 0, v4
	s_andn2_b64 s[2:3], s[2:3], exec
	s_and_b64 s[12:13], vcc, exec
	s_or_b64 s[2:3], s[2:3], s[12:13]
	v_mov_b32_e32 v3, v4
	s_or_b64 exec, exec, s[10:11]
	s_and_saveexec_b64 s[10:11], s[2:3]
	s_cbranch_execnz .LBB200_601
	s_branch .LBB200_602
.LBB200_619:
	s_mov_b64 s[2:3], -1
                                        ; implicit-def: $vgpr3
	s_branch .LBB200_624
.LBB200_620:
	s_mov_b64 s[2:3], -1
                                        ; implicit-def: $vgpr3
.LBB200_621:
	s_and_b64 vcc, exec, s[2:3]
	s_cbranch_vccz .LBB200_623
; %bb.622:
	global_load_ubyte v3, v[1:2], off
	s_mov_b32 s2, 0x7f800000
	s_waitcnt vmcnt(0)
	v_lshlrev_b32_e32 v3, 24, v3
	v_and_b32_e32 v4, 0x7f000000, v3
	v_ffbh_u32_e32 v5, v4
	v_min_u32_e32 v5, 32, v5
	v_sub_u32_e64 v5, v5, 4 clamp
	v_lshlrev_b32_e32 v7, v5, v4
	v_lshlrev_b32_e32 v5, 23, v5
	v_lshrrev_b32_e32 v7, 4, v7
	v_add_u32_e32 v6, 0x1000000, v4
	v_sub_u32_e32 v5, v7, v5
	v_ashrrev_i32_e32 v6, 8, v6
	v_add_u32_e32 v5, 0x3c000000, v5
	v_and_or_b32 v5, v6, s2, v5
	v_cmp_ne_u32_e32 vcc, 0, v4
	v_cndmask_b32_e32 v4, 0, v5, vcc
	s_brev_b32 s2, 1
	v_and_or_b32 v3, v3, s2, v4
	v_cvt_f16_f32_e32 v3, v3
.LBB200_623:
	s_mov_b64 s[2:3], 0
.LBB200_624:
	s_andn2_b64 vcc, exec, s[2:3]
	s_cbranch_vccnz .LBB200_626
; %bb.625:
	global_load_ubyte v3, v[1:2], off
	s_movk_i32 s2, 0x7f00
	s_brev_b32 s3, 16
	s_waitcnt vmcnt(0)
	v_lshlrev_b16_e32 v4, 8, v3
	v_lshlrev_b32_e32 v3, 25, v3
	v_lshrrev_b32_e32 v5, 4, v3
	v_and_or_b32 v6, v4, s2, 0.5
	v_or_b32_e32 v5, 0x70000000, v5
	v_add_f32_e32 v6, -0.5, v6
	v_mul_f32_e32 v5, 0x7800000, v5
	v_cmp_gt_u32_e32 vcc, s3, v3
	v_bfe_i32 v4, v4, 0, 16
	v_cndmask_b32_e32 v3, v5, v6, vcc
	s_brev_b32 s2, 1
	v_and_or_b32 v3, v4, s2, v3
	v_cvt_f16_f32_e32 v3, v3
.LBB200_626:
	s_mov_b64 s[10:11], 0
	s_mov_b64 s[2:3], -1
.LBB200_627:
	s_andn2_b64 vcc, exec, s[10:11]
	s_cbranch_vccnz .LBB200_640
; %bb.628:
	s_cmp_gt_i32 s14, 14
	s_cbranch_scc0 .LBB200_631
; %bb.629:
	s_cmp_eq_u32 s14, 15
	s_cbranch_scc0 .LBB200_634
; %bb.630:
	global_load_ushort v3, v[1:2], off
	s_mov_b64 s[2:3], -1
	s_mov_b64 s[8:9], 0
	s_waitcnt vmcnt(0)
	v_lshlrev_b32_e32 v3, 16, v3
	v_cvt_f16_f32_e32 v3, v3
	s_branch .LBB200_635
.LBB200_631:
	s_mov_b64 s[10:11], -1
                                        ; implicit-def: $vgpr3
	s_branch .LBB200_636
.LBB200_632:
	s_or_saveexec_b64 s[10:11], s[10:11]
	v_mov_b32_e32 v3, 0x7e00
	s_xor_b64 exec, exec, s[10:11]
	s_cbranch_execz .LBB200_613
.LBB200_633:
	v_cmp_ne_u16_e32 vcc, 0, v4
	s_andn2_b64 s[2:3], s[2:3], exec
	s_and_b64 s[12:13], vcc, exec
	s_or_b64 s[2:3], s[2:3], s[12:13]
	v_mov_b32_e32 v3, v4
	s_or_b64 exec, exec, s[10:11]
	s_and_saveexec_b64 s[10:11], s[2:3]
	s_cbranch_execnz .LBB200_614
	s_branch .LBB200_615
.LBB200_634:
	s_mov_b64 s[8:9], -1
                                        ; implicit-def: $vgpr3
.LBB200_635:
	s_mov_b64 s[10:11], 0
.LBB200_636:
	s_and_b64 vcc, exec, s[10:11]
	s_cbranch_vccz .LBB200_640
; %bb.637:
	s_cmp_eq_u32 s14, 11
	s_cbranch_scc0 .LBB200_639
; %bb.638:
	global_load_ubyte v3, v[1:2], off
	v_mov_b32_e32 v4, 0x3c00
	s_mov_b64 s[2:3], -1
	s_mov_b64 s[8:9], 0
	s_waitcnt vmcnt(0)
	v_cmp_ne_u16_e32 vcc, 0, v3
	v_cndmask_b32_e32 v3, 0, v4, vcc
	s_branch .LBB200_640
.LBB200_639:
	s_mov_b64 s[8:9], -1
                                        ; implicit-def: $vgpr3
.LBB200_640:
	s_mov_b64 s[10:11], 0
.LBB200_641:
	s_and_b64 vcc, exec, s[10:11]
	s_cbranch_vccz .LBB200_690
; %bb.642:
	s_cmp_lt_i32 s14, 5
	s_cbranch_scc1 .LBB200_647
; %bb.643:
	s_cmp_lt_i32 s14, 8
	s_cbranch_scc1 .LBB200_648
	;; [unrolled: 3-line block ×3, first 2 shown]
; %bb.645:
	s_cmp_gt_i32 s14, 9
	s_cbranch_scc0 .LBB200_650
; %bb.646:
	global_load_dwordx2 v[3:4], v[1:2], off
	s_movk_i32 s2, 0x1ff
	s_movk_i32 s3, 0xffe
	v_mov_b32_e32 v5, 0x7c00
	v_mov_b32_e32 v6, 0x7e00
	s_movk_i32 s10, 0x40f
	s_mov_b32 s11, 0x8000
	s_waitcnt vmcnt(0)
	v_and_or_b32 v3, v4, s2, v3
	v_cmp_ne_u32_e32 vcc, 0, v3
	v_lshrrev_b32_e32 v7, 8, v4
	v_bfe_u32 v9, v4, 20, 11
	v_cndmask_b32_e64 v3, 0, 1, vcc
	v_sub_u32_e32 v10, 0x3f1, v9
	v_and_or_b32 v3, v7, s3, v3
	v_add_u32_e32 v9, 0xfffffc10, v9
	v_med3_i32 v7, v10, 0, 13
	v_or_b32_e32 v10, 0x1000, v3
	v_cmp_ne_u32_e32 vcc, 0, v3
	v_lshl_or_b32 v11, v9, 12, v3
	v_cndmask_b32_e32 v3, v5, v6, vcc
	v_lshrrev_b32_e32 v6, v7, v10
	v_lshlrev_b32_e32 v7, v7, v6
	v_cmp_ne_u32_e32 vcc, v7, v10
	v_cndmask_b32_e64 v7, 0, 1, vcc
	v_or_b32_e32 v6, v6, v7
	v_cmp_gt_i32_e32 vcc, 1, v9
	v_cndmask_b32_e32 v6, v11, v6, vcc
	v_and_b32_e32 v7, 7, v6
	v_cmp_lt_i32_e32 vcc, 5, v7
	v_cndmask_b32_e64 v10, 0, 1, vcc
	v_cmp_eq_u32_e32 vcc, 3, v7
	v_cndmask_b32_e64 v7, 0, 1, vcc
	v_lshrrev_b32_e32 v6, 2, v6
	v_or_b32_e32 v7, v7, v10
	v_add_u32_e32 v6, v6, v7
	v_cmp_gt_i32_e32 vcc, 31, v9
	v_cndmask_b32_e32 v5, v5, v6, vcc
	v_cmp_eq_u32_e32 vcc, s10, v9
	v_lshrrev_b32_e32 v4, 16, v4
	v_cndmask_b32_e32 v3, v5, v3, vcc
	v_and_or_b32 v3, v4, s11, v3
	s_mov_b64 s[2:3], 0
	s_branch .LBB200_651
.LBB200_647:
	s_mov_b64 s[2:3], -1
                                        ; implicit-def: $vgpr3
	s_branch .LBB200_669
.LBB200_648:
	s_mov_b64 s[2:3], -1
                                        ; implicit-def: $vgpr3
	s_branch .LBB200_657
.LBB200_649:
	s_mov_b64 s[2:3], -1
                                        ; implicit-def: $vgpr3
	s_branch .LBB200_654
.LBB200_650:
	s_mov_b64 s[2:3], -1
                                        ; implicit-def: $vgpr3
.LBB200_651:
	s_andn2_b64 vcc, exec, s[2:3]
	s_cbranch_vccnz .LBB200_653
; %bb.652:
	global_load_dword v3, v[1:2], off
	s_waitcnt vmcnt(0)
	v_cvt_f16_f32_e32 v3, v3
.LBB200_653:
	s_mov_b64 s[2:3], 0
.LBB200_654:
	s_andn2_b64 vcc, exec, s[2:3]
	s_cbranch_vccnz .LBB200_656
; %bb.655:
	global_load_dword v3, v[1:2], off
.LBB200_656:
	s_mov_b64 s[2:3], 0
.LBB200_657:
	s_andn2_b64 vcc, exec, s[2:3]
	s_cbranch_vccnz .LBB200_668
; %bb.658:
	s_cmp_lt_i32 s14, 6
	s_cbranch_scc1 .LBB200_661
; %bb.659:
	s_cmp_gt_i32 s14, 6
	s_cbranch_scc0 .LBB200_662
; %bb.660:
	global_load_dwordx2 v[3:4], v[1:2], off
	s_movk_i32 s2, 0x1ff
	s_movk_i32 s3, 0xffe
	v_mov_b32_e32 v5, 0x7c00
	v_mov_b32_e32 v6, 0x7e00
	s_movk_i32 s10, 0x40f
	s_mov_b32 s11, 0x8000
	s_waitcnt vmcnt(0)
	v_and_or_b32 v3, v4, s2, v3
	v_cmp_ne_u32_e32 vcc, 0, v3
	v_lshrrev_b32_e32 v7, 8, v4
	v_bfe_u32 v9, v4, 20, 11
	v_cndmask_b32_e64 v3, 0, 1, vcc
	v_sub_u32_e32 v10, 0x3f1, v9
	v_and_or_b32 v3, v7, s3, v3
	v_add_u32_e32 v9, 0xfffffc10, v9
	v_med3_i32 v7, v10, 0, 13
	v_or_b32_e32 v10, 0x1000, v3
	v_cmp_ne_u32_e32 vcc, 0, v3
	v_lshl_or_b32 v11, v9, 12, v3
	v_cndmask_b32_e32 v3, v5, v6, vcc
	v_lshrrev_b32_e32 v6, v7, v10
	v_lshlrev_b32_e32 v7, v7, v6
	v_cmp_ne_u32_e32 vcc, v7, v10
	v_cndmask_b32_e64 v7, 0, 1, vcc
	v_or_b32_e32 v6, v6, v7
	v_cmp_gt_i32_e32 vcc, 1, v9
	v_cndmask_b32_e32 v6, v11, v6, vcc
	v_and_b32_e32 v7, 7, v6
	v_cmp_lt_i32_e32 vcc, 5, v7
	v_cndmask_b32_e64 v10, 0, 1, vcc
	v_cmp_eq_u32_e32 vcc, 3, v7
	v_cndmask_b32_e64 v7, 0, 1, vcc
	v_lshrrev_b32_e32 v6, 2, v6
	v_or_b32_e32 v7, v7, v10
	v_add_u32_e32 v6, v6, v7
	v_cmp_gt_i32_e32 vcc, 31, v9
	v_cndmask_b32_e32 v5, v5, v6, vcc
	v_cmp_eq_u32_e32 vcc, s10, v9
	v_lshrrev_b32_e32 v4, 16, v4
	v_cndmask_b32_e32 v3, v5, v3, vcc
	v_and_or_b32 v3, v4, s11, v3
	s_mov_b64 s[2:3], 0
	s_branch .LBB200_663
.LBB200_661:
	s_mov_b64 s[2:3], -1
                                        ; implicit-def: $vgpr3
	s_branch .LBB200_666
.LBB200_662:
	s_mov_b64 s[2:3], -1
                                        ; implicit-def: $vgpr3
.LBB200_663:
	s_andn2_b64 vcc, exec, s[2:3]
	s_cbranch_vccnz .LBB200_665
; %bb.664:
	global_load_dword v3, v[1:2], off
	s_waitcnt vmcnt(0)
	v_cvt_f16_f32_e32 v3, v3
.LBB200_665:
	s_mov_b64 s[2:3], 0
.LBB200_666:
	s_andn2_b64 vcc, exec, s[2:3]
	s_cbranch_vccnz .LBB200_668
; %bb.667:
	global_load_ushort v3, v[1:2], off
.LBB200_668:
	s_mov_b64 s[2:3], 0
.LBB200_669:
	s_andn2_b64 vcc, exec, s[2:3]
	s_cbranch_vccnz .LBB200_689
; %bb.670:
	s_cmp_lt_i32 s14, 2
	s_cbranch_scc1 .LBB200_674
; %bb.671:
	s_cmp_lt_i32 s14, 3
	s_cbranch_scc1 .LBB200_675
; %bb.672:
	s_cmp_gt_i32 s14, 3
	s_cbranch_scc0 .LBB200_676
; %bb.673:
	global_load_dwordx2 v[3:4], v[1:2], off
	s_mov_b64 s[2:3], 0
	s_waitcnt vmcnt(0)
	v_xor_b32_e32 v6, v3, v4
	v_ffbh_i32_e32 v5, v4
	v_ashrrev_i32_e32 v6, 31, v6
	v_add_u32_e32 v5, -1, v5
	v_add_u32_e32 v6, 32, v6
	v_min_u32_e32 v5, v5, v6
	v_lshlrev_b64 v[3:4], v5, v[3:4]
	v_min_u32_e32 v3, 1, v3
	v_or_b32_e32 v3, v4, v3
	v_cvt_f32_i32_e32 v3, v3
	v_sub_u32_e32 v4, 32, v5
	v_ldexp_f32 v3, v3, v4
	v_cvt_f16_f32_e32 v3, v3
	s_branch .LBB200_677
.LBB200_674:
	s_mov_b64 s[2:3], -1
                                        ; implicit-def: $vgpr3
	s_branch .LBB200_683
.LBB200_675:
	s_mov_b64 s[2:3], -1
                                        ; implicit-def: $vgpr3
	s_branch .LBB200_680
.LBB200_676:
	s_mov_b64 s[2:3], -1
                                        ; implicit-def: $vgpr3
.LBB200_677:
	s_andn2_b64 vcc, exec, s[2:3]
	s_cbranch_vccnz .LBB200_679
; %bb.678:
	global_load_dword v3, v[1:2], off
	s_waitcnt vmcnt(0)
	v_cvt_f32_i32_e32 v3, v3
	v_cvt_f16_f32_e32 v3, v3
.LBB200_679:
	s_mov_b64 s[2:3], 0
.LBB200_680:
	s_andn2_b64 vcc, exec, s[2:3]
	s_cbranch_vccnz .LBB200_682
; %bb.681:
	global_load_ushort v3, v[1:2], off
	s_waitcnt vmcnt(0)
	v_cvt_f16_i16_e32 v3, v3
.LBB200_682:
	s_mov_b64 s[2:3], 0
.LBB200_683:
	s_andn2_b64 vcc, exec, s[2:3]
	s_cbranch_vccnz .LBB200_689
; %bb.684:
	s_cmp_gt_i32 s14, 0
	s_cbranch_scc0 .LBB200_686
; %bb.685:
	global_load_sbyte v3, v[1:2], off
	s_mov_b64 s[2:3], 0
	s_waitcnt vmcnt(0)
	v_cvt_f16_i16_e32 v3, v3
	s_branch .LBB200_687
.LBB200_686:
	s_mov_b64 s[2:3], -1
                                        ; implicit-def: $vgpr3
.LBB200_687:
	s_andn2_b64 vcc, exec, s[2:3]
	s_cbranch_vccnz .LBB200_689
; %bb.688:
	global_load_ubyte v1, v[1:2], off
	s_waitcnt vmcnt(0)
	v_cvt_f16_u16_e32 v3, v1
.LBB200_689:
	s_mov_b64 s[2:3], -1
.LBB200_690:
	s_andn2_b64 vcc, exec, s[2:3]
	s_cbranch_vccnz .LBB200_698
; %bb.691:
	v_mov_b32_e32 v1, s76
	s_waitcnt vmcnt(0)
	v_cndmask_b32_e64 v2, v3, v1, s[0:1]
	v_mov_b32_e32 v1, s25
	s_and_b32 s16, s75, 0xff
	v_add_co_u32_e32 v0, vcc, s24, v0
	s_cmp_lt_i32 s16, 11
	v_addc_co_u32_e32 v1, vcc, 0, v1, vcc
	s_cbranch_scc1 .LBB200_699
; %bb.692:
	s_and_b32 s17, 0xffff, s16
	s_cmp_gt_i32 s17, 25
	s_cbranch_scc0 .LBB200_700
; %bb.693:
	s_cmp_gt_i32 s17, 28
	s_cbranch_scc0 .LBB200_701
; %bb.694:
	;; [unrolled: 3-line block ×4, first 2 shown]
	s_mov_b64 s[12:13], 0
	s_mov_b64 s[2:3], -1
	s_cmp_eq_u32 s17, 46
	s_mov_b64 s[10:11], 0
	s_cbranch_scc0 .LBB200_704
; %bb.697:
	v_cvt_f32_f16_e32 v3, v2
	s_movk_i32 s2, 0x7fff
	v_cmp_o_f16_e32 vcc, v2, v2
	v_mov_b32_e32 v4, 0x7fc0
	v_bfe_u32 v5, v3, 16, 1
	v_add3_u32 v3, v3, v5, s2
	v_cndmask_b32_sdwa v3, v4, v3, vcc dst_sel:DWORD dst_unused:UNUSED_PAD src0_sel:DWORD src1_sel:WORD_1
	global_store_dword v[0:1], v3, off
	s_mov_b64 s[10:11], -1
	s_mov_b64 s[2:3], 0
	s_branch .LBB200_704
.LBB200_698:
	s_mov_b64 s[10:11], 0
	s_mov_b64 s[2:3], s[64:65]
	s_branch .LBB200_815
.LBB200_699:
	s_mov_b64 s[12:13], -1
	s_mov_b64 s[10:11], 0
	s_mov_b64 s[2:3], s[64:65]
	s_branch .LBB200_773
.LBB200_700:
	s_mov_b64 s[12:13], -1
	s_mov_b64 s[10:11], 0
	s_mov_b64 s[2:3], s[64:65]
	s_branch .LBB200_731
.LBB200_701:
	s_mov_b64 s[12:13], -1
	s_mov_b64 s[10:11], 0
	s_mov_b64 s[2:3], s[64:65]
	s_branch .LBB200_714
.LBB200_702:
	s_mov_b64 s[12:13], -1
	s_mov_b64 s[10:11], 0
	s_mov_b64 s[2:3], s[64:65]
	s_branch .LBB200_710
.LBB200_703:
	s_mov_b64 s[12:13], -1
	s_mov_b64 s[10:11], 0
	s_mov_b64 s[2:3], s[64:65]
.LBB200_704:
	s_and_b64 vcc, exec, s[12:13]
	s_cbranch_vccz .LBB200_709
; %bb.705:
	s_cmp_eq_u32 s17, 44
	s_mov_b64 s[2:3], -1
	s_cbranch_scc0 .LBB200_709
; %bb.706:
	v_cvt_f32_f16_e32 v3, v2
	s_movk_i32 s2, 0xff
	v_mov_b32_e32 v5, 0xff
	v_bfe_u32 v4, v3, 23, 8
	v_cmp_ne_u32_e32 vcc, s2, v4
	s_and_saveexec_b64 s[10:11], vcc
; %bb.707:
	s_mov_b32 s2, 0x3fffff
	v_lshrrev_b32_e32 v5, 23, v3
	v_and_b32_e32 v6, 0x400000, v3
	v_and_or_b32 v3, v3, s2, v4
	v_cmp_ne_u32_e32 vcc, 0, v6
	v_cmp_ne_u32_e64 s[2:3], 0, v3
	s_and_b64 s[2:3], vcc, s[2:3]
	v_cndmask_b32_e64 v3, 0, 1, s[2:3]
	v_add_u32_e32 v5, v5, v3
; %bb.708:
	s_or_b64 exec, exec, s[10:11]
	s_mov_b64 s[10:11], -1
	s_mov_b64 s[2:3], 0
	global_store_byte v[0:1], v5, off
.LBB200_709:
	s_mov_b64 s[12:13], 0
.LBB200_710:
	s_and_b64 vcc, exec, s[12:13]
	s_cbranch_vccz .LBB200_713
; %bb.711:
	s_cmp_eq_u32 s17, 29
	s_mov_b64 s[2:3], -1
	s_cbranch_scc0 .LBB200_713
; %bb.712:
	v_cvt_f32_f16_e32 v3, v2
	v_mov_b32_e32 v4, 0
	s_mov_b64 s[10:11], -1
	s_mov_b64 s[2:3], 0
	v_cvt_u32_f32_e32 v3, v3
	s_mov_b64 s[12:13], 0
	global_store_dwordx2 v[0:1], v[3:4], off
	s_branch .LBB200_714
.LBB200_713:
	s_mov_b64 s[12:13], 0
.LBB200_714:
	s_and_b64 vcc, exec, s[12:13]
	s_cbranch_vccz .LBB200_730
; %bb.715:
	s_cmp_lt_i32 s17, 27
	s_mov_b64 s[10:11], -1
	s_cbranch_scc1 .LBB200_721
; %bb.716:
	s_cmp_gt_i32 s17, 27
	s_cbranch_scc0 .LBB200_718
; %bb.717:
	v_cvt_f32_f16_e32 v3, v2
	s_mov_b64 s[10:11], 0
	v_cvt_u32_f32_e32 v3, v3
	global_store_dword v[0:1], v3, off
.LBB200_718:
	s_andn2_b64 vcc, exec, s[10:11]
	s_cbranch_vccnz .LBB200_720
; %bb.719:
	v_cvt_u16_f16_e32 v3, v2
	global_store_short v[0:1], v3, off
.LBB200_720:
	s_mov_b64 s[10:11], 0
.LBB200_721:
	s_andn2_b64 vcc, exec, s[10:11]
	s_cbranch_vccnz .LBB200_729
; %bb.722:
	v_cvt_f32_f16_e32 v3, v2
	s_mov_b32 s10, 0x43800000
	v_mov_b32_e32 v5, 0x80
	v_and_b32_e32 v4, 0x7fffffff, v3
	v_cmp_gt_u32_e32 vcc, s10, v4
	s_and_saveexec_b64 s[10:11], vcc
	s_cbranch_execz .LBB200_728
; %bb.723:
	s_mov_b32 s12, 0x3bffffff
	v_cmp_lt_u32_e32 vcc, s12, v4
	s_mov_b64 s[12:13], 0
                                        ; implicit-def: $vgpr4
	s_and_saveexec_b64 s[14:15], vcc
	s_xor_b64 s[14:15], exec, s[14:15]
	s_cbranch_execz .LBB200_845
; %bb.724:
	v_bfe_u32 v4, v3, 20, 1
	s_mov_b32 s18, 0x487ffff
	v_add3_u32 v4, v3, v4, s18
	s_mov_b64 s[12:13], exec
	v_lshrrev_b32_e32 v4, 20, v4
	s_andn2_saveexec_b64 s[14:15], s[14:15]
	s_cbranch_execnz .LBB200_846
.LBB200_725:
	s_or_b64 exec, exec, s[14:15]
	v_mov_b32_e32 v5, 0
	s_and_saveexec_b64 s[14:15], s[12:13]
.LBB200_726:
	v_lshrrev_b32_e32 v3, 24, v3
	s_movk_i32 s12, 0x80
	v_and_or_b32 v5, v3, s12, v4
.LBB200_727:
	s_or_b64 exec, exec, s[14:15]
.LBB200_728:
	s_or_b64 exec, exec, s[10:11]
	global_store_byte v[0:1], v5, off
.LBB200_729:
	s_mov_b64 s[10:11], -1
.LBB200_730:
	s_mov_b64 s[12:13], 0
.LBB200_731:
	s_and_b64 vcc, exec, s[12:13]
	s_cbranch_vccz .LBB200_772
; %bb.732:
	s_cmp_gt_i32 s17, 22
	s_mov_b64 s[12:13], -1
	s_cbranch_scc0 .LBB200_764
; %bb.733:
	s_cmp_lt_i32 s17, 24
	s_mov_b64 s[10:11], -1
	s_cbranch_scc1 .LBB200_753
; %bb.734:
	s_cmp_gt_i32 s17, 24
	s_cbranch_scc0 .LBB200_742
; %bb.735:
	v_cvt_f32_f16_e32 v3, v2
	s_mov_b32 s10, 0x47800000
	v_mov_b32_e32 v5, 0x80
	v_and_b32_e32 v4, 0x7fffffff, v3
	v_cmp_gt_u32_e32 vcc, s10, v4
	s_and_saveexec_b64 s[10:11], vcc
	s_cbranch_execz .LBB200_741
; %bb.736:
	s_mov_b32 s12, 0x37ffffff
	v_cmp_lt_u32_e32 vcc, s12, v4
	s_mov_b64 s[12:13], 0
                                        ; implicit-def: $vgpr4
	s_and_saveexec_b64 s[14:15], vcc
	s_xor_b64 s[14:15], exec, s[14:15]
	s_cbranch_execz .LBB200_848
; %bb.737:
	v_bfe_u32 v4, v3, 21, 1
	s_mov_b32 s18, 0x88fffff
	v_add3_u32 v4, v3, v4, s18
	s_mov_b64 s[12:13], exec
	v_lshrrev_b32_e32 v4, 21, v4
	s_andn2_saveexec_b64 s[14:15], s[14:15]
	s_cbranch_execnz .LBB200_849
.LBB200_738:
	s_or_b64 exec, exec, s[14:15]
	v_mov_b32_e32 v5, 0
	s_and_saveexec_b64 s[14:15], s[12:13]
.LBB200_739:
	v_lshrrev_b32_e32 v3, 24, v3
	s_movk_i32 s12, 0x80
	v_and_or_b32 v5, v3, s12, v4
.LBB200_740:
	s_or_b64 exec, exec, s[14:15]
.LBB200_741:
	s_or_b64 exec, exec, s[10:11]
	s_mov_b64 s[10:11], 0
	global_store_byte v[0:1], v5, off
.LBB200_742:
	s_and_b64 vcc, exec, s[10:11]
	s_cbranch_vccz .LBB200_752
; %bb.743:
	v_cvt_f32_f16_e32 v3, v2
	s_mov_b32 s10, 0x43f00000
                                        ; implicit-def: $vgpr4
	v_and_b32_e32 v5, 0x7fffffff, v3
	v_cmp_gt_u32_e32 vcc, s10, v5
	s_and_saveexec_b64 s[10:11], vcc
	s_xor_b64 s[10:11], exec, s[10:11]
	s_cbranch_execz .LBB200_749
; %bb.744:
	s_mov_b32 s12, 0x3c7fffff
	v_cmp_lt_u32_e32 vcc, s12, v5
                                        ; implicit-def: $vgpr4
	s_and_saveexec_b64 s[12:13], vcc
	s_xor_b64 s[12:13], exec, s[12:13]
; %bb.745:
	v_bfe_u32 v4, v3, 20, 1
	s_mov_b32 s14, 0x407ffff
	v_add3_u32 v4, v3, v4, s14
	v_lshrrev_b32_e32 v5, 20, v4
	v_and_b32_e32 v4, 0xff00000, v4
	s_mov_b32 s14, 0x7f00000
	v_mov_b32_e32 v6, 0x7e
	v_cmp_ne_u32_e32 vcc, s14, v4
	v_cndmask_b32_e32 v4, v6, v5, vcc
; %bb.746:
	s_andn2_saveexec_b64 s[12:13], s[12:13]
; %bb.747:
	s_mov_b32 s14, 0x46800000
	v_add_f32_e64 v4, |v3|, s14
; %bb.748:
	s_or_b64 exec, exec, s[12:13]
                                        ; implicit-def: $vgpr5
.LBB200_749:
	s_andn2_saveexec_b64 s[10:11], s[10:11]
; %bb.750:
	s_mov_b32 s12, 0x7f800000
	v_mov_b32_e32 v4, 0x7e
	v_mov_b32_e32 v6, 0x7f
	v_cmp_lt_u32_e32 vcc, s12, v5
	v_cndmask_b32_e32 v4, v4, v6, vcc
; %bb.751:
	s_or_b64 exec, exec, s[10:11]
	v_lshrrev_b32_e32 v3, 24, v3
	s_movk_i32 s10, 0x80
	v_and_or_b32 v3, v3, s10, v4
	global_store_byte v[0:1], v3, off
.LBB200_752:
	s_mov_b64 s[10:11], 0
.LBB200_753:
	s_andn2_b64 vcc, exec, s[10:11]
	s_cbranch_vccnz .LBB200_763
; %bb.754:
	v_cvt_f32_f16_e32 v3, v2
	s_mov_b32 s10, 0x47800000
                                        ; implicit-def: $vgpr4
	v_and_b32_e32 v5, 0x7fffffff, v3
	v_cmp_gt_u32_e32 vcc, s10, v5
	s_and_saveexec_b64 s[10:11], vcc
	s_xor_b64 s[10:11], exec, s[10:11]
	s_cbranch_execz .LBB200_760
; %bb.755:
	s_mov_b32 s12, 0x387fffff
	v_cmp_lt_u32_e32 vcc, s12, v5
                                        ; implicit-def: $vgpr4
	s_and_saveexec_b64 s[12:13], vcc
	s_xor_b64 s[12:13], exec, s[12:13]
; %bb.756:
	v_bfe_u32 v4, v3, 21, 1
	s_mov_b32 s14, 0x80fffff
	v_add3_u32 v4, v3, v4, s14
	v_lshrrev_b32_e32 v4, 21, v4
; %bb.757:
	s_andn2_saveexec_b64 s[12:13], s[12:13]
; %bb.758:
	s_mov_b32 s14, 0x43000000
	v_add_f32_e64 v4, |v3|, s14
; %bb.759:
	s_or_b64 exec, exec, s[12:13]
                                        ; implicit-def: $vgpr5
.LBB200_760:
	s_andn2_saveexec_b64 s[10:11], s[10:11]
; %bb.761:
	s_mov_b32 s12, 0x7f800000
	v_mov_b32_e32 v4, 0x7c
	v_mov_b32_e32 v6, 0x7f
	v_cmp_lt_u32_e32 vcc, s12, v5
	v_cndmask_b32_e32 v4, v4, v6, vcc
; %bb.762:
	s_or_b64 exec, exec, s[10:11]
	v_lshrrev_b32_e32 v3, 24, v3
	s_movk_i32 s10, 0x80
	v_and_or_b32 v3, v3, s10, v4
	global_store_byte v[0:1], v3, off
.LBB200_763:
	s_mov_b64 s[12:13], 0
	s_mov_b64 s[10:11], -1
.LBB200_764:
	s_andn2_b64 vcc, exec, s[12:13]
	s_cbranch_vccnz .LBB200_772
; %bb.765:
	s_cmp_gt_i32 s17, 14
	s_mov_b64 s[12:13], -1
	s_cbranch_scc0 .LBB200_769
; %bb.766:
	s_cmp_eq_u32 s17, 15
	s_mov_b64 s[2:3], -1
	s_cbranch_scc0 .LBB200_768
; %bb.767:
	v_cvt_f32_f16_e32 v3, v2
	s_movk_i32 s2, 0x7fff
	v_cmp_o_f16_e32 vcc, v2, v2
	v_mov_b32_e32 v4, 0x7fc0
	v_bfe_u32 v5, v3, 16, 1
	v_add3_u32 v3, v3, v5, s2
	v_cndmask_b32_sdwa v3, v4, v3, vcc dst_sel:DWORD dst_unused:UNUSED_PAD src0_sel:DWORD src1_sel:WORD_1
	global_store_short v[0:1], v3, off
	s_mov_b64 s[10:11], -1
	s_mov_b64 s[2:3], 0
.LBB200_768:
	s_mov_b64 s[12:13], 0
.LBB200_769:
	s_and_b64 vcc, exec, s[12:13]
	s_cbranch_vccz .LBB200_772
; %bb.770:
	s_cmp_eq_u32 s17, 11
	s_mov_b64 s[2:3], -1
	s_cbranch_scc0 .LBB200_772
; %bb.771:
	v_and_b32_e32 v3, 0x7fff, v2
	v_cmp_ne_u16_e32 vcc, 0, v3
	v_cndmask_b32_e64 v3, 0, 1, vcc
	s_mov_b64 s[10:11], -1
	s_mov_b64 s[2:3], 0
	global_store_byte v[0:1], v3, off
.LBB200_772:
	s_mov_b64 s[12:13], 0
.LBB200_773:
	s_and_b64 vcc, exec, s[12:13]
	s_cbranch_vccz .LBB200_812
; %bb.774:
	s_and_b32 s12, 0xffff, s16
	s_cmp_lt_i32 s12, 5
	s_mov_b64 s[10:11], -1
	s_cbranch_scc1 .LBB200_795
; %bb.775:
	s_cmp_lt_i32 s12, 8
	s_cbranch_scc1 .LBB200_785
; %bb.776:
	s_cmp_lt_i32 s12, 9
	s_cbranch_scc1 .LBB200_782
; %bb.777:
	s_cmp_gt_i32 s12, 9
	s_cbranch_scc0 .LBB200_779
; %bb.778:
	v_cvt_f32_f16_e32 v3, v2
	v_mov_b32_e32 v5, 0
	v_mov_b32_e32 v6, v5
	s_mov_b64 s[10:11], 0
	v_cvt_f64_f32_e32 v[3:4], v3
	global_store_dwordx4 v[0:1], v[3:6], off
.LBB200_779:
	s_andn2_b64 vcc, exec, s[10:11]
	s_cbranch_vccnz .LBB200_781
; %bb.780:
	v_cvt_f32_f16_e32 v3, v2
	v_mov_b32_e32 v4, 0
	global_store_dwordx2 v[0:1], v[3:4], off
.LBB200_781:
	s_mov_b64 s[10:11], 0
.LBB200_782:
	s_andn2_b64 vcc, exec, s[10:11]
	s_cbranch_vccnz .LBB200_784
; %bb.783:
	v_and_b32_e32 v3, 0xffff, v2
	global_store_dword v[0:1], v3, off
.LBB200_784:
	s_mov_b64 s[10:11], 0
.LBB200_785:
	s_andn2_b64 vcc, exec, s[10:11]
	s_cbranch_vccnz .LBB200_794
; %bb.786:
	s_cmp_lt_i32 s12, 6
	s_mov_b64 s[10:11], -1
	s_cbranch_scc1 .LBB200_792
; %bb.787:
	s_cmp_gt_i32 s12, 6
	s_cbranch_scc0 .LBB200_789
; %bb.788:
	v_cvt_f32_f16_e32 v3, v2
	s_mov_b64 s[10:11], 0
	v_cvt_f64_f32_e32 v[3:4], v3
	global_store_dwordx2 v[0:1], v[3:4], off
.LBB200_789:
	s_andn2_b64 vcc, exec, s[10:11]
	s_cbranch_vccnz .LBB200_791
; %bb.790:
	v_cvt_f32_f16_e32 v3, v2
	global_store_dword v[0:1], v3, off
.LBB200_791:
	s_mov_b64 s[10:11], 0
.LBB200_792:
	s_andn2_b64 vcc, exec, s[10:11]
	s_cbranch_vccnz .LBB200_794
; %bb.793:
	global_store_short v[0:1], v2, off
.LBB200_794:
	s_mov_b64 s[10:11], 0
.LBB200_795:
	s_andn2_b64 vcc, exec, s[10:11]
	s_cbranch_vccnz .LBB200_811
; %bb.796:
	s_cmp_lt_i32 s12, 2
	s_mov_b64 s[10:11], -1
	s_cbranch_scc1 .LBB200_806
; %bb.797:
	s_cmp_lt_i32 s12, 3
	s_cbranch_scc1 .LBB200_803
; %bb.798:
	s_cmp_gt_i32 s12, 3
	s_cbranch_scc0 .LBB200_800
; %bb.799:
	v_cvt_f32_f16_e32 v3, v2
	s_mov_b64 s[10:11], 0
	v_cvt_i32_f32_e32 v3, v3
	v_ashrrev_i32_e32 v4, 31, v3
	global_store_dwordx2 v[0:1], v[3:4], off
.LBB200_800:
	s_andn2_b64 vcc, exec, s[10:11]
	s_cbranch_vccnz .LBB200_802
; %bb.801:
	v_cvt_f32_f16_e32 v3, v2
	v_cvt_i32_f32_e32 v3, v3
	global_store_dword v[0:1], v3, off
.LBB200_802:
	s_mov_b64 s[10:11], 0
.LBB200_803:
	s_andn2_b64 vcc, exec, s[10:11]
	s_cbranch_vccnz .LBB200_805
; %bb.804:
	v_cvt_i16_f16_e32 v3, v2
	global_store_short v[0:1], v3, off
.LBB200_805:
	s_mov_b64 s[10:11], 0
.LBB200_806:
	s_andn2_b64 vcc, exec, s[10:11]
	s_cbranch_vccnz .LBB200_811
; %bb.807:
	s_cmp_gt_i32 s12, 0
	s_mov_b64 s[10:11], -1
	s_cbranch_scc0 .LBB200_809
; %bb.808:
	v_cvt_i16_f16_e32 v3, v2
	s_mov_b64 s[10:11], 0
	global_store_byte v[0:1], v3, off
.LBB200_809:
	s_andn2_b64 vcc, exec, s[10:11]
	s_cbranch_vccnz .LBB200_811
; %bb.810:
	v_cvt_f32_f16_e32 v2, v2
	v_cvt_i32_f32_e32 v2, v2
	global_store_byte v[0:1], v2, off
.LBB200_811:
	s_mov_b64 s[10:11], -1
.LBB200_812:
	s_andn2_b64 vcc, exec, s[10:11]
	s_cbranch_vccnz .LBB200_814
; %bb.813:
	v_add_u32_e32 v8, 0x80, v8
	s_mov_b64 s[10:11], -1
	s_branch .LBB200_816
.LBB200_814:
	s_mov_b64 s[10:11], 0
.LBB200_815:
                                        ; implicit-def: $vgpr8
.LBB200_816:
	s_andn2_b64 s[12:13], s[64:65], exec
	s_and_b64 s[2:3], s[2:3], exec
	s_or_b64 s[70:71], s[12:13], s[2:3]
	s_andn2_b64 s[2:3], s[62:63], exec
	s_and_b64 s[8:9], s[8:9], exec
	s_or_b64 s[2:3], s[2:3], s[8:9]
	s_orn2_b64 s[10:11], s[10:11], exec
.LBB200_817:
	s_or_b64 exec, exec, s[68:69]
	s_mov_b64 s[8:9], 0
	s_mov_b64 s[12:13], 0
	;; [unrolled: 1-line block ×3, first 2 shown]
                                        ; implicit-def: $vgpr1_vgpr2
                                        ; implicit-def: $vgpr0
                                        ; implicit-def: $vgpr4
	s_and_saveexec_b64 s[68:69], s[10:11]
	s_cbranch_execz .LBB200_916
; %bb.818:
	v_cmp_gt_i32_e32 vcc, s72, v8
	s_mov_b64 s[10:11], 0
	s_mov_b64 s[16:17], s[2:3]
                                        ; implicit-def: $vgpr1_vgpr2
                                        ; implicit-def: $vgpr0
                                        ; implicit-def: $vgpr4
	s_and_saveexec_b64 s[72:73], vcc
	s_cbranch_execz .LBB200_915
; %bb.819:
	s_andn2_b64 vcc, exec, s[44:45]
	s_cbranch_vccnz .LBB200_824
; %bb.820:
	s_andn2_b64 vcc, exec, s[54:55]
	s_cbranch_vccnz .LBB200_825
; %bb.821:
	s_add_i32 s79, s78, 1
	s_cmp_eq_u32 s74, 2
	s_cbranch_scc1 .LBB200_826
; %bb.822:
	s_and_b32 s78, s79, 28
	v_mov_b32_e32 v2, 0
	s_mov_b32 s80, 0
	s_mov_b64 s[54:55], s[34:35]
	v_mov_b32_e32 v0, 0
	v_mov_b32_e32 v1, v8
.LBB200_823:                            ; =>This Inner Loop Header: Depth=1
	s_load_dwordx8 s[16:23], s[54:55], 0x4
	s_load_dwordx4 s[40:43], s[54:55], 0x24
	s_load_dwordx8 s[8:15], s[52:53], 0x0
	s_add_u32 s54, s54, 48
	s_addc_u32 s55, s55, 0
	s_waitcnt vmcnt(0) lgkmcnt(0)
	v_mul_hi_u32 v3, s17, v1
	s_add_i32 s80, s80, 4
	s_add_u32 s52, s52, 32
	s_addc_u32 s53, s53, 0
	v_add_u32_e32 v3, v1, v3
	v_lshrrev_b32_e32 v3, s18, v3
	v_mul_lo_u32 v4, v3, s16
	v_mul_hi_u32 v5, s20, v3
	s_cmp_eq_u32 s78, s80
	v_sub_u32_e32 v1, v1, v4
	v_add_u32_e32 v4, v3, v5
	v_mul_lo_u32 v5, v1, s8
	v_mul_lo_u32 v6, v1, s9
	v_lshrrev_b32_e32 v1, s21, v4
	v_mul_lo_u32 v4, v1, s19
	v_mul_hi_u32 v7, s23, v1
	v_sub_u32_e32 v3, v3, v4
	v_add_u32_e32 v4, v1, v7
	v_lshrrev_b32_e32 v4, s40, v4
	v_mul_hi_u32 v9, s42, v4
	v_mul_lo_u32 v10, v4, s22
	v_mul_lo_u32 v7, v3, s10
	;; [unrolled: 1-line block ×3, first 2 shown]
	v_sub_u32_e32 v10, v1, v10
	v_add_u32_e32 v1, v4, v9
	v_lshrrev_b32_e32 v1, s43, v1
	v_mul_lo_u32 v9, v1, s41
	v_mul_lo_u32 v11, v10, s12
	;; [unrolled: 1-line block ×3, first 2 shown]
	v_add3_u32 v0, v5, v0, v7
	v_sub_u32_e32 v4, v4, v9
	v_mul_lo_u32 v9, v4, s14
	v_mul_lo_u32 v4, v4, s15
	v_add3_u32 v2, v6, v2, v3
	v_add3_u32 v0, v11, v0, v9
	;; [unrolled: 1-line block ×3, first 2 shown]
	s_cbranch_scc0 .LBB200_823
	s_branch .LBB200_827
.LBB200_824:
	s_mov_b64 s[8:9], -1
                                        ; implicit-def: $vgpr0
                                        ; implicit-def: $vgpr2
	s_branch .LBB200_831
.LBB200_825:
	v_mov_b32_e32 v0, 0
	v_mov_b32_e32 v2, 0
	s_branch .LBB200_830
.LBB200_826:
	s_mov_b32 s78, 0
	v_mov_b32_e32 v0, 0
	v_mov_b32_e32 v2, 0
	;; [unrolled: 1-line block ×3, first 2 shown]
.LBB200_827:
	s_and_b32 s12, s79, 3
	s_cmp_eq_u32 s12, 0
	s_cbranch_scc1 .LBB200_830
; %bb.828:
	s_lshl_b32 s8, s78, 3
	s_add_u32 s8, s34, s8
	s_addc_u32 s9, s35, 0
	s_add_u32 s8, s8, 0xc4
	s_addc_u32 s9, s9, 0
	s_mul_i32 s10, s78, 12
	s_add_u32 s10, s34, s10
	s_addc_u32 s11, s35, 0
.LBB200_829:                            ; =>This Inner Loop Header: Depth=1
	s_load_dwordx2 s[14:15], s[10:11], 0x4
	s_load_dword s13, s[10:11], 0xc
	s_load_dwordx2 s[16:17], s[8:9], 0x0
	s_add_u32 s10, s10, 12
	s_addc_u32 s11, s11, 0
	s_waitcnt vmcnt(0) lgkmcnt(0)
	v_mul_hi_u32 v3, s15, v1
	s_add_u32 s8, s8, 8
	s_addc_u32 s9, s9, 0
	s_add_i32 s12, s12, -1
	v_add_u32_e32 v3, v1, v3
	v_lshrrev_b32_e32 v4, s13, v3
	v_mul_lo_u32 v3, v4, s14
	s_cmp_lg_u32 s12, 0
	v_sub_u32_e32 v3, v1, v3
	v_mad_u64_u32 v[0:1], s[14:15], v3, s16, v[0:1]
	v_mad_u64_u32 v[2:3], s[14:15], v3, s17, v[2:3]
	v_mov_b32_e32 v1, v4
	s_cbranch_scc1 .LBB200_829
.LBB200_830:
	s_mov_b64 s[8:9], 0
.LBB200_831:
	s_andn2_b64 vcc, exec, s[8:9]
	s_cbranch_vccnz .LBB200_834
; %bb.832:
	v_mul_hi_u32 v0, s29, v8
	s_andn2_b64 vcc, exec, s[50:51]
	v_add_u32_e32 v0, v8, v0
	v_lshrrev_b32_e32 v1, s30, v0
	v_mul_lo_u32 v0, v1, s28
	v_sub_u32_e32 v2, v8, v0
	v_mul_lo_u32 v0, v2, s36
	v_mul_lo_u32 v2, v2, s37
	s_cbranch_vccnz .LBB200_834
; %bb.833:
	s_waitcnt vmcnt(0)
	v_mul_hi_u32 v3, s48, v1
	v_add_u32_e32 v3, v1, v3
	v_lshrrev_b32_e32 v3, s49, v3
	v_mul_lo_u32 v3, v3, s31
	v_sub_u32_e32 v3, v1, v3
	v_mad_u64_u32 v[0:1], s[8:9], v3, s38, v[0:1]
	v_mad_u64_u32 v[2:3], s[8:9], v3, s39, v[2:3]
.LBB200_834:
	s_waitcnt vmcnt(0)
	v_mov_b32_e32 v3, s27
	s_and_b32 s18, 0xffff, s77
	v_add_co_u32_e32 v1, vcc, s26, v2
	s_cmp_lt_i32 s18, 11
	v_addc_co_u32_e32 v2, vcc, 0, v3, vcc
	s_cbranch_scc1 .LBB200_841
; %bb.835:
	s_cmp_gt_i32 s18, 25
	s_mov_b64 s[10:11], 0
	s_cbranch_scc0 .LBB200_842
; %bb.836:
	s_cmp_gt_i32 s18, 28
	s_cbranch_scc0 .LBB200_843
; %bb.837:
	s_cmp_gt_i32 s18, 43
	;; [unrolled: 3-line block ×3, first 2 shown]
	s_cbranch_scc0 .LBB200_847
; %bb.839:
	s_cmp_eq_u32 s18, 46
	s_mov_b64 s[14:15], 0
	s_cbranch_scc0 .LBB200_850
; %bb.840:
	global_load_dword v3, v[1:2], off
	s_mov_b64 s[8:9], 0
	s_mov_b64 s[12:13], -1
	s_waitcnt vmcnt(0)
	v_lshlrev_b32_e32 v3, 16, v3
	v_cvt_f16_f32_e32 v4, v3
	s_branch .LBB200_851
.LBB200_841:
	s_mov_b64 s[16:17], -1
	s_mov_b64 s[12:13], 0
	s_mov_b64 s[10:11], 0
	;; [unrolled: 1-line block ×3, first 2 shown]
                                        ; implicit-def: $vgpr4
	s_branch .LBB200_914
.LBB200_842:
	s_mov_b64 s[14:15], -1
	s_mov_b64 s[12:13], 0
	s_mov_b64 s[8:9], s[2:3]
                                        ; implicit-def: $vgpr4
	s_branch .LBB200_880
.LBB200_843:
	s_mov_b64 s[14:15], -1
	s_mov_b64 s[12:13], 0
	s_mov_b64 s[8:9], s[2:3]
                                        ; implicit-def: $vgpr4
	s_branch .LBB200_861
.LBB200_844:
	s_mov_b64 s[14:15], -1
	s_mov_b64 s[12:13], 0
	s_mov_b64 s[8:9], s[2:3]
                                        ; implicit-def: $vgpr4
	s_branch .LBB200_856
.LBB200_845:
	s_andn2_saveexec_b64 s[14:15], s[14:15]
	s_cbranch_execz .LBB200_725
.LBB200_846:
	s_mov_b32 s18, 0x46000000
	v_add_f32_e64 v4, |v3|, s18
	v_and_b32_e32 v4, 0xff, v4
	v_cmp_ne_u32_e32 vcc, 0, v4
	s_andn2_b64 s[12:13], s[12:13], exec
	s_and_b64 s[18:19], vcc, exec
	s_or_b64 s[12:13], s[12:13], s[18:19]
	s_or_b64 exec, exec, s[14:15]
	v_mov_b32_e32 v5, 0
	s_and_saveexec_b64 s[14:15], s[12:13]
	s_cbranch_execnz .LBB200_726
	s_branch .LBB200_727
.LBB200_847:
	s_mov_b64 s[14:15], -1
	s_mov_b64 s[12:13], 0
	s_mov_b64 s[8:9], s[2:3]
                                        ; implicit-def: $vgpr4
	s_branch .LBB200_851
.LBB200_848:
	s_andn2_saveexec_b64 s[14:15], s[14:15]
	s_cbranch_execz .LBB200_738
.LBB200_849:
	s_mov_b32 s18, 0x42800000
	v_add_f32_e64 v4, |v3|, s18
	v_and_b32_e32 v4, 0xff, v4
	v_cmp_ne_u32_e32 vcc, 0, v4
	s_andn2_b64 s[12:13], s[12:13], exec
	s_and_b64 s[18:19], vcc, exec
	s_or_b64 s[12:13], s[12:13], s[18:19]
	s_or_b64 exec, exec, s[14:15]
	v_mov_b32_e32 v5, 0
	s_and_saveexec_b64 s[14:15], s[12:13]
	s_cbranch_execnz .LBB200_739
	s_branch .LBB200_740
.LBB200_850:
	s_mov_b64 s[8:9], -1
                                        ; implicit-def: $vgpr4
	s_mov_b64 s[12:13], 0
.LBB200_851:
	s_and_b64 vcc, exec, s[14:15]
	s_cbranch_vccz .LBB200_855
; %bb.852:
	s_cmp_eq_u32 s18, 44
	s_cbranch_scc0 .LBB200_854
; %bb.853:
	global_load_ubyte v3, v[1:2], off
	s_movk_i32 s12, 0xff
	v_mov_b32_e32 v5, 0x7e00
	s_mov_b64 s[8:9], 0
	s_waitcnt vmcnt(0)
	v_lshlrev_b32_e32 v4, 23, v3
	v_cvt_f16_f32_e32 v4, v4
	v_cmp_ne_u32_e32 vcc, s12, v3
	s_mov_b64 s[12:13], -1
	v_cndmask_b32_e32 v4, v5, v4, vcc
	v_cmp_ne_u32_e32 vcc, 0, v3
	v_cndmask_b32_e32 v4, 0, v4, vcc
	s_branch .LBB200_855
.LBB200_854:
	s_mov_b64 s[8:9], -1
                                        ; implicit-def: $vgpr4
.LBB200_855:
	s_mov_b64 s[14:15], 0
.LBB200_856:
	s_and_b64 vcc, exec, s[14:15]
	s_cbranch_vccz .LBB200_860
; %bb.857:
	s_cmp_eq_u32 s18, 29
	s_cbranch_scc0 .LBB200_859
; %bb.858:
	global_load_dwordx2 v[3:4], v[1:2], off
	s_mov_b64 s[8:9], 0
	s_mov_b64 s[12:13], -1
	s_mov_b64 s[14:15], 0
	s_waitcnt vmcnt(0)
	v_ffbh_u32_e32 v5, v4
	v_min_u32_e32 v5, 32, v5
	v_lshlrev_b64 v[3:4], v5, v[3:4]
	v_min_u32_e32 v3, 1, v3
	v_or_b32_e32 v3, v4, v3
	v_cvt_f32_u32_e32 v3, v3
	v_sub_u32_e32 v4, 32, v5
	v_ldexp_f32 v3, v3, v4
	v_cvt_f16_f32_e32 v4, v3
	s_branch .LBB200_861
.LBB200_859:
	s_mov_b64 s[8:9], -1
                                        ; implicit-def: $vgpr4
.LBB200_860:
	s_mov_b64 s[14:15], 0
.LBB200_861:
	s_and_b64 vcc, exec, s[14:15]
	s_cbranch_vccz .LBB200_879
; %bb.862:
	s_cmp_lt_i32 s18, 27
	s_cbranch_scc1 .LBB200_865
; %bb.863:
	s_cmp_gt_i32 s18, 27
	s_cbranch_scc0 .LBB200_866
; %bb.864:
	global_load_dword v3, v[1:2], off
	s_mov_b64 s[12:13], 0
	s_waitcnt vmcnt(0)
	v_cvt_f32_u32_e32 v3, v3
	v_cvt_f16_f32_e32 v4, v3
	s_branch .LBB200_867
.LBB200_865:
	s_mov_b64 s[12:13], -1
                                        ; implicit-def: $vgpr4
	s_branch .LBB200_870
.LBB200_866:
	s_mov_b64 s[12:13], -1
                                        ; implicit-def: $vgpr4
.LBB200_867:
	s_andn2_b64 vcc, exec, s[12:13]
	s_cbranch_vccnz .LBB200_869
; %bb.868:
	global_load_ushort v3, v[1:2], off
	s_waitcnt vmcnt(0)
	v_cvt_f16_u16_e32 v4, v3
.LBB200_869:
	s_mov_b64 s[12:13], 0
.LBB200_870:
	s_andn2_b64 vcc, exec, s[12:13]
	s_cbranch_vccnz .LBB200_878
; %bb.871:
	global_load_ubyte v3, v[1:2], off
	s_movk_i32 s12, 0x7f
	s_waitcnt vmcnt(0)
	v_cmp_lt_i16_e32 vcc, s12, v3
	s_mov_b64 s[12:13], 0
	s_and_saveexec_b64 s[14:15], vcc
	s_xor_b64 s[14:15], exec, s[14:15]
	s_cbranch_execz .LBB200_892
; %bb.872:
	s_movk_i32 s12, 0x80
	v_cmp_eq_u16_e32 vcc, s12, v3
	s_mov_b64 s[12:13], -1
	s_and_saveexec_b64 s[16:17], vcc
; %bb.873:
	s_xor_b64 s[12:13], exec, -1
; %bb.874:
	s_or_b64 exec, exec, s[16:17]
	s_and_b64 s[12:13], s[12:13], exec
	s_or_saveexec_b64 s[14:15], s[14:15]
	v_mov_b32_e32 v4, 0x7e00
	s_xor_b64 exec, exec, s[14:15]
	s_cbranch_execnz .LBB200_893
.LBB200_875:
	s_or_b64 exec, exec, s[14:15]
	s_and_saveexec_b64 s[14:15], s[12:13]
	s_cbranch_execz .LBB200_877
.LBB200_876:
	v_lshlrev_b32_e32 v4, 24, v3
	v_and_b32_e32 v3, 0xffff, v3
	v_and_b32_e32 v5, 7, v3
	v_ffbh_u32_e32 v7, v5
	v_min_u32_e32 v7, 32, v7
	v_subrev_u32_e32 v8, 28, v7
	v_bfe_u32 v6, v3, 3, 4
	v_lshlrev_b32_e32 v3, v8, v3
	v_sub_u32_e32 v7, 29, v7
	v_and_b32_e32 v3, 7, v3
	v_cmp_eq_u32_e32 vcc, 0, v6
	v_cndmask_b32_e32 v6, v6, v7, vcc
	v_cndmask_b32_e32 v3, v5, v3, vcc
	v_mov_b32_e32 v5, 0x3b800000
	v_lshlrev_b32_e32 v3, 20, v3
	v_and_b32_e32 v4, 0x80000000, v4
	v_lshl_add_u32 v5, v6, 23, v5
	v_or3_b32 v3, v4, v5, v3
	v_cvt_f16_f32_e32 v4, v3
.LBB200_877:
	s_or_b64 exec, exec, s[14:15]
.LBB200_878:
	s_mov_b64 s[12:13], -1
.LBB200_879:
	s_mov_b64 s[14:15], 0
.LBB200_880:
	s_and_b64 vcc, exec, s[14:15]
	s_cbranch_vccz .LBB200_913
; %bb.881:
	s_cmp_gt_i32 s18, 22
	s_cbranch_scc0 .LBB200_891
; %bb.882:
	s_cmp_lt_i32 s18, 24
	s_cbranch_scc1 .LBB200_894
; %bb.883:
	s_cmp_gt_i32 s18, 24
	s_cbranch_scc0 .LBB200_895
; %bb.884:
	global_load_ubyte v3, v[1:2], off
	s_movk_i32 s10, 0x7f
	s_waitcnt vmcnt(0)
	v_cmp_lt_i16_e32 vcc, s10, v3
	s_mov_b64 s[10:11], 0
	s_and_saveexec_b64 s[12:13], vcc
	s_xor_b64 s[12:13], exec, s[12:13]
	s_cbranch_execz .LBB200_907
; %bb.885:
	s_movk_i32 s10, 0x80
	v_cmp_eq_u16_e32 vcc, s10, v3
	s_mov_b64 s[10:11], -1
	s_and_saveexec_b64 s[14:15], vcc
; %bb.886:
	s_xor_b64 s[10:11], exec, -1
; %bb.887:
	s_or_b64 exec, exec, s[14:15]
	s_and_b64 s[10:11], s[10:11], exec
	s_or_saveexec_b64 s[12:13], s[12:13]
	v_mov_b32_e32 v4, 0x7e00
	s_xor_b64 exec, exec, s[12:13]
	s_cbranch_execnz .LBB200_908
.LBB200_888:
	s_or_b64 exec, exec, s[12:13]
	s_and_saveexec_b64 s[12:13], s[10:11]
	s_cbranch_execz .LBB200_890
.LBB200_889:
	v_lshlrev_b32_e32 v4, 24, v3
	v_and_b32_e32 v3, 0xffff, v3
	v_and_b32_e32 v5, 3, v3
	v_ffbh_u32_e32 v7, v5
	v_min_u32_e32 v7, 32, v7
	v_subrev_u32_e32 v8, 29, v7
	v_bfe_u32 v6, v3, 2, 5
	v_lshlrev_b32_e32 v3, v8, v3
	v_sub_u32_e32 v7, 30, v7
	v_and_b32_e32 v3, 3, v3
	v_cmp_eq_u32_e32 vcc, 0, v6
	v_cndmask_b32_e32 v6, v6, v7, vcc
	v_cndmask_b32_e32 v3, v5, v3, vcc
	v_mov_b32_e32 v5, 0x37800000
	v_lshlrev_b32_e32 v3, 21, v3
	v_and_b32_e32 v4, 0x80000000, v4
	v_lshl_add_u32 v5, v6, 23, v5
	v_or3_b32 v3, v4, v5, v3
	v_cvt_f16_f32_e32 v4, v3
.LBB200_890:
	s_or_b64 exec, exec, s[12:13]
	s_mov_b64 s[10:11], 0
	s_branch .LBB200_896
.LBB200_891:
	s_mov_b64 s[10:11], -1
                                        ; implicit-def: $vgpr4
	s_branch .LBB200_902
.LBB200_892:
	s_or_saveexec_b64 s[14:15], s[14:15]
	v_mov_b32_e32 v4, 0x7e00
	s_xor_b64 exec, exec, s[14:15]
	s_cbranch_execz .LBB200_875
.LBB200_893:
	v_cmp_ne_u16_e32 vcc, 0, v3
	s_andn2_b64 s[12:13], s[12:13], exec
	s_and_b64 s[16:17], vcc, exec
	s_or_b64 s[12:13], s[12:13], s[16:17]
	v_mov_b32_e32 v4, v3
	s_or_b64 exec, exec, s[14:15]
	s_and_saveexec_b64 s[14:15], s[12:13]
	s_cbranch_execnz .LBB200_876
	s_branch .LBB200_877
.LBB200_894:
	s_mov_b64 s[10:11], -1
                                        ; implicit-def: $vgpr4
	s_branch .LBB200_899
.LBB200_895:
	s_mov_b64 s[10:11], -1
                                        ; implicit-def: $vgpr4
.LBB200_896:
	s_and_b64 vcc, exec, s[10:11]
	s_cbranch_vccz .LBB200_898
; %bb.897:
	global_load_ubyte v3, v[1:2], off
	s_mov_b32 s10, 0x7f800000
	s_waitcnt vmcnt(0)
	v_lshlrev_b32_e32 v3, 24, v3
	v_and_b32_e32 v4, 0x7f000000, v3
	v_ffbh_u32_e32 v5, v4
	v_min_u32_e32 v5, 32, v5
	v_sub_u32_e64 v5, v5, 4 clamp
	v_lshlrev_b32_e32 v7, v5, v4
	v_lshlrev_b32_e32 v5, 23, v5
	v_lshrrev_b32_e32 v7, 4, v7
	v_add_u32_e32 v6, 0x1000000, v4
	v_sub_u32_e32 v5, v7, v5
	v_ashrrev_i32_e32 v6, 8, v6
	v_add_u32_e32 v5, 0x3c000000, v5
	v_and_or_b32 v5, v6, s10, v5
	v_cmp_ne_u32_e32 vcc, 0, v4
	v_cndmask_b32_e32 v4, 0, v5, vcc
	s_brev_b32 s10, 1
	v_and_or_b32 v3, v3, s10, v4
	v_cvt_f16_f32_e32 v4, v3
.LBB200_898:
	s_mov_b64 s[10:11], 0
.LBB200_899:
	s_andn2_b64 vcc, exec, s[10:11]
	s_cbranch_vccnz .LBB200_901
; %bb.900:
	global_load_ubyte v3, v[1:2], off
	s_movk_i32 s10, 0x7f00
	s_brev_b32 s11, 16
	s_waitcnt vmcnt(0)
	v_lshlrev_b16_e32 v4, 8, v3
	v_lshlrev_b32_e32 v3, 25, v3
	v_lshrrev_b32_e32 v5, 4, v3
	v_and_or_b32 v6, v4, s10, 0.5
	v_or_b32_e32 v5, 0x70000000, v5
	v_add_f32_e32 v6, -0.5, v6
	v_mul_f32_e32 v5, 0x7800000, v5
	v_cmp_gt_u32_e32 vcc, s11, v3
	v_bfe_i32 v4, v4, 0, 16
	v_cndmask_b32_e32 v3, v5, v6, vcc
	s_brev_b32 s10, 1
	v_and_or_b32 v3, v4, s10, v3
	v_cvt_f16_f32_e32 v4, v3
.LBB200_901:
	s_mov_b64 s[10:11], 0
	s_mov_b64 s[12:13], -1
.LBB200_902:
	s_andn2_b64 vcc, exec, s[10:11]
	s_mov_b64 s[10:11], 0
	s_cbranch_vccnz .LBB200_913
; %bb.903:
	s_cmp_gt_i32 s18, 14
	s_cbranch_scc0 .LBB200_906
; %bb.904:
	s_cmp_eq_u32 s18, 15
	s_cbranch_scc0 .LBB200_909
; %bb.905:
	global_load_ushort v3, v[1:2], off
	s_mov_b64 s[8:9], 0
	s_mov_b64 s[12:13], -1
	s_waitcnt vmcnt(0)
	v_lshlrev_b32_e32 v3, 16, v3
	v_cvt_f16_f32_e32 v4, v3
	s_branch .LBB200_910
.LBB200_906:
	s_mov_b64 s[14:15], -1
                                        ; implicit-def: $vgpr4
	s_branch .LBB200_911
.LBB200_907:
	s_or_saveexec_b64 s[12:13], s[12:13]
	v_mov_b32_e32 v4, 0x7e00
	s_xor_b64 exec, exec, s[12:13]
	s_cbranch_execz .LBB200_888
.LBB200_908:
	v_cmp_ne_u16_e32 vcc, 0, v3
	s_andn2_b64 s[10:11], s[10:11], exec
	s_and_b64 s[14:15], vcc, exec
	s_or_b64 s[10:11], s[10:11], s[14:15]
	v_mov_b32_e32 v4, v3
	s_or_b64 exec, exec, s[12:13]
	s_and_saveexec_b64 s[12:13], s[10:11]
	s_cbranch_execnz .LBB200_889
	s_branch .LBB200_890
.LBB200_909:
	s_mov_b64 s[8:9], -1
                                        ; implicit-def: $vgpr4
.LBB200_910:
	s_mov_b64 s[14:15], 0
.LBB200_911:
	s_and_b64 vcc, exec, s[14:15]
	s_cbranch_vccz .LBB200_913
; %bb.912:
	s_cmp_lg_u32 s18, 11
	s_cselect_b64 s[14:15], -1, 0
	s_andn2_b64 s[8:9], s[8:9], exec
	s_and_b64 s[14:15], s[14:15], exec
	s_mov_b64 s[10:11], -1
	s_or_b64 s[8:9], s[8:9], s[14:15]
.LBB200_913:
	s_mov_b64 s[16:17], 0
.LBB200_914:
	s_and_b64 s[14:15], s[12:13], exec
	s_and_b64 s[12:13], s[16:17], exec
	s_andn2_b64 s[16:17], s[2:3], exec
	s_and_b64 s[8:9], s[8:9], exec
	s_and_b64 s[10:11], s[10:11], exec
	s_or_b64 s[16:17], s[16:17], s[8:9]
.LBB200_915:
	s_or_b64 exec, exec, s[72:73]
	s_and_b64 s[8:9], s[10:11], exec
	s_andn2_b64 s[2:3], s[2:3], exec
	s_and_b64 s[10:11], s[16:17], exec
	s_and_b64 s[14:15], s[14:15], exec
	;; [unrolled: 1-line block ×3, first 2 shown]
	s_or_b64 s[2:3], s[2:3], s[10:11]
.LBB200_916:
	s_or_b64 exec, exec, s[68:69]
	s_andn2_b64 s[10:11], s[64:65], exec
	s_and_b64 s[16:17], s[70:71], exec
	s_or_b64 s[64:65], s[10:11], s[16:17]
	s_and_b64 s[10:11], s[14:15], exec
	s_andn2_b64 s[14:15], s[62:63], exec
	s_and_b64 s[2:3], s[2:3], exec
	s_and_b64 s[12:13], s[12:13], exec
	;; [unrolled: 1-line block ×3, first 2 shown]
	s_or_b64 s[62:63], s[14:15], s[2:3]
.LBB200_917:
	s_or_b64 exec, exec, s[66:67]
	s_andn2_b64 s[2:3], s[56:57], exec
	s_and_b64 s[14:15], s[64:65], exec
	s_or_b64 s[56:57], s[2:3], s[14:15]
	s_and_b64 s[64:65], s[8:9], exec
	s_andn2_b64 s[2:3], s[58:59], exec
	s_and_b64 s[8:9], s[62:63], exec
	s_and_b64 s[10:11], s[10:11], exec
	;; [unrolled: 1-line block ×3, first 2 shown]
	s_or_b64 s[58:59], s[2:3], s[8:9]
	s_or_b64 exec, exec, s[60:61]
	s_mov_b64 s[2:3], 0
	s_and_saveexec_b64 s[8:9], s[58:59]
	s_cbranch_execz .LBB200_274
.LBB200_918:
	s_mov_b64 s[2:3], exec
	s_andn2_b64 s[64:65], s[64:65], exec
	s_trap 2
	s_or_b64 exec, exec, s[8:9]
	s_and_saveexec_b64 s[8:9], s[64:65]
	s_xor_b64 s[8:9], exec, s[8:9]
	s_cbranch_execnz .LBB200_275
.LBB200_919:
	s_or_b64 exec, exec, s[8:9]
	s_and_saveexec_b64 s[8:9], s[12:13]
	s_cbranch_execz .LBB200_965
.LBB200_920:
	s_sext_i32_i16 s12, s77
	s_cmp_lt_i32 s12, 5
	s_cbranch_scc1 .LBB200_925
; %bb.921:
	s_cmp_lt_i32 s12, 8
	s_cbranch_scc1 .LBB200_926
; %bb.922:
	;; [unrolled: 3-line block ×3, first 2 shown]
	s_cmp_gt_i32 s12, 9
	s_cbranch_scc0 .LBB200_928
; %bb.924:
	global_load_dwordx2 v[3:4], v[1:2], off
	s_movk_i32 s12, 0x1ff
	s_movk_i32 s13, 0xffe
	v_mov_b32_e32 v5, 0x7c00
	v_mov_b32_e32 v6, 0x7e00
	s_movk_i32 s14, 0x40f
	s_mov_b32 s15, 0x8000
	s_waitcnt vmcnt(0)
	v_and_or_b32 v3, v4, s12, v3
	v_cmp_ne_u32_e32 vcc, 0, v3
	v_lshrrev_b32_e32 v7, 8, v4
	v_bfe_u32 v8, v4, 20, 11
	v_cndmask_b32_e64 v3, 0, 1, vcc
	v_sub_u32_e32 v9, 0x3f1, v8
	v_and_or_b32 v3, v7, s13, v3
	v_add_u32_e32 v8, 0xfffffc10, v8
	v_med3_i32 v7, v9, 0, 13
	v_or_b32_e32 v9, 0x1000, v3
	v_cmp_ne_u32_e32 vcc, 0, v3
	v_lshl_or_b32 v10, v8, 12, v3
	v_cndmask_b32_e32 v3, v5, v6, vcc
	v_lshrrev_b32_e32 v6, v7, v9
	v_lshlrev_b32_e32 v7, v7, v6
	v_cmp_ne_u32_e32 vcc, v7, v9
	v_cndmask_b32_e64 v7, 0, 1, vcc
	v_or_b32_e32 v6, v6, v7
	v_cmp_gt_i32_e32 vcc, 1, v8
	v_cndmask_b32_e32 v6, v10, v6, vcc
	v_and_b32_e32 v7, 7, v6
	v_cmp_lt_i32_e32 vcc, 5, v7
	v_cndmask_b32_e64 v9, 0, 1, vcc
	v_cmp_eq_u32_e32 vcc, 3, v7
	v_cndmask_b32_e64 v7, 0, 1, vcc
	v_lshrrev_b32_e32 v6, 2, v6
	v_or_b32_e32 v7, v7, v9
	v_add_u32_e32 v6, v6, v7
	v_cmp_gt_i32_e32 vcc, 31, v8
	v_cndmask_b32_e32 v5, v5, v6, vcc
	v_cmp_eq_u32_e32 vcc, s14, v8
	v_lshrrev_b32_e32 v4, 16, v4
	v_cndmask_b32_e32 v3, v5, v3, vcc
	v_and_or_b32 v4, v4, s15, v3
	s_mov_b64 s[12:13], 0
	s_branch .LBB200_929
.LBB200_925:
                                        ; implicit-def: $vgpr4
	s_branch .LBB200_946
.LBB200_926:
                                        ; implicit-def: $vgpr4
	s_branch .LBB200_935
.LBB200_927:
	s_mov_b64 s[12:13], -1
                                        ; implicit-def: $vgpr4
	s_branch .LBB200_932
.LBB200_928:
	s_mov_b64 s[12:13], -1
                                        ; implicit-def: $vgpr4
.LBB200_929:
	s_andn2_b64 vcc, exec, s[12:13]
	s_cbranch_vccnz .LBB200_931
; %bb.930:
	global_load_dword v3, v[1:2], off
	s_waitcnt vmcnt(0)
	v_cvt_f16_f32_e32 v4, v3
.LBB200_931:
	s_mov_b64 s[12:13], 0
.LBB200_932:
	s_andn2_b64 vcc, exec, s[12:13]
	s_cbranch_vccnz .LBB200_934
; %bb.933:
	global_load_dword v4, v[1:2], off
.LBB200_934:
	s_cbranch_execnz .LBB200_945
.LBB200_935:
	s_sext_i32_i16 s12, s77
	s_cmp_lt_i32 s12, 6
	s_cbranch_scc1 .LBB200_938
; %bb.936:
	s_cmp_gt_i32 s12, 6
	s_cbranch_scc0 .LBB200_939
; %bb.937:
	global_load_dwordx2 v[3:4], v[1:2], off
	s_movk_i32 s12, 0x1ff
	s_movk_i32 s13, 0xffe
	v_mov_b32_e32 v5, 0x7c00
	v_mov_b32_e32 v6, 0x7e00
	s_movk_i32 s14, 0x40f
	s_mov_b32 s15, 0x8000
	s_waitcnt vmcnt(0)
	v_and_or_b32 v3, v4, s12, v3
	v_cmp_ne_u32_e32 vcc, 0, v3
	v_lshrrev_b32_e32 v7, 8, v4
	v_bfe_u32 v8, v4, 20, 11
	v_cndmask_b32_e64 v3, 0, 1, vcc
	v_sub_u32_e32 v9, 0x3f1, v8
	v_and_or_b32 v3, v7, s13, v3
	v_add_u32_e32 v8, 0xfffffc10, v8
	v_med3_i32 v7, v9, 0, 13
	v_or_b32_e32 v9, 0x1000, v3
	v_cmp_ne_u32_e32 vcc, 0, v3
	v_lshl_or_b32 v10, v8, 12, v3
	v_cndmask_b32_e32 v3, v5, v6, vcc
	v_lshrrev_b32_e32 v6, v7, v9
	v_lshlrev_b32_e32 v7, v7, v6
	v_cmp_ne_u32_e32 vcc, v7, v9
	v_cndmask_b32_e64 v7, 0, 1, vcc
	v_or_b32_e32 v6, v6, v7
	v_cmp_gt_i32_e32 vcc, 1, v8
	v_cndmask_b32_e32 v6, v10, v6, vcc
	v_and_b32_e32 v7, 7, v6
	v_cmp_lt_i32_e32 vcc, 5, v7
	v_cndmask_b32_e64 v9, 0, 1, vcc
	v_cmp_eq_u32_e32 vcc, 3, v7
	v_cndmask_b32_e64 v7, 0, 1, vcc
	v_lshrrev_b32_e32 v6, 2, v6
	v_or_b32_e32 v7, v7, v9
	v_add_u32_e32 v6, v6, v7
	v_cmp_gt_i32_e32 vcc, 31, v8
	v_cndmask_b32_e32 v5, v5, v6, vcc
	v_cmp_eq_u32_e32 vcc, s14, v8
	v_lshrrev_b32_e32 v4, 16, v4
	v_cndmask_b32_e32 v3, v5, v3, vcc
	v_and_or_b32 v4, v4, s15, v3
	s_mov_b64 s[12:13], 0
	s_branch .LBB200_940
.LBB200_938:
	s_mov_b64 s[12:13], -1
                                        ; implicit-def: $vgpr4
	s_branch .LBB200_943
.LBB200_939:
	s_mov_b64 s[12:13], -1
                                        ; implicit-def: $vgpr4
.LBB200_940:
	s_andn2_b64 vcc, exec, s[12:13]
	s_cbranch_vccnz .LBB200_942
; %bb.941:
	global_load_dword v3, v[1:2], off
	s_waitcnt vmcnt(0)
	v_cvt_f16_f32_e32 v4, v3
.LBB200_942:
	s_mov_b64 s[12:13], 0
.LBB200_943:
	s_andn2_b64 vcc, exec, s[12:13]
	s_cbranch_vccnz .LBB200_945
; %bb.944:
	global_load_ushort v4, v[1:2], off
.LBB200_945:
	s_cbranch_execnz .LBB200_964
.LBB200_946:
	s_sext_i32_i16 s12, s77
	s_cmp_lt_i32 s12, 2
	s_cbranch_scc1 .LBB200_950
; %bb.947:
	s_cmp_lt_i32 s12, 3
	s_cbranch_scc1 .LBB200_951
; %bb.948:
	s_cmp_gt_i32 s12, 3
	s_cbranch_scc0 .LBB200_952
; %bb.949:
	global_load_dwordx2 v[3:4], v[1:2], off
	s_mov_b64 s[12:13], 0
	s_waitcnt vmcnt(0)
	v_xor_b32_e32 v6, v3, v4
	v_ffbh_i32_e32 v5, v4
	v_ashrrev_i32_e32 v6, 31, v6
	v_add_u32_e32 v5, -1, v5
	v_add_u32_e32 v6, 32, v6
	v_min_u32_e32 v5, v5, v6
	v_lshlrev_b64 v[3:4], v5, v[3:4]
	v_min_u32_e32 v3, 1, v3
	v_or_b32_e32 v3, v4, v3
	v_cvt_f32_i32_e32 v3, v3
	v_sub_u32_e32 v4, 32, v5
	v_ldexp_f32 v3, v3, v4
	v_cvt_f16_f32_e32 v4, v3
	s_branch .LBB200_953
.LBB200_950:
                                        ; implicit-def: $vgpr4
	s_branch .LBB200_959
.LBB200_951:
	s_mov_b64 s[12:13], -1
                                        ; implicit-def: $vgpr4
	s_branch .LBB200_956
.LBB200_952:
	s_mov_b64 s[12:13], -1
                                        ; implicit-def: $vgpr4
.LBB200_953:
	s_andn2_b64 vcc, exec, s[12:13]
	s_cbranch_vccnz .LBB200_955
; %bb.954:
	global_load_dword v3, v[1:2], off
	s_waitcnt vmcnt(0)
	v_cvt_f32_i32_e32 v3, v3
	v_cvt_f16_f32_e32 v4, v3
.LBB200_955:
	s_mov_b64 s[12:13], 0
.LBB200_956:
	s_andn2_b64 vcc, exec, s[12:13]
	s_cbranch_vccnz .LBB200_958
; %bb.957:
	global_load_ushort v3, v[1:2], off
	s_waitcnt vmcnt(0)
	v_cvt_f16_i16_e32 v4, v3
.LBB200_958:
	s_cbranch_execnz .LBB200_964
.LBB200_959:
	s_sext_i32_i16 s12, s77
	s_cmp_gt_i32 s12, 0
	s_cbranch_scc0 .LBB200_961
; %bb.960:
	global_load_sbyte v3, v[1:2], off
	s_mov_b64 s[12:13], 0
	s_waitcnt vmcnt(0)
	v_cvt_f16_i16_e32 v4, v3
	s_branch .LBB200_962
.LBB200_961:
	s_mov_b64 s[12:13], -1
                                        ; implicit-def: $vgpr4
.LBB200_962:
	s_andn2_b64 vcc, exec, s[12:13]
	s_cbranch_vccnz .LBB200_964
; %bb.963:
	global_load_ubyte v1, v[1:2], off
	s_waitcnt vmcnt(0)
	v_cvt_f16_u16_e32 v4, v1
.LBB200_964:
	s_or_b64 s[10:11], s[10:11], exec
.LBB200_965:
	s_or_b64 exec, exec, s[8:9]
	s_mov_b64 s[14:15], 0
	s_mov_b64 s[12:13], 0
                                        ; implicit-def: $sgpr18
                                        ; implicit-def: $vgpr1_vgpr2
                                        ; implicit-def: $vgpr3
	s_and_saveexec_b64 s[8:9], s[10:11]
	s_cbranch_execz .LBB200_983
; %bb.966:
	v_mov_b32_e32 v1, s76
	s_waitcnt vmcnt(0)
	v_cndmask_b32_e64 v3, v4, v1, s[0:1]
	v_mov_b32_e32 v2, s25
	s_and_b32 s18, s75, 0xff
	v_add_co_u32_e32 v1, vcc, s24, v0
	s_cmp_lt_i32 s18, 11
	v_addc_co_u32_e32 v2, vcc, 0, v2, vcc
	s_cbranch_scc1 .LBB200_986
; %bb.967:
	s_and_b32 s19, 0xffff, s18
	s_mov_b64 s[12:13], -1
	s_cmp_gt_i32 s19, 25
	s_mov_b64 s[0:1], s[56:57]
	s_cbranch_scc0 .LBB200_1004
; %bb.968:
	s_mov_b64 s[10:11], -1
	s_cmp_gt_i32 s19, 28
	s_mov_b64 s[0:1], s[56:57]
	s_cbranch_scc0 .LBB200_988
; %bb.969:
	s_cmp_gt_i32 s19, 43
	s_mov_b64 s[0:1], s[56:57]
	s_cbranch_scc0 .LBB200_980
; %bb.970:
	;; [unrolled: 4-line block ×3, first 2 shown]
	s_cmp_eq_u32 s19, 46
	s_mov_b64 s[0:1], -1
	s_cbranch_scc0 .LBB200_973
; %bb.972:
	v_cvt_f32_f16_e32 v0, v3
	s_movk_i32 s0, 0x7fff
	v_cmp_o_f16_e32 vcc, v3, v3
	v_mov_b32_e32 v4, 0x7fc0
	v_bfe_u32 v5, v0, 16, 1
	v_add3_u32 v0, v0, v5, s0
	v_cndmask_b32_sdwa v0, v4, v0, vcc dst_sel:DWORD dst_unused:UNUSED_PAD src0_sel:DWORD src1_sel:WORD_1
	global_store_dword v[1:2], v0, off
	s_mov_b64 s[0:1], 0
.LBB200_973:
	s_mov_b64 s[10:11], 0
.LBB200_974:
	s_and_b64 vcc, exec, s[10:11]
	s_cbranch_vccz .LBB200_979
; %bb.975:
	s_cmp_eq_u32 s19, 44
	s_mov_b64 s[0:1], -1
	s_cbranch_scc0 .LBB200_979
; %bb.976:
	v_cvt_f32_f16_e32 v0, v3
	s_movk_i32 s0, 0xff
	v_mov_b32_e32 v5, 0xff
	v_bfe_u32 v4, v0, 23, 8
	v_cmp_ne_u32_e32 vcc, s0, v4
	s_and_saveexec_b64 s[10:11], vcc
; %bb.977:
	s_mov_b32 s0, 0x3fffff
	v_lshrrev_b32_e32 v5, 23, v0
	v_and_b32_e32 v6, 0x400000, v0
	v_and_or_b32 v0, v0, s0, v4
	v_cmp_ne_u32_e32 vcc, 0, v6
	v_cmp_ne_u32_e64 s[0:1], 0, v0
	s_and_b64 s[0:1], vcc, s[0:1]
	v_cndmask_b32_e64 v0, 0, 1, s[0:1]
	v_add_u32_e32 v5, v5, v0
; %bb.978:
	s_or_b64 exec, exec, s[10:11]
	s_mov_b64 s[0:1], 0
	global_store_byte v[1:2], v5, off
.LBB200_979:
	s_mov_b64 s[10:11], 0
.LBB200_980:
	s_and_b64 vcc, exec, s[10:11]
	s_cbranch_vccz .LBB200_987
; %bb.981:
	s_cmp_eq_u32 s19, 29
	s_mov_b64 s[0:1], -1
	s_cbranch_scc0 .LBB200_987
; %bb.982:
	v_cvt_f32_f16_e32 v0, v3
	v_mov_b32_e32 v5, 0
	s_mov_b64 s[0:1], 0
	s_mov_b64 s[10:11], 0
	v_cvt_u32_f32_e32 v4, v0
	global_store_dwordx2 v[1:2], v[4:5], off
	s_branch .LBB200_988
.LBB200_983:
	s_or_b64 exec, exec, s[8:9]
	s_and_saveexec_b64 s[0:1], s[56:57]
	s_cbranch_execnz .LBB200_1046
.LBB200_984:
	s_or_b64 exec, exec, s[0:1]
	s_and_saveexec_b64 s[0:1], s[14:15]
	s_xor_b64 s[0:1], exec, s[0:1]
	s_cbranch_execz .LBB200_1047
.LBB200_985:
	s_waitcnt vmcnt(0)
	v_and_b32_e32 v0, 0x7fff, v3
	v_cmp_ne_u16_e32 vcc, 0, v0
	v_cndmask_b32_e64 v0, 0, 1, vcc
	global_store_byte v[1:2], v0, off
	s_or_b64 exec, exec, s[0:1]
	s_and_saveexec_b64 s[0:1], s[12:13]
	s_xor_b64 s[0:1], exec, s[0:1]
	s_cbranch_execz .LBB200_1085
	s_branch .LBB200_1048
.LBB200_986:
	s_mov_b64 s[10:11], -1
	s_mov_b64 s[0:1], s[56:57]
	s_branch .LBB200_1045
.LBB200_987:
	s_mov_b64 s[10:11], 0
.LBB200_988:
	s_and_b64 vcc, exec, s[10:11]
	s_cbranch_vccz .LBB200_1003
; %bb.989:
	s_cmp_lt_i32 s19, 27
	s_mov_b64 s[10:11], -1
	s_cbranch_scc1 .LBB200_995
; %bb.990:
	s_cmp_gt_i32 s19, 27
	s_cbranch_scc0 .LBB200_992
; %bb.991:
	v_cvt_f32_f16_e32 v0, v3
	s_mov_b64 s[10:11], 0
	v_cvt_u32_f32_e32 v0, v0
	global_store_dword v[1:2], v0, off
.LBB200_992:
	s_andn2_b64 vcc, exec, s[10:11]
	s_cbranch_vccnz .LBB200_994
; %bb.993:
	v_cvt_u16_f16_e32 v0, v3
	global_store_short v[1:2], v0, off
.LBB200_994:
	s_mov_b64 s[10:11], 0
.LBB200_995:
	s_andn2_b64 vcc, exec, s[10:11]
	s_cbranch_vccnz .LBB200_1003
; %bb.996:
	v_cvt_f32_f16_e32 v0, v3
	s_mov_b32 s10, 0x43800000
	v_mov_b32_e32 v5, 0x80
	v_and_b32_e32 v4, 0x7fffffff, v0
	v_cmp_gt_u32_e32 vcc, s10, v4
	s_and_saveexec_b64 s[10:11], vcc
	s_cbranch_execz .LBB200_1002
; %bb.997:
	s_mov_b32 s12, 0x3bffffff
	v_cmp_lt_u32_e32 vcc, s12, v4
	s_mov_b64 s[12:13], 0
                                        ; implicit-def: $vgpr4
	s_and_saveexec_b64 s[14:15], vcc
	s_xor_b64 s[14:15], exec, s[14:15]
	s_cbranch_execz .LBB200_1156
; %bb.998:
	v_bfe_u32 v4, v0, 20, 1
	s_mov_b32 s16, 0x487ffff
	v_add3_u32 v4, v0, v4, s16
	s_mov_b64 s[12:13], exec
	v_lshrrev_b32_e32 v4, 20, v4
	s_andn2_saveexec_b64 s[14:15], s[14:15]
	s_cbranch_execnz .LBB200_1157
.LBB200_999:
	s_or_b64 exec, exec, s[14:15]
	v_mov_b32_e32 v5, 0
	s_and_saveexec_b64 s[14:15], s[12:13]
.LBB200_1000:
	v_lshrrev_b32_e32 v0, 24, v0
	s_movk_i32 s12, 0x80
	v_and_or_b32 v5, v0, s12, v4
.LBB200_1001:
	s_or_b64 exec, exec, s[14:15]
.LBB200_1002:
	s_or_b64 exec, exec, s[10:11]
	global_store_byte v[1:2], v5, off
.LBB200_1003:
	s_mov_b64 s[12:13], 0
.LBB200_1004:
	s_mov_b64 s[10:11], 0
	s_and_b64 vcc, exec, s[12:13]
	s_cbranch_vccz .LBB200_1044
; %bb.1005:
	s_cmp_gt_i32 s19, 22
	s_mov_b64 s[12:13], -1
	s_cbranch_scc0 .LBB200_1037
; %bb.1006:
	s_cmp_lt_i32 s19, 24
	s_cbranch_scc1 .LBB200_1026
; %bb.1007:
	s_cmp_gt_i32 s19, 24
	s_cbranch_scc0 .LBB200_1015
; %bb.1008:
	v_cvt_f32_f16_e32 v0, v3
	s_mov_b32 s12, 0x47800000
	v_mov_b32_e32 v5, 0x80
	v_and_b32_e32 v4, 0x7fffffff, v0
	v_cmp_gt_u32_e32 vcc, s12, v4
	s_and_saveexec_b64 s[12:13], vcc
	s_cbranch_execz .LBB200_1014
; %bb.1009:
	s_mov_b32 s14, 0x37ffffff
	v_cmp_lt_u32_e32 vcc, s14, v4
	s_mov_b64 s[14:15], 0
                                        ; implicit-def: $vgpr4
	s_and_saveexec_b64 s[16:17], vcc
	s_xor_b64 s[16:17], exec, s[16:17]
	s_cbranch_execz .LBB200_1281
; %bb.1010:
	v_bfe_u32 v4, v0, 21, 1
	s_mov_b32 s20, 0x88fffff
	v_add3_u32 v4, v0, v4, s20
	s_mov_b64 s[14:15], exec
	v_lshrrev_b32_e32 v4, 21, v4
	s_andn2_saveexec_b64 s[16:17], s[16:17]
	s_cbranch_execnz .LBB200_1282
.LBB200_1011:
	s_or_b64 exec, exec, s[16:17]
	v_mov_b32_e32 v5, 0
	s_and_saveexec_b64 s[16:17], s[14:15]
.LBB200_1012:
	v_lshrrev_b32_e32 v0, 24, v0
	s_movk_i32 s14, 0x80
	v_and_or_b32 v5, v0, s14, v4
.LBB200_1013:
	s_or_b64 exec, exec, s[16:17]
.LBB200_1014:
	s_or_b64 exec, exec, s[12:13]
	s_mov_b64 s[12:13], 0
	global_store_byte v[1:2], v5, off
.LBB200_1015:
	s_and_b64 vcc, exec, s[12:13]
	s_cbranch_vccz .LBB200_1025
; %bb.1016:
	v_cvt_f32_f16_e32 v0, v3
	s_mov_b32 s12, 0x43f00000
                                        ; implicit-def: $vgpr4
	v_and_b32_e32 v5, 0x7fffffff, v0
	v_cmp_gt_u32_e32 vcc, s12, v5
	s_and_saveexec_b64 s[12:13], vcc
	s_xor_b64 s[12:13], exec, s[12:13]
	s_cbranch_execz .LBB200_1022
; %bb.1017:
	s_mov_b32 s14, 0x3c7fffff
	v_cmp_lt_u32_e32 vcc, s14, v5
                                        ; implicit-def: $vgpr4
	s_and_saveexec_b64 s[14:15], vcc
	s_xor_b64 s[14:15], exec, s[14:15]
; %bb.1018:
	v_bfe_u32 v4, v0, 20, 1
	s_mov_b32 s16, 0x407ffff
	v_add3_u32 v4, v0, v4, s16
	v_lshrrev_b32_e32 v5, 20, v4
	v_and_b32_e32 v4, 0xff00000, v4
	s_mov_b32 s16, 0x7f00000
	v_mov_b32_e32 v6, 0x7e
	v_cmp_ne_u32_e32 vcc, s16, v4
	v_cndmask_b32_e32 v4, v6, v5, vcc
; %bb.1019:
	s_andn2_saveexec_b64 s[14:15], s[14:15]
; %bb.1020:
	s_mov_b32 s16, 0x46800000
	v_add_f32_e64 v4, |v0|, s16
; %bb.1021:
	s_or_b64 exec, exec, s[14:15]
                                        ; implicit-def: $vgpr5
.LBB200_1022:
	s_andn2_saveexec_b64 s[12:13], s[12:13]
; %bb.1023:
	s_mov_b32 s14, 0x7f800000
	v_mov_b32_e32 v4, 0x7e
	v_mov_b32_e32 v6, 0x7f
	v_cmp_lt_u32_e32 vcc, s14, v5
	v_cndmask_b32_e32 v4, v4, v6, vcc
; %bb.1024:
	s_or_b64 exec, exec, s[12:13]
	v_lshrrev_b32_e32 v0, 24, v0
	s_movk_i32 s12, 0x80
	v_and_or_b32 v0, v0, s12, v4
	global_store_byte v[1:2], v0, off
.LBB200_1025:
	s_mov_b64 s[12:13], 0
.LBB200_1026:
	s_andn2_b64 vcc, exec, s[12:13]
	s_cbranch_vccnz .LBB200_1036
; %bb.1027:
	v_cvt_f32_f16_e32 v0, v3
	s_mov_b32 s12, 0x47800000
                                        ; implicit-def: $vgpr4
	v_and_b32_e32 v5, 0x7fffffff, v0
	v_cmp_gt_u32_e32 vcc, s12, v5
	s_and_saveexec_b64 s[12:13], vcc
	s_xor_b64 s[12:13], exec, s[12:13]
	s_cbranch_execz .LBB200_1033
; %bb.1028:
	s_mov_b32 s14, 0x387fffff
	v_cmp_lt_u32_e32 vcc, s14, v5
                                        ; implicit-def: $vgpr4
	s_and_saveexec_b64 s[14:15], vcc
	s_xor_b64 s[14:15], exec, s[14:15]
; %bb.1029:
	v_bfe_u32 v4, v0, 21, 1
	s_mov_b32 s16, 0x80fffff
	v_add3_u32 v4, v0, v4, s16
	v_lshrrev_b32_e32 v4, 21, v4
; %bb.1030:
	s_andn2_saveexec_b64 s[14:15], s[14:15]
; %bb.1031:
	s_mov_b32 s16, 0x43000000
	v_add_f32_e64 v4, |v0|, s16
; %bb.1032:
	s_or_b64 exec, exec, s[14:15]
                                        ; implicit-def: $vgpr5
.LBB200_1033:
	s_andn2_saveexec_b64 s[12:13], s[12:13]
; %bb.1034:
	s_mov_b32 s14, 0x7f800000
	v_mov_b32_e32 v4, 0x7c
	v_mov_b32_e32 v6, 0x7f
	v_cmp_lt_u32_e32 vcc, s14, v5
	v_cndmask_b32_e32 v4, v4, v6, vcc
; %bb.1035:
	s_or_b64 exec, exec, s[12:13]
	v_lshrrev_b32_e32 v0, 24, v0
	s_movk_i32 s12, 0x80
	v_and_or_b32 v0, v0, s12, v4
	global_store_byte v[1:2], v0, off
.LBB200_1036:
	s_mov_b64 s[12:13], 0
.LBB200_1037:
	s_andn2_b64 vcc, exec, s[12:13]
	s_mov_b64 s[14:15], 0
	s_cbranch_vccnz .LBB200_1045
; %bb.1038:
	s_cmp_gt_i32 s19, 14
	s_mov_b64 s[12:13], -1
	s_cbranch_scc0 .LBB200_1042
; %bb.1039:
	s_cmp_eq_u32 s19, 15
	s_mov_b64 s[0:1], -1
	s_cbranch_scc0 .LBB200_1041
; %bb.1040:
	v_cvt_f32_f16_e32 v0, v3
	s_movk_i32 s0, 0x7fff
	v_cmp_o_f16_e32 vcc, v3, v3
	v_mov_b32_e32 v4, 0x7fc0
	v_bfe_u32 v5, v0, 16, 1
	v_add3_u32 v0, v0, v5, s0
	v_cndmask_b32_sdwa v0, v4, v0, vcc dst_sel:DWORD dst_unused:UNUSED_PAD src0_sel:DWORD src1_sel:WORD_1
	global_store_short v[1:2], v0, off
	s_mov_b64 s[0:1], 0
.LBB200_1041:
	s_mov_b64 s[12:13], 0
.LBB200_1042:
	s_and_b64 vcc, exec, s[12:13]
	s_cbranch_vccz .LBB200_1045
; %bb.1043:
	s_cmp_lg_u32 s19, 11
	s_cselect_b64 s[12:13], -1, 0
	s_andn2_b64 s[0:1], s[0:1], exec
	s_and_b64 s[12:13], s[12:13], exec
	s_mov_b64 s[14:15], -1
	s_or_b64 s[0:1], s[0:1], s[12:13]
	s_branch .LBB200_1045
.LBB200_1044:
	s_mov_b64 s[14:15], 0
.LBB200_1045:
	s_and_b64 s[12:13], s[10:11], exec
	s_andn2_b64 s[10:11], s[56:57], exec
	s_and_b64 s[0:1], s[0:1], exec
	s_and_b64 s[14:15], s[14:15], exec
	s_or_b64 s[56:57], s[10:11], s[0:1]
	s_or_b64 exec, exec, s[8:9]
	s_and_saveexec_b64 s[0:1], s[56:57]
	s_cbranch_execz .LBB200_984
.LBB200_1046:
	s_or_b64 s[2:3], s[2:3], exec
	s_andn2_b64 s[14:15], s[14:15], exec
	s_trap 2
	s_or_b64 exec, exec, s[0:1]
	s_and_saveexec_b64 s[0:1], s[14:15]
	s_xor_b64 s[0:1], exec, s[0:1]
	s_cbranch_execnz .LBB200_985
.LBB200_1047:
	s_or_b64 exec, exec, s[0:1]
	s_and_saveexec_b64 s[0:1], s[12:13]
	s_xor_b64 s[0:1], exec, s[0:1]
	s_cbranch_execz .LBB200_1085
.LBB200_1048:
	s_sext_i32_i16 s10, s18
	s_cmp_lt_i32 s10, 5
	s_mov_b64 s[8:9], -1
	s_cbranch_scc1 .LBB200_1069
; %bb.1049:
	s_cmp_lt_i32 s10, 8
	s_cbranch_scc1 .LBB200_1059
; %bb.1050:
	s_cmp_lt_i32 s10, 9
	s_cbranch_scc1 .LBB200_1056
; %bb.1051:
	s_cmp_gt_i32 s10, 9
	s_cbranch_scc0 .LBB200_1053
; %bb.1052:
	s_waitcnt vmcnt(0)
	v_cvt_f32_f16_e32 v0, v3
	v_mov_b32_e32 v6, 0
	v_mov_b32_e32 v7, v6
	s_mov_b64 s[8:9], 0
	v_cvt_f64_f32_e32 v[4:5], v0
	global_store_dwordx4 v[1:2], v[4:7], off
.LBB200_1053:
	s_andn2_b64 vcc, exec, s[8:9]
	s_cbranch_vccnz .LBB200_1055
; %bb.1054:
	s_waitcnt vmcnt(0)
	v_cvt_f32_f16_e32 v4, v3
	v_mov_b32_e32 v5, 0
	global_store_dwordx2 v[1:2], v[4:5], off
.LBB200_1055:
	s_mov_b64 s[8:9], 0
.LBB200_1056:
	s_andn2_b64 vcc, exec, s[8:9]
	s_cbranch_vccnz .LBB200_1058
; %bb.1057:
	s_waitcnt vmcnt(0)
	v_and_b32_e32 v0, 0xffff, v3
	global_store_dword v[1:2], v0, off
.LBB200_1058:
	s_mov_b64 s[8:9], 0
.LBB200_1059:
	s_andn2_b64 vcc, exec, s[8:9]
	s_cbranch_vccnz .LBB200_1068
; %bb.1060:
	s_sext_i32_i16 s10, s18
	s_cmp_lt_i32 s10, 6
	s_mov_b64 s[8:9], -1
	s_cbranch_scc1 .LBB200_1066
; %bb.1061:
	s_cmp_gt_i32 s10, 6
	s_cbranch_scc0 .LBB200_1063
; %bb.1062:
	s_waitcnt vmcnt(0)
	v_cvt_f32_f16_e32 v0, v3
	s_mov_b64 s[8:9], 0
	v_cvt_f64_f32_e32 v[4:5], v0
	global_store_dwordx2 v[1:2], v[4:5], off
.LBB200_1063:
	s_andn2_b64 vcc, exec, s[8:9]
	s_cbranch_vccnz .LBB200_1065
; %bb.1064:
	s_waitcnt vmcnt(0)
	v_cvt_f32_f16_e32 v0, v3
	global_store_dword v[1:2], v0, off
.LBB200_1065:
	s_mov_b64 s[8:9], 0
.LBB200_1066:
	s_andn2_b64 vcc, exec, s[8:9]
	s_cbranch_vccnz .LBB200_1068
; %bb.1067:
	s_waitcnt vmcnt(0)
	global_store_short v[1:2], v3, off
.LBB200_1068:
	s_mov_b64 s[8:9], 0
.LBB200_1069:
	s_andn2_b64 vcc, exec, s[8:9]
	s_cbranch_vccnz .LBB200_1085
; %bb.1070:
	s_sext_i32_i16 s10, s18
	s_cmp_lt_i32 s10, 2
	s_mov_b64 s[8:9], -1
	s_cbranch_scc1 .LBB200_1080
; %bb.1071:
	s_cmp_lt_i32 s10, 3
	s_cbranch_scc1 .LBB200_1077
; %bb.1072:
	s_cmp_gt_i32 s10, 3
	s_cbranch_scc0 .LBB200_1074
; %bb.1073:
	s_waitcnt vmcnt(0)
	v_cvt_f32_f16_e32 v0, v3
	s_mov_b64 s[8:9], 0
	v_cvt_i32_f32_e32 v4, v0
	v_ashrrev_i32_e32 v5, 31, v4
	global_store_dwordx2 v[1:2], v[4:5], off
.LBB200_1074:
	s_andn2_b64 vcc, exec, s[8:9]
	s_cbranch_vccnz .LBB200_1076
; %bb.1075:
	s_waitcnt vmcnt(0)
	v_cvt_f32_f16_e32 v0, v3
	v_cvt_i32_f32_e32 v0, v0
	global_store_dword v[1:2], v0, off
.LBB200_1076:
	s_mov_b64 s[8:9], 0
.LBB200_1077:
	s_andn2_b64 vcc, exec, s[8:9]
	s_cbranch_vccnz .LBB200_1079
; %bb.1078:
	s_waitcnt vmcnt(0)
	v_cvt_i16_f16_e32 v0, v3
	global_store_short v[1:2], v0, off
.LBB200_1079:
	s_mov_b64 s[8:9], 0
.LBB200_1080:
	s_andn2_b64 vcc, exec, s[8:9]
	s_cbranch_vccnz .LBB200_1085
; %bb.1081:
	s_sext_i32_i16 s8, s18
	s_cmp_gt_i32 s8, 0
	s_mov_b64 s[8:9], -1
	s_cbranch_scc0 .LBB200_1083
; %bb.1082:
	s_waitcnt vmcnt(0)
	v_cvt_i16_f16_e32 v0, v3
	s_mov_b64 s[8:9], 0
	global_store_byte v[1:2], v0, off
.LBB200_1083:
	s_andn2_b64 vcc, exec, s[8:9]
	s_cbranch_vccnz .LBB200_1085
; %bb.1084:
	s_waitcnt vmcnt(0)
	v_cvt_f32_f16_e32 v0, v3
	v_cvt_i32_f32_e32 v0, v0
	global_store_byte v[1:2], v0, off
.LBB200_1085:
	s_or_b64 exec, exec, s[0:1]
	s_and_b64 s[28:29], s[2:3], exec
                                        ; implicit-def: $vgpr15
                                        ; implicit-def: $vgpr8
.LBB200_1086:
	s_or_saveexec_b64 s[30:31], s[46:47]
	s_mov_b64 s[0:1], 0
                                        ; implicit-def: $vgpr0_vgpr1
                                        ; implicit-def: $sgpr16
                                        ; implicit-def: $vgpr2
	s_xor_b64 exec, exec, s[30:31]
	s_cbranch_execz .LBB200_2090
; %bb.1087:
	v_cndmask_b32_e64 v0, 0, 1, s[44:45]
	v_cmp_ne_u32_e64 s[0:1], 1, v0
	s_andn2_b64 vcc, exec, s[44:45]
	s_cbranch_vccnz .LBB200_1093
; %bb.1088:
	s_cmp_lg_u32 s33, 0
	s_mov_b32 s36, 0
	s_cbranch_scc0 .LBB200_1094
; %bb.1089:
	s_min_u32 s37, s74, 15
	s_add_i32 s37, s37, 1
	s_cmp_eq_u32 s74, 2
	s_cbranch_scc1 .LBB200_1095
; %bb.1090:
	s_and_b32 s36, s37, 28
	s_add_u32 s2, s34, 0xc4
	s_addc_u32 s3, s35, 0
	v_mov_b32_e32 v13, 0
	s_mov_b32 s38, 0
	s_mov_b64 s[6:7], s[34:35]
	v_mov_b32_e32 v6, 0
	v_mov_b32_e32 v0, v8
.LBB200_1091:                           ; =>This Inner Loop Header: Depth=1
	s_load_dwordx8 s[16:23], s[6:7], 0x4
	s_load_dwordx4 s[24:27], s[6:7], 0x24
	s_load_dwordx8 s[8:15], s[2:3], 0x0
	s_add_u32 s6, s6, 48
	s_addc_u32 s7, s7, 0
	s_waitcnt lgkmcnt(0)
	v_mul_hi_u32 v1, s17, v0
	s_add_i32 s38, s38, 4
	s_add_u32 s2, s2, 32
	s_addc_u32 s3, s3, 0
	v_add_u32_e32 v1, v0, v1
	v_lshrrev_b32_e32 v1, s18, v1
	v_mul_lo_u32 v2, v1, s16
	s_waitcnt vmcnt(0)
	v_mul_hi_u32 v3, s20, v1
	s_cmp_lg_u32 s36, s38
	v_sub_u32_e32 v0, v0, v2
	v_add_u32_e32 v2, v1, v3
	v_mul_lo_u32 v3, v0, s8
	v_mul_lo_u32 v4, v0, s9
	v_lshrrev_b32_e32 v0, s21, v2
	v_mul_lo_u32 v2, v0, s19
	v_mul_hi_u32 v5, s23, v0
	v_sub_u32_e32 v1, v1, v2
	v_add_u32_e32 v2, v0, v5
	v_lshrrev_b32_e32 v2, s24, v2
	v_mul_hi_u32 v7, s26, v2
	v_mul_lo_u32 v9, v2, s22
	v_mul_lo_u32 v5, v1, s10
	;; [unrolled: 1-line block ×3, first 2 shown]
	v_sub_u32_e32 v9, v0, v9
	v_add_u32_e32 v0, v2, v7
	v_lshrrev_b32_e32 v0, s27, v0
	v_mul_lo_u32 v7, v0, s25
	v_mul_lo_u32 v10, v9, s12
	;; [unrolled: 1-line block ×3, first 2 shown]
	v_add3_u32 v3, v3, v6, v5
	v_sub_u32_e32 v2, v2, v7
	v_mul_lo_u32 v7, v2, s14
	v_mul_lo_u32 v2, v2, s15
	v_add3_u32 v1, v4, v13, v1
	v_add3_u32 v6, v10, v3, v7
	;; [unrolled: 1-line block ×3, first 2 shown]
	s_cbranch_scc1 .LBB200_1091
; %bb.1092:
	s_and_b32 s8, s37, 3
	s_cmp_eq_u32 s8, 0
	s_cbranch_scc0 .LBB200_1096
	s_branch .LBB200_1098
.LBB200_1093:
                                        ; implicit-def: $vgpr6
                                        ; implicit-def: $vgpr13
	s_branch .LBB200_1099
.LBB200_1094:
	v_mov_b32_e32 v6, 0
	v_mov_b32_e32 v13, 0
	s_branch .LBB200_1098
.LBB200_1095:
	v_mov_b32_e32 v6, 0
	v_mov_b32_e32 v13, 0
	v_mov_b32_e32 v0, v8
	s_and_b32 s8, s37, 3
	s_cmp_eq_u32 s8, 0
	s_cbranch_scc1 .LBB200_1098
.LBB200_1096:
	s_lshl_b32 s2, s36, 3
	s_add_u32 s2, s34, s2
	s_addc_u32 s3, s35, 0
	s_add_u32 s2, s2, 0xc4
	s_addc_u32 s3, s3, 0
	s_mul_i32 s6, s36, 12
	s_add_u32 s6, s34, s6
	s_addc_u32 s7, s35, 0
.LBB200_1097:                           ; =>This Inner Loop Header: Depth=1
	s_load_dwordx2 s[10:11], s[6:7], 0x4
	s_load_dword s9, s[6:7], 0xc
	s_load_dwordx2 s[12:13], s[2:3], 0x0
	s_add_u32 s6, s6, 12
	s_addc_u32 s7, s7, 0
	s_waitcnt lgkmcnt(0)
	v_mul_hi_u32 v1, s11, v0
	s_add_u32 s2, s2, 8
	s_addc_u32 s3, s3, 0
	s_add_i32 s8, s8, -1
	v_add_u32_e32 v1, v0, v1
	v_lshrrev_b32_e32 v1, s9, v1
	v_mul_lo_u32 v2, v1, s10
	s_cmp_lg_u32 s8, 0
	v_sub_u32_e32 v0, v0, v2
	v_mad_u64_u32 v[6:7], s[10:11], v0, s12, v[6:7]
	v_mad_u64_u32 v[13:14], s[10:11], v0, s13, v[13:14]
	v_mov_b32_e32 v0, v1
	s_cbranch_scc1 .LBB200_1097
.LBB200_1098:
	s_cbranch_execnz .LBB200_1101
.LBB200_1099:
	s_load_dwordx4 s[8:11], s[34:35], 0x4
	s_load_dwordx2 s[2:3], s[34:35], 0xc4
	s_cmp_lt_u32 s33, 2
	s_waitcnt lgkmcnt(0)
	v_mul_hi_u32 v0, s9, v8
	v_add_u32_e32 v0, v8, v0
	v_lshrrev_b32_e32 v0, s10, v0
	v_mul_lo_u32 v1, v0, s8
	v_sub_u32_e32 v1, v8, v1
	v_mul_lo_u32 v6, v1, s2
	v_mul_lo_u32 v13, v1, s3
	s_cbranch_scc1 .LBB200_1101
; %bb.1100:
	s_load_dwordx4 s[8:11], s[34:35], 0x10
	s_load_dwordx2 s[2:3], s[34:35], 0xcc
	s_waitcnt lgkmcnt(0)
	v_mul_hi_u32 v1, s9, v0
	v_add_u32_e32 v1, v0, v1
	v_lshrrev_b32_e32 v1, s10, v1
	v_mul_lo_u32 v1, v1, s8
	v_sub_u32_e32 v0, v0, v1
	v_mad_u64_u32 v[6:7], s[6:7], v0, s2, v[6:7]
	v_mad_u64_u32 v[13:14], s[2:3], v0, s3, v[13:14]
.LBB200_1101:
	s_and_b64 vcc, exec, s[0:1]
	v_add_u32_e32 v0, 0x80, v8
	s_cbranch_vccnz .LBB200_1107
; %bb.1102:
	s_cmp_lg_u32 s33, 0
	s_mov_b32 s36, 0
	s_cbranch_scc0 .LBB200_1108
; %bb.1103:
	s_min_u32 s37, s74, 15
	s_add_i32 s37, s37, 1
	s_cmp_eq_u32 s74, 2
	s_cbranch_scc1 .LBB200_1109
; %bb.1104:
	s_and_b32 s36, s37, 28
	s_add_u32 s2, s34, 0xc4
	s_addc_u32 s3, s35, 0
	v_mov_b32_e32 v11, 0
	s_mov_b32 s38, 0
	s_mov_b64 s[6:7], s[34:35]
	s_waitcnt vmcnt(0)
	v_mov_b32_e32 v4, 0
	v_mov_b32_e32 v1, v0
.LBB200_1105:                           ; =>This Inner Loop Header: Depth=1
	s_load_dwordx8 s[16:23], s[6:7], 0x4
	s_load_dwordx4 s[24:27], s[6:7], 0x24
	s_load_dwordx8 s[8:15], s[2:3], 0x0
	s_add_u32 s6, s6, 48
	s_addc_u32 s7, s7, 0
	s_waitcnt lgkmcnt(0)
	v_mul_hi_u32 v2, s17, v1
	s_add_i32 s38, s38, 4
	s_add_u32 s2, s2, 32
	s_addc_u32 s3, s3, 0
	v_add_u32_e32 v2, v1, v2
	v_lshrrev_b32_e32 v2, s18, v2
	v_mul_lo_u32 v3, v2, s16
	v_mul_hi_u32 v5, s20, v2
	s_cmp_lg_u32 s36, s38
	v_sub_u32_e32 v1, v1, v3
	v_add_u32_e32 v3, v2, v5
	v_mul_lo_u32 v5, v1, s8
	v_mul_lo_u32 v7, v1, s9
	v_lshrrev_b32_e32 v1, s21, v3
	v_mul_lo_u32 v3, v1, s19
	v_mul_hi_u32 v9, s23, v1
	v_sub_u32_e32 v2, v2, v3
	v_add_u32_e32 v3, v1, v9
	v_lshrrev_b32_e32 v3, s24, v3
	v_mul_hi_u32 v10, s26, v3
	v_mul_lo_u32 v12, v3, s22
	v_mul_lo_u32 v9, v2, s10
	;; [unrolled: 1-line block ×3, first 2 shown]
	v_sub_u32_e32 v12, v1, v12
	v_add_u32_e32 v1, v3, v10
	v_lshrrev_b32_e32 v1, s27, v1
	v_mul_lo_u32 v10, v1, s25
	v_mul_lo_u32 v14, v12, s12
	;; [unrolled: 1-line block ×3, first 2 shown]
	v_add3_u32 v4, v5, v4, v9
	v_sub_u32_e32 v3, v3, v10
	v_mul_lo_u32 v10, v3, s14
	v_mul_lo_u32 v3, v3, s15
	v_add3_u32 v2, v7, v11, v2
	v_add3_u32 v4, v14, v4, v10
	;; [unrolled: 1-line block ×3, first 2 shown]
	s_cbranch_scc1 .LBB200_1105
; %bb.1106:
	s_and_b32 s8, s37, 3
	s_cmp_eq_u32 s8, 0
	s_cbranch_scc0 .LBB200_1110
	s_branch .LBB200_1112
.LBB200_1107:
                                        ; implicit-def: $vgpr4
                                        ; implicit-def: $vgpr11
	s_branch .LBB200_1113
.LBB200_1108:
	s_waitcnt vmcnt(0)
	v_mov_b32_e32 v4, 0
	v_mov_b32_e32 v11, 0
	s_branch .LBB200_1112
.LBB200_1109:
	s_waitcnt vmcnt(0)
	v_mov_b32_e32 v4, 0
	v_mov_b32_e32 v11, 0
	;; [unrolled: 1-line block ×3, first 2 shown]
	s_and_b32 s8, s37, 3
	s_cmp_eq_u32 s8, 0
	s_cbranch_scc1 .LBB200_1112
.LBB200_1110:
	s_lshl_b32 s2, s36, 3
	s_add_u32 s2, s34, s2
	s_addc_u32 s3, s35, 0
	s_add_u32 s2, s2, 0xc4
	s_addc_u32 s3, s3, 0
	s_mul_i32 s6, s36, 12
	s_add_u32 s6, s34, s6
	s_addc_u32 s7, s35, 0
.LBB200_1111:                           ; =>This Inner Loop Header: Depth=1
	s_load_dwordx2 s[10:11], s[6:7], 0x4
	s_load_dword s9, s[6:7], 0xc
	s_load_dwordx2 s[12:13], s[2:3], 0x0
	s_add_u32 s6, s6, 12
	s_addc_u32 s7, s7, 0
	s_waitcnt lgkmcnt(0)
	v_mul_hi_u32 v2, s11, v1
	s_add_u32 s2, s2, 8
	s_addc_u32 s3, s3, 0
	s_add_i32 s8, s8, -1
	v_add_u32_e32 v2, v1, v2
	v_lshrrev_b32_e32 v2, s9, v2
	v_mul_lo_u32 v3, v2, s10
	s_cmp_lg_u32 s8, 0
	v_sub_u32_e32 v1, v1, v3
	v_mad_u64_u32 v[4:5], s[10:11], v1, s12, v[4:5]
	v_mad_u64_u32 v[11:12], s[10:11], v1, s13, v[11:12]
	v_mov_b32_e32 v1, v2
	s_cbranch_scc1 .LBB200_1111
.LBB200_1112:
	s_cbranch_execnz .LBB200_1115
.LBB200_1113:
	s_load_dwordx4 s[8:11], s[34:35], 0x4
	s_load_dwordx2 s[2:3], s[34:35], 0xc4
	s_cmp_lt_u32 s33, 2
	s_waitcnt lgkmcnt(0)
	v_mul_hi_u32 v1, s9, v0
	v_add_u32_e32 v1, v0, v1
	v_lshrrev_b32_e32 v1, s10, v1
	v_mul_lo_u32 v2, v1, s8
	v_sub_u32_e32 v0, v0, v2
	s_waitcnt vmcnt(0)
	v_mul_lo_u32 v4, v0, s2
	v_mul_lo_u32 v11, v0, s3
	s_cbranch_scc1 .LBB200_1115
; %bb.1114:
	s_load_dwordx4 s[8:11], s[34:35], 0x10
	s_load_dwordx2 s[2:3], s[34:35], 0xcc
	s_waitcnt lgkmcnt(0)
	v_mul_hi_u32 v0, s9, v1
	v_add_u32_e32 v0, v1, v0
	v_lshrrev_b32_e32 v0, s10, v0
	v_mul_lo_u32 v0, v0, s8
	v_sub_u32_e32 v0, v1, v0
	v_mad_u64_u32 v[4:5], s[6:7], v0, s2, v[4:5]
	v_mad_u64_u32 v[11:12], s[2:3], v0, s3, v[11:12]
.LBB200_1115:
	s_and_b64 vcc, exec, s[0:1]
	v_add_u32_e32 v0, 0x100, v8
	s_cbranch_vccnz .LBB200_1121
; %bb.1116:
	s_cmp_lg_u32 s33, 0
	s_mov_b32 s36, 0
	s_cbranch_scc0 .LBB200_1122
; %bb.1117:
	s_min_u32 s37, s74, 15
	s_add_i32 s37, s37, 1
	s_cmp_eq_u32 s74, 2
	s_cbranch_scc1 .LBB200_1123
; %bb.1118:
	s_and_b32 s36, s37, 28
	s_add_u32 s2, s34, 0xc4
	s_addc_u32 s3, s35, 0
	v_mov_b32_e32 v9, 0
	s_mov_b32 s38, 0
	s_mov_b64 s[6:7], s[34:35]
	v_mov_b32_e32 v2, 0
	v_mov_b32_e32 v1, v0
.LBB200_1119:                           ; =>This Inner Loop Header: Depth=1
	s_load_dwordx8 s[16:23], s[6:7], 0x4
	s_load_dwordx4 s[24:27], s[6:7], 0x24
	s_load_dwordx8 s[8:15], s[2:3], 0x0
	s_add_u32 s6, s6, 48
	s_addc_u32 s7, s7, 0
	s_waitcnt vmcnt(0) lgkmcnt(0)
	v_mul_hi_u32 v3, s17, v1
	s_add_i32 s38, s38, 4
	s_add_u32 s2, s2, 32
	s_addc_u32 s3, s3, 0
	v_add_u32_e32 v3, v1, v3
	v_lshrrev_b32_e32 v3, s18, v3
	v_mul_lo_u32 v5, v3, s16
	v_mul_hi_u32 v7, s20, v3
	s_cmp_lg_u32 s36, s38
	v_sub_u32_e32 v1, v1, v5
	v_add_u32_e32 v5, v3, v7
	v_mul_lo_u32 v7, v1, s8
	v_mul_lo_u32 v8, v1, s9
	v_lshrrev_b32_e32 v1, s21, v5
	v_mul_lo_u32 v5, v1, s19
	v_mul_hi_u32 v10, s23, v1
	v_sub_u32_e32 v3, v3, v5
	v_add_u32_e32 v5, v1, v10
	v_lshrrev_b32_e32 v5, s24, v5
	v_mul_hi_u32 v12, s26, v5
	v_mul_lo_u32 v14, v5, s22
	v_mul_lo_u32 v10, v3, s10
	;; [unrolled: 1-line block ×3, first 2 shown]
	v_sub_u32_e32 v14, v1, v14
	v_add_u32_e32 v1, v5, v12
	v_lshrrev_b32_e32 v1, s27, v1
	v_mul_lo_u32 v12, v1, s25
	v_mul_lo_u32 v16, v14, s12
	;; [unrolled: 1-line block ×3, first 2 shown]
	v_add3_u32 v2, v7, v2, v10
	v_sub_u32_e32 v5, v5, v12
	v_mul_lo_u32 v12, v5, s14
	v_mul_lo_u32 v5, v5, s15
	v_add3_u32 v3, v8, v9, v3
	v_add3_u32 v2, v16, v2, v12
	;; [unrolled: 1-line block ×3, first 2 shown]
	s_cbranch_scc1 .LBB200_1119
; %bb.1120:
	s_and_b32 s8, s37, 3
	s_cmp_eq_u32 s8, 0
	s_cbranch_scc0 .LBB200_1124
	s_branch .LBB200_1126
.LBB200_1121:
                                        ; implicit-def: $vgpr2
                                        ; implicit-def: $vgpr9
	s_branch .LBB200_1127
.LBB200_1122:
	v_mov_b32_e32 v2, 0
	v_mov_b32_e32 v9, 0
	s_branch .LBB200_1126
.LBB200_1123:
	v_mov_b32_e32 v2, 0
	v_mov_b32_e32 v9, 0
	;; [unrolled: 1-line block ×3, first 2 shown]
	s_and_b32 s8, s37, 3
	s_cmp_eq_u32 s8, 0
	s_cbranch_scc1 .LBB200_1126
.LBB200_1124:
	s_lshl_b32 s2, s36, 3
	s_add_u32 s2, s34, s2
	s_addc_u32 s3, s35, 0
	s_add_u32 s2, s2, 0xc4
	s_addc_u32 s3, s3, 0
	s_mul_i32 s6, s36, 12
	s_add_u32 s6, s34, s6
	s_addc_u32 s7, s35, 0
.LBB200_1125:                           ; =>This Inner Loop Header: Depth=1
	s_load_dwordx2 s[10:11], s[6:7], 0x4
	s_load_dword s9, s[6:7], 0xc
	s_load_dwordx2 s[12:13], s[2:3], 0x0
	s_add_u32 s6, s6, 12
	s_addc_u32 s7, s7, 0
	s_waitcnt vmcnt(0) lgkmcnt(0)
	v_mul_hi_u32 v3, s11, v1
	s_add_u32 s2, s2, 8
	s_addc_u32 s3, s3, 0
	s_add_i32 s8, s8, -1
	v_add_u32_e32 v3, v1, v3
	v_lshrrev_b32_e32 v5, s9, v3
	v_mul_lo_u32 v3, v5, s10
	s_cmp_lg_u32 s8, 0
	v_sub_u32_e32 v1, v1, v3
	v_mad_u64_u32 v[2:3], s[10:11], v1, s12, v[2:3]
	v_mad_u64_u32 v[9:10], s[10:11], v1, s13, v[9:10]
	v_mov_b32_e32 v1, v5
	s_cbranch_scc1 .LBB200_1125
.LBB200_1126:
	s_cbranch_execnz .LBB200_1129
.LBB200_1127:
	s_load_dwordx4 s[8:11], s[34:35], 0x4
	s_load_dwordx2 s[2:3], s[34:35], 0xc4
	s_cmp_lt_u32 s33, 2
	s_waitcnt lgkmcnt(0)
	v_mul_hi_u32 v1, s9, v0
	v_add_u32_e32 v1, v0, v1
	v_lshrrev_b32_e32 v1, s10, v1
	v_mul_lo_u32 v2, v1, s8
	v_sub_u32_e32 v0, v0, v2
	v_mul_lo_u32 v2, v0, s2
	v_mul_lo_u32 v9, v0, s3
	s_cbranch_scc1 .LBB200_1129
; %bb.1128:
	s_load_dwordx4 s[8:11], s[34:35], 0x10
	s_load_dwordx2 s[2:3], s[34:35], 0xcc
	s_waitcnt lgkmcnt(0)
	v_mul_hi_u32 v0, s9, v1
	v_add_u32_e32 v0, v1, v0
	v_lshrrev_b32_e32 v0, s10, v0
	v_mul_lo_u32 v0, v0, s8
	v_sub_u32_e32 v0, v1, v0
	s_waitcnt vmcnt(0)
	v_mad_u64_u32 v[2:3], s[6:7], v0, s2, v[2:3]
	v_mad_u64_u32 v[9:10], s[2:3], v0, s3, v[9:10]
.LBB200_1129:
	s_and_b64 vcc, exec, s[0:1]
	s_cbranch_vccnz .LBB200_1135
; %bb.1130:
	s_cmp_lg_u32 s33, 0
	s_mov_b32 s26, 0
	s_cbranch_scc0 .LBB200_1136
; %bb.1131:
	s_min_u32 s27, s74, 15
	s_add_i32 s27, s27, 1
	s_cmp_eq_u32 s74, 2
	s_cbranch_scc1 .LBB200_1137
; %bb.1132:
	s_and_b32 s26, s27, 28
	s_add_u32 s6, s34, 0xc4
	s_addc_u32 s7, s35, 0
	v_mov_b32_e32 v7, 0
	s_mov_b32 s36, 0
	s_mov_b64 s[24:25], s[34:35]
	v_mov_b32_e32 v0, 0
	v_mov_b32_e32 v1, v15
.LBB200_1133:                           ; =>This Inner Loop Header: Depth=1
	s_load_dwordx8 s[16:23], s[24:25], 0x4
	s_load_dwordx4 s[0:3], s[24:25], 0x24
	s_load_dwordx8 s[8:15], s[6:7], 0x0
	s_add_u32 s24, s24, 48
	s_addc_u32 s25, s25, 0
	s_waitcnt vmcnt(0) lgkmcnt(0)
	v_mul_hi_u32 v3, s17, v1
	s_add_i32 s36, s36, 4
	s_add_u32 s6, s6, 32
	s_addc_u32 s7, s7, 0
	v_add_u32_e32 v3, v1, v3
	v_lshrrev_b32_e32 v3, s18, v3
	v_mul_lo_u32 v5, v3, s16
	v_mul_hi_u32 v8, s20, v3
	s_cmp_lg_u32 s26, s36
	v_sub_u32_e32 v1, v1, v5
	v_add_u32_e32 v5, v3, v8
	v_mul_lo_u32 v8, v1, s8
	v_mul_lo_u32 v10, v1, s9
	v_lshrrev_b32_e32 v1, s21, v5
	v_mul_lo_u32 v5, v1, s19
	v_mul_hi_u32 v12, s23, v1
	v_sub_u32_e32 v3, v3, v5
	v_add_u32_e32 v5, v1, v12
	v_lshrrev_b32_e32 v5, s0, v5
	v_mul_hi_u32 v14, s2, v5
	v_mul_lo_u32 v16, v5, s22
	v_mul_lo_u32 v12, v3, s10
	;; [unrolled: 1-line block ×3, first 2 shown]
	v_sub_u32_e32 v16, v1, v16
	v_add_u32_e32 v1, v5, v14
	v_lshrrev_b32_e32 v1, s3, v1
	v_mul_lo_u32 v14, v1, s1
	v_mul_lo_u32 v17, v16, s12
	;; [unrolled: 1-line block ×3, first 2 shown]
	v_add3_u32 v0, v8, v0, v12
	v_sub_u32_e32 v5, v5, v14
	v_mul_lo_u32 v14, v5, s14
	v_mul_lo_u32 v5, v5, s15
	v_add3_u32 v3, v10, v7, v3
	v_add3_u32 v0, v17, v0, v14
	;; [unrolled: 1-line block ×3, first 2 shown]
	s_cbranch_scc1 .LBB200_1133
; %bb.1134:
	s_and_b32 s6, s27, 3
	s_cmp_eq_u32 s6, 0
	s_cbranch_scc0 .LBB200_1138
	s_branch .LBB200_1140
.LBB200_1135:
                                        ; implicit-def: $vgpr0
                                        ; implicit-def: $vgpr7
	s_branch .LBB200_1141
.LBB200_1136:
	v_mov_b32_e32 v0, 0
	v_mov_b32_e32 v7, 0
	s_branch .LBB200_1140
.LBB200_1137:
	v_mov_b32_e32 v0, 0
	v_mov_b32_e32 v7, 0
	;; [unrolled: 1-line block ×3, first 2 shown]
	s_and_b32 s6, s27, 3
	s_cmp_eq_u32 s6, 0
	s_cbranch_scc1 .LBB200_1140
.LBB200_1138:
	s_lshl_b32 s0, s26, 3
	s_add_u32 s0, s34, s0
	s_addc_u32 s1, s35, 0
	s_add_u32 s0, s0, 0xc4
	s_addc_u32 s1, s1, 0
	s_mul_i32 s2, s26, 12
	s_add_u32 s2, s34, s2
	s_addc_u32 s3, s35, 0
.LBB200_1139:                           ; =>This Inner Loop Header: Depth=1
	s_load_dwordx2 s[8:9], s[2:3], 0x4
	s_load_dword s7, s[2:3], 0xc
	s_load_dwordx2 s[10:11], s[0:1], 0x0
	s_add_u32 s2, s2, 12
	s_addc_u32 s3, s3, 0
	s_waitcnt vmcnt(0) lgkmcnt(0)
	v_mul_hi_u32 v3, s9, v1
	s_add_u32 s0, s0, 8
	s_addc_u32 s1, s1, 0
	s_add_i32 s6, s6, -1
	v_add_u32_e32 v3, v1, v3
	v_lshrrev_b32_e32 v3, s7, v3
	v_mul_lo_u32 v5, v3, s8
	s_cmp_lg_u32 s6, 0
	v_sub_u32_e32 v5, v1, v5
	v_mad_u64_u32 v[0:1], s[8:9], v5, s10, v[0:1]
	v_mad_u64_u32 v[7:8], s[8:9], v5, s11, v[7:8]
	v_mov_b32_e32 v1, v3
	s_cbranch_scc1 .LBB200_1139
.LBB200_1140:
	s_cbranch_execnz .LBB200_1143
.LBB200_1141:
	s_load_dwordx4 s[0:3], s[34:35], 0x4
	s_load_dwordx2 s[6:7], s[34:35], 0xc4
	s_cmp_lt_u32 s33, 2
	s_waitcnt lgkmcnt(0)
	v_mul_hi_u32 v0, s1, v15
	v_add_u32_e32 v0, v15, v0
	v_lshrrev_b32_e32 v1, s2, v0
	v_mul_lo_u32 v0, v1, s0
	s_waitcnt vmcnt(0)
	v_sub_u32_e32 v3, v15, v0
	v_mul_lo_u32 v0, v3, s6
	v_mul_lo_u32 v7, v3, s7
	s_cbranch_scc1 .LBB200_1143
; %bb.1142:
	s_load_dwordx4 s[0:3], s[34:35], 0x10
	s_load_dwordx2 s[6:7], s[34:35], 0xcc
	s_waitcnt lgkmcnt(0)
	v_mul_hi_u32 v3, s1, v1
	v_add_u32_e32 v3, v1, v3
	v_lshrrev_b32_e32 v3, s2, v3
	v_mul_lo_u32 v3, v3, s0
	v_sub_u32_e32 v3, v1, v3
	v_mad_u64_u32 v[0:1], s[0:1], v3, s6, v[0:1]
	v_mad_u64_u32 v[7:8], s[0:1], v3, s7, v[7:8]
.LBB200_1143:
	s_load_dword s16, s[4:5], 0x164
	s_load_dwordx4 s[8:11], s[34:35], 0x148
	s_waitcnt lgkmcnt(0)
	s_lshr_b32 s14, s16, 24
	v_mov_b32_e32 v1, s11
	v_add_co_u32_e32 v12, vcc, s10, v13
	s_cmp_lt_i32 s14, 11
	v_addc_co_u32_e32 v13, vcc, 0, v1, vcc
	s_cbranch_scc1 .LBB200_1150
; %bb.1144:
	s_and_b32 s15, 0xffff, s14
	s_cmp_gt_i32 s15, 25
	s_mov_b64 s[2:3], 0
	s_cbranch_scc0 .LBB200_1152
; %bb.1145:
	s_cmp_gt_i32 s15, 28
	s_cbranch_scc0 .LBB200_1153
; %bb.1146:
	s_cmp_gt_i32 s15, 43
	;; [unrolled: 3-line block ×3, first 2 shown]
	s_cbranch_scc0 .LBB200_1155
; %bb.1148:
	s_cmp_eq_u32 s15, 46
	s_mov_b64 s[4:5], 0
	s_cbranch_scc0 .LBB200_1158
; %bb.1149:
	global_load_dword v1, v[12:13], off
	s_mov_b64 s[0:1], 0
	s_mov_b64 s[6:7], -1
	s_waitcnt vmcnt(0)
	v_lshlrev_b32_e32 v1, 16, v1
	v_cvt_f16_f32_e32 v1, v1
	s_branch .LBB200_1159
.LBB200_1150:
	s_mov_b64 s[6:7], 0
                                        ; implicit-def: $vgpr1
	s_mov_b64 s[4:5], s[28:29]
	s_cbranch_execnz .LBB200_1222
.LBB200_1151:
	s_andn2_b64 vcc, exec, s[6:7]
	s_cbranch_vccz .LBB200_1267
	s_branch .LBB200_2088
.LBB200_1152:
	s_mov_b64 s[6:7], 0
	s_mov_b64 s[0:1], 0
                                        ; implicit-def: $vgpr1
	s_cbranch_execnz .LBB200_1187
	s_branch .LBB200_1218
.LBB200_1153:
	s_mov_b64 s[4:5], -1
	s_mov_b64 s[6:7], 0
	s_mov_b64 s[0:1], 0
                                        ; implicit-def: $vgpr1
	s_branch .LBB200_1168
.LBB200_1154:
	s_mov_b64 s[6:7], 0
	s_mov_b64 s[0:1], 0
                                        ; implicit-def: $vgpr1
	s_cbranch_execnz .LBB200_1164
	s_branch .LBB200_1167
.LBB200_1155:
	s_mov_b64 s[4:5], -1
	s_mov_b64 s[6:7], 0
	s_mov_b64 s[0:1], 0
                                        ; implicit-def: $vgpr1
	s_branch .LBB200_1159
.LBB200_1156:
	s_andn2_saveexec_b64 s[14:15], s[14:15]
	s_cbranch_execz .LBB200_999
.LBB200_1157:
	s_mov_b32 s16, 0x46000000
	v_add_f32_e64 v4, |v0|, s16
	v_and_b32_e32 v4, 0xff, v4
	v_cmp_ne_u32_e32 vcc, 0, v4
	s_andn2_b64 s[12:13], s[12:13], exec
	s_and_b64 s[16:17], vcc, exec
	s_or_b64 s[12:13], s[12:13], s[16:17]
	s_or_b64 exec, exec, s[14:15]
	v_mov_b32_e32 v5, 0
	s_and_saveexec_b64 s[14:15], s[12:13]
	s_cbranch_execnz .LBB200_1000
	s_branch .LBB200_1001
.LBB200_1158:
	s_mov_b64 s[0:1], -1
                                        ; implicit-def: $vgpr1
	s_mov_b64 s[6:7], 0
.LBB200_1159:
	s_and_b64 vcc, exec, s[4:5]
	s_cbranch_vccz .LBB200_1162
; %bb.1160:
	s_cmp_eq_u32 s15, 44
	s_cbranch_scc0 .LBB200_1163
; %bb.1161:
	global_load_ubyte v1, v[12:13], off
	s_movk_i32 s4, 0xff
	v_mov_b32_e32 v5, 0x7e00
	s_mov_b64 s[0:1], 0
	s_mov_b64 s[6:7], -1
	s_waitcnt vmcnt(0)
	v_lshlrev_b32_e32 v3, 23, v1
	v_cvt_f16_f32_e32 v3, v3
	v_cmp_ne_u32_e32 vcc, s4, v1
	v_cndmask_b32_e32 v3, v5, v3, vcc
	v_cmp_ne_u32_e32 vcc, 0, v1
	v_cndmask_b32_e32 v1, 0, v3, vcc
.LBB200_1162:
	s_branch .LBB200_1167
.LBB200_1163:
	s_mov_b64 s[0:1], -1
                                        ; implicit-def: $vgpr1
	s_branch .LBB200_1167
.LBB200_1164:
	s_cmp_eq_u32 s15, 29
	s_cbranch_scc0 .LBB200_1166
; %bb.1165:
	global_load_dwordx2 v[14:15], v[12:13], off
	s_mov_b64 s[0:1], 0
	s_mov_b64 s[6:7], -1
	s_mov_b64 s[4:5], 0
	s_waitcnt vmcnt(0)
	v_ffbh_u32_e32 v1, v15
	v_min_u32_e32 v1, 32, v1
	v_lshlrev_b64 v[14:15], v1, v[14:15]
	v_sub_u32_e32 v1, 32, v1
	v_min_u32_e32 v3, 1, v14
	v_or_b32_e32 v3, v15, v3
	v_cvt_f32_u32_e32 v3, v3
	v_ldexp_f32 v1, v3, v1
	v_cvt_f16_f32_e32 v1, v1
	s_branch .LBB200_1168
.LBB200_1166:
	s_mov_b64 s[0:1], -1
                                        ; implicit-def: $vgpr1
.LBB200_1167:
	s_mov_b64 s[4:5], 0
.LBB200_1168:
	s_and_b64 vcc, exec, s[4:5]
	s_cbranch_vccz .LBB200_1186
; %bb.1169:
	s_cmp_lt_i32 s15, 27
	s_cbranch_scc1 .LBB200_1172
; %bb.1170:
	s_cmp_gt_i32 s15, 27
	s_cbranch_scc0 .LBB200_1173
; %bb.1171:
	global_load_dword v1, v[12:13], off
	s_mov_b64 s[4:5], 0
	s_waitcnt vmcnt(0)
	v_cvt_f32_u32_e32 v1, v1
	v_cvt_f16_f32_e32 v1, v1
	s_branch .LBB200_1174
.LBB200_1172:
	s_mov_b64 s[4:5], -1
                                        ; implicit-def: $vgpr1
	s_branch .LBB200_1177
.LBB200_1173:
	s_mov_b64 s[4:5], -1
                                        ; implicit-def: $vgpr1
.LBB200_1174:
	s_andn2_b64 vcc, exec, s[4:5]
	s_cbranch_vccnz .LBB200_1176
; %bb.1175:
	global_load_ushort v1, v[12:13], off
	s_waitcnt vmcnt(0)
	v_cvt_f16_u16_e32 v1, v1
.LBB200_1176:
	s_mov_b64 s[4:5], 0
.LBB200_1177:
	s_andn2_b64 vcc, exec, s[4:5]
	s_cbranch_vccnz .LBB200_1185
; %bb.1178:
	global_load_ubyte v3, v[12:13], off
	s_movk_i32 s4, 0x7f
	s_waitcnt vmcnt(0)
	v_cmp_lt_i16_e32 vcc, s4, v3
	s_mov_b64 s[4:5], 0
	s_and_saveexec_b64 s[6:7], vcc
	s_xor_b64 s[6:7], exec, s[6:7]
	s_cbranch_execz .LBB200_1198
; %bb.1179:
	s_movk_i32 s4, 0x80
	v_cmp_eq_u16_e32 vcc, s4, v3
	s_mov_b64 s[4:5], -1
	s_and_saveexec_b64 s[12:13], vcc
; %bb.1180:
	s_xor_b64 s[4:5], exec, -1
; %bb.1181:
	s_or_b64 exec, exec, s[12:13]
	s_and_b64 s[4:5], s[4:5], exec
	s_or_saveexec_b64 s[6:7], s[6:7]
	v_mov_b32_e32 v1, 0x7e00
	s_xor_b64 exec, exec, s[6:7]
	s_cbranch_execnz .LBB200_1199
.LBB200_1182:
	s_or_b64 exec, exec, s[6:7]
	s_and_saveexec_b64 s[6:7], s[4:5]
	s_cbranch_execz .LBB200_1184
.LBB200_1183:
	v_lshlrev_b32_e32 v1, 24, v3
	v_and_b32_e32 v3, 0xffff, v3
	v_and_b32_e32 v5, 7, v3
	v_ffbh_u32_e32 v10, v5
	v_min_u32_e32 v10, 32, v10
	v_subrev_u32_e32 v14, 28, v10
	v_bfe_u32 v8, v3, 3, 4
	v_lshlrev_b32_e32 v3, v14, v3
	v_sub_u32_e32 v10, 29, v10
	v_and_b32_e32 v3, 7, v3
	v_cmp_eq_u32_e32 vcc, 0, v8
	v_cndmask_b32_e32 v8, v8, v10, vcc
	v_cndmask_b32_e32 v3, v5, v3, vcc
	v_mov_b32_e32 v5, 0x3b800000
	v_lshlrev_b32_e32 v3, 20, v3
	v_and_b32_e32 v1, 0x80000000, v1
	v_lshl_add_u32 v5, v8, 23, v5
	v_or3_b32 v1, v1, v5, v3
	v_cvt_f16_f32_e32 v1, v1
.LBB200_1184:
	s_or_b64 exec, exec, s[6:7]
.LBB200_1185:
	s_mov_b64 s[6:7], -1
.LBB200_1186:
	s_branch .LBB200_1218
.LBB200_1187:
	s_cmp_gt_i32 s15, 22
	s_cbranch_scc0 .LBB200_1197
; %bb.1188:
	s_cmp_lt_i32 s15, 24
	s_cbranch_scc1 .LBB200_1200
; %bb.1189:
	s_cmp_gt_i32 s15, 24
	s_cbranch_scc0 .LBB200_1201
; %bb.1190:
	global_load_ubyte v3, v[12:13], off
	s_movk_i32 s2, 0x7f
	s_waitcnt vmcnt(0)
	v_cmp_lt_i16_e32 vcc, s2, v3
	s_mov_b64 s[2:3], 0
	s_and_saveexec_b64 s[4:5], vcc
	s_xor_b64 s[4:5], exec, s[4:5]
	s_cbranch_execz .LBB200_1212
; %bb.1191:
	s_movk_i32 s2, 0x80
	v_cmp_eq_u16_e32 vcc, s2, v3
	s_mov_b64 s[2:3], -1
	s_and_saveexec_b64 s[6:7], vcc
; %bb.1192:
	s_xor_b64 s[2:3], exec, -1
; %bb.1193:
	s_or_b64 exec, exec, s[6:7]
	s_and_b64 s[2:3], s[2:3], exec
	s_or_saveexec_b64 s[4:5], s[4:5]
	v_mov_b32_e32 v1, 0x7e00
	s_xor_b64 exec, exec, s[4:5]
	s_cbranch_execnz .LBB200_1213
.LBB200_1194:
	s_or_b64 exec, exec, s[4:5]
	s_and_saveexec_b64 s[4:5], s[2:3]
	s_cbranch_execz .LBB200_1196
.LBB200_1195:
	v_lshlrev_b32_e32 v1, 24, v3
	v_and_b32_e32 v3, 0xffff, v3
	v_and_b32_e32 v5, 3, v3
	v_ffbh_u32_e32 v10, v5
	v_min_u32_e32 v10, 32, v10
	v_subrev_u32_e32 v14, 29, v10
	v_bfe_u32 v8, v3, 2, 5
	v_lshlrev_b32_e32 v3, v14, v3
	v_sub_u32_e32 v10, 30, v10
	v_and_b32_e32 v3, 3, v3
	v_cmp_eq_u32_e32 vcc, 0, v8
	v_cndmask_b32_e32 v8, v8, v10, vcc
	v_cndmask_b32_e32 v3, v5, v3, vcc
	v_mov_b32_e32 v5, 0x37800000
	v_lshlrev_b32_e32 v3, 21, v3
	v_and_b32_e32 v1, 0x80000000, v1
	v_lshl_add_u32 v5, v8, 23, v5
	v_or3_b32 v1, v1, v5, v3
	v_cvt_f16_f32_e32 v1, v1
.LBB200_1196:
	s_or_b64 exec, exec, s[4:5]
	s_mov_b64 s[2:3], 0
	s_branch .LBB200_1202
.LBB200_1197:
                                        ; implicit-def: $vgpr1
	s_mov_b64 s[2:3], 0
	s_branch .LBB200_1208
.LBB200_1198:
	s_or_saveexec_b64 s[6:7], s[6:7]
	v_mov_b32_e32 v1, 0x7e00
	s_xor_b64 exec, exec, s[6:7]
	s_cbranch_execz .LBB200_1182
.LBB200_1199:
	v_cmp_ne_u16_e32 vcc, 0, v3
	s_andn2_b64 s[4:5], s[4:5], exec
	s_and_b64 s[12:13], vcc, exec
	s_or_b64 s[4:5], s[4:5], s[12:13]
	v_mov_b32_e32 v1, v3
	s_or_b64 exec, exec, s[6:7]
	s_and_saveexec_b64 s[6:7], s[4:5]
	s_cbranch_execnz .LBB200_1183
	s_branch .LBB200_1184
.LBB200_1200:
	s_mov_b64 s[2:3], -1
                                        ; implicit-def: $vgpr1
	s_branch .LBB200_1205
.LBB200_1201:
	s_mov_b64 s[2:3], -1
                                        ; implicit-def: $vgpr1
.LBB200_1202:
	s_and_b64 vcc, exec, s[2:3]
	s_cbranch_vccz .LBB200_1204
; %bb.1203:
	global_load_ubyte v1, v[12:13], off
	s_mov_b32 s2, 0x7f800000
	s_waitcnt vmcnt(0)
	v_lshlrev_b32_e32 v1, 24, v1
	v_and_b32_e32 v3, 0x7f000000, v1
	v_ffbh_u32_e32 v5, v3
	v_min_u32_e32 v5, 32, v5
	v_sub_u32_e64 v5, v5, 4 clamp
	v_lshlrev_b32_e32 v10, v5, v3
	v_lshlrev_b32_e32 v5, 23, v5
	v_lshrrev_b32_e32 v10, 4, v10
	v_add_u32_e32 v8, 0x1000000, v3
	v_sub_u32_e32 v5, v10, v5
	v_ashrrev_i32_e32 v8, 8, v8
	v_add_u32_e32 v5, 0x3c000000, v5
	v_and_or_b32 v5, v8, s2, v5
	v_cmp_ne_u32_e32 vcc, 0, v3
	v_cndmask_b32_e32 v3, 0, v5, vcc
	s_brev_b32 s2, 1
	v_and_or_b32 v1, v1, s2, v3
	v_cvt_f16_f32_e32 v1, v1
.LBB200_1204:
	s_mov_b64 s[2:3], 0
.LBB200_1205:
	s_andn2_b64 vcc, exec, s[2:3]
	s_cbranch_vccnz .LBB200_1207
; %bb.1206:
	global_load_ubyte v1, v[12:13], off
	s_movk_i32 s2, 0x7f00
	s_brev_b32 s3, 16
	s_waitcnt vmcnt(0)
	v_lshlrev_b16_e32 v3, 8, v1
	v_lshlrev_b32_e32 v1, 25, v1
	v_lshrrev_b32_e32 v5, 4, v1
	v_and_or_b32 v8, v3, s2, 0.5
	v_or_b32_e32 v5, 0x70000000, v5
	v_add_f32_e32 v8, -0.5, v8
	v_mul_f32_e32 v5, 0x7800000, v5
	v_cmp_gt_u32_e32 vcc, s3, v1
	v_bfe_i32 v3, v3, 0, 16
	v_cndmask_b32_e32 v1, v5, v8, vcc
	s_brev_b32 s2, 1
	v_and_or_b32 v1, v3, s2, v1
	v_cvt_f16_f32_e32 v1, v1
.LBB200_1207:
	s_mov_b64 s[6:7], -1
	s_mov_b64 s[2:3], 0
	s_cbranch_execnz .LBB200_1218
.LBB200_1208:
	s_cmp_gt_i32 s15, 14
	s_cbranch_scc0 .LBB200_1211
; %bb.1209:
	s_cmp_eq_u32 s15, 15
	s_cbranch_scc0 .LBB200_1214
; %bb.1210:
	global_load_ushort v1, v[12:13], off
	s_mov_b64 s[0:1], 0
	s_mov_b64 s[6:7], -1
	s_waitcnt vmcnt(0)
	v_lshlrev_b32_e32 v1, 16, v1
	v_cvt_f16_f32_e32 v1, v1
	s_branch .LBB200_1215
.LBB200_1211:
	s_mov_b64 s[4:5], -1
                                        ; implicit-def: $vgpr1
	s_branch .LBB200_1216
.LBB200_1212:
	s_or_saveexec_b64 s[4:5], s[4:5]
	v_mov_b32_e32 v1, 0x7e00
	s_xor_b64 exec, exec, s[4:5]
	s_cbranch_execz .LBB200_1194
.LBB200_1213:
	v_cmp_ne_u16_e32 vcc, 0, v3
	s_andn2_b64 s[2:3], s[2:3], exec
	s_and_b64 s[6:7], vcc, exec
	s_or_b64 s[2:3], s[2:3], s[6:7]
	v_mov_b32_e32 v1, v3
	s_or_b64 exec, exec, s[4:5]
	s_and_saveexec_b64 s[4:5], s[2:3]
	s_cbranch_execnz .LBB200_1195
	s_branch .LBB200_1196
.LBB200_1214:
	s_mov_b64 s[0:1], -1
                                        ; implicit-def: $vgpr1
.LBB200_1215:
	s_mov_b64 s[4:5], 0
.LBB200_1216:
	s_and_b64 vcc, exec, s[4:5]
	s_cbranch_vccz .LBB200_1218
; %bb.1217:
	s_cmp_lg_u32 s15, 11
	s_mov_b64 s[2:3], -1
	s_cselect_b64 s[0:1], -1, 0
.LBB200_1218:
	s_and_b64 vcc, exec, s[0:1]
	s_mov_b64 s[4:5], s[28:29]
	s_cbranch_vccnz .LBB200_1279
; %bb.1219:
	s_andn2_b64 vcc, exec, s[2:3]
	s_cbranch_vccnz .LBB200_1221
.LBB200_1220:
	global_load_ubyte v1, v[12:13], off
	s_waitcnt vmcnt(1)
	v_mov_b32_e32 v3, 0x3c00
	s_mov_b64 s[6:7], -1
	s_waitcnt vmcnt(0)
	v_cmp_ne_u16_e32 vcc, 0, v1
	v_cndmask_b32_e32 v1, 0, v3, vcc
.LBB200_1221:
	s_branch .LBB200_1151
.LBB200_1222:
	s_and_b32 s2, 0xffff, s14
	s_cmp_lt_i32 s2, 5
	s_cbranch_scc1 .LBB200_1227
; %bb.1223:
	s_cmp_lt_i32 s2, 8
	s_cbranch_scc1 .LBB200_1228
; %bb.1224:
	;; [unrolled: 3-line block ×3, first 2 shown]
	s_cmp_gt_i32 s2, 9
	s_cbranch_scc0 .LBB200_1230
; %bb.1226:
	global_load_dwordx2 v[14:15], v[12:13], off
	s_movk_i32 s0, 0x1ff
	s_movk_i32 s1, 0xffe
	v_mov_b32_e32 v1, 0x7c00
	s_waitcnt vmcnt(1)
	v_mov_b32_e32 v3, 0x7e00
	s_movk_i32 s3, 0x40f
	s_mov_b32 s6, 0x8000
	s_waitcnt vmcnt(0)
	v_and_or_b32 v5, v15, s0, v14
	v_cmp_ne_u32_e32 vcc, 0, v5
	v_lshrrev_b32_e32 v8, 8, v15
	v_bfe_u32 v10, v15, 20, 11
	v_cndmask_b32_e64 v5, 0, 1, vcc
	v_lshrrev_b32_e32 v14, 16, v15
	v_sub_u32_e32 v15, 0x3f1, v10
	v_and_or_b32 v5, v8, s1, v5
	v_add_u32_e32 v10, 0xfffffc10, v10
	v_med3_i32 v8, v15, 0, 13
	v_or_b32_e32 v15, 0x1000, v5
	v_lshl_or_b32 v16, v10, 12, v5
	v_cmp_ne_u32_e32 vcc, 0, v5
	v_lshrrev_b32_e32 v5, v8, v15
	v_lshlrev_b32_e32 v8, v8, v5
	v_cndmask_b32_e32 v3, v1, v3, vcc
	v_cmp_ne_u32_e32 vcc, v8, v15
	v_cndmask_b32_e64 v8, 0, 1, vcc
	v_or_b32_e32 v5, v5, v8
	v_cmp_gt_i32_e32 vcc, 1, v10
	v_cndmask_b32_e32 v5, v16, v5, vcc
	v_and_b32_e32 v8, 7, v5
	v_cmp_lt_i32_e32 vcc, 5, v8
	v_cndmask_b32_e64 v15, 0, 1, vcc
	v_cmp_eq_u32_e32 vcc, 3, v8
	v_cndmask_b32_e64 v8, 0, 1, vcc
	v_lshrrev_b32_e32 v5, 2, v5
	v_or_b32_e32 v8, v8, v15
	v_add_u32_e32 v5, v5, v8
	v_cmp_gt_i32_e32 vcc, 31, v10
	v_cndmask_b32_e32 v1, v1, v5, vcc
	v_cmp_eq_u32_e32 vcc, s3, v10
	v_cndmask_b32_e32 v1, v1, v3, vcc
	v_and_or_b32 v1, v14, s6, v1
	s_mov_b64 s[0:1], 0
	s_branch .LBB200_1231
.LBB200_1227:
                                        ; implicit-def: $vgpr1
	s_branch .LBB200_1248
.LBB200_1228:
                                        ; implicit-def: $vgpr1
	s_branch .LBB200_1237
.LBB200_1229:
	s_mov_b64 s[0:1], -1
                                        ; implicit-def: $vgpr1
	s_branch .LBB200_1234
.LBB200_1230:
	s_mov_b64 s[0:1], -1
                                        ; implicit-def: $vgpr1
.LBB200_1231:
	s_andn2_b64 vcc, exec, s[0:1]
	s_cbranch_vccnz .LBB200_1233
; %bb.1232:
	global_load_dword v1, v[12:13], off
	s_waitcnt vmcnt(0)
	v_cvt_f16_f32_e32 v1, v1
.LBB200_1233:
	s_mov_b64 s[0:1], 0
.LBB200_1234:
	s_andn2_b64 vcc, exec, s[0:1]
	s_cbranch_vccnz .LBB200_1236
; %bb.1235:
	global_load_dword v1, v[12:13], off
.LBB200_1236:
	s_cbranch_execnz .LBB200_1247
.LBB200_1237:
	s_cmp_lt_i32 s2, 6
	s_cbranch_scc1 .LBB200_1240
; %bb.1238:
	s_cmp_gt_i32 s2, 6
	s_cbranch_scc0 .LBB200_1241
; %bb.1239:
	global_load_dwordx2 v[14:15], v[12:13], off
	s_movk_i32 s0, 0x1ff
	s_movk_i32 s1, 0xffe
	s_waitcnt vmcnt(1)
	v_mov_b32_e32 v1, 0x7c00
	v_mov_b32_e32 v3, 0x7e00
	s_movk_i32 s3, 0x40f
	s_mov_b32 s6, 0x8000
	s_waitcnt vmcnt(0)
	v_and_or_b32 v5, v15, s0, v14
	v_cmp_ne_u32_e32 vcc, 0, v5
	v_lshrrev_b32_e32 v8, 8, v15
	v_bfe_u32 v10, v15, 20, 11
	v_cndmask_b32_e64 v5, 0, 1, vcc
	v_lshrrev_b32_e32 v14, 16, v15
	v_sub_u32_e32 v15, 0x3f1, v10
	v_and_or_b32 v5, v8, s1, v5
	v_add_u32_e32 v10, 0xfffffc10, v10
	v_med3_i32 v8, v15, 0, 13
	v_or_b32_e32 v15, 0x1000, v5
	v_lshl_or_b32 v16, v10, 12, v5
	v_cmp_ne_u32_e32 vcc, 0, v5
	v_lshrrev_b32_e32 v5, v8, v15
	v_lshlrev_b32_e32 v8, v8, v5
	v_cndmask_b32_e32 v3, v1, v3, vcc
	v_cmp_ne_u32_e32 vcc, v8, v15
	v_cndmask_b32_e64 v8, 0, 1, vcc
	v_or_b32_e32 v5, v5, v8
	v_cmp_gt_i32_e32 vcc, 1, v10
	v_cndmask_b32_e32 v5, v16, v5, vcc
	v_and_b32_e32 v8, 7, v5
	v_cmp_lt_i32_e32 vcc, 5, v8
	v_cndmask_b32_e64 v15, 0, 1, vcc
	v_cmp_eq_u32_e32 vcc, 3, v8
	v_cndmask_b32_e64 v8, 0, 1, vcc
	v_lshrrev_b32_e32 v5, 2, v5
	v_or_b32_e32 v8, v8, v15
	v_add_u32_e32 v5, v5, v8
	v_cmp_gt_i32_e32 vcc, 31, v10
	v_cndmask_b32_e32 v1, v1, v5, vcc
	v_cmp_eq_u32_e32 vcc, s3, v10
	v_cndmask_b32_e32 v1, v1, v3, vcc
	v_and_or_b32 v1, v14, s6, v1
	s_mov_b64 s[0:1], 0
	s_branch .LBB200_1242
.LBB200_1240:
	s_mov_b64 s[0:1], -1
                                        ; implicit-def: $vgpr1
	s_branch .LBB200_1245
.LBB200_1241:
	s_mov_b64 s[0:1], -1
                                        ; implicit-def: $vgpr1
.LBB200_1242:
	s_andn2_b64 vcc, exec, s[0:1]
	s_cbranch_vccnz .LBB200_1244
; %bb.1243:
	global_load_dword v1, v[12:13], off
	s_waitcnt vmcnt(0)
	v_cvt_f16_f32_e32 v1, v1
.LBB200_1244:
	s_mov_b64 s[0:1], 0
.LBB200_1245:
	s_andn2_b64 vcc, exec, s[0:1]
	s_cbranch_vccnz .LBB200_1247
; %bb.1246:
	global_load_ushort v1, v[12:13], off
.LBB200_1247:
	s_cbranch_execnz .LBB200_1266
.LBB200_1248:
	s_cmp_lt_i32 s2, 2
	s_cbranch_scc1 .LBB200_1252
; %bb.1249:
	s_cmp_lt_i32 s2, 3
	s_cbranch_scc1 .LBB200_1253
; %bb.1250:
	s_cmp_gt_i32 s2, 3
	s_cbranch_scc0 .LBB200_1254
; %bb.1251:
	global_load_dwordx2 v[14:15], v[12:13], off
	s_mov_b64 s[0:1], 0
	s_waitcnt vmcnt(0)
	v_xor_b32_e32 v3, v14, v15
	v_ffbh_i32_e32 v1, v15
	v_ashrrev_i32_e32 v3, 31, v3
	v_add_u32_e32 v1, -1, v1
	v_add_u32_e32 v3, 32, v3
	v_min_u32_e32 v1, v1, v3
	v_lshlrev_b64 v[14:15], v1, v[14:15]
	v_sub_u32_e32 v1, 32, v1
	v_min_u32_e32 v3, 1, v14
	v_or_b32_e32 v3, v15, v3
	v_cvt_f32_i32_e32 v3, v3
	v_ldexp_f32 v1, v3, v1
	v_cvt_f16_f32_e32 v1, v1
	s_branch .LBB200_1255
.LBB200_1252:
                                        ; implicit-def: $vgpr1
	s_branch .LBB200_1261
.LBB200_1253:
	s_mov_b64 s[0:1], -1
                                        ; implicit-def: $vgpr1
	s_branch .LBB200_1258
.LBB200_1254:
	s_mov_b64 s[0:1], -1
                                        ; implicit-def: $vgpr1
.LBB200_1255:
	s_andn2_b64 vcc, exec, s[0:1]
	s_cbranch_vccnz .LBB200_1257
; %bb.1256:
	global_load_dword v1, v[12:13], off
	s_waitcnt vmcnt(0)
	v_cvt_f32_i32_e32 v1, v1
	v_cvt_f16_f32_e32 v1, v1
.LBB200_1257:
	s_mov_b64 s[0:1], 0
.LBB200_1258:
	s_andn2_b64 vcc, exec, s[0:1]
	s_cbranch_vccnz .LBB200_1260
; %bb.1259:
	global_load_ushort v1, v[12:13], off
	s_waitcnt vmcnt(0)
	v_cvt_f16_i16_e32 v1, v1
.LBB200_1260:
	s_cbranch_execnz .LBB200_1266
.LBB200_1261:
	s_cmp_gt_i32 s2, 0
	s_cbranch_scc0 .LBB200_1263
; %bb.1262:
	global_load_sbyte v1, v[12:13], off
	s_mov_b64 s[0:1], 0
	s_waitcnt vmcnt(0)
	v_cvt_f16_i16_e32 v1, v1
	s_branch .LBB200_1264
.LBB200_1263:
	s_mov_b64 s[0:1], -1
                                        ; implicit-def: $vgpr1
.LBB200_1264:
	s_andn2_b64 vcc, exec, s[0:1]
	s_cbranch_vccnz .LBB200_1266
; %bb.1265:
	global_load_ubyte v1, v[12:13], off
	s_waitcnt vmcnt(0)
	v_cvt_f16_u16_e32 v1, v1
.LBB200_1266:
.LBB200_1267:
	s_waitcnt vmcnt(0)
	v_mov_b32_e32 v3, s11
	s_and_b32 s17, 0xffff, s14
	v_add_co_u32_e32 v10, vcc, s10, v11
	s_cmp_lt_i32 s17, 11
	v_addc_co_u32_e32 v11, vcc, 0, v3, vcc
	s_cbranch_scc1 .LBB200_1274
; %bb.1268:
	s_cmp_gt_i32 s17, 25
	s_mov_b64 s[2:3], 0
	s_cbranch_scc0 .LBB200_1276
; %bb.1269:
	s_cmp_gt_i32 s17, 28
	s_cbranch_scc0 .LBB200_1277
; %bb.1270:
	s_cmp_gt_i32 s17, 43
	;; [unrolled: 3-line block ×3, first 2 shown]
	s_cbranch_scc0 .LBB200_1280
; %bb.1272:
	s_cmp_eq_u32 s17, 46
	s_mov_b64 s[12:13], 0
	s_cbranch_scc0 .LBB200_1283
; %bb.1273:
	global_load_dword v3, v[10:11], off
	s_mov_b64 s[0:1], 0
	s_mov_b64 s[6:7], -1
	s_waitcnt vmcnt(0)
	v_lshlrev_b32_e32 v3, 16, v3
	v_cvt_f16_f32_e32 v3, v3
	s_branch .LBB200_1284
.LBB200_1274:
	s_mov_b64 s[6:7], 0
                                        ; implicit-def: $vgpr3
	s_cbranch_execnz .LBB200_1349
.LBB200_1275:
	s_andn2_b64 vcc, exec, s[6:7]
	s_cbranch_vccnz .LBB200_2088
	s_branch .LBB200_1396
.LBB200_1276:
	s_mov_b64 s[6:7], 0
	s_mov_b64 s[0:1], 0
                                        ; implicit-def: $vgpr3
	s_cbranch_execnz .LBB200_1313
	s_branch .LBB200_1345
.LBB200_1277:
	s_mov_b64 s[12:13], -1
	s_mov_b64 s[6:7], 0
	s_mov_b64 s[0:1], 0
                                        ; implicit-def: $vgpr3
	s_branch .LBB200_1294
.LBB200_1278:
	s_mov_b64 s[12:13], -1
	s_mov_b64 s[6:7], 0
	s_mov_b64 s[0:1], 0
                                        ; implicit-def: $vgpr3
	s_branch .LBB200_1289
.LBB200_1279:
	s_or_b64 s[4:5], s[28:29], exec
	s_trap 2
	s_cbranch_execz .LBB200_1220
	s_branch .LBB200_1221
.LBB200_1280:
	s_mov_b64 s[12:13], -1
	s_mov_b64 s[6:7], 0
	s_mov_b64 s[0:1], 0
                                        ; implicit-def: $vgpr3
	s_branch .LBB200_1284
.LBB200_1281:
	s_andn2_saveexec_b64 s[16:17], s[16:17]
	s_cbranch_execz .LBB200_1011
.LBB200_1282:
	s_mov_b32 s20, 0x42800000
	v_add_f32_e64 v4, |v0|, s20
	v_and_b32_e32 v4, 0xff, v4
	v_cmp_ne_u32_e32 vcc, 0, v4
	s_andn2_b64 s[14:15], s[14:15], exec
	s_and_b64 s[20:21], vcc, exec
	s_or_b64 s[14:15], s[14:15], s[20:21]
	s_or_b64 exec, exec, s[16:17]
	v_mov_b32_e32 v5, 0
	s_and_saveexec_b64 s[16:17], s[14:15]
	s_cbranch_execnz .LBB200_1012
	s_branch .LBB200_1013
.LBB200_1283:
	s_mov_b64 s[0:1], -1
                                        ; implicit-def: $vgpr3
	s_mov_b64 s[6:7], 0
.LBB200_1284:
	s_and_b64 vcc, exec, s[12:13]
	s_cbranch_vccz .LBB200_1288
; %bb.1285:
	s_cmp_eq_u32 s17, 44
	s_cbranch_scc0 .LBB200_1287
; %bb.1286:
	global_load_ubyte v3, v[10:11], off
	s_movk_i32 s6, 0xff
	v_mov_b32_e32 v8, 0x7e00
	s_mov_b64 s[0:1], 0
	s_waitcnt vmcnt(0)
	v_lshlrev_b32_e32 v5, 23, v3
	v_cvt_f16_f32_e32 v5, v5
	v_cmp_ne_u32_e32 vcc, s6, v3
	s_mov_b64 s[6:7], -1
	v_cndmask_b32_e32 v5, v8, v5, vcc
	v_cmp_ne_u32_e32 vcc, 0, v3
	v_cndmask_b32_e32 v3, 0, v5, vcc
	s_branch .LBB200_1288
.LBB200_1287:
	s_mov_b64 s[0:1], -1
                                        ; implicit-def: $vgpr3
.LBB200_1288:
	s_mov_b64 s[12:13], 0
.LBB200_1289:
	s_and_b64 vcc, exec, s[12:13]
	s_cbranch_vccz .LBB200_1293
; %bb.1290:
	s_cmp_eq_u32 s17, 29
	s_cbranch_scc0 .LBB200_1292
; %bb.1291:
	global_load_dwordx2 v[12:13], v[10:11], off
	s_mov_b64 s[0:1], 0
	s_mov_b64 s[6:7], -1
	s_mov_b64 s[12:13], 0
	s_waitcnt vmcnt(0)
	v_ffbh_u32_e32 v3, v13
	v_min_u32_e32 v3, 32, v3
	v_lshlrev_b64 v[12:13], v3, v[12:13]
	v_sub_u32_e32 v3, 32, v3
	v_min_u32_e32 v5, 1, v12
	v_or_b32_e32 v5, v13, v5
	v_cvt_f32_u32_e32 v5, v5
	v_ldexp_f32 v3, v5, v3
	v_cvt_f16_f32_e32 v3, v3
	s_branch .LBB200_1294
.LBB200_1292:
	s_mov_b64 s[0:1], -1
                                        ; implicit-def: $vgpr3
.LBB200_1293:
	s_mov_b64 s[12:13], 0
.LBB200_1294:
	s_and_b64 vcc, exec, s[12:13]
	s_cbranch_vccz .LBB200_1312
; %bb.1295:
	s_cmp_lt_i32 s17, 27
	s_cbranch_scc1 .LBB200_1298
; %bb.1296:
	s_cmp_gt_i32 s17, 27
	s_cbranch_scc0 .LBB200_1299
; %bb.1297:
	global_load_dword v3, v[10:11], off
	s_mov_b64 s[6:7], 0
	s_waitcnt vmcnt(0)
	v_cvt_f32_u32_e32 v3, v3
	v_cvt_f16_f32_e32 v3, v3
	s_branch .LBB200_1300
.LBB200_1298:
	s_mov_b64 s[6:7], -1
                                        ; implicit-def: $vgpr3
	s_branch .LBB200_1303
.LBB200_1299:
	s_mov_b64 s[6:7], -1
                                        ; implicit-def: $vgpr3
.LBB200_1300:
	s_andn2_b64 vcc, exec, s[6:7]
	s_cbranch_vccnz .LBB200_1302
; %bb.1301:
	global_load_ushort v3, v[10:11], off
	s_waitcnt vmcnt(0)
	v_cvt_f16_u16_e32 v3, v3
.LBB200_1302:
	s_mov_b64 s[6:7], 0
.LBB200_1303:
	s_andn2_b64 vcc, exec, s[6:7]
	s_cbranch_vccnz .LBB200_1311
; %bb.1304:
	global_load_ubyte v5, v[10:11], off
	s_movk_i32 s6, 0x7f
	s_waitcnt vmcnt(0)
	v_cmp_lt_i16_e32 vcc, s6, v5
	s_mov_b64 s[6:7], 0
	s_and_saveexec_b64 s[12:13], vcc
	s_xor_b64 s[12:13], exec, s[12:13]
	s_cbranch_execz .LBB200_1324
; %bb.1305:
	s_movk_i32 s6, 0x80
	v_cmp_eq_u16_e32 vcc, s6, v5
	s_mov_b64 s[6:7], -1
	s_and_saveexec_b64 s[14:15], vcc
; %bb.1306:
	s_xor_b64 s[6:7], exec, -1
; %bb.1307:
	s_or_b64 exec, exec, s[14:15]
	s_and_b64 s[6:7], s[6:7], exec
	s_or_saveexec_b64 s[12:13], s[12:13]
	v_mov_b32_e32 v3, 0x7e00
	s_xor_b64 exec, exec, s[12:13]
	s_cbranch_execnz .LBB200_1325
.LBB200_1308:
	s_or_b64 exec, exec, s[12:13]
	s_and_saveexec_b64 s[12:13], s[6:7]
	s_cbranch_execz .LBB200_1310
.LBB200_1309:
	v_lshlrev_b32_e32 v3, 24, v5
	v_and_b32_e32 v5, 0xffff, v5
	v_and_b32_e32 v8, 7, v5
	v_ffbh_u32_e32 v13, v8
	v_min_u32_e32 v13, 32, v13
	v_subrev_u32_e32 v14, 28, v13
	v_bfe_u32 v12, v5, 3, 4
	v_lshlrev_b32_e32 v5, v14, v5
	v_sub_u32_e32 v13, 29, v13
	v_and_b32_e32 v5, 7, v5
	v_cmp_eq_u32_e32 vcc, 0, v12
	v_cndmask_b32_e32 v12, v12, v13, vcc
	v_cndmask_b32_e32 v5, v8, v5, vcc
	v_mov_b32_e32 v8, 0x3b800000
	v_lshlrev_b32_e32 v5, 20, v5
	v_and_b32_e32 v3, 0x80000000, v3
	v_lshl_add_u32 v8, v12, 23, v8
	v_or3_b32 v3, v3, v8, v5
	v_cvt_f16_f32_e32 v3, v3
.LBB200_1310:
	s_or_b64 exec, exec, s[12:13]
.LBB200_1311:
	s_mov_b64 s[6:7], -1
.LBB200_1312:
	s_branch .LBB200_1345
.LBB200_1313:
	s_cmp_gt_i32 s17, 22
	s_cbranch_scc0 .LBB200_1323
; %bb.1314:
	s_cmp_lt_i32 s17, 24
	s_cbranch_scc1 .LBB200_1326
; %bb.1315:
	s_cmp_gt_i32 s17, 24
	s_cbranch_scc0 .LBB200_1327
; %bb.1316:
	global_load_ubyte v5, v[10:11], off
	s_movk_i32 s2, 0x7f
	s_waitcnt vmcnt(0)
	v_cmp_lt_i16_e32 vcc, s2, v5
	s_mov_b64 s[2:3], 0
	s_and_saveexec_b64 s[6:7], vcc
	s_xor_b64 s[6:7], exec, s[6:7]
	s_cbranch_execz .LBB200_1339
; %bb.1317:
	s_movk_i32 s2, 0x80
	v_cmp_eq_u16_e32 vcc, s2, v5
	s_mov_b64 s[2:3], -1
	s_and_saveexec_b64 s[12:13], vcc
; %bb.1318:
	s_xor_b64 s[2:3], exec, -1
; %bb.1319:
	s_or_b64 exec, exec, s[12:13]
	s_and_b64 s[2:3], s[2:3], exec
	s_or_saveexec_b64 s[6:7], s[6:7]
	v_mov_b32_e32 v3, 0x7e00
	s_xor_b64 exec, exec, s[6:7]
	s_cbranch_execnz .LBB200_1340
.LBB200_1320:
	s_or_b64 exec, exec, s[6:7]
	s_and_saveexec_b64 s[6:7], s[2:3]
	s_cbranch_execz .LBB200_1322
.LBB200_1321:
	v_lshlrev_b32_e32 v3, 24, v5
	v_and_b32_e32 v5, 0xffff, v5
	v_and_b32_e32 v8, 3, v5
	v_ffbh_u32_e32 v13, v8
	v_min_u32_e32 v13, 32, v13
	v_subrev_u32_e32 v14, 29, v13
	v_bfe_u32 v12, v5, 2, 5
	v_lshlrev_b32_e32 v5, v14, v5
	v_sub_u32_e32 v13, 30, v13
	v_and_b32_e32 v5, 3, v5
	v_cmp_eq_u32_e32 vcc, 0, v12
	v_cndmask_b32_e32 v12, v12, v13, vcc
	v_cndmask_b32_e32 v5, v8, v5, vcc
	v_mov_b32_e32 v8, 0x37800000
	v_lshlrev_b32_e32 v5, 21, v5
	v_and_b32_e32 v3, 0x80000000, v3
	v_lshl_add_u32 v8, v12, 23, v8
	v_or3_b32 v3, v3, v8, v5
	v_cvt_f16_f32_e32 v3, v3
.LBB200_1322:
	s_or_b64 exec, exec, s[6:7]
	s_mov_b64 s[2:3], 0
	s_branch .LBB200_1328
.LBB200_1323:
	s_mov_b64 s[2:3], -1
                                        ; implicit-def: $vgpr3
	s_branch .LBB200_1334
.LBB200_1324:
	s_or_saveexec_b64 s[12:13], s[12:13]
	v_mov_b32_e32 v3, 0x7e00
	s_xor_b64 exec, exec, s[12:13]
	s_cbranch_execz .LBB200_1308
.LBB200_1325:
	v_cmp_ne_u16_e32 vcc, 0, v5
	s_andn2_b64 s[6:7], s[6:7], exec
	s_and_b64 s[14:15], vcc, exec
	s_or_b64 s[6:7], s[6:7], s[14:15]
	v_mov_b32_e32 v3, v5
	s_or_b64 exec, exec, s[12:13]
	s_and_saveexec_b64 s[12:13], s[6:7]
	s_cbranch_execnz .LBB200_1309
	s_branch .LBB200_1310
.LBB200_1326:
	s_mov_b64 s[2:3], -1
                                        ; implicit-def: $vgpr3
	s_branch .LBB200_1331
.LBB200_1327:
	s_mov_b64 s[2:3], -1
                                        ; implicit-def: $vgpr3
.LBB200_1328:
	s_and_b64 vcc, exec, s[2:3]
	s_cbranch_vccz .LBB200_1330
; %bb.1329:
	global_load_ubyte v3, v[10:11], off
	s_mov_b32 s2, 0x7f800000
	s_waitcnt vmcnt(0)
	v_lshlrev_b32_e32 v3, 24, v3
	v_and_b32_e32 v5, 0x7f000000, v3
	v_ffbh_u32_e32 v8, v5
	v_min_u32_e32 v8, 32, v8
	v_sub_u32_e64 v8, v8, 4 clamp
	v_lshlrev_b32_e32 v13, v8, v5
	v_lshlrev_b32_e32 v8, 23, v8
	v_lshrrev_b32_e32 v13, 4, v13
	v_add_u32_e32 v12, 0x1000000, v5
	v_sub_u32_e32 v8, v13, v8
	v_ashrrev_i32_e32 v12, 8, v12
	v_add_u32_e32 v8, 0x3c000000, v8
	v_and_or_b32 v8, v12, s2, v8
	v_cmp_ne_u32_e32 vcc, 0, v5
	v_cndmask_b32_e32 v5, 0, v8, vcc
	s_brev_b32 s2, 1
	v_and_or_b32 v3, v3, s2, v5
	v_cvt_f16_f32_e32 v3, v3
.LBB200_1330:
	s_mov_b64 s[2:3], 0
.LBB200_1331:
	s_andn2_b64 vcc, exec, s[2:3]
	s_cbranch_vccnz .LBB200_1333
; %bb.1332:
	global_load_ubyte v3, v[10:11], off
	s_movk_i32 s2, 0x7f00
	s_brev_b32 s3, 16
	s_waitcnt vmcnt(0)
	v_lshlrev_b16_e32 v5, 8, v3
	v_lshlrev_b32_e32 v3, 25, v3
	v_lshrrev_b32_e32 v8, 4, v3
	v_and_or_b32 v12, v5, s2, 0.5
	v_or_b32_e32 v8, 0x70000000, v8
	v_add_f32_e32 v12, -0.5, v12
	v_mul_f32_e32 v8, 0x7800000, v8
	v_cmp_gt_u32_e32 vcc, s3, v3
	v_bfe_i32 v5, v5, 0, 16
	v_cndmask_b32_e32 v3, v8, v12, vcc
	s_brev_b32 s2, 1
	v_and_or_b32 v3, v5, s2, v3
	v_cvt_f16_f32_e32 v3, v3
.LBB200_1333:
	s_mov_b64 s[2:3], 0
	s_mov_b64 s[6:7], -1
.LBB200_1334:
	s_andn2_b64 vcc, exec, s[2:3]
	s_mov_b64 s[2:3], 0
	s_cbranch_vccnz .LBB200_1345
; %bb.1335:
	s_cmp_gt_i32 s17, 14
	s_cbranch_scc0 .LBB200_1338
; %bb.1336:
	s_cmp_eq_u32 s17, 15
	s_cbranch_scc0 .LBB200_1341
; %bb.1337:
	global_load_ushort v3, v[10:11], off
	s_mov_b64 s[0:1], 0
	s_mov_b64 s[6:7], -1
	s_waitcnt vmcnt(0)
	v_lshlrev_b32_e32 v3, 16, v3
	v_cvt_f16_f32_e32 v3, v3
	s_branch .LBB200_1342
.LBB200_1338:
	s_mov_b64 s[12:13], -1
                                        ; implicit-def: $vgpr3
	s_branch .LBB200_1343
.LBB200_1339:
	s_or_saveexec_b64 s[6:7], s[6:7]
	v_mov_b32_e32 v3, 0x7e00
	s_xor_b64 exec, exec, s[6:7]
	s_cbranch_execz .LBB200_1320
.LBB200_1340:
	v_cmp_ne_u16_e32 vcc, 0, v5
	s_andn2_b64 s[2:3], s[2:3], exec
	s_and_b64 s[12:13], vcc, exec
	s_or_b64 s[2:3], s[2:3], s[12:13]
	v_mov_b32_e32 v3, v5
	s_or_b64 exec, exec, s[6:7]
	s_and_saveexec_b64 s[6:7], s[2:3]
	s_cbranch_execnz .LBB200_1321
	s_branch .LBB200_1322
.LBB200_1341:
	s_mov_b64 s[0:1], -1
                                        ; implicit-def: $vgpr3
.LBB200_1342:
	s_mov_b64 s[12:13], 0
.LBB200_1343:
	s_and_b64 vcc, exec, s[12:13]
	s_cbranch_vccz .LBB200_1345
; %bb.1344:
	s_cmp_lg_u32 s17, 11
	s_mov_b64 s[2:3], -1
	s_cselect_b64 s[0:1], -1, 0
.LBB200_1345:
	s_and_b64 vcc, exec, s[0:1]
	s_cbranch_vccnz .LBB200_1408
; %bb.1346:
	s_andn2_b64 vcc, exec, s[2:3]
	s_cbranch_vccnz .LBB200_1348
.LBB200_1347:
	global_load_ubyte v3, v[10:11], off
	v_mov_b32_e32 v5, 0x3c00
	s_mov_b64 s[6:7], -1
	s_waitcnt vmcnt(0)
	v_cmp_ne_u16_e32 vcc, 0, v3
	v_cndmask_b32_e32 v3, 0, v5, vcc
.LBB200_1348:
	s_branch .LBB200_1275
.LBB200_1349:
	s_cmp_lt_i32 s17, 5
	s_cbranch_scc1 .LBB200_1354
; %bb.1350:
	s_cmp_lt_i32 s17, 8
	s_cbranch_scc1 .LBB200_1355
; %bb.1351:
	;; [unrolled: 3-line block ×3, first 2 shown]
	s_cmp_gt_i32 s17, 9
	s_cbranch_scc0 .LBB200_1357
; %bb.1353:
	global_load_dwordx2 v[12:13], v[10:11], off
	s_movk_i32 s0, 0x1ff
	s_movk_i32 s1, 0xffe
	v_mov_b32_e32 v3, 0x7c00
	v_mov_b32_e32 v5, 0x7e00
	s_movk_i32 s2, 0x40f
	s_mov_b32 s3, 0x8000
	s_waitcnt vmcnt(0)
	v_and_or_b32 v8, v13, s0, v12
	v_cmp_ne_u32_e32 vcc, 0, v8
	v_lshrrev_b32_e32 v12, 8, v13
	v_bfe_u32 v14, v13, 20, 11
	v_cndmask_b32_e64 v8, 0, 1, vcc
	v_sub_u32_e32 v15, 0x3f1, v14
	v_and_or_b32 v8, v12, s1, v8
	v_add_u32_e32 v14, 0xfffffc10, v14
	v_med3_i32 v12, v15, 0, 13
	v_or_b32_e32 v15, 0x1000, v8
	v_lshl_or_b32 v16, v14, 12, v8
	v_cmp_ne_u32_e32 vcc, 0, v8
	v_lshrrev_b32_e32 v8, v12, v15
	v_lshlrev_b32_e32 v12, v12, v8
	v_cndmask_b32_e32 v5, v3, v5, vcc
	v_cmp_ne_u32_e32 vcc, v12, v15
	v_cndmask_b32_e64 v12, 0, 1, vcc
	v_or_b32_e32 v8, v8, v12
	v_cmp_gt_i32_e32 vcc, 1, v14
	v_cndmask_b32_e32 v8, v16, v8, vcc
	v_and_b32_e32 v12, 7, v8
	v_cmp_lt_i32_e32 vcc, 5, v12
	v_cndmask_b32_e64 v15, 0, 1, vcc
	v_cmp_eq_u32_e32 vcc, 3, v12
	v_cndmask_b32_e64 v12, 0, 1, vcc
	v_lshrrev_b32_e32 v8, 2, v8
	v_or_b32_e32 v12, v12, v15
	v_add_u32_e32 v8, v8, v12
	v_cmp_gt_i32_e32 vcc, 31, v14
	v_cndmask_b32_e32 v3, v3, v8, vcc
	v_cmp_eq_u32_e32 vcc, s2, v14
	v_lshrrev_b32_e32 v13, 16, v13
	v_cndmask_b32_e32 v3, v3, v5, vcc
	v_and_or_b32 v3, v13, s3, v3
	s_mov_b64 s[0:1], 0
	s_branch .LBB200_1358
.LBB200_1354:
                                        ; implicit-def: $vgpr3
	s_branch .LBB200_1376
.LBB200_1355:
	s_mov_b64 s[0:1], -1
                                        ; implicit-def: $vgpr3
	s_branch .LBB200_1364
.LBB200_1356:
	s_mov_b64 s[0:1], -1
                                        ; implicit-def: $vgpr3
	s_branch .LBB200_1361
.LBB200_1357:
	s_mov_b64 s[0:1], -1
                                        ; implicit-def: $vgpr3
.LBB200_1358:
	s_andn2_b64 vcc, exec, s[0:1]
	s_cbranch_vccnz .LBB200_1360
; %bb.1359:
	global_load_dword v3, v[10:11], off
	s_waitcnt vmcnt(0)
	v_cvt_f16_f32_e32 v3, v3
.LBB200_1360:
	s_mov_b64 s[0:1], 0
.LBB200_1361:
	s_andn2_b64 vcc, exec, s[0:1]
	s_cbranch_vccnz .LBB200_1363
; %bb.1362:
	global_load_dword v3, v[10:11], off
.LBB200_1363:
	s_mov_b64 s[0:1], 0
.LBB200_1364:
	s_andn2_b64 vcc, exec, s[0:1]
	s_cbranch_vccnz .LBB200_1375
; %bb.1365:
	s_cmp_lt_i32 s17, 6
	s_cbranch_scc1 .LBB200_1368
; %bb.1366:
	s_cmp_gt_i32 s17, 6
	s_cbranch_scc0 .LBB200_1369
; %bb.1367:
	global_load_dwordx2 v[12:13], v[10:11], off
	s_movk_i32 s0, 0x1ff
	s_movk_i32 s1, 0xffe
	s_waitcnt vmcnt(1)
	v_mov_b32_e32 v3, 0x7c00
	v_mov_b32_e32 v5, 0x7e00
	s_movk_i32 s2, 0x40f
	s_mov_b32 s3, 0x8000
	s_waitcnt vmcnt(0)
	v_and_or_b32 v8, v13, s0, v12
	v_cmp_ne_u32_e32 vcc, 0, v8
	v_lshrrev_b32_e32 v12, 8, v13
	v_bfe_u32 v14, v13, 20, 11
	v_cndmask_b32_e64 v8, 0, 1, vcc
	v_sub_u32_e32 v15, 0x3f1, v14
	v_and_or_b32 v8, v12, s1, v8
	v_add_u32_e32 v14, 0xfffffc10, v14
	v_med3_i32 v12, v15, 0, 13
	v_or_b32_e32 v15, 0x1000, v8
	v_lshl_or_b32 v16, v14, 12, v8
	v_cmp_ne_u32_e32 vcc, 0, v8
	v_lshrrev_b32_e32 v8, v12, v15
	v_lshlrev_b32_e32 v12, v12, v8
	v_cndmask_b32_e32 v5, v3, v5, vcc
	v_cmp_ne_u32_e32 vcc, v12, v15
	v_cndmask_b32_e64 v12, 0, 1, vcc
	v_or_b32_e32 v8, v8, v12
	v_cmp_gt_i32_e32 vcc, 1, v14
	v_cndmask_b32_e32 v8, v16, v8, vcc
	v_and_b32_e32 v12, 7, v8
	v_cmp_lt_i32_e32 vcc, 5, v12
	v_cndmask_b32_e64 v15, 0, 1, vcc
	v_cmp_eq_u32_e32 vcc, 3, v12
	v_cndmask_b32_e64 v12, 0, 1, vcc
	v_lshrrev_b32_e32 v8, 2, v8
	v_or_b32_e32 v12, v12, v15
	v_add_u32_e32 v8, v8, v12
	v_cmp_gt_i32_e32 vcc, 31, v14
	v_cndmask_b32_e32 v3, v3, v8, vcc
	v_cmp_eq_u32_e32 vcc, s2, v14
	v_lshrrev_b32_e32 v13, 16, v13
	v_cndmask_b32_e32 v3, v3, v5, vcc
	v_and_or_b32 v3, v13, s3, v3
	s_mov_b64 s[0:1], 0
	s_branch .LBB200_1370
.LBB200_1368:
	s_mov_b64 s[0:1], -1
                                        ; implicit-def: $vgpr3
	s_branch .LBB200_1373
.LBB200_1369:
	s_mov_b64 s[0:1], -1
                                        ; implicit-def: $vgpr3
.LBB200_1370:
	s_andn2_b64 vcc, exec, s[0:1]
	s_cbranch_vccnz .LBB200_1372
; %bb.1371:
	global_load_dword v3, v[10:11], off
	s_waitcnt vmcnt(0)
	v_cvt_f16_f32_e32 v3, v3
.LBB200_1372:
	s_mov_b64 s[0:1], 0
.LBB200_1373:
	s_andn2_b64 vcc, exec, s[0:1]
	s_cbranch_vccnz .LBB200_1375
; %bb.1374:
	global_load_ushort v3, v[10:11], off
.LBB200_1375:
	s_cbranch_execnz .LBB200_1395
.LBB200_1376:
	s_cmp_lt_i32 s17, 2
	s_cbranch_scc1 .LBB200_1380
; %bb.1377:
	s_cmp_lt_i32 s17, 3
	s_cbranch_scc1 .LBB200_1381
; %bb.1378:
	s_cmp_gt_i32 s17, 3
	s_cbranch_scc0 .LBB200_1382
; %bb.1379:
	global_load_dwordx2 v[12:13], v[10:11], off
	s_mov_b64 s[0:1], 0
	s_waitcnt vmcnt(0)
	v_xor_b32_e32 v5, v12, v13
	v_ffbh_i32_e32 v3, v13
	v_ashrrev_i32_e32 v5, 31, v5
	v_add_u32_e32 v3, -1, v3
	v_add_u32_e32 v5, 32, v5
	v_min_u32_e32 v3, v3, v5
	v_lshlrev_b64 v[12:13], v3, v[12:13]
	v_sub_u32_e32 v3, 32, v3
	v_min_u32_e32 v5, 1, v12
	v_or_b32_e32 v5, v13, v5
	v_cvt_f32_i32_e32 v5, v5
	v_ldexp_f32 v3, v5, v3
	v_cvt_f16_f32_e32 v3, v3
	s_branch .LBB200_1383
.LBB200_1380:
	s_mov_b64 s[0:1], -1
                                        ; implicit-def: $vgpr3
	s_branch .LBB200_1389
.LBB200_1381:
	s_mov_b64 s[0:1], -1
                                        ; implicit-def: $vgpr3
	s_branch .LBB200_1386
.LBB200_1382:
	s_mov_b64 s[0:1], -1
                                        ; implicit-def: $vgpr3
.LBB200_1383:
	s_andn2_b64 vcc, exec, s[0:1]
	s_cbranch_vccnz .LBB200_1385
; %bb.1384:
	global_load_dword v3, v[10:11], off
	s_waitcnt vmcnt(0)
	v_cvt_f32_i32_e32 v3, v3
	v_cvt_f16_f32_e32 v3, v3
.LBB200_1385:
	s_mov_b64 s[0:1], 0
.LBB200_1386:
	s_andn2_b64 vcc, exec, s[0:1]
	s_cbranch_vccnz .LBB200_1388
; %bb.1387:
	global_load_ushort v3, v[10:11], off
	s_waitcnt vmcnt(0)
	v_cvt_f16_i16_e32 v3, v3
.LBB200_1388:
	s_mov_b64 s[0:1], 0
.LBB200_1389:
	s_andn2_b64 vcc, exec, s[0:1]
	s_cbranch_vccnz .LBB200_1395
; %bb.1390:
	s_cmp_gt_i32 s17, 0
	s_cbranch_scc0 .LBB200_1392
; %bb.1391:
	global_load_sbyte v3, v[10:11], off
	s_mov_b64 s[0:1], 0
	s_waitcnt vmcnt(0)
	v_cvt_f16_i16_e32 v3, v3
	s_branch .LBB200_1393
.LBB200_1392:
	s_mov_b64 s[0:1], -1
                                        ; implicit-def: $vgpr3
.LBB200_1393:
	s_andn2_b64 vcc, exec, s[0:1]
	s_cbranch_vccnz .LBB200_1395
; %bb.1394:
	global_load_ubyte v3, v[10:11], off
	s_waitcnt vmcnt(0)
	v_cvt_f16_u16_e32 v3, v3
.LBB200_1395:
.LBB200_1396:
	v_mov_b32_e32 v5, s11
	v_add_co_u32_e32 v8, vcc, s10, v9
	s_cmp_lt_i32 s17, 11
	v_addc_co_u32_e32 v9, vcc, 0, v5, vcc
	s_cbranch_scc1 .LBB200_1403
; %bb.1397:
	s_cmp_gt_i32 s17, 25
	s_mov_b64 s[2:3], 0
	s_cbranch_scc0 .LBB200_1405
; %bb.1398:
	s_cmp_gt_i32 s17, 28
	s_cbranch_scc0 .LBB200_1406
; %bb.1399:
	s_cmp_gt_i32 s17, 43
	;; [unrolled: 3-line block ×3, first 2 shown]
	s_cbranch_scc0 .LBB200_1409
; %bb.1401:
	s_cmp_eq_u32 s17, 46
	s_mov_b64 s[12:13], 0
	s_cbranch_scc0 .LBB200_1410
; %bb.1402:
	global_load_dword v5, v[8:9], off
	s_mov_b64 s[0:1], 0
	s_mov_b64 s[6:7], -1
	s_waitcnt vmcnt(0)
	v_lshlrev_b32_e32 v5, 16, v5
	v_cvt_f16_f32_e32 v10, v5
	s_branch .LBB200_1411
.LBB200_1403:
	s_mov_b64 s[6:7], 0
                                        ; implicit-def: $vgpr10
	s_cbranch_execnz .LBB200_1477
.LBB200_1404:
	s_andn2_b64 vcc, exec, s[6:7]
	s_cbranch_vccnz .LBB200_2088
	s_branch .LBB200_1525
.LBB200_1405:
	s_mov_b64 s[12:13], -1
	s_mov_b64 s[6:7], 0
	s_mov_b64 s[0:1], 0
                                        ; implicit-def: $vgpr10
	s_branch .LBB200_1440
.LBB200_1406:
	s_mov_b64 s[12:13], -1
	s_mov_b64 s[6:7], 0
	s_mov_b64 s[0:1], 0
                                        ; implicit-def: $vgpr10
	s_branch .LBB200_1421
.LBB200_1407:
	s_mov_b64 s[12:13], -1
	s_mov_b64 s[6:7], 0
	s_mov_b64 s[0:1], 0
                                        ; implicit-def: $vgpr10
	s_branch .LBB200_1416
.LBB200_1408:
	s_trap 2
	s_or_b64 s[4:5], s[4:5], exec
	s_cbranch_execz .LBB200_1347
	s_branch .LBB200_1348
.LBB200_1409:
	s_mov_b64 s[12:13], -1
	s_mov_b64 s[6:7], 0
	s_mov_b64 s[0:1], 0
                                        ; implicit-def: $vgpr10
	s_branch .LBB200_1411
.LBB200_1410:
	s_mov_b64 s[0:1], -1
                                        ; implicit-def: $vgpr10
	s_mov_b64 s[6:7], 0
.LBB200_1411:
	s_and_b64 vcc, exec, s[12:13]
	s_cbranch_vccz .LBB200_1415
; %bb.1412:
	s_cmp_eq_u32 s17, 44
	s_cbranch_scc0 .LBB200_1414
; %bb.1413:
	global_load_ubyte v5, v[8:9], off
	s_movk_i32 s6, 0xff
	v_mov_b32_e32 v11, 0x7e00
	s_mov_b64 s[0:1], 0
	s_waitcnt vmcnt(0)
	v_lshlrev_b32_e32 v10, 23, v5
	v_cvt_f16_f32_e32 v10, v10
	v_cmp_ne_u32_e32 vcc, s6, v5
	s_mov_b64 s[6:7], -1
	v_cndmask_b32_e32 v10, v11, v10, vcc
	v_cmp_ne_u32_e32 vcc, 0, v5
	v_cndmask_b32_e32 v10, 0, v10, vcc
	s_branch .LBB200_1415
.LBB200_1414:
	s_mov_b64 s[0:1], -1
                                        ; implicit-def: $vgpr10
.LBB200_1415:
	s_mov_b64 s[12:13], 0
.LBB200_1416:
	s_and_b64 vcc, exec, s[12:13]
	s_cbranch_vccz .LBB200_1420
; %bb.1417:
	s_cmp_eq_u32 s17, 29
	s_cbranch_scc0 .LBB200_1419
; %bb.1418:
	global_load_dwordx2 v[10:11], v[8:9], off
	s_mov_b64 s[0:1], 0
	s_mov_b64 s[6:7], -1
	s_mov_b64 s[12:13], 0
	s_waitcnt vmcnt(0)
	v_ffbh_u32_e32 v5, v11
	v_min_u32_e32 v5, 32, v5
	v_lshlrev_b64 v[10:11], v5, v[10:11]
	v_sub_u32_e32 v5, 32, v5
	v_min_u32_e32 v10, 1, v10
	v_or_b32_e32 v10, v11, v10
	v_cvt_f32_u32_e32 v10, v10
	v_ldexp_f32 v5, v10, v5
	v_cvt_f16_f32_e32 v10, v5
	s_branch .LBB200_1421
.LBB200_1419:
	s_mov_b64 s[0:1], -1
                                        ; implicit-def: $vgpr10
.LBB200_1420:
	s_mov_b64 s[12:13], 0
.LBB200_1421:
	s_and_b64 vcc, exec, s[12:13]
	s_cbranch_vccz .LBB200_1439
; %bb.1422:
	s_cmp_lt_i32 s17, 27
	s_cbranch_scc1 .LBB200_1425
; %bb.1423:
	s_cmp_gt_i32 s17, 27
	s_cbranch_scc0 .LBB200_1426
; %bb.1424:
	global_load_dword v5, v[8:9], off
	s_mov_b64 s[6:7], 0
	s_waitcnt vmcnt(0)
	v_cvt_f32_u32_e32 v5, v5
	v_cvt_f16_f32_e32 v10, v5
	s_branch .LBB200_1427
.LBB200_1425:
	s_mov_b64 s[6:7], -1
                                        ; implicit-def: $vgpr10
	s_branch .LBB200_1430
.LBB200_1426:
	s_mov_b64 s[6:7], -1
                                        ; implicit-def: $vgpr10
.LBB200_1427:
	s_andn2_b64 vcc, exec, s[6:7]
	s_cbranch_vccnz .LBB200_1429
; %bb.1428:
	global_load_ushort v5, v[8:9], off
	s_waitcnt vmcnt(0)
	v_cvt_f16_u16_e32 v10, v5
.LBB200_1429:
	s_mov_b64 s[6:7], 0
.LBB200_1430:
	s_andn2_b64 vcc, exec, s[6:7]
	s_cbranch_vccnz .LBB200_1438
; %bb.1431:
	global_load_ubyte v5, v[8:9], off
	s_movk_i32 s6, 0x7f
	s_waitcnt vmcnt(0)
	v_cmp_lt_i16_e32 vcc, s6, v5
	s_mov_b64 s[6:7], 0
	s_and_saveexec_b64 s[12:13], vcc
	s_xor_b64 s[12:13], exec, s[12:13]
	s_cbranch_execz .LBB200_1452
; %bb.1432:
	s_movk_i32 s6, 0x80
	v_cmp_eq_u16_e32 vcc, s6, v5
	s_mov_b64 s[6:7], -1
	s_and_saveexec_b64 s[14:15], vcc
; %bb.1433:
	s_xor_b64 s[6:7], exec, -1
; %bb.1434:
	s_or_b64 exec, exec, s[14:15]
	s_and_b64 s[6:7], s[6:7], exec
	s_or_saveexec_b64 s[12:13], s[12:13]
	v_mov_b32_e32 v10, 0x7e00
	s_xor_b64 exec, exec, s[12:13]
	s_cbranch_execnz .LBB200_1453
.LBB200_1435:
	s_or_b64 exec, exec, s[12:13]
	s_and_saveexec_b64 s[12:13], s[6:7]
	s_cbranch_execz .LBB200_1437
.LBB200_1436:
	v_lshlrev_b32_e32 v10, 24, v5
	v_and_b32_e32 v5, 0xffff, v5
	v_and_b32_e32 v11, 7, v5
	v_ffbh_u32_e32 v13, v11
	v_min_u32_e32 v13, 32, v13
	v_subrev_u32_e32 v14, 28, v13
	v_bfe_u32 v12, v5, 3, 4
	v_lshlrev_b32_e32 v5, v14, v5
	v_sub_u32_e32 v13, 29, v13
	v_and_b32_e32 v5, 7, v5
	v_cmp_eq_u32_e32 vcc, 0, v12
	v_cndmask_b32_e32 v12, v12, v13, vcc
	v_cndmask_b32_e32 v5, v11, v5, vcc
	v_mov_b32_e32 v11, 0x3b800000
	v_lshlrev_b32_e32 v5, 20, v5
	v_and_b32_e32 v10, 0x80000000, v10
	v_lshl_add_u32 v11, v12, 23, v11
	v_or3_b32 v5, v10, v11, v5
	v_cvt_f16_f32_e32 v10, v5
.LBB200_1437:
	s_or_b64 exec, exec, s[12:13]
.LBB200_1438:
	s_mov_b64 s[6:7], -1
.LBB200_1439:
	s_mov_b64 s[12:13], 0
.LBB200_1440:
	s_and_b64 vcc, exec, s[12:13]
	s_cbranch_vccz .LBB200_1473
; %bb.1441:
	s_cmp_gt_i32 s17, 22
	s_cbranch_scc0 .LBB200_1451
; %bb.1442:
	s_cmp_lt_i32 s17, 24
	s_cbranch_scc1 .LBB200_1454
; %bb.1443:
	s_cmp_gt_i32 s17, 24
	s_cbranch_scc0 .LBB200_1455
; %bb.1444:
	global_load_ubyte v5, v[8:9], off
	s_movk_i32 s2, 0x7f
	s_waitcnt vmcnt(0)
	v_cmp_lt_i16_e32 vcc, s2, v5
	s_mov_b64 s[2:3], 0
	s_and_saveexec_b64 s[6:7], vcc
	s_xor_b64 s[6:7], exec, s[6:7]
	s_cbranch_execz .LBB200_1467
; %bb.1445:
	s_movk_i32 s2, 0x80
	v_cmp_eq_u16_e32 vcc, s2, v5
	s_mov_b64 s[2:3], -1
	s_and_saveexec_b64 s[12:13], vcc
; %bb.1446:
	s_xor_b64 s[2:3], exec, -1
; %bb.1447:
	s_or_b64 exec, exec, s[12:13]
	s_and_b64 s[2:3], s[2:3], exec
	s_or_saveexec_b64 s[6:7], s[6:7]
	v_mov_b32_e32 v10, 0x7e00
	s_xor_b64 exec, exec, s[6:7]
	s_cbranch_execnz .LBB200_1468
.LBB200_1448:
	s_or_b64 exec, exec, s[6:7]
	s_and_saveexec_b64 s[6:7], s[2:3]
	s_cbranch_execz .LBB200_1450
.LBB200_1449:
	v_lshlrev_b32_e32 v10, 24, v5
	v_and_b32_e32 v5, 0xffff, v5
	v_and_b32_e32 v11, 3, v5
	v_ffbh_u32_e32 v13, v11
	v_min_u32_e32 v13, 32, v13
	v_subrev_u32_e32 v14, 29, v13
	v_bfe_u32 v12, v5, 2, 5
	v_lshlrev_b32_e32 v5, v14, v5
	v_sub_u32_e32 v13, 30, v13
	v_and_b32_e32 v5, 3, v5
	v_cmp_eq_u32_e32 vcc, 0, v12
	v_cndmask_b32_e32 v12, v12, v13, vcc
	v_cndmask_b32_e32 v5, v11, v5, vcc
	v_mov_b32_e32 v11, 0x37800000
	v_lshlrev_b32_e32 v5, 21, v5
	v_and_b32_e32 v10, 0x80000000, v10
	v_lshl_add_u32 v11, v12, 23, v11
	v_or3_b32 v5, v10, v11, v5
	v_cvt_f16_f32_e32 v10, v5
.LBB200_1450:
	s_or_b64 exec, exec, s[6:7]
	s_mov_b64 s[2:3], 0
	s_branch .LBB200_1456
.LBB200_1451:
	s_mov_b64 s[2:3], -1
                                        ; implicit-def: $vgpr10
	s_branch .LBB200_1462
.LBB200_1452:
	s_or_saveexec_b64 s[12:13], s[12:13]
	v_mov_b32_e32 v10, 0x7e00
	s_xor_b64 exec, exec, s[12:13]
	s_cbranch_execz .LBB200_1435
.LBB200_1453:
	v_cmp_ne_u16_e32 vcc, 0, v5
	s_andn2_b64 s[6:7], s[6:7], exec
	s_and_b64 s[14:15], vcc, exec
	s_or_b64 s[6:7], s[6:7], s[14:15]
	v_mov_b32_e32 v10, v5
	s_or_b64 exec, exec, s[12:13]
	s_and_saveexec_b64 s[12:13], s[6:7]
	s_cbranch_execnz .LBB200_1436
	s_branch .LBB200_1437
.LBB200_1454:
	s_mov_b64 s[2:3], -1
                                        ; implicit-def: $vgpr10
	s_branch .LBB200_1459
.LBB200_1455:
	s_mov_b64 s[2:3], -1
                                        ; implicit-def: $vgpr10
.LBB200_1456:
	s_and_b64 vcc, exec, s[2:3]
	s_cbranch_vccz .LBB200_1458
; %bb.1457:
	global_load_ubyte v5, v[8:9], off
	s_mov_b32 s2, 0x7f800000
	s_waitcnt vmcnt(0)
	v_lshlrev_b32_e32 v5, 24, v5
	v_and_b32_e32 v10, 0x7f000000, v5
	v_ffbh_u32_e32 v11, v10
	v_min_u32_e32 v11, 32, v11
	v_sub_u32_e64 v11, v11, 4 clamp
	v_lshlrev_b32_e32 v13, v11, v10
	v_lshlrev_b32_e32 v11, 23, v11
	v_lshrrev_b32_e32 v13, 4, v13
	v_add_u32_e32 v12, 0x1000000, v10
	v_sub_u32_e32 v11, v13, v11
	v_ashrrev_i32_e32 v12, 8, v12
	v_add_u32_e32 v11, 0x3c000000, v11
	v_and_or_b32 v11, v12, s2, v11
	v_cmp_ne_u32_e32 vcc, 0, v10
	v_cndmask_b32_e32 v10, 0, v11, vcc
	s_brev_b32 s2, 1
	v_and_or_b32 v5, v5, s2, v10
	v_cvt_f16_f32_e32 v10, v5
.LBB200_1458:
	s_mov_b64 s[2:3], 0
.LBB200_1459:
	s_andn2_b64 vcc, exec, s[2:3]
	s_cbranch_vccnz .LBB200_1461
; %bb.1460:
	global_load_ubyte v5, v[8:9], off
	s_movk_i32 s2, 0x7f00
	s_brev_b32 s3, 16
	s_waitcnt vmcnt(0)
	v_lshlrev_b16_e32 v10, 8, v5
	v_lshlrev_b32_e32 v5, 25, v5
	v_lshrrev_b32_e32 v11, 4, v5
	v_and_or_b32 v12, v10, s2, 0.5
	v_or_b32_e32 v11, 0x70000000, v11
	v_add_f32_e32 v12, -0.5, v12
	v_mul_f32_e32 v11, 0x7800000, v11
	v_cmp_gt_u32_e32 vcc, s3, v5
	v_bfe_i32 v10, v10, 0, 16
	v_cndmask_b32_e32 v5, v11, v12, vcc
	s_brev_b32 s2, 1
	v_and_or_b32 v5, v10, s2, v5
	v_cvt_f16_f32_e32 v10, v5
.LBB200_1461:
	s_mov_b64 s[2:3], 0
	s_mov_b64 s[6:7], -1
.LBB200_1462:
	s_andn2_b64 vcc, exec, s[2:3]
	s_mov_b64 s[2:3], 0
	s_cbranch_vccnz .LBB200_1473
; %bb.1463:
	s_cmp_gt_i32 s17, 14
	s_cbranch_scc0 .LBB200_1466
; %bb.1464:
	s_cmp_eq_u32 s17, 15
	s_cbranch_scc0 .LBB200_1469
; %bb.1465:
	global_load_ushort v5, v[8:9], off
	s_mov_b64 s[0:1], 0
	s_mov_b64 s[6:7], -1
	s_waitcnt vmcnt(0)
	v_lshlrev_b32_e32 v5, 16, v5
	v_cvt_f16_f32_e32 v10, v5
	s_branch .LBB200_1470
.LBB200_1466:
	s_mov_b64 s[12:13], -1
                                        ; implicit-def: $vgpr10
	s_branch .LBB200_1471
.LBB200_1467:
	s_or_saveexec_b64 s[6:7], s[6:7]
	v_mov_b32_e32 v10, 0x7e00
	s_xor_b64 exec, exec, s[6:7]
	s_cbranch_execz .LBB200_1448
.LBB200_1468:
	v_cmp_ne_u16_e32 vcc, 0, v5
	s_andn2_b64 s[2:3], s[2:3], exec
	s_and_b64 s[12:13], vcc, exec
	s_or_b64 s[2:3], s[2:3], s[12:13]
	v_mov_b32_e32 v10, v5
	s_or_b64 exec, exec, s[6:7]
	s_and_saveexec_b64 s[6:7], s[2:3]
	s_cbranch_execnz .LBB200_1449
	s_branch .LBB200_1450
.LBB200_1469:
	s_mov_b64 s[0:1], -1
                                        ; implicit-def: $vgpr10
.LBB200_1470:
	s_mov_b64 s[12:13], 0
.LBB200_1471:
	s_and_b64 vcc, exec, s[12:13]
	s_cbranch_vccz .LBB200_1473
; %bb.1472:
	s_cmp_lg_u32 s17, 11
	s_mov_b64 s[2:3], -1
	s_cselect_b64 s[0:1], -1, 0
.LBB200_1473:
	s_and_b64 vcc, exec, s[0:1]
	s_cbranch_vccnz .LBB200_1536
; %bb.1474:
	s_andn2_b64 vcc, exec, s[2:3]
	s_cbranch_vccnz .LBB200_1476
.LBB200_1475:
	global_load_ubyte v5, v[8:9], off
	v_mov_b32_e32 v10, 0x3c00
	s_mov_b64 s[6:7], -1
	s_waitcnt vmcnt(0)
	v_cmp_ne_u16_e32 vcc, 0, v5
	v_cndmask_b32_e32 v10, 0, v10, vcc
.LBB200_1476:
	s_branch .LBB200_1404
.LBB200_1477:
	s_cmp_lt_i32 s17, 5
	s_cbranch_scc1 .LBB200_1482
; %bb.1478:
	s_cmp_lt_i32 s17, 8
	s_cbranch_scc1 .LBB200_1483
; %bb.1479:
	;; [unrolled: 3-line block ×3, first 2 shown]
	s_cmp_gt_i32 s17, 9
	s_cbranch_scc0 .LBB200_1485
; %bb.1481:
	global_load_dwordx2 v[10:11], v[8:9], off
	s_movk_i32 s0, 0x1ff
	s_movk_i32 s1, 0xffe
	v_mov_b32_e32 v5, 0x7c00
	v_mov_b32_e32 v12, 0x7e00
	s_movk_i32 s2, 0x40f
	s_mov_b32 s3, 0x8000
	s_waitcnt vmcnt(0)
	v_and_or_b32 v10, v11, s0, v10
	v_cmp_ne_u32_e32 vcc, 0, v10
	v_lshrrev_b32_e32 v13, 8, v11
	v_bfe_u32 v14, v11, 20, 11
	v_cndmask_b32_e64 v10, 0, 1, vcc
	v_sub_u32_e32 v15, 0x3f1, v14
	v_and_or_b32 v10, v13, s1, v10
	v_add_u32_e32 v14, 0xfffffc10, v14
	v_med3_i32 v13, v15, 0, 13
	v_or_b32_e32 v15, 0x1000, v10
	v_cmp_ne_u32_e32 vcc, 0, v10
	v_lshl_or_b32 v16, v14, 12, v10
	v_cndmask_b32_e32 v10, v5, v12, vcc
	v_lshrrev_b32_e32 v12, v13, v15
	v_lshlrev_b32_e32 v13, v13, v12
	v_cmp_ne_u32_e32 vcc, v13, v15
	v_cndmask_b32_e64 v13, 0, 1, vcc
	v_or_b32_e32 v12, v12, v13
	v_cmp_gt_i32_e32 vcc, 1, v14
	v_cndmask_b32_e32 v12, v16, v12, vcc
	v_and_b32_e32 v13, 7, v12
	v_cmp_lt_i32_e32 vcc, 5, v13
	v_cndmask_b32_e64 v15, 0, 1, vcc
	v_cmp_eq_u32_e32 vcc, 3, v13
	v_cndmask_b32_e64 v13, 0, 1, vcc
	v_lshrrev_b32_e32 v12, 2, v12
	v_or_b32_e32 v13, v13, v15
	v_add_u32_e32 v12, v12, v13
	v_cmp_gt_i32_e32 vcc, 31, v14
	v_cndmask_b32_e32 v5, v5, v12, vcc
	v_cmp_eq_u32_e32 vcc, s2, v14
	v_lshrrev_b32_e32 v11, 16, v11
	v_cndmask_b32_e32 v5, v5, v10, vcc
	v_and_or_b32 v10, v11, s3, v5
	s_mov_b64 s[0:1], 0
	s_branch .LBB200_1486
.LBB200_1482:
	s_mov_b64 s[0:1], -1
                                        ; implicit-def: $vgpr10
	s_branch .LBB200_1504
.LBB200_1483:
	s_mov_b64 s[0:1], -1
                                        ; implicit-def: $vgpr10
	s_branch .LBB200_1492
.LBB200_1484:
	s_mov_b64 s[0:1], -1
                                        ; implicit-def: $vgpr10
	s_branch .LBB200_1489
.LBB200_1485:
	s_mov_b64 s[0:1], -1
                                        ; implicit-def: $vgpr10
.LBB200_1486:
	s_andn2_b64 vcc, exec, s[0:1]
	s_cbranch_vccnz .LBB200_1488
; %bb.1487:
	global_load_dword v5, v[8:9], off
	s_waitcnt vmcnt(0)
	v_cvt_f16_f32_e32 v10, v5
.LBB200_1488:
	s_mov_b64 s[0:1], 0
.LBB200_1489:
	s_andn2_b64 vcc, exec, s[0:1]
	s_cbranch_vccnz .LBB200_1491
; %bb.1490:
	global_load_dword v10, v[8:9], off
.LBB200_1491:
	s_mov_b64 s[0:1], 0
.LBB200_1492:
	s_andn2_b64 vcc, exec, s[0:1]
	s_cbranch_vccnz .LBB200_1503
; %bb.1493:
	s_cmp_lt_i32 s17, 6
	s_cbranch_scc1 .LBB200_1496
; %bb.1494:
	s_cmp_gt_i32 s17, 6
	s_cbranch_scc0 .LBB200_1497
; %bb.1495:
	global_load_dwordx2 v[10:11], v[8:9], off
	s_movk_i32 s0, 0x1ff
	s_movk_i32 s1, 0xffe
	v_mov_b32_e32 v5, 0x7c00
	v_mov_b32_e32 v12, 0x7e00
	s_movk_i32 s2, 0x40f
	s_mov_b32 s3, 0x8000
	s_waitcnt vmcnt(0)
	v_and_or_b32 v10, v11, s0, v10
	v_cmp_ne_u32_e32 vcc, 0, v10
	v_lshrrev_b32_e32 v13, 8, v11
	v_bfe_u32 v14, v11, 20, 11
	v_cndmask_b32_e64 v10, 0, 1, vcc
	v_sub_u32_e32 v15, 0x3f1, v14
	v_and_or_b32 v10, v13, s1, v10
	v_add_u32_e32 v14, 0xfffffc10, v14
	v_med3_i32 v13, v15, 0, 13
	v_or_b32_e32 v15, 0x1000, v10
	v_cmp_ne_u32_e32 vcc, 0, v10
	v_lshl_or_b32 v16, v14, 12, v10
	v_cndmask_b32_e32 v10, v5, v12, vcc
	v_lshrrev_b32_e32 v12, v13, v15
	v_lshlrev_b32_e32 v13, v13, v12
	v_cmp_ne_u32_e32 vcc, v13, v15
	v_cndmask_b32_e64 v13, 0, 1, vcc
	v_or_b32_e32 v12, v12, v13
	v_cmp_gt_i32_e32 vcc, 1, v14
	v_cndmask_b32_e32 v12, v16, v12, vcc
	v_and_b32_e32 v13, 7, v12
	v_cmp_lt_i32_e32 vcc, 5, v13
	v_cndmask_b32_e64 v15, 0, 1, vcc
	v_cmp_eq_u32_e32 vcc, 3, v13
	v_cndmask_b32_e64 v13, 0, 1, vcc
	v_lshrrev_b32_e32 v12, 2, v12
	v_or_b32_e32 v13, v13, v15
	v_add_u32_e32 v12, v12, v13
	v_cmp_gt_i32_e32 vcc, 31, v14
	v_cndmask_b32_e32 v5, v5, v12, vcc
	v_cmp_eq_u32_e32 vcc, s2, v14
	v_lshrrev_b32_e32 v11, 16, v11
	v_cndmask_b32_e32 v5, v5, v10, vcc
	v_and_or_b32 v10, v11, s3, v5
	s_mov_b64 s[0:1], 0
	s_branch .LBB200_1498
.LBB200_1496:
	s_mov_b64 s[0:1], -1
                                        ; implicit-def: $vgpr10
	s_branch .LBB200_1501
.LBB200_1497:
	s_mov_b64 s[0:1], -1
                                        ; implicit-def: $vgpr10
.LBB200_1498:
	s_andn2_b64 vcc, exec, s[0:1]
	s_cbranch_vccnz .LBB200_1500
; %bb.1499:
	global_load_dword v5, v[8:9], off
	s_waitcnt vmcnt(0)
	v_cvt_f16_f32_e32 v10, v5
.LBB200_1500:
	s_mov_b64 s[0:1], 0
.LBB200_1501:
	s_andn2_b64 vcc, exec, s[0:1]
	s_cbranch_vccnz .LBB200_1503
; %bb.1502:
	global_load_ushort v10, v[8:9], off
.LBB200_1503:
	s_mov_b64 s[0:1], 0
.LBB200_1504:
	s_andn2_b64 vcc, exec, s[0:1]
	s_cbranch_vccnz .LBB200_1524
; %bb.1505:
	s_cmp_lt_i32 s17, 2
	s_cbranch_scc1 .LBB200_1509
; %bb.1506:
	s_cmp_lt_i32 s17, 3
	s_cbranch_scc1 .LBB200_1510
; %bb.1507:
	s_cmp_gt_i32 s17, 3
	s_cbranch_scc0 .LBB200_1511
; %bb.1508:
	global_load_dwordx2 v[10:11], v[8:9], off
	s_mov_b64 s[0:1], 0
	s_waitcnt vmcnt(0)
	v_xor_b32_e32 v12, v10, v11
	v_ffbh_i32_e32 v5, v11
	v_ashrrev_i32_e32 v12, 31, v12
	v_add_u32_e32 v5, -1, v5
	v_add_u32_e32 v12, 32, v12
	v_min_u32_e32 v5, v5, v12
	v_lshlrev_b64 v[10:11], v5, v[10:11]
	v_sub_u32_e32 v5, 32, v5
	v_min_u32_e32 v10, 1, v10
	v_or_b32_e32 v10, v11, v10
	v_cvt_f32_i32_e32 v10, v10
	v_ldexp_f32 v5, v10, v5
	v_cvt_f16_f32_e32 v10, v5
	s_branch .LBB200_1512
.LBB200_1509:
	s_mov_b64 s[0:1], -1
                                        ; implicit-def: $vgpr10
	s_branch .LBB200_1518
.LBB200_1510:
	s_mov_b64 s[0:1], -1
                                        ; implicit-def: $vgpr10
	s_branch .LBB200_1515
.LBB200_1511:
	s_mov_b64 s[0:1], -1
                                        ; implicit-def: $vgpr10
.LBB200_1512:
	s_andn2_b64 vcc, exec, s[0:1]
	s_cbranch_vccnz .LBB200_1514
; %bb.1513:
	global_load_dword v5, v[8:9], off
	s_waitcnt vmcnt(0)
	v_cvt_f32_i32_e32 v5, v5
	v_cvt_f16_f32_e32 v10, v5
.LBB200_1514:
	s_mov_b64 s[0:1], 0
.LBB200_1515:
	s_andn2_b64 vcc, exec, s[0:1]
	s_cbranch_vccnz .LBB200_1517
; %bb.1516:
	global_load_ushort v5, v[8:9], off
	s_waitcnt vmcnt(0)
	v_cvt_f16_i16_e32 v10, v5
.LBB200_1517:
	s_mov_b64 s[0:1], 0
.LBB200_1518:
	s_andn2_b64 vcc, exec, s[0:1]
	s_cbranch_vccnz .LBB200_1524
; %bb.1519:
	s_cmp_gt_i32 s17, 0
	s_cbranch_scc0 .LBB200_1521
; %bb.1520:
	global_load_sbyte v5, v[8:9], off
	s_mov_b64 s[0:1], 0
	s_waitcnt vmcnt(0)
	v_cvt_f16_i16_e32 v10, v5
	s_branch .LBB200_1522
.LBB200_1521:
	s_mov_b64 s[0:1], -1
                                        ; implicit-def: $vgpr10
.LBB200_1522:
	s_andn2_b64 vcc, exec, s[0:1]
	s_cbranch_vccnz .LBB200_1524
; %bb.1523:
	global_load_ubyte v5, v[8:9], off
	s_waitcnt vmcnt(0)
	v_cvt_f16_u16_e32 v10, v5
.LBB200_1524:
.LBB200_1525:
	v_mov_b32_e32 v5, s11
	v_add_co_u32_e32 v7, vcc, s10, v7
	s_cmp_lt_i32 s17, 11
	v_addc_co_u32_e32 v8, vcc, 0, v5, vcc
	s_cbranch_scc1 .LBB200_1532
; %bb.1526:
	s_cmp_gt_i32 s17, 25
	s_mov_b64 s[2:3], 0
	s_cbranch_scc0 .LBB200_1533
; %bb.1527:
	s_cmp_gt_i32 s17, 28
	s_cbranch_scc0 .LBB200_1534
; %bb.1528:
	s_cmp_gt_i32 s17, 43
	;; [unrolled: 3-line block ×3, first 2 shown]
	s_cbranch_scc0 .LBB200_1537
; %bb.1530:
	s_cmp_eq_u32 s17, 46
	s_mov_b64 s[10:11], 0
	s_cbranch_scc0 .LBB200_1538
; %bb.1531:
	global_load_dword v5, v[7:8], off
	s_mov_b64 s[0:1], 0
	s_mov_b64 s[6:7], -1
	s_waitcnt vmcnt(0)
	v_lshlrev_b32_e32 v5, 16, v5
	v_cvt_f16_f32_e32 v9, v5
	s_branch .LBB200_1539
.LBB200_1532:
	s_mov_b64 s[0:1], -1
	s_mov_b64 s[6:7], 0
                                        ; implicit-def: $vgpr9
	s_branch .LBB200_1605
.LBB200_1533:
	s_mov_b64 s[10:11], -1
	s_mov_b64 s[6:7], 0
	s_mov_b64 s[0:1], 0
                                        ; implicit-def: $vgpr9
	s_branch .LBB200_1568
.LBB200_1534:
	s_mov_b64 s[10:11], -1
	s_mov_b64 s[6:7], 0
	s_mov_b64 s[0:1], 0
                                        ; implicit-def: $vgpr9
	s_branch .LBB200_1549
.LBB200_1535:
	s_mov_b64 s[10:11], -1
	s_mov_b64 s[6:7], 0
	s_mov_b64 s[0:1], 0
                                        ; implicit-def: $vgpr9
	s_branch .LBB200_1544
.LBB200_1536:
	s_trap 2
	s_or_b64 s[4:5], s[4:5], exec
	s_cbranch_execz .LBB200_1475
	s_branch .LBB200_1476
.LBB200_1537:
	s_mov_b64 s[10:11], -1
	s_mov_b64 s[6:7], 0
	s_mov_b64 s[0:1], 0
                                        ; implicit-def: $vgpr9
	s_branch .LBB200_1539
.LBB200_1538:
	s_mov_b64 s[0:1], -1
                                        ; implicit-def: $vgpr9
	s_mov_b64 s[6:7], 0
.LBB200_1539:
	s_and_b64 vcc, exec, s[10:11]
	s_cbranch_vccz .LBB200_1543
; %bb.1540:
	s_cmp_eq_u32 s17, 44
	s_cbranch_scc0 .LBB200_1542
; %bb.1541:
	global_load_ubyte v5, v[7:8], off
	s_movk_i32 s6, 0xff
	v_mov_b32_e32 v11, 0x7e00
	s_mov_b64 s[0:1], 0
	s_waitcnt vmcnt(0)
	v_lshlrev_b32_e32 v9, 23, v5
	v_cvt_f16_f32_e32 v9, v9
	v_cmp_ne_u32_e32 vcc, s6, v5
	s_mov_b64 s[6:7], -1
	v_cndmask_b32_e32 v9, v11, v9, vcc
	v_cmp_ne_u32_e32 vcc, 0, v5
	v_cndmask_b32_e32 v9, 0, v9, vcc
	s_branch .LBB200_1543
.LBB200_1542:
	s_mov_b64 s[0:1], -1
                                        ; implicit-def: $vgpr9
.LBB200_1543:
	s_mov_b64 s[10:11], 0
.LBB200_1544:
	s_and_b64 vcc, exec, s[10:11]
	s_cbranch_vccz .LBB200_1548
; %bb.1545:
	s_cmp_eq_u32 s17, 29
	s_cbranch_scc0 .LBB200_1547
; %bb.1546:
	global_load_dwordx2 v[11:12], v[7:8], off
	s_mov_b64 s[0:1], 0
	s_mov_b64 s[6:7], -1
	s_mov_b64 s[10:11], 0
	s_waitcnt vmcnt(0)
	v_ffbh_u32_e32 v5, v12
	v_min_u32_e32 v5, 32, v5
	v_lshlrev_b64 v[11:12], v5, v[11:12]
	v_sub_u32_e32 v5, 32, v5
	v_min_u32_e32 v9, 1, v11
	v_or_b32_e32 v9, v12, v9
	v_cvt_f32_u32_e32 v9, v9
	v_ldexp_f32 v5, v9, v5
	v_cvt_f16_f32_e32 v9, v5
	s_branch .LBB200_1549
.LBB200_1547:
	s_mov_b64 s[0:1], -1
                                        ; implicit-def: $vgpr9
.LBB200_1548:
	s_mov_b64 s[10:11], 0
.LBB200_1549:
	s_and_b64 vcc, exec, s[10:11]
	s_cbranch_vccz .LBB200_1567
; %bb.1550:
	s_cmp_lt_i32 s17, 27
	s_cbranch_scc1 .LBB200_1553
; %bb.1551:
	s_cmp_gt_i32 s17, 27
	s_cbranch_scc0 .LBB200_1554
; %bb.1552:
	global_load_dword v5, v[7:8], off
	s_mov_b64 s[6:7], 0
	s_waitcnt vmcnt(0)
	v_cvt_f32_u32_e32 v5, v5
	v_cvt_f16_f32_e32 v9, v5
	s_branch .LBB200_1555
.LBB200_1553:
	s_mov_b64 s[6:7], -1
                                        ; implicit-def: $vgpr9
	s_branch .LBB200_1558
.LBB200_1554:
	s_mov_b64 s[6:7], -1
                                        ; implicit-def: $vgpr9
.LBB200_1555:
	s_andn2_b64 vcc, exec, s[6:7]
	s_cbranch_vccnz .LBB200_1557
; %bb.1556:
	global_load_ushort v5, v[7:8], off
	s_waitcnt vmcnt(0)
	v_cvt_f16_u16_e32 v9, v5
.LBB200_1557:
	s_mov_b64 s[6:7], 0
.LBB200_1558:
	s_andn2_b64 vcc, exec, s[6:7]
	s_cbranch_vccnz .LBB200_1566
; %bb.1559:
	global_load_ubyte v5, v[7:8], off
	s_movk_i32 s6, 0x7f
	s_waitcnt vmcnt(0)
	v_cmp_lt_i16_e32 vcc, s6, v5
	s_mov_b64 s[6:7], 0
	s_and_saveexec_b64 s[10:11], vcc
	s_xor_b64 s[10:11], exec, s[10:11]
	s_cbranch_execz .LBB200_1580
; %bb.1560:
	s_movk_i32 s6, 0x80
	v_cmp_eq_u16_e32 vcc, s6, v5
	s_mov_b64 s[6:7], -1
	s_and_saveexec_b64 s[12:13], vcc
; %bb.1561:
	s_xor_b64 s[6:7], exec, -1
; %bb.1562:
	s_or_b64 exec, exec, s[12:13]
	s_and_b64 s[6:7], s[6:7], exec
	s_or_saveexec_b64 s[10:11], s[10:11]
	v_mov_b32_e32 v9, 0x7e00
	s_xor_b64 exec, exec, s[10:11]
	s_cbranch_execnz .LBB200_1581
.LBB200_1563:
	s_or_b64 exec, exec, s[10:11]
	s_and_saveexec_b64 s[10:11], s[6:7]
	s_cbranch_execz .LBB200_1565
.LBB200_1564:
	v_lshlrev_b32_e32 v9, 24, v5
	v_and_b32_e32 v5, 0xffff, v5
	v_and_b32_e32 v11, 7, v5
	v_ffbh_u32_e32 v13, v11
	v_min_u32_e32 v13, 32, v13
	v_subrev_u32_e32 v14, 28, v13
	v_bfe_u32 v12, v5, 3, 4
	v_lshlrev_b32_e32 v5, v14, v5
	v_sub_u32_e32 v13, 29, v13
	v_and_b32_e32 v5, 7, v5
	v_cmp_eq_u32_e32 vcc, 0, v12
	v_cndmask_b32_e32 v12, v12, v13, vcc
	v_cndmask_b32_e32 v5, v11, v5, vcc
	v_mov_b32_e32 v11, 0x3b800000
	v_lshlrev_b32_e32 v5, 20, v5
	v_and_b32_e32 v9, 0x80000000, v9
	v_lshl_add_u32 v11, v12, 23, v11
	v_or3_b32 v5, v9, v11, v5
	v_cvt_f16_f32_e32 v9, v5
.LBB200_1565:
	s_or_b64 exec, exec, s[10:11]
.LBB200_1566:
	s_mov_b64 s[6:7], -1
.LBB200_1567:
	s_mov_b64 s[10:11], 0
.LBB200_1568:
	s_and_b64 vcc, exec, s[10:11]
	s_cbranch_vccz .LBB200_1601
; %bb.1569:
	s_cmp_gt_i32 s17, 22
	s_cbranch_scc0 .LBB200_1579
; %bb.1570:
	s_cmp_lt_i32 s17, 24
	s_cbranch_scc1 .LBB200_1582
; %bb.1571:
	s_cmp_gt_i32 s17, 24
	s_cbranch_scc0 .LBB200_1583
; %bb.1572:
	global_load_ubyte v5, v[7:8], off
	s_movk_i32 s2, 0x7f
	s_waitcnt vmcnt(0)
	v_cmp_lt_i16_e32 vcc, s2, v5
	s_mov_b64 s[2:3], 0
	s_and_saveexec_b64 s[6:7], vcc
	s_xor_b64 s[6:7], exec, s[6:7]
	s_cbranch_execz .LBB200_1595
; %bb.1573:
	s_movk_i32 s2, 0x80
	v_cmp_eq_u16_e32 vcc, s2, v5
	s_mov_b64 s[2:3], -1
	s_and_saveexec_b64 s[10:11], vcc
; %bb.1574:
	s_xor_b64 s[2:3], exec, -1
; %bb.1575:
	s_or_b64 exec, exec, s[10:11]
	s_and_b64 s[2:3], s[2:3], exec
	s_or_saveexec_b64 s[6:7], s[6:7]
	v_mov_b32_e32 v9, 0x7e00
	s_xor_b64 exec, exec, s[6:7]
	s_cbranch_execnz .LBB200_1596
.LBB200_1576:
	s_or_b64 exec, exec, s[6:7]
	s_and_saveexec_b64 s[6:7], s[2:3]
	s_cbranch_execz .LBB200_1578
.LBB200_1577:
	v_lshlrev_b32_e32 v9, 24, v5
	v_and_b32_e32 v5, 0xffff, v5
	v_and_b32_e32 v11, 3, v5
	v_ffbh_u32_e32 v13, v11
	v_min_u32_e32 v13, 32, v13
	v_subrev_u32_e32 v14, 29, v13
	v_bfe_u32 v12, v5, 2, 5
	v_lshlrev_b32_e32 v5, v14, v5
	v_sub_u32_e32 v13, 30, v13
	v_and_b32_e32 v5, 3, v5
	v_cmp_eq_u32_e32 vcc, 0, v12
	v_cndmask_b32_e32 v12, v12, v13, vcc
	v_cndmask_b32_e32 v5, v11, v5, vcc
	v_mov_b32_e32 v11, 0x37800000
	v_lshlrev_b32_e32 v5, 21, v5
	v_and_b32_e32 v9, 0x80000000, v9
	v_lshl_add_u32 v11, v12, 23, v11
	v_or3_b32 v5, v9, v11, v5
	v_cvt_f16_f32_e32 v9, v5
.LBB200_1578:
	s_or_b64 exec, exec, s[6:7]
	s_mov_b64 s[2:3], 0
	s_branch .LBB200_1584
.LBB200_1579:
	s_mov_b64 s[2:3], -1
                                        ; implicit-def: $vgpr9
	s_branch .LBB200_1590
.LBB200_1580:
	s_or_saveexec_b64 s[10:11], s[10:11]
	v_mov_b32_e32 v9, 0x7e00
	s_xor_b64 exec, exec, s[10:11]
	s_cbranch_execz .LBB200_1563
.LBB200_1581:
	v_cmp_ne_u16_e32 vcc, 0, v5
	s_andn2_b64 s[6:7], s[6:7], exec
	s_and_b64 s[12:13], vcc, exec
	s_or_b64 s[6:7], s[6:7], s[12:13]
	v_mov_b32_e32 v9, v5
	s_or_b64 exec, exec, s[10:11]
	s_and_saveexec_b64 s[10:11], s[6:7]
	s_cbranch_execnz .LBB200_1564
	s_branch .LBB200_1565
.LBB200_1582:
	s_mov_b64 s[2:3], -1
                                        ; implicit-def: $vgpr9
	s_branch .LBB200_1587
.LBB200_1583:
	s_mov_b64 s[2:3], -1
                                        ; implicit-def: $vgpr9
.LBB200_1584:
	s_and_b64 vcc, exec, s[2:3]
	s_cbranch_vccz .LBB200_1586
; %bb.1585:
	global_load_ubyte v5, v[7:8], off
	s_mov_b32 s2, 0x7f800000
	s_waitcnt vmcnt(0)
	v_lshlrev_b32_e32 v5, 24, v5
	v_and_b32_e32 v9, 0x7f000000, v5
	v_ffbh_u32_e32 v11, v9
	v_min_u32_e32 v11, 32, v11
	v_sub_u32_e64 v11, v11, 4 clamp
	v_lshlrev_b32_e32 v13, v11, v9
	v_lshlrev_b32_e32 v11, 23, v11
	v_lshrrev_b32_e32 v13, 4, v13
	v_add_u32_e32 v12, 0x1000000, v9
	v_sub_u32_e32 v11, v13, v11
	v_ashrrev_i32_e32 v12, 8, v12
	v_add_u32_e32 v11, 0x3c000000, v11
	v_and_or_b32 v11, v12, s2, v11
	v_cmp_ne_u32_e32 vcc, 0, v9
	v_cndmask_b32_e32 v9, 0, v11, vcc
	s_brev_b32 s2, 1
	v_and_or_b32 v5, v5, s2, v9
	v_cvt_f16_f32_e32 v9, v5
.LBB200_1586:
	s_mov_b64 s[2:3], 0
.LBB200_1587:
	s_andn2_b64 vcc, exec, s[2:3]
	s_cbranch_vccnz .LBB200_1589
; %bb.1588:
	global_load_ubyte v5, v[7:8], off
	s_movk_i32 s2, 0x7f00
	s_brev_b32 s3, 16
	s_waitcnt vmcnt(0)
	v_lshlrev_b16_e32 v9, 8, v5
	v_lshlrev_b32_e32 v5, 25, v5
	v_lshrrev_b32_e32 v11, 4, v5
	v_and_or_b32 v12, v9, s2, 0.5
	v_or_b32_e32 v11, 0x70000000, v11
	v_add_f32_e32 v12, -0.5, v12
	v_mul_f32_e32 v11, 0x7800000, v11
	v_cmp_gt_u32_e32 vcc, s3, v5
	v_bfe_i32 v9, v9, 0, 16
	v_cndmask_b32_e32 v5, v11, v12, vcc
	s_brev_b32 s2, 1
	v_and_or_b32 v5, v9, s2, v5
	v_cvt_f16_f32_e32 v9, v5
.LBB200_1589:
	s_mov_b64 s[2:3], 0
	s_mov_b64 s[6:7], -1
.LBB200_1590:
	s_andn2_b64 vcc, exec, s[2:3]
	s_mov_b64 s[2:3], 0
	s_cbranch_vccnz .LBB200_1601
; %bb.1591:
	s_cmp_gt_i32 s17, 14
	s_cbranch_scc0 .LBB200_1594
; %bb.1592:
	s_cmp_eq_u32 s17, 15
	s_cbranch_scc0 .LBB200_1597
; %bb.1593:
	global_load_ushort v5, v[7:8], off
	s_mov_b64 s[0:1], 0
	s_mov_b64 s[6:7], -1
	s_waitcnt vmcnt(0)
	v_lshlrev_b32_e32 v5, 16, v5
	v_cvt_f16_f32_e32 v9, v5
	s_branch .LBB200_1598
.LBB200_1594:
	s_mov_b64 s[10:11], -1
                                        ; implicit-def: $vgpr9
	s_branch .LBB200_1599
.LBB200_1595:
	s_or_saveexec_b64 s[6:7], s[6:7]
	v_mov_b32_e32 v9, 0x7e00
	s_xor_b64 exec, exec, s[6:7]
	s_cbranch_execz .LBB200_1576
.LBB200_1596:
	v_cmp_ne_u16_e32 vcc, 0, v5
	s_andn2_b64 s[2:3], s[2:3], exec
	s_and_b64 s[10:11], vcc, exec
	s_or_b64 s[2:3], s[2:3], s[10:11]
	v_mov_b32_e32 v9, v5
	s_or_b64 exec, exec, s[6:7]
	s_and_saveexec_b64 s[6:7], s[2:3]
	s_cbranch_execnz .LBB200_1577
	s_branch .LBB200_1578
.LBB200_1597:
	s_mov_b64 s[0:1], -1
                                        ; implicit-def: $vgpr9
.LBB200_1598:
	s_mov_b64 s[10:11], 0
.LBB200_1599:
	s_and_b64 vcc, exec, s[10:11]
	s_cbranch_vccz .LBB200_1601
; %bb.1600:
	s_cmp_lg_u32 s17, 11
	s_mov_b64 s[2:3], -1
	s_cselect_b64 s[0:1], -1, 0
.LBB200_1601:
	s_and_b64 vcc, exec, s[0:1]
	s_cbranch_vccnz .LBB200_2134
; %bb.1602:
	s_andn2_b64 vcc, exec, s[2:3]
	s_cbranch_vccnz .LBB200_1604
.LBB200_1603:
	global_load_ubyte v5, v[7:8], off
	v_mov_b32_e32 v9, 0x3c00
	s_mov_b64 s[6:7], -1
	s_waitcnt vmcnt(0)
	v_cmp_ne_u16_e32 vcc, 0, v5
	v_cndmask_b32_e32 v9, 0, v9, vcc
.LBB200_1604:
	s_mov_b64 s[0:1], 0
.LBB200_1605:
	s_and_b64 vcc, exec, s[0:1]
	s_cbranch_vccz .LBB200_1654
; %bb.1606:
	s_cmp_lt_i32 s17, 5
	s_cbranch_scc1 .LBB200_1611
; %bb.1607:
	s_cmp_lt_i32 s17, 8
	s_cbranch_scc1 .LBB200_1612
	;; [unrolled: 3-line block ×3, first 2 shown]
; %bb.1609:
	s_cmp_gt_i32 s17, 9
	s_cbranch_scc0 .LBB200_1614
; %bb.1610:
	global_load_dwordx2 v[11:12], v[7:8], off
	s_movk_i32 s0, 0x1ff
	s_movk_i32 s1, 0xffe
	v_mov_b32_e32 v5, 0x7c00
	v_mov_b32_e32 v9, 0x7e00
	s_movk_i32 s2, 0x40f
	s_mov_b32 s3, 0x8000
	s_waitcnt vmcnt(0)
	v_and_or_b32 v11, v12, s0, v11
	v_cmp_ne_u32_e32 vcc, 0, v11
	v_lshrrev_b32_e32 v13, 8, v12
	v_bfe_u32 v14, v12, 20, 11
	v_cndmask_b32_e64 v11, 0, 1, vcc
	v_sub_u32_e32 v15, 0x3f1, v14
	v_and_or_b32 v11, v13, s1, v11
	v_add_u32_e32 v14, 0xfffffc10, v14
	v_med3_i32 v13, v15, 0, 13
	v_or_b32_e32 v15, 0x1000, v11
	v_lshl_or_b32 v16, v14, 12, v11
	v_cmp_ne_u32_e32 vcc, 0, v11
	v_lshrrev_b32_e32 v11, v13, v15
	v_lshlrev_b32_e32 v13, v13, v11
	v_cndmask_b32_e32 v9, v5, v9, vcc
	v_cmp_ne_u32_e32 vcc, v13, v15
	v_cndmask_b32_e64 v13, 0, 1, vcc
	v_or_b32_e32 v11, v11, v13
	v_cmp_gt_i32_e32 vcc, 1, v14
	v_cndmask_b32_e32 v11, v16, v11, vcc
	v_and_b32_e32 v13, 7, v11
	v_cmp_lt_i32_e32 vcc, 5, v13
	v_cndmask_b32_e64 v15, 0, 1, vcc
	v_cmp_eq_u32_e32 vcc, 3, v13
	v_cndmask_b32_e64 v13, 0, 1, vcc
	v_lshrrev_b32_e32 v11, 2, v11
	v_or_b32_e32 v13, v13, v15
	v_add_u32_e32 v11, v11, v13
	v_cmp_gt_i32_e32 vcc, 31, v14
	v_cndmask_b32_e32 v5, v5, v11, vcc
	v_cmp_eq_u32_e32 vcc, s2, v14
	v_lshrrev_b32_e32 v12, 16, v12
	v_cndmask_b32_e32 v5, v5, v9, vcc
	v_and_or_b32 v9, v12, s3, v5
	s_mov_b64 s[0:1], 0
	s_branch .LBB200_1615
.LBB200_1611:
	s_mov_b64 s[0:1], -1
                                        ; implicit-def: $vgpr9
	s_branch .LBB200_1633
.LBB200_1612:
	s_mov_b64 s[0:1], -1
                                        ; implicit-def: $vgpr9
	s_branch .LBB200_1621
.LBB200_1613:
	s_mov_b64 s[0:1], -1
                                        ; implicit-def: $vgpr9
	s_branch .LBB200_1618
.LBB200_1614:
	s_mov_b64 s[0:1], -1
                                        ; implicit-def: $vgpr9
.LBB200_1615:
	s_andn2_b64 vcc, exec, s[0:1]
	s_cbranch_vccnz .LBB200_1617
; %bb.1616:
	global_load_dword v5, v[7:8], off
	s_waitcnt vmcnt(0)
	v_cvt_f16_f32_e32 v9, v5
.LBB200_1617:
	s_mov_b64 s[0:1], 0
.LBB200_1618:
	s_andn2_b64 vcc, exec, s[0:1]
	s_cbranch_vccnz .LBB200_1620
; %bb.1619:
	global_load_dword v9, v[7:8], off
.LBB200_1620:
	s_mov_b64 s[0:1], 0
.LBB200_1621:
	s_andn2_b64 vcc, exec, s[0:1]
	s_cbranch_vccnz .LBB200_1632
; %bb.1622:
	s_cmp_lt_i32 s17, 6
	s_cbranch_scc1 .LBB200_1625
; %bb.1623:
	s_cmp_gt_i32 s17, 6
	s_cbranch_scc0 .LBB200_1626
; %bb.1624:
	global_load_dwordx2 v[11:12], v[7:8], off
	s_movk_i32 s0, 0x1ff
	s_movk_i32 s1, 0xffe
	v_mov_b32_e32 v5, 0x7c00
	s_waitcnt vmcnt(1)
	v_mov_b32_e32 v9, 0x7e00
	s_movk_i32 s2, 0x40f
	s_mov_b32 s3, 0x8000
	s_waitcnt vmcnt(0)
	v_and_or_b32 v11, v12, s0, v11
	v_cmp_ne_u32_e32 vcc, 0, v11
	v_lshrrev_b32_e32 v13, 8, v12
	v_bfe_u32 v14, v12, 20, 11
	v_cndmask_b32_e64 v11, 0, 1, vcc
	v_sub_u32_e32 v15, 0x3f1, v14
	v_and_or_b32 v11, v13, s1, v11
	v_add_u32_e32 v14, 0xfffffc10, v14
	v_med3_i32 v13, v15, 0, 13
	v_or_b32_e32 v15, 0x1000, v11
	v_lshl_or_b32 v16, v14, 12, v11
	v_cmp_ne_u32_e32 vcc, 0, v11
	v_lshrrev_b32_e32 v11, v13, v15
	v_lshlrev_b32_e32 v13, v13, v11
	v_cndmask_b32_e32 v9, v5, v9, vcc
	v_cmp_ne_u32_e32 vcc, v13, v15
	v_cndmask_b32_e64 v13, 0, 1, vcc
	v_or_b32_e32 v11, v11, v13
	v_cmp_gt_i32_e32 vcc, 1, v14
	v_cndmask_b32_e32 v11, v16, v11, vcc
	v_and_b32_e32 v13, 7, v11
	v_cmp_lt_i32_e32 vcc, 5, v13
	v_cndmask_b32_e64 v15, 0, 1, vcc
	v_cmp_eq_u32_e32 vcc, 3, v13
	v_cndmask_b32_e64 v13, 0, 1, vcc
	v_lshrrev_b32_e32 v11, 2, v11
	v_or_b32_e32 v13, v13, v15
	v_add_u32_e32 v11, v11, v13
	v_cmp_gt_i32_e32 vcc, 31, v14
	v_cndmask_b32_e32 v5, v5, v11, vcc
	v_cmp_eq_u32_e32 vcc, s2, v14
	v_lshrrev_b32_e32 v12, 16, v12
	v_cndmask_b32_e32 v5, v5, v9, vcc
	v_and_or_b32 v9, v12, s3, v5
	s_mov_b64 s[0:1], 0
	s_branch .LBB200_1627
.LBB200_1625:
	s_mov_b64 s[0:1], -1
                                        ; implicit-def: $vgpr9
	s_branch .LBB200_1630
.LBB200_1626:
	s_mov_b64 s[0:1], -1
                                        ; implicit-def: $vgpr9
.LBB200_1627:
	s_andn2_b64 vcc, exec, s[0:1]
	s_cbranch_vccnz .LBB200_1629
; %bb.1628:
	global_load_dword v5, v[7:8], off
	s_waitcnt vmcnt(0)
	v_cvt_f16_f32_e32 v9, v5
.LBB200_1629:
	s_mov_b64 s[0:1], 0
.LBB200_1630:
	s_andn2_b64 vcc, exec, s[0:1]
	s_cbranch_vccnz .LBB200_1632
; %bb.1631:
	global_load_ushort v9, v[7:8], off
.LBB200_1632:
	s_mov_b64 s[0:1], 0
.LBB200_1633:
	s_andn2_b64 vcc, exec, s[0:1]
	s_cbranch_vccnz .LBB200_1653
; %bb.1634:
	s_cmp_lt_i32 s17, 2
	s_cbranch_scc1 .LBB200_1638
; %bb.1635:
	s_cmp_lt_i32 s17, 3
	s_cbranch_scc1 .LBB200_1639
; %bb.1636:
	s_cmp_gt_i32 s17, 3
	s_cbranch_scc0 .LBB200_1640
; %bb.1637:
	global_load_dwordx2 v[11:12], v[7:8], off
	s_mov_b64 s[0:1], 0
	s_waitcnt vmcnt(0)
	v_xor_b32_e32 v9, v11, v12
	v_ffbh_i32_e32 v5, v12
	v_ashrrev_i32_e32 v9, 31, v9
	v_add_u32_e32 v5, -1, v5
	v_add_u32_e32 v9, 32, v9
	v_min_u32_e32 v5, v5, v9
	v_lshlrev_b64 v[11:12], v5, v[11:12]
	v_sub_u32_e32 v5, 32, v5
	v_min_u32_e32 v9, 1, v11
	v_or_b32_e32 v9, v12, v9
	v_cvt_f32_i32_e32 v9, v9
	v_ldexp_f32 v5, v9, v5
	v_cvt_f16_f32_e32 v9, v5
	s_branch .LBB200_1641
.LBB200_1638:
	s_mov_b64 s[0:1], -1
                                        ; implicit-def: $vgpr9
	s_branch .LBB200_1647
.LBB200_1639:
	s_mov_b64 s[0:1], -1
                                        ; implicit-def: $vgpr9
	s_branch .LBB200_1644
.LBB200_1640:
	s_mov_b64 s[0:1], -1
                                        ; implicit-def: $vgpr9
.LBB200_1641:
	s_andn2_b64 vcc, exec, s[0:1]
	s_cbranch_vccnz .LBB200_1643
; %bb.1642:
	global_load_dword v5, v[7:8], off
	s_waitcnt vmcnt(0)
	v_cvt_f32_i32_e32 v5, v5
	v_cvt_f16_f32_e32 v9, v5
.LBB200_1643:
	s_mov_b64 s[0:1], 0
.LBB200_1644:
	s_andn2_b64 vcc, exec, s[0:1]
	s_cbranch_vccnz .LBB200_1646
; %bb.1645:
	global_load_ushort v5, v[7:8], off
	s_waitcnt vmcnt(0)
	v_cvt_f16_i16_e32 v9, v5
.LBB200_1646:
	s_mov_b64 s[0:1], 0
.LBB200_1647:
	s_andn2_b64 vcc, exec, s[0:1]
	s_cbranch_vccnz .LBB200_1653
; %bb.1648:
	s_cmp_gt_i32 s17, 0
	s_cbranch_scc0 .LBB200_1650
; %bb.1649:
	global_load_sbyte v5, v[7:8], off
	s_mov_b64 s[0:1], 0
	s_waitcnt vmcnt(0)
	v_cvt_f16_i16_e32 v9, v5
	s_branch .LBB200_1651
.LBB200_1650:
	s_mov_b64 s[0:1], -1
                                        ; implicit-def: $vgpr9
.LBB200_1651:
	s_andn2_b64 vcc, exec, s[0:1]
	s_cbranch_vccnz .LBB200_1653
; %bb.1652:
	global_load_ubyte v5, v[7:8], off
	s_waitcnt vmcnt(0)
	v_cvt_f16_u16_e32 v9, v5
.LBB200_1653:
	s_mov_b64 s[6:7], -1
.LBB200_1654:
	s_andn2_b64 vcc, exec, s[6:7]
	s_cbranch_vccnz .LBB200_2088
; %bb.1655:
	s_load_dwordx2 s[0:1], s[34:35], 0x158
	s_bfe_u32 s18, s16, 0x80010
	v_mov_b32_e32 v7, s9
	s_waitcnt lgkmcnt(0)
	s_lshr_b32 s17, s0, 16
	v_mov_b32_e32 v5, s0
	v_mov_b32_e32 v8, s17
	v_cmp_le_f16_e64 s[0:1], s1, v5
	v_add_co_u32_e32 v5, vcc, s8, v6
	v_cndmask_b32_e64 v1, v1, v8, s[0:1]
	s_cmp_lt_i32 s18, 11
	v_addc_co_u32_e32 v6, vcc, 0, v7, vcc
	s_cbranch_scc1 .LBB200_1733
; %bb.1656:
	s_and_b32 s19, 0xffff, s18
	s_mov_b64 s[12:13], -1
	s_mov_b64 s[6:7], 0
	s_cmp_gt_i32 s19, 25
	s_mov_b64 s[10:11], 0
	s_mov_b64 s[2:3], 0
	s_cbranch_scc0 .LBB200_1689
; %bb.1657:
	s_cmp_gt_i32 s19, 28
	s_cbranch_scc0 .LBB200_1672
; %bb.1658:
	s_cmp_gt_i32 s19, 43
	;; [unrolled: 3-line block ×3, first 2 shown]
	s_cbranch_scc0 .LBB200_1662
; %bb.1660:
	s_mov_b64 s[2:3], -1
	s_mov_b64 s[12:13], 0
	s_cmp_eq_u32 s19, 46
	s_cbranch_scc0 .LBB200_1662
; %bb.1661:
	v_cvt_f32_f16_e32 v7, v1
	s_movk_i32 s2, 0x7fff
	v_cmp_o_f16_e32 vcc, v1, v1
	v_mov_b32_e32 v8, 0x7fc0
	v_bfe_u32 v11, v7, 16, 1
	v_add3_u32 v7, v7, v11, s2
	v_cndmask_b32_sdwa v7, v8, v7, vcc dst_sel:DWORD dst_unused:UNUSED_PAD src0_sel:DWORD src1_sel:WORD_1
	global_store_dword v[5:6], v7, off
	s_mov_b64 s[2:3], 0
	s_mov_b64 s[10:11], -1
.LBB200_1662:
	s_and_b64 vcc, exec, s[12:13]
	s_cbranch_vccz .LBB200_1667
; %bb.1663:
	s_cmp_eq_u32 s19, 44
	s_mov_b64 s[2:3], -1
	s_cbranch_scc0 .LBB200_1667
; %bb.1664:
	v_cvt_f32_f16_e32 v7, v1
	s_movk_i32 s2, 0xff
	v_mov_b32_e32 v11, 0xff
	v_bfe_u32 v8, v7, 23, 8
	v_cmp_ne_u32_e32 vcc, s2, v8
	s_and_saveexec_b64 s[10:11], vcc
; %bb.1665:
	s_mov_b32 s2, 0x3fffff
	v_lshrrev_b32_e32 v11, 23, v7
	v_and_b32_e32 v12, 0x400000, v7
	v_and_or_b32 v7, v7, s2, v8
	v_cmp_ne_u32_e32 vcc, 0, v12
	v_cmp_ne_u32_e64 s[2:3], 0, v7
	s_and_b64 s[2:3], vcc, s[2:3]
	v_cndmask_b32_e64 v7, 0, 1, s[2:3]
	v_add_u32_e32 v11, v11, v7
; %bb.1666:
	s_or_b64 exec, exec, s[10:11]
	s_mov_b64 s[2:3], 0
	s_mov_b64 s[10:11], -1
	global_store_byte v[5:6], v11, off
.LBB200_1667:
	s_mov_b64 s[12:13], 0
.LBB200_1668:
	s_and_b64 vcc, exec, s[12:13]
	s_cbranch_vccz .LBB200_1671
; %bb.1669:
	s_cmp_eq_u32 s19, 29
	s_mov_b64 s[2:3], -1
	s_cbranch_scc0 .LBB200_1671
; %bb.1670:
	v_cvt_f32_f16_e32 v7, v1
	v_mov_b32_e32 v8, 0
	s_mov_b64 s[2:3], 0
	s_mov_b64 s[10:11], -1
	v_cvt_u32_f32_e32 v7, v7
	global_store_dwordx2 v[5:6], v[7:8], off
.LBB200_1671:
	s_mov_b64 s[12:13], 0
.LBB200_1672:
	s_and_b64 vcc, exec, s[12:13]
	s_cbranch_vccz .LBB200_1688
; %bb.1673:
	s_cmp_lt_i32 s19, 27
	s_mov_b64 s[10:11], -1
	s_cbranch_scc1 .LBB200_1679
; %bb.1674:
	s_cmp_gt_i32 s19, 27
	s_cbranch_scc0 .LBB200_1676
; %bb.1675:
	v_cvt_f32_f16_e32 v7, v1
	s_mov_b64 s[10:11], 0
	v_cvt_u32_f32_e32 v7, v7
	global_store_dword v[5:6], v7, off
.LBB200_1676:
	s_andn2_b64 vcc, exec, s[10:11]
	s_cbranch_vccnz .LBB200_1678
; %bb.1677:
	v_cvt_u16_f16_e32 v7, v1
	global_store_short v[5:6], v7, off
.LBB200_1678:
	s_mov_b64 s[10:11], 0
.LBB200_1679:
	s_andn2_b64 vcc, exec, s[10:11]
	s_cbranch_vccnz .LBB200_1687
; %bb.1680:
	v_cvt_f32_f16_e32 v7, v1
	s_mov_b32 s10, 0x43800000
	v_mov_b32_e32 v11, 0x80
	v_and_b32_e32 v8, 0x7fffffff, v7
	v_cmp_gt_u32_e32 vcc, s10, v8
	s_and_saveexec_b64 s[10:11], vcc
	s_cbranch_execz .LBB200_1686
; %bb.1681:
	s_mov_b32 s12, 0x3bffffff
	v_cmp_lt_u32_e32 vcc, s12, v8
	s_mov_b64 s[12:13], 0
                                        ; implicit-def: $vgpr8
	s_and_saveexec_b64 s[14:15], vcc
	s_xor_b64 s[14:15], exec, s[14:15]
	s_cbranch_execz .LBB200_2135
; %bb.1682:
	v_bfe_u32 v8, v7, 20, 1
	s_mov_b32 s20, 0x487ffff
	v_add3_u32 v8, v7, v8, s20
	s_mov_b64 s[12:13], exec
	v_lshrrev_b32_e32 v8, 20, v8
	s_andn2_saveexec_b64 s[14:15], s[14:15]
	s_cbranch_execnz .LBB200_2136
.LBB200_1683:
	s_or_b64 exec, exec, s[14:15]
	v_mov_b32_e32 v11, 0
	s_and_saveexec_b64 s[14:15], s[12:13]
.LBB200_1684:
	v_lshrrev_b32_e32 v7, 24, v7
	s_movk_i32 s12, 0x80
	v_and_or_b32 v11, v7, s12, v8
.LBB200_1685:
	s_or_b64 exec, exec, s[14:15]
.LBB200_1686:
	s_or_b64 exec, exec, s[10:11]
	global_store_byte v[5:6], v11, off
.LBB200_1687:
	s_mov_b64 s[10:11], -1
.LBB200_1688:
	s_mov_b64 s[12:13], 0
.LBB200_1689:
	s_and_b64 vcc, exec, s[12:13]
	s_cbranch_vccz .LBB200_1729
; %bb.1690:
	s_cmp_gt_i32 s19, 22
	s_mov_b64 s[6:7], -1
	s_cbranch_scc0 .LBB200_1722
; %bb.1691:
	s_cmp_lt_i32 s19, 24
	s_cbranch_scc1 .LBB200_1711
; %bb.1692:
	s_cmp_gt_i32 s19, 24
	s_cbranch_scc0 .LBB200_1700
; %bb.1693:
	v_cvt_f32_f16_e32 v7, v1
	s_mov_b32 s6, 0x47800000
	v_mov_b32_e32 v11, 0x80
	v_and_b32_e32 v8, 0x7fffffff, v7
	v_cmp_gt_u32_e32 vcc, s6, v8
	s_and_saveexec_b64 s[6:7], vcc
	s_cbranch_execz .LBB200_1699
; %bb.1694:
	s_mov_b32 s10, 0x37ffffff
	v_cmp_lt_u32_e32 vcc, s10, v8
	s_mov_b64 s[10:11], 0
                                        ; implicit-def: $vgpr8
	s_and_saveexec_b64 s[12:13], vcc
	s_xor_b64 s[12:13], exec, s[12:13]
	s_cbranch_execz .LBB200_2138
; %bb.1695:
	v_bfe_u32 v8, v7, 21, 1
	s_mov_b32 s14, 0x88fffff
	v_add3_u32 v8, v7, v8, s14
	s_mov_b64 s[10:11], exec
	v_lshrrev_b32_e32 v8, 21, v8
	s_andn2_saveexec_b64 s[12:13], s[12:13]
	s_cbranch_execnz .LBB200_2139
.LBB200_1696:
	s_or_b64 exec, exec, s[12:13]
	v_mov_b32_e32 v11, 0
	s_and_saveexec_b64 s[12:13], s[10:11]
.LBB200_1697:
	v_lshrrev_b32_e32 v7, 24, v7
	s_movk_i32 s10, 0x80
	v_and_or_b32 v11, v7, s10, v8
.LBB200_1698:
	s_or_b64 exec, exec, s[12:13]
.LBB200_1699:
	s_or_b64 exec, exec, s[6:7]
	s_mov_b64 s[6:7], 0
	global_store_byte v[5:6], v11, off
.LBB200_1700:
	s_and_b64 vcc, exec, s[6:7]
	s_cbranch_vccz .LBB200_1710
; %bb.1701:
	v_cvt_f32_f16_e32 v7, v1
	s_mov_b32 s6, 0x43f00000
                                        ; implicit-def: $vgpr8
	v_and_b32_e32 v11, 0x7fffffff, v7
	v_cmp_gt_u32_e32 vcc, s6, v11
	s_and_saveexec_b64 s[6:7], vcc
	s_xor_b64 s[6:7], exec, s[6:7]
	s_cbranch_execz .LBB200_1707
; %bb.1702:
	s_mov_b32 s10, 0x3c7fffff
	v_cmp_lt_u32_e32 vcc, s10, v11
                                        ; implicit-def: $vgpr8
	s_and_saveexec_b64 s[10:11], vcc
	s_xor_b64 s[10:11], exec, s[10:11]
; %bb.1703:
	v_bfe_u32 v8, v7, 20, 1
	s_mov_b32 s12, 0x407ffff
	v_add3_u32 v8, v7, v8, s12
	v_lshrrev_b32_e32 v11, 20, v8
	v_and_b32_e32 v8, 0xff00000, v8
	s_mov_b32 s12, 0x7f00000
	v_mov_b32_e32 v12, 0x7e
	v_cmp_ne_u32_e32 vcc, s12, v8
	v_cndmask_b32_e32 v8, v12, v11, vcc
; %bb.1704:
	s_andn2_saveexec_b64 s[10:11], s[10:11]
; %bb.1705:
	s_mov_b32 s12, 0x46800000
	v_add_f32_e64 v8, |v7|, s12
; %bb.1706:
	s_or_b64 exec, exec, s[10:11]
                                        ; implicit-def: $vgpr11
.LBB200_1707:
	s_andn2_saveexec_b64 s[6:7], s[6:7]
; %bb.1708:
	s_mov_b32 s10, 0x7f800000
	v_mov_b32_e32 v8, 0x7e
	v_mov_b32_e32 v12, 0x7f
	v_cmp_lt_u32_e32 vcc, s10, v11
	v_cndmask_b32_e32 v8, v8, v12, vcc
; %bb.1709:
	s_or_b64 exec, exec, s[6:7]
	v_lshrrev_b32_e32 v7, 24, v7
	s_movk_i32 s6, 0x80
	v_and_or_b32 v7, v7, s6, v8
	global_store_byte v[5:6], v7, off
.LBB200_1710:
	s_mov_b64 s[6:7], 0
.LBB200_1711:
	s_andn2_b64 vcc, exec, s[6:7]
	s_cbranch_vccnz .LBB200_1721
; %bb.1712:
	v_cvt_f32_f16_e32 v7, v1
	s_mov_b32 s6, 0x47800000
                                        ; implicit-def: $vgpr8
	v_and_b32_e32 v11, 0x7fffffff, v7
	v_cmp_gt_u32_e32 vcc, s6, v11
	s_and_saveexec_b64 s[6:7], vcc
	s_xor_b64 s[6:7], exec, s[6:7]
	s_cbranch_execz .LBB200_1718
; %bb.1713:
	s_mov_b32 s10, 0x387fffff
	v_cmp_lt_u32_e32 vcc, s10, v11
                                        ; implicit-def: $vgpr8
	s_and_saveexec_b64 s[10:11], vcc
	s_xor_b64 s[10:11], exec, s[10:11]
; %bb.1714:
	v_bfe_u32 v8, v7, 21, 1
	s_mov_b32 s12, 0x80fffff
	v_add3_u32 v8, v7, v8, s12
	v_lshrrev_b32_e32 v8, 21, v8
; %bb.1715:
	s_andn2_saveexec_b64 s[10:11], s[10:11]
; %bb.1716:
	s_mov_b32 s12, 0x43000000
	v_add_f32_e64 v8, |v7|, s12
; %bb.1717:
	s_or_b64 exec, exec, s[10:11]
                                        ; implicit-def: $vgpr11
.LBB200_1718:
	s_andn2_saveexec_b64 s[6:7], s[6:7]
; %bb.1719:
	s_mov_b32 s10, 0x7f800000
	v_mov_b32_e32 v8, 0x7c
	v_mov_b32_e32 v12, 0x7f
	v_cmp_lt_u32_e32 vcc, s10, v11
	v_cndmask_b32_e32 v8, v8, v12, vcc
; %bb.1720:
	s_or_b64 exec, exec, s[6:7]
	v_lshrrev_b32_e32 v7, 24, v7
	s_movk_i32 s6, 0x80
	v_and_or_b32 v7, v7, s6, v8
	global_store_byte v[5:6], v7, off
.LBB200_1721:
	s_mov_b64 s[6:7], 0
	s_mov_b64 s[10:11], -1
.LBB200_1722:
	s_andn2_b64 vcc, exec, s[6:7]
	s_mov_b64 s[6:7], 0
	s_cbranch_vccnz .LBB200_1729
; %bb.1723:
	s_cmp_gt_i32 s19, 14
	s_mov_b64 s[12:13], -1
	s_cbranch_scc0 .LBB200_1727
; %bb.1724:
	s_cmp_eq_u32 s19, 15
	s_mov_b64 s[2:3], -1
	s_cbranch_scc0 .LBB200_1726
; %bb.1725:
	v_cvt_f32_f16_e32 v7, v1
	s_movk_i32 s2, 0x7fff
	v_cmp_o_f16_e32 vcc, v1, v1
	v_mov_b32_e32 v8, 0x7fc0
	v_bfe_u32 v11, v7, 16, 1
	v_add3_u32 v7, v7, v11, s2
	v_cndmask_b32_sdwa v7, v8, v7, vcc dst_sel:DWORD dst_unused:UNUSED_PAD src0_sel:DWORD src1_sel:WORD_1
	global_store_short v[5:6], v7, off
	s_mov_b64 s[2:3], 0
	s_mov_b64 s[10:11], -1
.LBB200_1726:
	s_mov_b64 s[12:13], 0
.LBB200_1727:
	s_and_b64 vcc, exec, s[12:13]
	s_cbranch_vccz .LBB200_1729
; %bb.1728:
	s_cmp_lg_u32 s19, 11
	s_mov_b64 s[6:7], -1
	s_cselect_b64 s[2:3], -1, 0
.LBB200_1729:
	s_and_b64 vcc, exec, s[2:3]
	s_cbranch_vccnz .LBB200_2137
; %bb.1730:
	s_andn2_b64 vcc, exec, s[6:7]
	s_cbranch_vccnz .LBB200_1732
.LBB200_1731:
	v_and_b32_e32 v7, 0x7fff, v1
	v_cmp_ne_u16_e32 vcc, 0, v7
	v_cndmask_b32_e64 v7, 0, 1, vcc
	s_mov_b64 s[10:11], -1
	global_store_byte v[5:6], v7, off
.LBB200_1732:
	s_mov_b64 s[2:3], 0
	s_branch .LBB200_1734
.LBB200_1733:
	s_mov_b64 s[2:3], -1
	s_mov_b64 s[10:11], 0
.LBB200_1734:
	s_and_b64 vcc, exec, s[2:3]
	s_cbranch_vccz .LBB200_1773
; %bb.1735:
	s_and_b32 s6, 0xffff, s18
	s_cmp_lt_i32 s6, 5
	s_mov_b64 s[2:3], -1
	s_cbranch_scc1 .LBB200_1756
; %bb.1736:
	s_cmp_lt_i32 s6, 8
	s_cbranch_scc1 .LBB200_1746
; %bb.1737:
	s_cmp_lt_i32 s6, 9
	s_cbranch_scc1 .LBB200_1743
; %bb.1738:
	s_cmp_gt_i32 s6, 9
	s_cbranch_scc0 .LBB200_1740
; %bb.1739:
	v_cvt_f32_f16_e32 v7, v1
	v_mov_b32_e32 v13, 0
	v_mov_b32_e32 v14, v13
	s_mov_b64 s[2:3], 0
	v_cvt_f64_f32_e32 v[11:12], v7
	global_store_dwordx4 v[5:6], v[11:14], off
.LBB200_1740:
	s_andn2_b64 vcc, exec, s[2:3]
	s_cbranch_vccnz .LBB200_1742
; %bb.1741:
	v_cvt_f32_f16_e32 v7, v1
	v_mov_b32_e32 v8, 0
	global_store_dwordx2 v[5:6], v[7:8], off
.LBB200_1742:
	s_mov_b64 s[2:3], 0
.LBB200_1743:
	s_andn2_b64 vcc, exec, s[2:3]
	s_cbranch_vccnz .LBB200_1745
; %bb.1744:
	v_and_b32_e32 v7, 0xffff, v1
	global_store_dword v[5:6], v7, off
.LBB200_1745:
	s_mov_b64 s[2:3], 0
.LBB200_1746:
	s_andn2_b64 vcc, exec, s[2:3]
	s_cbranch_vccnz .LBB200_1755
; %bb.1747:
	s_cmp_lt_i32 s6, 6
	s_mov_b64 s[2:3], -1
	s_cbranch_scc1 .LBB200_1753
; %bb.1748:
	s_cmp_gt_i32 s6, 6
	s_cbranch_scc0 .LBB200_1750
; %bb.1749:
	v_cvt_f32_f16_e32 v7, v1
	s_mov_b64 s[2:3], 0
	v_cvt_f64_f32_e32 v[7:8], v7
	global_store_dwordx2 v[5:6], v[7:8], off
.LBB200_1750:
	s_andn2_b64 vcc, exec, s[2:3]
	s_cbranch_vccnz .LBB200_1752
; %bb.1751:
	v_cvt_f32_f16_e32 v7, v1
	global_store_dword v[5:6], v7, off
.LBB200_1752:
	s_mov_b64 s[2:3], 0
.LBB200_1753:
	s_andn2_b64 vcc, exec, s[2:3]
	s_cbranch_vccnz .LBB200_1755
; %bb.1754:
	global_store_short v[5:6], v1, off
.LBB200_1755:
	s_mov_b64 s[2:3], 0
.LBB200_1756:
	s_andn2_b64 vcc, exec, s[2:3]
	s_cbranch_vccnz .LBB200_1772
; %bb.1757:
	s_cmp_lt_i32 s6, 2
	s_mov_b64 s[2:3], -1
	s_cbranch_scc1 .LBB200_1767
; %bb.1758:
	s_cmp_lt_i32 s6, 3
	s_cbranch_scc1 .LBB200_1764
; %bb.1759:
	s_cmp_gt_i32 s6, 3
	s_cbranch_scc0 .LBB200_1761
; %bb.1760:
	v_cvt_f32_f16_e32 v7, v1
	s_mov_b64 s[2:3], 0
	v_cvt_i32_f32_e32 v7, v7
	v_ashrrev_i32_e32 v8, 31, v7
	global_store_dwordx2 v[5:6], v[7:8], off
.LBB200_1761:
	s_andn2_b64 vcc, exec, s[2:3]
	s_cbranch_vccnz .LBB200_1763
; %bb.1762:
	v_cvt_f32_f16_e32 v7, v1
	v_cvt_i32_f32_e32 v7, v7
	global_store_dword v[5:6], v7, off
.LBB200_1763:
	s_mov_b64 s[2:3], 0
.LBB200_1764:
	s_andn2_b64 vcc, exec, s[2:3]
	s_cbranch_vccnz .LBB200_1766
; %bb.1765:
	v_cvt_i16_f16_e32 v7, v1
	global_store_short v[5:6], v7, off
.LBB200_1766:
	s_mov_b64 s[2:3], 0
.LBB200_1767:
	s_andn2_b64 vcc, exec, s[2:3]
	s_cbranch_vccnz .LBB200_1772
; %bb.1768:
	s_cmp_gt_i32 s6, 0
	s_mov_b64 s[2:3], -1
	s_cbranch_scc0 .LBB200_1770
; %bb.1769:
	v_cvt_i16_f16_e32 v7, v1
	global_store_byte v[5:6], v7, off
	s_mov_b64 s[2:3], 0
.LBB200_1770:
	s_andn2_b64 vcc, exec, s[2:3]
	s_cbranch_vccnz .LBB200_1772
; %bb.1771:
	v_cvt_f32_f16_e32 v1, v1
	v_cvt_i32_f32_e32 v1, v1
	global_store_byte v[5:6], v1, off
.LBB200_1772:
	s_mov_b64 s[10:11], -1
.LBB200_1773:
	s_andn2_b64 vcc, exec, s[10:11]
	s_cbranch_vccnz .LBB200_2088
; %bb.1774:
	s_lshr_b32 s2, s16, 16
	v_mov_b32_e32 v1, s17
	s_and_b32 s16, s2, 0xff
	s_waitcnt vmcnt(0)
	v_cndmask_b32_e64 v1, v3, v1, s[0:1]
	v_mov_b32_e32 v5, s9
	v_add_co_u32_e32 v3, vcc, s8, v4
	s_cmp_lt_i32 s16, 11
	v_addc_co_u32_e32 v4, vcc, 0, v5, vcc
	s_cbranch_scc1 .LBB200_1852
; %bb.1775:
	s_and_b32 s18, 0xffff, s16
	s_mov_b64 s[12:13], -1
	s_mov_b64 s[6:7], 0
	s_cmp_gt_i32 s18, 25
	s_mov_b64 s[10:11], 0
	s_mov_b64 s[2:3], 0
	s_cbranch_scc0 .LBB200_1808
; %bb.1776:
	s_cmp_gt_i32 s18, 28
	s_cbranch_scc0 .LBB200_1791
; %bb.1777:
	s_cmp_gt_i32 s18, 43
	;; [unrolled: 3-line block ×3, first 2 shown]
	s_cbranch_scc0 .LBB200_1781
; %bb.1779:
	s_mov_b64 s[2:3], -1
	s_mov_b64 s[12:13], 0
	s_cmp_eq_u32 s18, 46
	s_cbranch_scc0 .LBB200_1781
; %bb.1780:
	v_cvt_f32_f16_e32 v5, v1
	s_movk_i32 s2, 0x7fff
	v_cmp_o_f16_e32 vcc, v1, v1
	v_mov_b32_e32 v6, 0x7fc0
	v_bfe_u32 v7, v5, 16, 1
	v_add3_u32 v5, v5, v7, s2
	v_cndmask_b32_sdwa v5, v6, v5, vcc dst_sel:DWORD dst_unused:UNUSED_PAD src0_sel:DWORD src1_sel:WORD_1
	global_store_dword v[3:4], v5, off
	s_mov_b64 s[2:3], 0
	s_mov_b64 s[10:11], -1
.LBB200_1781:
	s_and_b64 vcc, exec, s[12:13]
	s_cbranch_vccz .LBB200_1786
; %bb.1782:
	s_cmp_eq_u32 s18, 44
	s_mov_b64 s[2:3], -1
	s_cbranch_scc0 .LBB200_1786
; %bb.1783:
	v_cvt_f32_f16_e32 v5, v1
	s_movk_i32 s2, 0xff
	v_mov_b32_e32 v7, 0xff
	v_bfe_u32 v6, v5, 23, 8
	v_cmp_ne_u32_e32 vcc, s2, v6
	s_and_saveexec_b64 s[10:11], vcc
; %bb.1784:
	s_mov_b32 s2, 0x3fffff
	v_lshrrev_b32_e32 v7, 23, v5
	v_and_b32_e32 v8, 0x400000, v5
	v_and_or_b32 v5, v5, s2, v6
	v_cmp_ne_u32_e32 vcc, 0, v8
	v_cmp_ne_u32_e64 s[2:3], 0, v5
	s_and_b64 s[2:3], vcc, s[2:3]
	v_cndmask_b32_e64 v5, 0, 1, s[2:3]
	v_add_u32_e32 v7, v7, v5
; %bb.1785:
	s_or_b64 exec, exec, s[10:11]
	s_mov_b64 s[2:3], 0
	s_mov_b64 s[10:11], -1
	global_store_byte v[3:4], v7, off
.LBB200_1786:
	s_mov_b64 s[12:13], 0
.LBB200_1787:
	s_and_b64 vcc, exec, s[12:13]
	s_cbranch_vccz .LBB200_1790
; %bb.1788:
	s_cmp_eq_u32 s18, 29
	s_mov_b64 s[2:3], -1
	s_cbranch_scc0 .LBB200_1790
; %bb.1789:
	v_cvt_f32_f16_e32 v5, v1
	v_mov_b32_e32 v6, 0
	s_mov_b64 s[2:3], 0
	s_mov_b64 s[10:11], -1
	v_cvt_u32_f32_e32 v5, v5
	global_store_dwordx2 v[3:4], v[5:6], off
.LBB200_1790:
	s_mov_b64 s[12:13], 0
.LBB200_1791:
	s_and_b64 vcc, exec, s[12:13]
	s_cbranch_vccz .LBB200_1807
; %bb.1792:
	s_cmp_lt_i32 s18, 27
	s_mov_b64 s[10:11], -1
	s_cbranch_scc1 .LBB200_1798
; %bb.1793:
	s_cmp_gt_i32 s18, 27
	s_cbranch_scc0 .LBB200_1795
; %bb.1794:
	v_cvt_f32_f16_e32 v5, v1
	s_mov_b64 s[10:11], 0
	v_cvt_u32_f32_e32 v5, v5
	global_store_dword v[3:4], v5, off
.LBB200_1795:
	s_andn2_b64 vcc, exec, s[10:11]
	s_cbranch_vccnz .LBB200_1797
; %bb.1796:
	v_cvt_u16_f16_e32 v5, v1
	global_store_short v[3:4], v5, off
.LBB200_1797:
	s_mov_b64 s[10:11], 0
.LBB200_1798:
	s_andn2_b64 vcc, exec, s[10:11]
	s_cbranch_vccnz .LBB200_1806
; %bb.1799:
	v_cvt_f32_f16_e32 v5, v1
	s_mov_b32 s10, 0x43800000
	v_mov_b32_e32 v7, 0x80
	v_and_b32_e32 v6, 0x7fffffff, v5
	v_cmp_gt_u32_e32 vcc, s10, v6
	s_and_saveexec_b64 s[10:11], vcc
	s_cbranch_execz .LBB200_1805
; %bb.1800:
	s_mov_b32 s12, 0x3bffffff
	v_cmp_lt_u32_e32 vcc, s12, v6
	s_mov_b64 s[12:13], 0
                                        ; implicit-def: $vgpr6
	s_and_saveexec_b64 s[14:15], vcc
	s_xor_b64 s[14:15], exec, s[14:15]
	s_cbranch_execz .LBB200_2140
; %bb.1801:
	v_bfe_u32 v6, v5, 20, 1
	s_mov_b32 s19, 0x487ffff
	v_add3_u32 v6, v5, v6, s19
	s_mov_b64 s[12:13], exec
	v_lshrrev_b32_e32 v6, 20, v6
	s_andn2_saveexec_b64 s[14:15], s[14:15]
	s_cbranch_execnz .LBB200_2141
.LBB200_1802:
	s_or_b64 exec, exec, s[14:15]
	v_mov_b32_e32 v7, 0
	s_and_saveexec_b64 s[14:15], s[12:13]
.LBB200_1803:
	v_lshrrev_b32_e32 v5, 24, v5
	s_movk_i32 s12, 0x80
	v_and_or_b32 v7, v5, s12, v6
.LBB200_1804:
	s_or_b64 exec, exec, s[14:15]
.LBB200_1805:
	s_or_b64 exec, exec, s[10:11]
	global_store_byte v[3:4], v7, off
.LBB200_1806:
	s_mov_b64 s[10:11], -1
.LBB200_1807:
	s_mov_b64 s[12:13], 0
.LBB200_1808:
	s_and_b64 vcc, exec, s[12:13]
	s_cbranch_vccz .LBB200_1848
; %bb.1809:
	s_cmp_gt_i32 s18, 22
	s_mov_b64 s[6:7], -1
	s_cbranch_scc0 .LBB200_1841
; %bb.1810:
	s_cmp_lt_i32 s18, 24
	s_cbranch_scc1 .LBB200_1830
; %bb.1811:
	s_cmp_gt_i32 s18, 24
	s_cbranch_scc0 .LBB200_1819
; %bb.1812:
	v_cvt_f32_f16_e32 v5, v1
	s_mov_b32 s6, 0x47800000
	v_mov_b32_e32 v7, 0x80
	v_and_b32_e32 v6, 0x7fffffff, v5
	v_cmp_gt_u32_e32 vcc, s6, v6
	s_and_saveexec_b64 s[6:7], vcc
	s_cbranch_execz .LBB200_1818
; %bb.1813:
	s_mov_b32 s10, 0x37ffffff
	v_cmp_lt_u32_e32 vcc, s10, v6
	s_mov_b64 s[10:11], 0
                                        ; implicit-def: $vgpr6
	s_and_saveexec_b64 s[12:13], vcc
	s_xor_b64 s[12:13], exec, s[12:13]
	s_cbranch_execz .LBB200_2143
; %bb.1814:
	v_bfe_u32 v6, v5, 21, 1
	s_mov_b32 s14, 0x88fffff
	v_add3_u32 v6, v5, v6, s14
	s_mov_b64 s[10:11], exec
	v_lshrrev_b32_e32 v6, 21, v6
	s_andn2_saveexec_b64 s[12:13], s[12:13]
	s_cbranch_execnz .LBB200_2144
.LBB200_1815:
	s_or_b64 exec, exec, s[12:13]
	v_mov_b32_e32 v7, 0
	s_and_saveexec_b64 s[12:13], s[10:11]
.LBB200_1816:
	v_lshrrev_b32_e32 v5, 24, v5
	s_movk_i32 s10, 0x80
	v_and_or_b32 v7, v5, s10, v6
.LBB200_1817:
	s_or_b64 exec, exec, s[12:13]
.LBB200_1818:
	s_or_b64 exec, exec, s[6:7]
	s_mov_b64 s[6:7], 0
	global_store_byte v[3:4], v7, off
.LBB200_1819:
	s_and_b64 vcc, exec, s[6:7]
	s_cbranch_vccz .LBB200_1829
; %bb.1820:
	v_cvt_f32_f16_e32 v5, v1
	s_mov_b32 s6, 0x43f00000
                                        ; implicit-def: $vgpr6
	v_and_b32_e32 v7, 0x7fffffff, v5
	v_cmp_gt_u32_e32 vcc, s6, v7
	s_and_saveexec_b64 s[6:7], vcc
	s_xor_b64 s[6:7], exec, s[6:7]
	s_cbranch_execz .LBB200_1826
; %bb.1821:
	s_mov_b32 s10, 0x3c7fffff
	v_cmp_lt_u32_e32 vcc, s10, v7
                                        ; implicit-def: $vgpr6
	s_and_saveexec_b64 s[10:11], vcc
	s_xor_b64 s[10:11], exec, s[10:11]
; %bb.1822:
	v_bfe_u32 v6, v5, 20, 1
	s_mov_b32 s12, 0x407ffff
	v_add3_u32 v6, v5, v6, s12
	v_lshrrev_b32_e32 v7, 20, v6
	v_and_b32_e32 v6, 0xff00000, v6
	s_mov_b32 s12, 0x7f00000
	v_mov_b32_e32 v8, 0x7e
	v_cmp_ne_u32_e32 vcc, s12, v6
	v_cndmask_b32_e32 v6, v8, v7, vcc
; %bb.1823:
	s_andn2_saveexec_b64 s[10:11], s[10:11]
; %bb.1824:
	s_mov_b32 s12, 0x46800000
	v_add_f32_e64 v6, |v5|, s12
; %bb.1825:
	s_or_b64 exec, exec, s[10:11]
                                        ; implicit-def: $vgpr7
.LBB200_1826:
	s_andn2_saveexec_b64 s[6:7], s[6:7]
; %bb.1827:
	s_mov_b32 s10, 0x7f800000
	v_mov_b32_e32 v6, 0x7e
	v_mov_b32_e32 v8, 0x7f
	v_cmp_lt_u32_e32 vcc, s10, v7
	v_cndmask_b32_e32 v6, v6, v8, vcc
; %bb.1828:
	s_or_b64 exec, exec, s[6:7]
	v_lshrrev_b32_e32 v5, 24, v5
	s_movk_i32 s6, 0x80
	v_and_or_b32 v5, v5, s6, v6
	global_store_byte v[3:4], v5, off
.LBB200_1829:
	s_mov_b64 s[6:7], 0
.LBB200_1830:
	s_andn2_b64 vcc, exec, s[6:7]
	s_cbranch_vccnz .LBB200_1840
; %bb.1831:
	v_cvt_f32_f16_e32 v5, v1
	s_mov_b32 s6, 0x47800000
                                        ; implicit-def: $vgpr6
	v_and_b32_e32 v7, 0x7fffffff, v5
	v_cmp_gt_u32_e32 vcc, s6, v7
	s_and_saveexec_b64 s[6:7], vcc
	s_xor_b64 s[6:7], exec, s[6:7]
	s_cbranch_execz .LBB200_1837
; %bb.1832:
	s_mov_b32 s10, 0x387fffff
	v_cmp_lt_u32_e32 vcc, s10, v7
                                        ; implicit-def: $vgpr6
	s_and_saveexec_b64 s[10:11], vcc
	s_xor_b64 s[10:11], exec, s[10:11]
; %bb.1833:
	v_bfe_u32 v6, v5, 21, 1
	s_mov_b32 s12, 0x80fffff
	v_add3_u32 v6, v5, v6, s12
	v_lshrrev_b32_e32 v6, 21, v6
; %bb.1834:
	s_andn2_saveexec_b64 s[10:11], s[10:11]
; %bb.1835:
	s_mov_b32 s12, 0x43000000
	v_add_f32_e64 v6, |v5|, s12
; %bb.1836:
	s_or_b64 exec, exec, s[10:11]
                                        ; implicit-def: $vgpr7
.LBB200_1837:
	s_andn2_saveexec_b64 s[6:7], s[6:7]
; %bb.1838:
	s_mov_b32 s10, 0x7f800000
	v_mov_b32_e32 v6, 0x7c
	v_mov_b32_e32 v8, 0x7f
	v_cmp_lt_u32_e32 vcc, s10, v7
	v_cndmask_b32_e32 v6, v6, v8, vcc
; %bb.1839:
	s_or_b64 exec, exec, s[6:7]
	v_lshrrev_b32_e32 v5, 24, v5
	s_movk_i32 s6, 0x80
	v_and_or_b32 v5, v5, s6, v6
	global_store_byte v[3:4], v5, off
.LBB200_1840:
	s_mov_b64 s[6:7], 0
	s_mov_b64 s[10:11], -1
.LBB200_1841:
	s_andn2_b64 vcc, exec, s[6:7]
	s_mov_b64 s[6:7], 0
	s_cbranch_vccnz .LBB200_1848
; %bb.1842:
	s_cmp_gt_i32 s18, 14
	s_mov_b64 s[12:13], -1
	s_cbranch_scc0 .LBB200_1846
; %bb.1843:
	s_cmp_eq_u32 s18, 15
	s_mov_b64 s[2:3], -1
	s_cbranch_scc0 .LBB200_1845
; %bb.1844:
	v_cvt_f32_f16_e32 v5, v1
	s_movk_i32 s2, 0x7fff
	v_cmp_o_f16_e32 vcc, v1, v1
	v_mov_b32_e32 v6, 0x7fc0
	v_bfe_u32 v7, v5, 16, 1
	v_add3_u32 v5, v5, v7, s2
	v_cndmask_b32_sdwa v5, v6, v5, vcc dst_sel:DWORD dst_unused:UNUSED_PAD src0_sel:DWORD src1_sel:WORD_1
	global_store_short v[3:4], v5, off
	s_mov_b64 s[2:3], 0
	s_mov_b64 s[10:11], -1
.LBB200_1845:
	s_mov_b64 s[12:13], 0
.LBB200_1846:
	s_and_b64 vcc, exec, s[12:13]
	s_cbranch_vccz .LBB200_1848
; %bb.1847:
	s_cmp_lg_u32 s18, 11
	s_mov_b64 s[6:7], -1
	s_cselect_b64 s[2:3], -1, 0
.LBB200_1848:
	s_and_b64 vcc, exec, s[2:3]
	s_cbranch_vccnz .LBB200_2142
; %bb.1849:
	s_andn2_b64 vcc, exec, s[6:7]
	s_cbranch_vccnz .LBB200_1851
.LBB200_1850:
	v_and_b32_e32 v5, 0x7fff, v1
	v_cmp_ne_u16_e32 vcc, 0, v5
	v_cndmask_b32_e64 v5, 0, 1, vcc
	s_mov_b64 s[10:11], -1
	global_store_byte v[3:4], v5, off
.LBB200_1851:
	s_mov_b64 s[2:3], 0
	s_branch .LBB200_1853
.LBB200_1852:
	s_mov_b64 s[2:3], -1
	s_mov_b64 s[10:11], 0
.LBB200_1853:
	s_and_b64 vcc, exec, s[2:3]
	s_cbranch_vccz .LBB200_1892
; %bb.1854:
	s_and_b32 s6, 0xffff, s16
	s_cmp_lt_i32 s6, 5
	s_mov_b64 s[2:3], -1
	s_cbranch_scc1 .LBB200_1875
; %bb.1855:
	s_cmp_lt_i32 s6, 8
	s_cbranch_scc1 .LBB200_1865
; %bb.1856:
	s_cmp_lt_i32 s6, 9
	s_cbranch_scc1 .LBB200_1862
; %bb.1857:
	s_cmp_gt_i32 s6, 9
	s_cbranch_scc0 .LBB200_1859
; %bb.1858:
	v_cvt_f32_f16_e32 v5, v1
	v_mov_b32_e32 v7, 0
	v_mov_b32_e32 v8, v7
	s_mov_b64 s[2:3], 0
	v_cvt_f64_f32_e32 v[5:6], v5
	global_store_dwordx4 v[3:4], v[5:8], off
.LBB200_1859:
	s_andn2_b64 vcc, exec, s[2:3]
	s_cbranch_vccnz .LBB200_1861
; %bb.1860:
	v_cvt_f32_f16_e32 v5, v1
	v_mov_b32_e32 v6, 0
	global_store_dwordx2 v[3:4], v[5:6], off
.LBB200_1861:
	s_mov_b64 s[2:3], 0
.LBB200_1862:
	s_andn2_b64 vcc, exec, s[2:3]
	s_cbranch_vccnz .LBB200_1864
; %bb.1863:
	v_and_b32_e32 v5, 0xffff, v1
	global_store_dword v[3:4], v5, off
.LBB200_1864:
	s_mov_b64 s[2:3], 0
.LBB200_1865:
	s_andn2_b64 vcc, exec, s[2:3]
	s_cbranch_vccnz .LBB200_1874
; %bb.1866:
	s_cmp_lt_i32 s6, 6
	s_mov_b64 s[2:3], -1
	s_cbranch_scc1 .LBB200_1872
; %bb.1867:
	s_cmp_gt_i32 s6, 6
	s_cbranch_scc0 .LBB200_1869
; %bb.1868:
	v_cvt_f32_f16_e32 v5, v1
	s_mov_b64 s[2:3], 0
	v_cvt_f64_f32_e32 v[5:6], v5
	global_store_dwordx2 v[3:4], v[5:6], off
.LBB200_1869:
	s_andn2_b64 vcc, exec, s[2:3]
	s_cbranch_vccnz .LBB200_1871
; %bb.1870:
	v_cvt_f32_f16_e32 v5, v1
	global_store_dword v[3:4], v5, off
.LBB200_1871:
	s_mov_b64 s[2:3], 0
.LBB200_1872:
	s_andn2_b64 vcc, exec, s[2:3]
	s_cbranch_vccnz .LBB200_1874
; %bb.1873:
	global_store_short v[3:4], v1, off
.LBB200_1874:
	s_mov_b64 s[2:3], 0
.LBB200_1875:
	s_andn2_b64 vcc, exec, s[2:3]
	s_cbranch_vccnz .LBB200_1891
; %bb.1876:
	s_cmp_lt_i32 s6, 2
	s_mov_b64 s[2:3], -1
	s_cbranch_scc1 .LBB200_1886
; %bb.1877:
	s_cmp_lt_i32 s6, 3
	s_cbranch_scc1 .LBB200_1883
; %bb.1878:
	s_cmp_gt_i32 s6, 3
	s_cbranch_scc0 .LBB200_1880
; %bb.1879:
	v_cvt_f32_f16_e32 v5, v1
	s_mov_b64 s[2:3], 0
	v_cvt_i32_f32_e32 v5, v5
	v_ashrrev_i32_e32 v6, 31, v5
	global_store_dwordx2 v[3:4], v[5:6], off
.LBB200_1880:
	s_andn2_b64 vcc, exec, s[2:3]
	s_cbranch_vccnz .LBB200_1882
; %bb.1881:
	v_cvt_f32_f16_e32 v5, v1
	v_cvt_i32_f32_e32 v5, v5
	global_store_dword v[3:4], v5, off
.LBB200_1882:
	s_mov_b64 s[2:3], 0
.LBB200_1883:
	s_andn2_b64 vcc, exec, s[2:3]
	s_cbranch_vccnz .LBB200_1885
; %bb.1884:
	v_cvt_i16_f16_e32 v5, v1
	global_store_short v[3:4], v5, off
.LBB200_1885:
	s_mov_b64 s[2:3], 0
.LBB200_1886:
	s_andn2_b64 vcc, exec, s[2:3]
	s_cbranch_vccnz .LBB200_1891
; %bb.1887:
	s_cmp_gt_i32 s6, 0
	s_mov_b64 s[2:3], -1
	s_cbranch_scc0 .LBB200_1889
; %bb.1888:
	v_cvt_i16_f16_e32 v5, v1
	global_store_byte v[3:4], v5, off
	s_mov_b64 s[2:3], 0
.LBB200_1889:
	s_andn2_b64 vcc, exec, s[2:3]
	s_cbranch_vccnz .LBB200_1891
; %bb.1890:
	v_cvt_f32_f16_e32 v1, v1
	v_cvt_i32_f32_e32 v1, v1
	global_store_byte v[3:4], v1, off
.LBB200_1891:
	s_mov_b64 s[10:11], -1
.LBB200_1892:
	s_andn2_b64 vcc, exec, s[10:11]
	s_cbranch_vccnz .LBB200_2088
; %bb.1893:
	v_mov_b32_e32 v1, s17
	v_cndmask_b32_e64 v3, v10, v1, s[0:1]
	v_mov_b32_e32 v4, s9
	v_add_co_u32_e32 v1, vcc, s8, v2
	s_cmp_lt_i32 s16, 11
	v_addc_co_u32_e32 v2, vcc, 0, v4, vcc
	s_cbranch_scc1 .LBB200_1971
; %bb.1894:
	s_and_b32 s18, 0xffff, s16
	s_mov_b64 s[12:13], -1
	s_mov_b64 s[6:7], 0
	s_cmp_gt_i32 s18, 25
	s_mov_b64 s[10:11], 0
	s_mov_b64 s[2:3], 0
	s_cbranch_scc0 .LBB200_1927
; %bb.1895:
	s_cmp_gt_i32 s18, 28
	s_cbranch_scc0 .LBB200_1910
; %bb.1896:
	s_cmp_gt_i32 s18, 43
	;; [unrolled: 3-line block ×3, first 2 shown]
	s_cbranch_scc0 .LBB200_1900
; %bb.1898:
	s_mov_b64 s[2:3], -1
	s_mov_b64 s[12:13], 0
	s_cmp_eq_u32 s18, 46
	s_cbranch_scc0 .LBB200_1900
; %bb.1899:
	v_cvt_f32_f16_e32 v4, v3
	s_movk_i32 s2, 0x7fff
	v_cmp_o_f16_e32 vcc, v3, v3
	v_mov_b32_e32 v5, 0x7fc0
	v_bfe_u32 v6, v4, 16, 1
	v_add3_u32 v4, v4, v6, s2
	v_cndmask_b32_sdwa v4, v5, v4, vcc dst_sel:DWORD dst_unused:UNUSED_PAD src0_sel:DWORD src1_sel:WORD_1
	global_store_dword v[1:2], v4, off
	s_mov_b64 s[2:3], 0
	s_mov_b64 s[10:11], -1
.LBB200_1900:
	s_and_b64 vcc, exec, s[12:13]
	s_cbranch_vccz .LBB200_1905
; %bb.1901:
	s_cmp_eq_u32 s18, 44
	s_mov_b64 s[2:3], -1
	s_cbranch_scc0 .LBB200_1905
; %bb.1902:
	v_cvt_f32_f16_e32 v4, v3
	s_movk_i32 s2, 0xff
	v_mov_b32_e32 v6, 0xff
	v_bfe_u32 v5, v4, 23, 8
	v_cmp_ne_u32_e32 vcc, s2, v5
	s_and_saveexec_b64 s[10:11], vcc
; %bb.1903:
	s_mov_b32 s2, 0x3fffff
	v_lshrrev_b32_e32 v6, 23, v4
	v_and_b32_e32 v7, 0x400000, v4
	v_and_or_b32 v4, v4, s2, v5
	v_cmp_ne_u32_e32 vcc, 0, v7
	v_cmp_ne_u32_e64 s[2:3], 0, v4
	s_and_b64 s[2:3], vcc, s[2:3]
	v_cndmask_b32_e64 v4, 0, 1, s[2:3]
	v_add_u32_e32 v6, v6, v4
; %bb.1904:
	s_or_b64 exec, exec, s[10:11]
	s_mov_b64 s[2:3], 0
	s_mov_b64 s[10:11], -1
	global_store_byte v[1:2], v6, off
.LBB200_1905:
	s_mov_b64 s[12:13], 0
.LBB200_1906:
	s_and_b64 vcc, exec, s[12:13]
	s_cbranch_vccz .LBB200_1909
; %bb.1907:
	s_cmp_eq_u32 s18, 29
	s_mov_b64 s[2:3], -1
	s_cbranch_scc0 .LBB200_1909
; %bb.1908:
	v_cvt_f32_f16_e32 v4, v3
	v_mov_b32_e32 v5, 0
	s_mov_b64 s[2:3], 0
	s_mov_b64 s[10:11], -1
	v_cvt_u32_f32_e32 v4, v4
	global_store_dwordx2 v[1:2], v[4:5], off
.LBB200_1909:
	s_mov_b64 s[12:13], 0
.LBB200_1910:
	s_and_b64 vcc, exec, s[12:13]
	s_cbranch_vccz .LBB200_1926
; %bb.1911:
	s_cmp_lt_i32 s18, 27
	s_mov_b64 s[10:11], -1
	s_cbranch_scc1 .LBB200_1917
; %bb.1912:
	s_cmp_gt_i32 s18, 27
	s_cbranch_scc0 .LBB200_1914
; %bb.1913:
	v_cvt_f32_f16_e32 v4, v3
	s_mov_b64 s[10:11], 0
	v_cvt_u32_f32_e32 v4, v4
	global_store_dword v[1:2], v4, off
.LBB200_1914:
	s_andn2_b64 vcc, exec, s[10:11]
	s_cbranch_vccnz .LBB200_1916
; %bb.1915:
	v_cvt_u16_f16_e32 v4, v3
	global_store_short v[1:2], v4, off
.LBB200_1916:
	s_mov_b64 s[10:11], 0
.LBB200_1917:
	s_andn2_b64 vcc, exec, s[10:11]
	s_cbranch_vccnz .LBB200_1925
; %bb.1918:
	v_cvt_f32_f16_e32 v4, v3
	s_mov_b32 s10, 0x43800000
	v_mov_b32_e32 v6, 0x80
	v_and_b32_e32 v5, 0x7fffffff, v4
	v_cmp_gt_u32_e32 vcc, s10, v5
	s_and_saveexec_b64 s[10:11], vcc
	s_cbranch_execz .LBB200_1924
; %bb.1919:
	s_mov_b32 s12, 0x3bffffff
	v_cmp_lt_u32_e32 vcc, s12, v5
	s_mov_b64 s[12:13], 0
                                        ; implicit-def: $vgpr5
	s_and_saveexec_b64 s[14:15], vcc
	s_xor_b64 s[14:15], exec, s[14:15]
	s_cbranch_execz .LBB200_2145
; %bb.1920:
	v_bfe_u32 v5, v4, 20, 1
	s_mov_b32 s19, 0x487ffff
	v_add3_u32 v5, v4, v5, s19
	s_mov_b64 s[12:13], exec
	v_lshrrev_b32_e32 v5, 20, v5
	s_andn2_saveexec_b64 s[14:15], s[14:15]
	s_cbranch_execnz .LBB200_2146
.LBB200_1921:
	s_or_b64 exec, exec, s[14:15]
	v_mov_b32_e32 v6, 0
	s_and_saveexec_b64 s[14:15], s[12:13]
.LBB200_1922:
	v_lshrrev_b32_e32 v4, 24, v4
	s_movk_i32 s12, 0x80
	v_and_or_b32 v6, v4, s12, v5
.LBB200_1923:
	s_or_b64 exec, exec, s[14:15]
.LBB200_1924:
	s_or_b64 exec, exec, s[10:11]
	global_store_byte v[1:2], v6, off
.LBB200_1925:
	s_mov_b64 s[10:11], -1
.LBB200_1926:
	s_mov_b64 s[12:13], 0
.LBB200_1927:
	s_and_b64 vcc, exec, s[12:13]
	s_cbranch_vccz .LBB200_1967
; %bb.1928:
	s_cmp_gt_i32 s18, 22
	s_mov_b64 s[6:7], -1
	s_cbranch_scc0 .LBB200_1960
; %bb.1929:
	s_cmp_lt_i32 s18, 24
	s_cbranch_scc1 .LBB200_1949
; %bb.1930:
	s_cmp_gt_i32 s18, 24
	s_cbranch_scc0 .LBB200_1938
; %bb.1931:
	v_cvt_f32_f16_e32 v4, v3
	s_mov_b32 s6, 0x47800000
	v_mov_b32_e32 v6, 0x80
	v_and_b32_e32 v5, 0x7fffffff, v4
	v_cmp_gt_u32_e32 vcc, s6, v5
	s_and_saveexec_b64 s[6:7], vcc
	s_cbranch_execz .LBB200_1937
; %bb.1932:
	s_mov_b32 s10, 0x37ffffff
	v_cmp_lt_u32_e32 vcc, s10, v5
	s_mov_b64 s[10:11], 0
                                        ; implicit-def: $vgpr5
	s_and_saveexec_b64 s[12:13], vcc
	s_xor_b64 s[12:13], exec, s[12:13]
	s_cbranch_execz .LBB200_2148
; %bb.1933:
	v_bfe_u32 v5, v4, 21, 1
	s_mov_b32 s14, 0x88fffff
	v_add3_u32 v5, v4, v5, s14
	s_mov_b64 s[10:11], exec
	v_lshrrev_b32_e32 v5, 21, v5
	s_andn2_saveexec_b64 s[12:13], s[12:13]
	s_cbranch_execnz .LBB200_2149
.LBB200_1934:
	s_or_b64 exec, exec, s[12:13]
	v_mov_b32_e32 v6, 0
	s_and_saveexec_b64 s[12:13], s[10:11]
.LBB200_1935:
	v_lshrrev_b32_e32 v4, 24, v4
	s_movk_i32 s10, 0x80
	v_and_or_b32 v6, v4, s10, v5
.LBB200_1936:
	s_or_b64 exec, exec, s[12:13]
.LBB200_1937:
	s_or_b64 exec, exec, s[6:7]
	s_mov_b64 s[6:7], 0
	global_store_byte v[1:2], v6, off
.LBB200_1938:
	s_and_b64 vcc, exec, s[6:7]
	s_cbranch_vccz .LBB200_1948
; %bb.1939:
	v_cvt_f32_f16_e32 v4, v3
	s_mov_b32 s6, 0x43f00000
                                        ; implicit-def: $vgpr5
	v_and_b32_e32 v6, 0x7fffffff, v4
	v_cmp_gt_u32_e32 vcc, s6, v6
	s_and_saveexec_b64 s[6:7], vcc
	s_xor_b64 s[6:7], exec, s[6:7]
	s_cbranch_execz .LBB200_1945
; %bb.1940:
	s_mov_b32 s10, 0x3c7fffff
	v_cmp_lt_u32_e32 vcc, s10, v6
                                        ; implicit-def: $vgpr5
	s_and_saveexec_b64 s[10:11], vcc
	s_xor_b64 s[10:11], exec, s[10:11]
; %bb.1941:
	v_bfe_u32 v5, v4, 20, 1
	s_mov_b32 s12, 0x407ffff
	v_add3_u32 v5, v4, v5, s12
	v_lshrrev_b32_e32 v6, 20, v5
	v_and_b32_e32 v5, 0xff00000, v5
	s_mov_b32 s12, 0x7f00000
	v_mov_b32_e32 v7, 0x7e
	v_cmp_ne_u32_e32 vcc, s12, v5
	v_cndmask_b32_e32 v5, v7, v6, vcc
; %bb.1942:
	s_andn2_saveexec_b64 s[10:11], s[10:11]
; %bb.1943:
	s_mov_b32 s12, 0x46800000
	v_add_f32_e64 v5, |v4|, s12
; %bb.1944:
	s_or_b64 exec, exec, s[10:11]
                                        ; implicit-def: $vgpr6
.LBB200_1945:
	s_andn2_saveexec_b64 s[6:7], s[6:7]
; %bb.1946:
	s_mov_b32 s10, 0x7f800000
	v_mov_b32_e32 v5, 0x7e
	v_mov_b32_e32 v7, 0x7f
	v_cmp_lt_u32_e32 vcc, s10, v6
	v_cndmask_b32_e32 v5, v5, v7, vcc
; %bb.1947:
	s_or_b64 exec, exec, s[6:7]
	v_lshrrev_b32_e32 v4, 24, v4
	s_movk_i32 s6, 0x80
	v_and_or_b32 v4, v4, s6, v5
	global_store_byte v[1:2], v4, off
.LBB200_1948:
	s_mov_b64 s[6:7], 0
.LBB200_1949:
	s_andn2_b64 vcc, exec, s[6:7]
	s_cbranch_vccnz .LBB200_1959
; %bb.1950:
	v_cvt_f32_f16_e32 v4, v3
	s_mov_b32 s6, 0x47800000
                                        ; implicit-def: $vgpr5
	v_and_b32_e32 v6, 0x7fffffff, v4
	v_cmp_gt_u32_e32 vcc, s6, v6
	s_and_saveexec_b64 s[6:7], vcc
	s_xor_b64 s[6:7], exec, s[6:7]
	s_cbranch_execz .LBB200_1956
; %bb.1951:
	s_mov_b32 s10, 0x387fffff
	v_cmp_lt_u32_e32 vcc, s10, v6
                                        ; implicit-def: $vgpr5
	s_and_saveexec_b64 s[10:11], vcc
	s_xor_b64 s[10:11], exec, s[10:11]
; %bb.1952:
	v_bfe_u32 v5, v4, 21, 1
	s_mov_b32 s12, 0x80fffff
	v_add3_u32 v5, v4, v5, s12
	v_lshrrev_b32_e32 v5, 21, v5
; %bb.1953:
	s_andn2_saveexec_b64 s[10:11], s[10:11]
; %bb.1954:
	s_mov_b32 s12, 0x43000000
	v_add_f32_e64 v5, |v4|, s12
; %bb.1955:
	s_or_b64 exec, exec, s[10:11]
                                        ; implicit-def: $vgpr6
.LBB200_1956:
	s_andn2_saveexec_b64 s[6:7], s[6:7]
; %bb.1957:
	s_mov_b32 s10, 0x7f800000
	v_mov_b32_e32 v5, 0x7c
	v_mov_b32_e32 v7, 0x7f
	v_cmp_lt_u32_e32 vcc, s10, v6
	v_cndmask_b32_e32 v5, v5, v7, vcc
; %bb.1958:
	s_or_b64 exec, exec, s[6:7]
	v_lshrrev_b32_e32 v4, 24, v4
	s_movk_i32 s6, 0x80
	v_and_or_b32 v4, v4, s6, v5
	global_store_byte v[1:2], v4, off
.LBB200_1959:
	s_mov_b64 s[6:7], 0
	s_mov_b64 s[10:11], -1
.LBB200_1960:
	s_andn2_b64 vcc, exec, s[6:7]
	s_mov_b64 s[6:7], 0
	s_cbranch_vccnz .LBB200_1967
; %bb.1961:
	s_cmp_gt_i32 s18, 14
	s_mov_b64 s[12:13], -1
	s_cbranch_scc0 .LBB200_1965
; %bb.1962:
	s_cmp_eq_u32 s18, 15
	s_mov_b64 s[2:3], -1
	s_cbranch_scc0 .LBB200_1964
; %bb.1963:
	v_cvt_f32_f16_e32 v4, v3
	s_movk_i32 s2, 0x7fff
	v_cmp_o_f16_e32 vcc, v3, v3
	v_mov_b32_e32 v5, 0x7fc0
	v_bfe_u32 v6, v4, 16, 1
	v_add3_u32 v4, v4, v6, s2
	v_cndmask_b32_sdwa v4, v5, v4, vcc dst_sel:DWORD dst_unused:UNUSED_PAD src0_sel:DWORD src1_sel:WORD_1
	global_store_short v[1:2], v4, off
	s_mov_b64 s[2:3], 0
	s_mov_b64 s[10:11], -1
.LBB200_1964:
	s_mov_b64 s[12:13], 0
.LBB200_1965:
	s_and_b64 vcc, exec, s[12:13]
	s_cbranch_vccz .LBB200_1967
; %bb.1966:
	s_cmp_lg_u32 s18, 11
	s_mov_b64 s[6:7], -1
	s_cselect_b64 s[2:3], -1, 0
.LBB200_1967:
	s_and_b64 vcc, exec, s[2:3]
	s_cbranch_vccnz .LBB200_2147
; %bb.1968:
	s_andn2_b64 vcc, exec, s[6:7]
	s_cbranch_vccnz .LBB200_1970
.LBB200_1969:
	v_and_b32_e32 v4, 0x7fff, v3
	v_cmp_ne_u16_e32 vcc, 0, v4
	v_cndmask_b32_e64 v4, 0, 1, vcc
	s_mov_b64 s[10:11], -1
	global_store_byte v[1:2], v4, off
.LBB200_1970:
	s_mov_b64 s[2:3], 0
	s_branch .LBB200_1972
.LBB200_1971:
	s_mov_b64 s[2:3], -1
	s_mov_b64 s[10:11], 0
.LBB200_1972:
	s_and_b64 vcc, exec, s[2:3]
	s_cbranch_vccz .LBB200_2011
; %bb.1973:
	s_and_b32 s6, 0xffff, s16
	s_cmp_lt_i32 s6, 5
	s_mov_b64 s[2:3], -1
	s_cbranch_scc1 .LBB200_1994
; %bb.1974:
	s_cmp_lt_i32 s6, 8
	s_cbranch_scc1 .LBB200_1984
; %bb.1975:
	s_cmp_lt_i32 s6, 9
	s_cbranch_scc1 .LBB200_1981
; %bb.1976:
	s_cmp_gt_i32 s6, 9
	s_cbranch_scc0 .LBB200_1978
; %bb.1977:
	v_cvt_f32_f16_e32 v4, v3
	v_mov_b32_e32 v6, 0
	v_mov_b32_e32 v7, v6
	s_mov_b64 s[2:3], 0
	v_cvt_f64_f32_e32 v[4:5], v4
	global_store_dwordx4 v[1:2], v[4:7], off
.LBB200_1978:
	s_andn2_b64 vcc, exec, s[2:3]
	s_cbranch_vccnz .LBB200_1980
; %bb.1979:
	v_cvt_f32_f16_e32 v4, v3
	v_mov_b32_e32 v5, 0
	global_store_dwordx2 v[1:2], v[4:5], off
.LBB200_1980:
	s_mov_b64 s[2:3], 0
.LBB200_1981:
	s_andn2_b64 vcc, exec, s[2:3]
	s_cbranch_vccnz .LBB200_1983
; %bb.1982:
	v_and_b32_e32 v4, 0xffff, v3
	global_store_dword v[1:2], v4, off
.LBB200_1983:
	s_mov_b64 s[2:3], 0
.LBB200_1984:
	s_andn2_b64 vcc, exec, s[2:3]
	s_cbranch_vccnz .LBB200_1993
; %bb.1985:
	s_cmp_lt_i32 s6, 6
	s_mov_b64 s[2:3], -1
	s_cbranch_scc1 .LBB200_1991
; %bb.1986:
	s_cmp_gt_i32 s6, 6
	s_cbranch_scc0 .LBB200_1988
; %bb.1987:
	v_cvt_f32_f16_e32 v4, v3
	s_mov_b64 s[2:3], 0
	v_cvt_f64_f32_e32 v[4:5], v4
	global_store_dwordx2 v[1:2], v[4:5], off
.LBB200_1988:
	s_andn2_b64 vcc, exec, s[2:3]
	s_cbranch_vccnz .LBB200_1990
; %bb.1989:
	v_cvt_f32_f16_e32 v4, v3
	global_store_dword v[1:2], v4, off
.LBB200_1990:
	s_mov_b64 s[2:3], 0
.LBB200_1991:
	s_andn2_b64 vcc, exec, s[2:3]
	s_cbranch_vccnz .LBB200_1993
; %bb.1992:
	global_store_short v[1:2], v3, off
.LBB200_1993:
	s_mov_b64 s[2:3], 0
.LBB200_1994:
	s_andn2_b64 vcc, exec, s[2:3]
	s_cbranch_vccnz .LBB200_2010
; %bb.1995:
	s_cmp_lt_i32 s6, 2
	s_mov_b64 s[2:3], -1
	s_cbranch_scc1 .LBB200_2005
; %bb.1996:
	s_cmp_lt_i32 s6, 3
	s_cbranch_scc1 .LBB200_2002
; %bb.1997:
	s_cmp_gt_i32 s6, 3
	s_cbranch_scc0 .LBB200_1999
; %bb.1998:
	v_cvt_f32_f16_e32 v4, v3
	s_mov_b64 s[2:3], 0
	v_cvt_i32_f32_e32 v4, v4
	v_ashrrev_i32_e32 v5, 31, v4
	global_store_dwordx2 v[1:2], v[4:5], off
.LBB200_1999:
	s_andn2_b64 vcc, exec, s[2:3]
	s_cbranch_vccnz .LBB200_2001
; %bb.2000:
	v_cvt_f32_f16_e32 v4, v3
	v_cvt_i32_f32_e32 v4, v4
	global_store_dword v[1:2], v4, off
.LBB200_2001:
	s_mov_b64 s[2:3], 0
.LBB200_2002:
	s_andn2_b64 vcc, exec, s[2:3]
	s_cbranch_vccnz .LBB200_2004
; %bb.2003:
	v_cvt_i16_f16_e32 v4, v3
	global_store_short v[1:2], v4, off
.LBB200_2004:
	s_mov_b64 s[2:3], 0
.LBB200_2005:
	s_andn2_b64 vcc, exec, s[2:3]
	s_cbranch_vccnz .LBB200_2010
; %bb.2006:
	s_cmp_gt_i32 s6, 0
	s_mov_b64 s[2:3], -1
	s_cbranch_scc0 .LBB200_2008
; %bb.2007:
	v_cvt_i16_f16_e32 v4, v3
	global_store_byte v[1:2], v4, off
	s_mov_b64 s[2:3], 0
.LBB200_2008:
	s_andn2_b64 vcc, exec, s[2:3]
	s_cbranch_vccnz .LBB200_2010
; %bb.2009:
	v_cvt_f32_f16_e32 v3, v3
	v_cvt_i32_f32_e32 v3, v3
	global_store_byte v[1:2], v3, off
.LBB200_2010:
	s_mov_b64 s[10:11], -1
.LBB200_2011:
	s_andn2_b64 vcc, exec, s[10:11]
	s_cbranch_vccnz .LBB200_2088
; %bb.2012:
	v_mov_b32_e32 v1, s17
	v_cndmask_b32_e64 v2, v9, v1, s[0:1]
	v_mov_b32_e32 v1, s9
	v_add_co_u32_e32 v0, vcc, s8, v0
	s_cmp_lt_i32 s16, 11
	v_addc_co_u32_e32 v1, vcc, 0, v1, vcc
	s_cbranch_scc1 .LBB200_2133
; %bb.2013:
	s_and_b32 s12, 0xffff, s16
	s_mov_b64 s[6:7], -1
	s_mov_b64 s[2:3], 0
	s_cmp_gt_i32 s12, 25
	s_mov_b64 s[0:1], 0
	s_cbranch_scc0 .LBB200_2046
; %bb.2014:
	s_cmp_gt_i32 s12, 28
	s_cbranch_scc0 .LBB200_2030
; %bb.2015:
	s_cmp_gt_i32 s12, 43
	;; [unrolled: 3-line block ×3, first 2 shown]
	s_cbranch_scc0 .LBB200_2020
; %bb.2017:
	s_cmp_eq_u32 s12, 46
	s_mov_b64 s[0:1], -1
	s_cbranch_scc0 .LBB200_2019
; %bb.2018:
	v_cvt_f32_f16_e32 v3, v2
	s_movk_i32 s0, 0x7fff
	v_cmp_o_f16_e32 vcc, v2, v2
	v_mov_b32_e32 v4, 0x7fc0
	v_bfe_u32 v5, v3, 16, 1
	v_add3_u32 v3, v3, v5, s0
	v_cndmask_b32_sdwa v3, v4, v3, vcc dst_sel:DWORD dst_unused:UNUSED_PAD src0_sel:DWORD src1_sel:WORD_1
	global_store_dword v[0:1], v3, off
	s_mov_b64 s[0:1], 0
.LBB200_2019:
	s_mov_b64 s[6:7], 0
.LBB200_2020:
	s_and_b64 vcc, exec, s[6:7]
	s_cbranch_vccz .LBB200_2025
; %bb.2021:
	s_cmp_eq_u32 s12, 44
	s_mov_b64 s[0:1], -1
	s_cbranch_scc0 .LBB200_2025
; %bb.2022:
	v_cvt_f32_f16_e32 v3, v2
	s_movk_i32 s0, 0xff
	v_mov_b32_e32 v5, 0xff
	v_bfe_u32 v4, v3, 23, 8
	v_cmp_ne_u32_e32 vcc, s0, v4
	s_and_saveexec_b64 s[6:7], vcc
; %bb.2023:
	s_mov_b32 s0, 0x3fffff
	v_lshrrev_b32_e32 v5, 23, v3
	v_and_b32_e32 v6, 0x400000, v3
	v_and_or_b32 v3, v3, s0, v4
	v_cmp_ne_u32_e32 vcc, 0, v6
	v_cmp_ne_u32_e64 s[0:1], 0, v3
	s_and_b64 s[0:1], vcc, s[0:1]
	v_cndmask_b32_e64 v3, 0, 1, s[0:1]
	v_add_u32_e32 v5, v5, v3
; %bb.2024:
	s_or_b64 exec, exec, s[6:7]
	s_mov_b64 s[0:1], 0
	global_store_byte v[0:1], v5, off
.LBB200_2025:
	s_mov_b64 s[6:7], 0
.LBB200_2026:
	s_and_b64 vcc, exec, s[6:7]
	s_cbranch_vccz .LBB200_2029
; %bb.2027:
	s_cmp_eq_u32 s12, 29
	s_mov_b64 s[0:1], -1
	s_cbranch_scc0 .LBB200_2029
; %bb.2028:
	v_cvt_f32_f16_e32 v3, v2
	v_mov_b32_e32 v4, 0
	s_mov_b64 s[0:1], 0
	v_cvt_u32_f32_e32 v3, v3
	global_store_dwordx2 v[0:1], v[3:4], off
.LBB200_2029:
	s_mov_b64 s[6:7], 0
.LBB200_2030:
	s_and_b64 vcc, exec, s[6:7]
	s_cbranch_vccz .LBB200_2045
; %bb.2031:
	s_cmp_lt_i32 s12, 27
	s_mov_b64 s[6:7], -1
	s_cbranch_scc1 .LBB200_2037
; %bb.2032:
	s_cmp_gt_i32 s12, 27
	s_cbranch_scc0 .LBB200_2034
; %bb.2033:
	v_cvt_f32_f16_e32 v3, v2
	s_mov_b64 s[6:7], 0
	v_cvt_u32_f32_e32 v3, v3
	global_store_dword v[0:1], v3, off
.LBB200_2034:
	s_andn2_b64 vcc, exec, s[6:7]
	s_cbranch_vccnz .LBB200_2036
; %bb.2035:
	v_cvt_u16_f16_e32 v3, v2
	global_store_short v[0:1], v3, off
.LBB200_2036:
	s_mov_b64 s[6:7], 0
.LBB200_2037:
	s_andn2_b64 vcc, exec, s[6:7]
	s_cbranch_vccnz .LBB200_2045
; %bb.2038:
	v_cvt_f32_f16_e32 v3, v2
	s_mov_b32 s6, 0x43800000
	v_mov_b32_e32 v5, 0x80
	v_and_b32_e32 v4, 0x7fffffff, v3
	v_cmp_gt_u32_e32 vcc, s6, v4
	s_and_saveexec_b64 s[6:7], vcc
	s_cbranch_execz .LBB200_2044
; %bb.2039:
	s_mov_b32 s8, 0x3bffffff
	v_cmp_lt_u32_e32 vcc, s8, v4
	s_mov_b64 s[8:9], 0
                                        ; implicit-def: $vgpr4
	s_and_saveexec_b64 s[10:11], vcc
	s_xor_b64 s[10:11], exec, s[10:11]
	s_cbranch_execz .LBB200_2150
; %bb.2040:
	v_bfe_u32 v4, v3, 20, 1
	s_mov_b32 s13, 0x487ffff
	v_add3_u32 v4, v3, v4, s13
	s_mov_b64 s[8:9], exec
	v_lshrrev_b32_e32 v4, 20, v4
	s_andn2_saveexec_b64 s[10:11], s[10:11]
	s_cbranch_execnz .LBB200_2151
.LBB200_2041:
	s_or_b64 exec, exec, s[10:11]
	v_mov_b32_e32 v5, 0
	s_and_saveexec_b64 s[10:11], s[8:9]
.LBB200_2042:
	v_lshrrev_b32_e32 v3, 24, v3
	s_movk_i32 s8, 0x80
	v_and_or_b32 v5, v3, s8, v4
.LBB200_2043:
	s_or_b64 exec, exec, s[10:11]
.LBB200_2044:
	s_or_b64 exec, exec, s[6:7]
	global_store_byte v[0:1], v5, off
.LBB200_2045:
	s_mov_b64 s[6:7], 0
.LBB200_2046:
	s_and_b64 vcc, exec, s[6:7]
	s_cbranch_vccz .LBB200_2086
; %bb.2047:
	s_cmp_gt_i32 s12, 22
	s_mov_b64 s[2:3], -1
	s_cbranch_scc0 .LBB200_2079
; %bb.2048:
	s_cmp_lt_i32 s12, 24
	s_cbranch_scc1 .LBB200_2068
; %bb.2049:
	s_cmp_gt_i32 s12, 24
	s_cbranch_scc0 .LBB200_2057
; %bb.2050:
	v_cvt_f32_f16_e32 v3, v2
	s_mov_b32 s2, 0x47800000
	v_mov_b32_e32 v5, 0x80
	v_and_b32_e32 v4, 0x7fffffff, v3
	v_cmp_gt_u32_e32 vcc, s2, v4
	s_and_saveexec_b64 s[2:3], vcc
	s_cbranch_execz .LBB200_2056
; %bb.2051:
	s_mov_b32 s6, 0x37ffffff
	v_cmp_lt_u32_e32 vcc, s6, v4
	s_mov_b64 s[6:7], 0
                                        ; implicit-def: $vgpr4
	s_and_saveexec_b64 s[8:9], vcc
	s_xor_b64 s[8:9], exec, s[8:9]
	s_cbranch_execz .LBB200_2153
; %bb.2052:
	v_bfe_u32 v4, v3, 21, 1
	s_mov_b32 s10, 0x88fffff
	v_add3_u32 v4, v3, v4, s10
	s_mov_b64 s[6:7], exec
	v_lshrrev_b32_e32 v4, 21, v4
	s_andn2_saveexec_b64 s[8:9], s[8:9]
	s_cbranch_execnz .LBB200_2154
.LBB200_2053:
	s_or_b64 exec, exec, s[8:9]
	v_mov_b32_e32 v5, 0
	s_and_saveexec_b64 s[8:9], s[6:7]
.LBB200_2054:
	v_lshrrev_b32_e32 v3, 24, v3
	s_movk_i32 s6, 0x80
	v_and_or_b32 v5, v3, s6, v4
.LBB200_2055:
	s_or_b64 exec, exec, s[8:9]
.LBB200_2056:
	s_or_b64 exec, exec, s[2:3]
	s_mov_b64 s[2:3], 0
	global_store_byte v[0:1], v5, off
.LBB200_2057:
	s_and_b64 vcc, exec, s[2:3]
	s_cbranch_vccz .LBB200_2067
; %bb.2058:
	v_cvt_f32_f16_e32 v3, v2
	s_mov_b32 s2, 0x43f00000
                                        ; implicit-def: $vgpr4
	v_and_b32_e32 v5, 0x7fffffff, v3
	v_cmp_gt_u32_e32 vcc, s2, v5
	s_and_saveexec_b64 s[2:3], vcc
	s_xor_b64 s[2:3], exec, s[2:3]
	s_cbranch_execz .LBB200_2064
; %bb.2059:
	s_mov_b32 s6, 0x3c7fffff
	v_cmp_lt_u32_e32 vcc, s6, v5
                                        ; implicit-def: $vgpr4
	s_and_saveexec_b64 s[6:7], vcc
	s_xor_b64 s[6:7], exec, s[6:7]
; %bb.2060:
	v_bfe_u32 v4, v3, 20, 1
	s_mov_b32 s8, 0x407ffff
	v_add3_u32 v4, v3, v4, s8
	v_lshrrev_b32_e32 v5, 20, v4
	v_and_b32_e32 v4, 0xff00000, v4
	s_mov_b32 s8, 0x7f00000
	v_mov_b32_e32 v6, 0x7e
	v_cmp_ne_u32_e32 vcc, s8, v4
	v_cndmask_b32_e32 v4, v6, v5, vcc
; %bb.2061:
	s_andn2_saveexec_b64 s[6:7], s[6:7]
; %bb.2062:
	s_mov_b32 s8, 0x46800000
	v_add_f32_e64 v4, |v3|, s8
; %bb.2063:
	s_or_b64 exec, exec, s[6:7]
                                        ; implicit-def: $vgpr5
.LBB200_2064:
	s_andn2_saveexec_b64 s[2:3], s[2:3]
; %bb.2065:
	s_mov_b32 s6, 0x7f800000
	v_mov_b32_e32 v4, 0x7e
	v_mov_b32_e32 v6, 0x7f
	v_cmp_lt_u32_e32 vcc, s6, v5
	v_cndmask_b32_e32 v4, v4, v6, vcc
; %bb.2066:
	s_or_b64 exec, exec, s[2:3]
	v_lshrrev_b32_e32 v3, 24, v3
	s_movk_i32 s2, 0x80
	v_and_or_b32 v3, v3, s2, v4
	global_store_byte v[0:1], v3, off
.LBB200_2067:
	s_mov_b64 s[2:3], 0
.LBB200_2068:
	s_andn2_b64 vcc, exec, s[2:3]
	s_cbranch_vccnz .LBB200_2078
; %bb.2069:
	v_cvt_f32_f16_e32 v3, v2
	s_mov_b32 s2, 0x47800000
                                        ; implicit-def: $vgpr4
	v_and_b32_e32 v5, 0x7fffffff, v3
	v_cmp_gt_u32_e32 vcc, s2, v5
	s_and_saveexec_b64 s[2:3], vcc
	s_xor_b64 s[2:3], exec, s[2:3]
	s_cbranch_execz .LBB200_2075
; %bb.2070:
	s_mov_b32 s6, 0x387fffff
	v_cmp_lt_u32_e32 vcc, s6, v5
                                        ; implicit-def: $vgpr4
	s_and_saveexec_b64 s[6:7], vcc
	s_xor_b64 s[6:7], exec, s[6:7]
; %bb.2071:
	v_bfe_u32 v4, v3, 21, 1
	s_mov_b32 s8, 0x80fffff
	v_add3_u32 v4, v3, v4, s8
	v_lshrrev_b32_e32 v4, 21, v4
; %bb.2072:
	s_andn2_saveexec_b64 s[6:7], s[6:7]
; %bb.2073:
	s_mov_b32 s8, 0x43000000
	v_add_f32_e64 v4, |v3|, s8
; %bb.2074:
	s_or_b64 exec, exec, s[6:7]
                                        ; implicit-def: $vgpr5
.LBB200_2075:
	s_andn2_saveexec_b64 s[2:3], s[2:3]
; %bb.2076:
	s_mov_b32 s6, 0x7f800000
	v_mov_b32_e32 v4, 0x7c
	v_mov_b32_e32 v6, 0x7f
	v_cmp_lt_u32_e32 vcc, s6, v5
	v_cndmask_b32_e32 v4, v4, v6, vcc
; %bb.2077:
	s_or_b64 exec, exec, s[2:3]
	v_lshrrev_b32_e32 v3, 24, v3
	s_movk_i32 s2, 0x80
	v_and_or_b32 v3, v3, s2, v4
	global_store_byte v[0:1], v3, off
.LBB200_2078:
	s_mov_b64 s[2:3], 0
.LBB200_2079:
	s_andn2_b64 vcc, exec, s[2:3]
	s_mov_b64 s[2:3], 0
	s_cbranch_vccnz .LBB200_2086
; %bb.2080:
	s_cmp_gt_i32 s12, 14
	s_mov_b64 s[6:7], -1
	s_cbranch_scc0 .LBB200_2084
; %bb.2081:
	s_cmp_eq_u32 s12, 15
	s_mov_b64 s[0:1], -1
	s_cbranch_scc0 .LBB200_2083
; %bb.2082:
	v_cvt_f32_f16_e32 v3, v2
	s_movk_i32 s0, 0x7fff
	v_cmp_o_f16_e32 vcc, v2, v2
	v_mov_b32_e32 v4, 0x7fc0
	v_bfe_u32 v5, v3, 16, 1
	v_add3_u32 v3, v3, v5, s0
	v_cndmask_b32_sdwa v3, v4, v3, vcc dst_sel:DWORD dst_unused:UNUSED_PAD src0_sel:DWORD src1_sel:WORD_1
	global_store_short v[0:1], v3, off
	s_mov_b64 s[0:1], 0
.LBB200_2083:
	s_mov_b64 s[6:7], 0
.LBB200_2084:
	s_and_b64 vcc, exec, s[6:7]
	s_cbranch_vccz .LBB200_2086
; %bb.2085:
	s_cmp_lg_u32 s12, 11
	s_mov_b64 s[2:3], -1
	s_cselect_b64 s[0:1], -1, 0
.LBB200_2086:
	s_and_b64 vcc, exec, s[0:1]
	s_cbranch_vccnz .LBB200_2152
.LBB200_2087:
	s_mov_b64 s[0:1], 0
	s_branch .LBB200_2089
.LBB200_2088:
	s_mov_b64 s[0:1], 0
	s_mov_b64 s[2:3], 0
                                        ; implicit-def: $vgpr0_vgpr1
                                        ; implicit-def: $sgpr16
                                        ; implicit-def: $vgpr2
.LBB200_2089:
	s_and_b64 s[6:7], s[2:3], exec
	s_andn2_b64 s[2:3], s[28:29], exec
	s_and_b64 s[4:5], s[4:5], exec
	s_and_b64 s[0:1], s[0:1], exec
	s_or_b64 s[28:29], s[2:3], s[4:5]
.LBB200_2090:
	s_or_b64 exec, exec, s[30:31]
	s_and_saveexec_b64 s[2:3], s[28:29]
	s_cbranch_execz .LBB200_2093
; %bb.2091:
	; divergent unreachable
	s_or_b64 exec, exec, s[2:3]
	s_and_saveexec_b64 s[2:3], s[6:7]
	s_xor_b64 s[2:3], exec, s[2:3]
	s_cbranch_execnz .LBB200_2094
.LBB200_2092:
	s_or_b64 exec, exec, s[2:3]
	s_and_saveexec_b64 s[2:3], s[0:1]
	s_cbranch_execnz .LBB200_2095
	s_branch .LBB200_2132
.LBB200_2093:
	s_or_b64 exec, exec, s[2:3]
	s_and_saveexec_b64 s[2:3], s[6:7]
	s_xor_b64 s[2:3], exec, s[2:3]
	s_cbranch_execz .LBB200_2092
.LBB200_2094:
	s_waitcnt vmcnt(0)
	v_and_b32_e32 v3, 0x7fff, v2
	v_cmp_ne_u16_e32 vcc, 0, v3
	v_cndmask_b32_e64 v3, 0, 1, vcc
	global_store_byte v[0:1], v3, off
	s_or_b64 exec, exec, s[2:3]
	s_and_saveexec_b64 s[2:3], s[0:1]
	s_cbranch_execz .LBB200_2132
.LBB200_2095:
	s_sext_i32_i16 s2, s16
	s_cmp_lt_i32 s2, 5
	s_mov_b64 s[0:1], -1
	s_cbranch_scc1 .LBB200_2116
; %bb.2096:
	s_cmp_lt_i32 s2, 8
	s_cbranch_scc1 .LBB200_2106
; %bb.2097:
	s_cmp_lt_i32 s2, 9
	s_cbranch_scc1 .LBB200_2103
; %bb.2098:
	s_cmp_gt_i32 s2, 9
	s_cbranch_scc0 .LBB200_2100
; %bb.2099:
	s_waitcnt vmcnt(0)
	v_cvt_f32_f16_e32 v3, v2
	v_mov_b32_e32 v5, 0
	v_mov_b32_e32 v6, v5
	s_mov_b64 s[0:1], 0
	v_cvt_f64_f32_e32 v[3:4], v3
	global_store_dwordx4 v[0:1], v[3:6], off
.LBB200_2100:
	s_andn2_b64 vcc, exec, s[0:1]
	s_cbranch_vccnz .LBB200_2102
; %bb.2101:
	s_waitcnt vmcnt(0)
	v_cvt_f32_f16_e32 v3, v2
	v_mov_b32_e32 v4, 0
	global_store_dwordx2 v[0:1], v[3:4], off
.LBB200_2102:
	s_mov_b64 s[0:1], 0
.LBB200_2103:
	s_andn2_b64 vcc, exec, s[0:1]
	s_cbranch_vccnz .LBB200_2105
; %bb.2104:
	s_waitcnt vmcnt(0)
	v_and_b32_e32 v3, 0xffff, v2
	global_store_dword v[0:1], v3, off
.LBB200_2105:
	s_mov_b64 s[0:1], 0
.LBB200_2106:
	s_andn2_b64 vcc, exec, s[0:1]
	s_cbranch_vccnz .LBB200_2115
; %bb.2107:
	s_sext_i32_i16 s2, s16
	s_cmp_lt_i32 s2, 6
	s_mov_b64 s[0:1], -1
	s_cbranch_scc1 .LBB200_2113
; %bb.2108:
	s_cmp_gt_i32 s2, 6
	s_cbranch_scc0 .LBB200_2110
; %bb.2109:
	s_waitcnt vmcnt(0)
	v_cvt_f32_f16_e32 v3, v2
	s_mov_b64 s[0:1], 0
	v_cvt_f64_f32_e32 v[3:4], v3
	global_store_dwordx2 v[0:1], v[3:4], off
.LBB200_2110:
	s_andn2_b64 vcc, exec, s[0:1]
	s_cbranch_vccnz .LBB200_2112
; %bb.2111:
	s_waitcnt vmcnt(0)
	v_cvt_f32_f16_e32 v3, v2
	global_store_dword v[0:1], v3, off
.LBB200_2112:
	s_mov_b64 s[0:1], 0
.LBB200_2113:
	s_andn2_b64 vcc, exec, s[0:1]
	s_cbranch_vccnz .LBB200_2115
; %bb.2114:
	s_waitcnt vmcnt(0)
	global_store_short v[0:1], v2, off
.LBB200_2115:
	s_mov_b64 s[0:1], 0
.LBB200_2116:
	s_andn2_b64 vcc, exec, s[0:1]
	s_cbranch_vccnz .LBB200_2132
; %bb.2117:
	s_sext_i32_i16 s2, s16
	s_cmp_lt_i32 s2, 2
	s_mov_b64 s[0:1], -1
	s_cbranch_scc1 .LBB200_2127
; %bb.2118:
	s_cmp_lt_i32 s2, 3
	s_cbranch_scc1 .LBB200_2124
; %bb.2119:
	s_cmp_gt_i32 s2, 3
	s_cbranch_scc0 .LBB200_2121
; %bb.2120:
	s_waitcnt vmcnt(0)
	v_cvt_f32_f16_e32 v3, v2
	s_mov_b64 s[0:1], 0
	v_cvt_i32_f32_e32 v3, v3
	v_ashrrev_i32_e32 v4, 31, v3
	global_store_dwordx2 v[0:1], v[3:4], off
.LBB200_2121:
	s_andn2_b64 vcc, exec, s[0:1]
	s_cbranch_vccnz .LBB200_2123
; %bb.2122:
	s_waitcnt vmcnt(0)
	v_cvt_f32_f16_e32 v3, v2
	v_cvt_i32_f32_e32 v3, v3
	global_store_dword v[0:1], v3, off
.LBB200_2123:
	s_mov_b64 s[0:1], 0
.LBB200_2124:
	s_andn2_b64 vcc, exec, s[0:1]
	s_cbranch_vccnz .LBB200_2126
; %bb.2125:
	s_waitcnt vmcnt(0)
	v_cvt_i16_f16_e32 v3, v2
	global_store_short v[0:1], v3, off
.LBB200_2126:
	s_mov_b64 s[0:1], 0
.LBB200_2127:
	s_andn2_b64 vcc, exec, s[0:1]
	s_cbranch_vccnz .LBB200_2132
; %bb.2128:
	s_sext_i32_i16 s0, s16
	s_cmp_gt_i32 s0, 0
	s_mov_b64 s[0:1], -1
	s_cbranch_scc0 .LBB200_2130
; %bb.2129:
	s_waitcnt vmcnt(0)
	v_cvt_i16_f16_e32 v3, v2
	global_store_byte v[0:1], v3, off
	s_mov_b64 s[0:1], 0
.LBB200_2130:
	s_andn2_b64 vcc, exec, s[0:1]
	s_cbranch_vccnz .LBB200_2132
; %bb.2131:
	v_cvt_f32_f16_e32 v2, v2
	v_cvt_i32_f32_e32 v2, v2
	s_waitcnt vmcnt(0)
	global_store_byte v[0:1], v2, off
	s_endpgm
.LBB200_2132:
	s_endpgm
.LBB200_2133:
	s_mov_b64 s[2:3], 0
	s_mov_b64 s[0:1], -1
	s_branch .LBB200_2089
.LBB200_2134:
	s_trap 2
	s_or_b64 s[4:5], s[4:5], exec
	s_cbranch_execz .LBB200_1603
	s_branch .LBB200_1604
.LBB200_2135:
	s_andn2_saveexec_b64 s[14:15], s[14:15]
	s_cbranch_execz .LBB200_1683
.LBB200_2136:
	s_mov_b32 s20, 0x46000000
	v_add_f32_e64 v8, |v7|, s20
	v_and_b32_e32 v8, 0xff, v8
	v_cmp_ne_u32_e32 vcc, 0, v8
	s_andn2_b64 s[12:13], s[12:13], exec
	s_and_b64 s[20:21], vcc, exec
	s_or_b64 s[12:13], s[12:13], s[20:21]
	s_or_b64 exec, exec, s[14:15]
	v_mov_b32_e32 v11, 0
	s_and_saveexec_b64 s[14:15], s[12:13]
	s_cbranch_execnz .LBB200_1684
	s_branch .LBB200_1685
.LBB200_2137:
	s_trap 2
	s_or_b64 s[4:5], s[4:5], exec
	s_cbranch_execz .LBB200_1731
	s_branch .LBB200_1732
.LBB200_2138:
	s_andn2_saveexec_b64 s[12:13], s[12:13]
	s_cbranch_execz .LBB200_1696
.LBB200_2139:
	s_mov_b32 s14, 0x42800000
	v_add_f32_e64 v8, |v7|, s14
	v_and_b32_e32 v8, 0xff, v8
	v_cmp_ne_u32_e32 vcc, 0, v8
	s_andn2_b64 s[10:11], s[10:11], exec
	s_and_b64 s[14:15], vcc, exec
	s_or_b64 s[10:11], s[10:11], s[14:15]
	s_or_b64 exec, exec, s[12:13]
	v_mov_b32_e32 v11, 0
	s_and_saveexec_b64 s[12:13], s[10:11]
	s_cbranch_execnz .LBB200_1697
	s_branch .LBB200_1698
.LBB200_2140:
	s_andn2_saveexec_b64 s[14:15], s[14:15]
	s_cbranch_execz .LBB200_1802
.LBB200_2141:
	s_mov_b32 s19, 0x46000000
	v_add_f32_e64 v6, |v5|, s19
	v_and_b32_e32 v6, 0xff, v6
	v_cmp_ne_u32_e32 vcc, 0, v6
	s_andn2_b64 s[12:13], s[12:13], exec
	s_and_b64 s[20:21], vcc, exec
	s_or_b64 s[12:13], s[12:13], s[20:21]
	s_or_b64 exec, exec, s[14:15]
	v_mov_b32_e32 v7, 0
	s_and_saveexec_b64 s[14:15], s[12:13]
	s_cbranch_execnz .LBB200_1803
	s_branch .LBB200_1804
.LBB200_2142:
	s_trap 2
	s_or_b64 s[4:5], s[4:5], exec
	s_cbranch_execz .LBB200_1850
	s_branch .LBB200_1851
.LBB200_2143:
	s_andn2_saveexec_b64 s[12:13], s[12:13]
	s_cbranch_execz .LBB200_1815
.LBB200_2144:
	s_mov_b32 s14, 0x42800000
	v_add_f32_e64 v6, |v5|, s14
	v_and_b32_e32 v6, 0xff, v6
	v_cmp_ne_u32_e32 vcc, 0, v6
	s_andn2_b64 s[10:11], s[10:11], exec
	s_and_b64 s[14:15], vcc, exec
	s_or_b64 s[10:11], s[10:11], s[14:15]
	s_or_b64 exec, exec, s[12:13]
	v_mov_b32_e32 v7, 0
	s_and_saveexec_b64 s[12:13], s[10:11]
	s_cbranch_execnz .LBB200_1816
	s_branch .LBB200_1817
.LBB200_2145:
	s_andn2_saveexec_b64 s[14:15], s[14:15]
	s_cbranch_execz .LBB200_1921
.LBB200_2146:
	s_mov_b32 s19, 0x46000000
	v_add_f32_e64 v5, |v4|, s19
	v_and_b32_e32 v5, 0xff, v5
	v_cmp_ne_u32_e32 vcc, 0, v5
	s_andn2_b64 s[12:13], s[12:13], exec
	s_and_b64 s[20:21], vcc, exec
	s_or_b64 s[12:13], s[12:13], s[20:21]
	s_or_b64 exec, exec, s[14:15]
	v_mov_b32_e32 v6, 0
	s_and_saveexec_b64 s[14:15], s[12:13]
	s_cbranch_execnz .LBB200_1922
	s_branch .LBB200_1923
.LBB200_2147:
	s_trap 2
	s_or_b64 s[4:5], s[4:5], exec
	s_cbranch_execz .LBB200_1969
	s_branch .LBB200_1970
.LBB200_2148:
	s_andn2_saveexec_b64 s[12:13], s[12:13]
	s_cbranch_execz .LBB200_1934
.LBB200_2149:
	s_mov_b32 s14, 0x42800000
	v_add_f32_e64 v5, |v4|, s14
	v_and_b32_e32 v5, 0xff, v5
	v_cmp_ne_u32_e32 vcc, 0, v5
	s_andn2_b64 s[10:11], s[10:11], exec
	s_and_b64 s[14:15], vcc, exec
	s_or_b64 s[10:11], s[10:11], s[14:15]
	s_or_b64 exec, exec, s[12:13]
	v_mov_b32_e32 v6, 0
	s_and_saveexec_b64 s[12:13], s[10:11]
	s_cbranch_execnz .LBB200_1935
	s_branch .LBB200_1936
.LBB200_2150:
	s_andn2_saveexec_b64 s[10:11], s[10:11]
	s_cbranch_execz .LBB200_2041
.LBB200_2151:
	s_mov_b32 s13, 0x46000000
	v_add_f32_e64 v4, |v3|, s13
	v_and_b32_e32 v4, 0xff, v4
	v_cmp_ne_u32_e32 vcc, 0, v4
	s_andn2_b64 s[8:9], s[8:9], exec
	s_and_b64 s[14:15], vcc, exec
	s_or_b64 s[8:9], s[8:9], s[14:15]
	s_or_b64 exec, exec, s[10:11]
	v_mov_b32_e32 v5, 0
	s_and_saveexec_b64 s[10:11], s[8:9]
	s_cbranch_execnz .LBB200_2042
	s_branch .LBB200_2043
.LBB200_2152:
	s_mov_b64 s[2:3], 0
	s_or_b64 s[4:5], s[4:5], exec
	s_trap 2
	s_branch .LBB200_2087
.LBB200_2153:
	s_andn2_saveexec_b64 s[8:9], s[8:9]
	s_cbranch_execz .LBB200_2053
.LBB200_2154:
	s_mov_b32 s10, 0x42800000
	v_add_f32_e64 v4, |v3|, s10
	v_and_b32_e32 v4, 0xff, v4
	v_cmp_ne_u32_e32 vcc, 0, v4
	s_andn2_b64 s[6:7], s[6:7], exec
	s_and_b64 s[10:11], vcc, exec
	s_or_b64 s[6:7], s[6:7], s[10:11]
	s_or_b64 exec, exec, s[8:9]
	v_mov_b32_e32 v5, 0
	s_and_saveexec_b64 s[8:9], s[6:7]
	s_cbranch_execnz .LBB200_2054
	s_branch .LBB200_2055
	.section	.rodata,"a",@progbits
	.p2align	6, 0x0
	.amdhsa_kernel _ZN2at6native32elementwise_kernel_manual_unrollILi128ELi4EZNS0_15gpu_kernel_implINS0_13AUnaryFunctorIN3c104HalfES5_S5_ZNS0_12_GLOBAL__N_121threshold_kernel_implIS5_EEvRNS_18TensorIteratorBaseET_SA_EUlS5_S5_E_EEEEvS9_RKSA_EUlibE0_EEviT1_
		.amdhsa_group_segment_fixed_size 0
		.amdhsa_private_segment_fixed_size 0
		.amdhsa_kernarg_size 360
		.amdhsa_user_sgpr_count 6
		.amdhsa_user_sgpr_private_segment_buffer 1
		.amdhsa_user_sgpr_dispatch_ptr 0
		.amdhsa_user_sgpr_queue_ptr 0
		.amdhsa_user_sgpr_kernarg_segment_ptr 1
		.amdhsa_user_sgpr_dispatch_id 0
		.amdhsa_user_sgpr_flat_scratch_init 0
		.amdhsa_user_sgpr_private_segment_size 0
		.amdhsa_uses_dynamic_stack 0
		.amdhsa_system_sgpr_private_segment_wavefront_offset 0
		.amdhsa_system_sgpr_workgroup_id_x 1
		.amdhsa_system_sgpr_workgroup_id_y 0
		.amdhsa_system_sgpr_workgroup_id_z 0
		.amdhsa_system_sgpr_workgroup_info 0
		.amdhsa_system_vgpr_workitem_id 0
		.amdhsa_next_free_vgpr 18
		.amdhsa_next_free_sgpr 81
		.amdhsa_reserve_vcc 1
		.amdhsa_reserve_flat_scratch 0
		.amdhsa_float_round_mode_32 0
		.amdhsa_float_round_mode_16_64 0
		.amdhsa_float_denorm_mode_32 3
		.amdhsa_float_denorm_mode_16_64 3
		.amdhsa_dx10_clamp 1
		.amdhsa_ieee_mode 1
		.amdhsa_fp16_overflow 0
		.amdhsa_exception_fp_ieee_invalid_op 0
		.amdhsa_exception_fp_denorm_src 0
		.amdhsa_exception_fp_ieee_div_zero 0
		.amdhsa_exception_fp_ieee_overflow 0
		.amdhsa_exception_fp_ieee_underflow 0
		.amdhsa_exception_fp_ieee_inexact 0
		.amdhsa_exception_int_div_zero 0
	.end_amdhsa_kernel
	.section	.text._ZN2at6native32elementwise_kernel_manual_unrollILi128ELi4EZNS0_15gpu_kernel_implINS0_13AUnaryFunctorIN3c104HalfES5_S5_ZNS0_12_GLOBAL__N_121threshold_kernel_implIS5_EEvRNS_18TensorIteratorBaseET_SA_EUlS5_S5_E_EEEEvS9_RKSA_EUlibE0_EEviT1_,"axG",@progbits,_ZN2at6native32elementwise_kernel_manual_unrollILi128ELi4EZNS0_15gpu_kernel_implINS0_13AUnaryFunctorIN3c104HalfES5_S5_ZNS0_12_GLOBAL__N_121threshold_kernel_implIS5_EEvRNS_18TensorIteratorBaseET_SA_EUlS5_S5_E_EEEEvS9_RKSA_EUlibE0_EEviT1_,comdat
.Lfunc_end200:
	.size	_ZN2at6native32elementwise_kernel_manual_unrollILi128ELi4EZNS0_15gpu_kernel_implINS0_13AUnaryFunctorIN3c104HalfES5_S5_ZNS0_12_GLOBAL__N_121threshold_kernel_implIS5_EEvRNS_18TensorIteratorBaseET_SA_EUlS5_S5_E_EEEEvS9_RKSA_EUlibE0_EEviT1_, .Lfunc_end200-_ZN2at6native32elementwise_kernel_manual_unrollILi128ELi4EZNS0_15gpu_kernel_implINS0_13AUnaryFunctorIN3c104HalfES5_S5_ZNS0_12_GLOBAL__N_121threshold_kernel_implIS5_EEvRNS_18TensorIteratorBaseET_SA_EUlS5_S5_E_EEEEvS9_RKSA_EUlibE0_EEviT1_
                                        ; -- End function
	.set _ZN2at6native32elementwise_kernel_manual_unrollILi128ELi4EZNS0_15gpu_kernel_implINS0_13AUnaryFunctorIN3c104HalfES5_S5_ZNS0_12_GLOBAL__N_121threshold_kernel_implIS5_EEvRNS_18TensorIteratorBaseET_SA_EUlS5_S5_E_EEEEvS9_RKSA_EUlibE0_EEviT1_.num_vgpr, 18
	.set _ZN2at6native32elementwise_kernel_manual_unrollILi128ELi4EZNS0_15gpu_kernel_implINS0_13AUnaryFunctorIN3c104HalfES5_S5_ZNS0_12_GLOBAL__N_121threshold_kernel_implIS5_EEvRNS_18TensorIteratorBaseET_SA_EUlS5_S5_E_EEEEvS9_RKSA_EUlibE0_EEviT1_.num_agpr, 0
	.set _ZN2at6native32elementwise_kernel_manual_unrollILi128ELi4EZNS0_15gpu_kernel_implINS0_13AUnaryFunctorIN3c104HalfES5_S5_ZNS0_12_GLOBAL__N_121threshold_kernel_implIS5_EEvRNS_18TensorIteratorBaseET_SA_EUlS5_S5_E_EEEEvS9_RKSA_EUlibE0_EEviT1_.numbered_sgpr, 81
	.set _ZN2at6native32elementwise_kernel_manual_unrollILi128ELi4EZNS0_15gpu_kernel_implINS0_13AUnaryFunctorIN3c104HalfES5_S5_ZNS0_12_GLOBAL__N_121threshold_kernel_implIS5_EEvRNS_18TensorIteratorBaseET_SA_EUlS5_S5_E_EEEEvS9_RKSA_EUlibE0_EEviT1_.num_named_barrier, 0
	.set _ZN2at6native32elementwise_kernel_manual_unrollILi128ELi4EZNS0_15gpu_kernel_implINS0_13AUnaryFunctorIN3c104HalfES5_S5_ZNS0_12_GLOBAL__N_121threshold_kernel_implIS5_EEvRNS_18TensorIteratorBaseET_SA_EUlS5_S5_E_EEEEvS9_RKSA_EUlibE0_EEviT1_.private_seg_size, 0
	.set _ZN2at6native32elementwise_kernel_manual_unrollILi128ELi4EZNS0_15gpu_kernel_implINS0_13AUnaryFunctorIN3c104HalfES5_S5_ZNS0_12_GLOBAL__N_121threshold_kernel_implIS5_EEvRNS_18TensorIteratorBaseET_SA_EUlS5_S5_E_EEEEvS9_RKSA_EUlibE0_EEviT1_.uses_vcc, 1
	.set _ZN2at6native32elementwise_kernel_manual_unrollILi128ELi4EZNS0_15gpu_kernel_implINS0_13AUnaryFunctorIN3c104HalfES5_S5_ZNS0_12_GLOBAL__N_121threshold_kernel_implIS5_EEvRNS_18TensorIteratorBaseET_SA_EUlS5_S5_E_EEEEvS9_RKSA_EUlibE0_EEviT1_.uses_flat_scratch, 0
	.set _ZN2at6native32elementwise_kernel_manual_unrollILi128ELi4EZNS0_15gpu_kernel_implINS0_13AUnaryFunctorIN3c104HalfES5_S5_ZNS0_12_GLOBAL__N_121threshold_kernel_implIS5_EEvRNS_18TensorIteratorBaseET_SA_EUlS5_S5_E_EEEEvS9_RKSA_EUlibE0_EEviT1_.has_dyn_sized_stack, 0
	.set _ZN2at6native32elementwise_kernel_manual_unrollILi128ELi4EZNS0_15gpu_kernel_implINS0_13AUnaryFunctorIN3c104HalfES5_S5_ZNS0_12_GLOBAL__N_121threshold_kernel_implIS5_EEvRNS_18TensorIteratorBaseET_SA_EUlS5_S5_E_EEEEvS9_RKSA_EUlibE0_EEviT1_.has_recursion, 0
	.set _ZN2at6native32elementwise_kernel_manual_unrollILi128ELi4EZNS0_15gpu_kernel_implINS0_13AUnaryFunctorIN3c104HalfES5_S5_ZNS0_12_GLOBAL__N_121threshold_kernel_implIS5_EEvRNS_18TensorIteratorBaseET_SA_EUlS5_S5_E_EEEEvS9_RKSA_EUlibE0_EEviT1_.has_indirect_call, 0
	.section	.AMDGPU.csdata,"",@progbits
; Kernel info:
; codeLenInByte = 40972
; TotalNumSgprs: 85
; NumVgprs: 18
; ScratchSize: 0
; MemoryBound: 0
; FloatMode: 240
; IeeeMode: 1
; LDSByteSize: 0 bytes/workgroup (compile time only)
; SGPRBlocks: 10
; VGPRBlocks: 4
; NumSGPRsForWavesPerEU: 85
; NumVGPRsForWavesPerEU: 18
; Occupancy: 9
; WaveLimiterHint : 1
; COMPUTE_PGM_RSRC2:SCRATCH_EN: 0
; COMPUTE_PGM_RSRC2:USER_SGPR: 6
; COMPUTE_PGM_RSRC2:TRAP_HANDLER: 0
; COMPUTE_PGM_RSRC2:TGID_X_EN: 1
; COMPUTE_PGM_RSRC2:TGID_Y_EN: 0
; COMPUTE_PGM_RSRC2:TGID_Z_EN: 0
; COMPUTE_PGM_RSRC2:TIDIG_COMP_CNT: 0
	.section	.text._ZN2at6native29vectorized_elementwise_kernelILi16ENS0_13BUnaryFunctorIN3c104HalfES4_S4_ZNS0_12_GLOBAL__N_121threshold_kernel_implIS4_EEvRNS_18TensorIteratorBaseET_S9_EUlS4_S4_E_EESt5arrayIPcLm2EEEEviT0_T1_,"axG",@progbits,_ZN2at6native29vectorized_elementwise_kernelILi16ENS0_13BUnaryFunctorIN3c104HalfES4_S4_ZNS0_12_GLOBAL__N_121threshold_kernel_implIS4_EEvRNS_18TensorIteratorBaseET_S9_EUlS4_S4_E_EESt5arrayIPcLm2EEEEviT0_T1_,comdat
	.globl	_ZN2at6native29vectorized_elementwise_kernelILi16ENS0_13BUnaryFunctorIN3c104HalfES4_S4_ZNS0_12_GLOBAL__N_121threshold_kernel_implIS4_EEvRNS_18TensorIteratorBaseET_S9_EUlS4_S4_E_EESt5arrayIPcLm2EEEEviT0_T1_ ; -- Begin function _ZN2at6native29vectorized_elementwise_kernelILi16ENS0_13BUnaryFunctorIN3c104HalfES4_S4_ZNS0_12_GLOBAL__N_121threshold_kernel_implIS4_EEvRNS_18TensorIteratorBaseET_S9_EUlS4_S4_E_EESt5arrayIPcLm2EEEEviT0_T1_
	.p2align	8
	.type	_ZN2at6native29vectorized_elementwise_kernelILi16ENS0_13BUnaryFunctorIN3c104HalfES4_S4_ZNS0_12_GLOBAL__N_121threshold_kernel_implIS4_EEvRNS_18TensorIteratorBaseET_S9_EUlS4_S4_E_EESt5arrayIPcLm2EEEEviT0_T1_,@function
_ZN2at6native29vectorized_elementwise_kernelILi16ENS0_13BUnaryFunctorIN3c104HalfES4_S4_ZNS0_12_GLOBAL__N_121threshold_kernel_implIS4_EEvRNS_18TensorIteratorBaseET_S9_EUlS4_S4_E_EESt5arrayIPcLm2EEEEviT0_T1_: ; @_ZN2at6native29vectorized_elementwise_kernelILi16ENS0_13BUnaryFunctorIN3c104HalfES4_S4_ZNS0_12_GLOBAL__N_121threshold_kernel_implIS4_EEvRNS_18TensorIteratorBaseET_S9_EUlS4_S4_E_EESt5arrayIPcLm2EEEEviT0_T1_
; %bb.0:
	s_load_dwordx2 s[2:3], s[4:5], 0x0
	s_load_dword s12, s[4:5], 0x8
	s_load_dwordx4 s[8:11], s[4:5], 0x10
	s_lshl_b32 s4, s6, 11
	s_mov_b64 s[0:1], -1
	s_waitcnt lgkmcnt(0)
	s_sub_i32 s2, s2, s4
	s_cmpk_gt_i32 s2, 0x7ff
	s_cbranch_scc0 .LBB201_2
; %bb.1:
	s_ashr_i32 s5, s4, 31
	s_lshr_b32 s13, s3, 16
	s_lshl_b64 s[0:1], s[4:5], 1
	s_add_u32 s6, s10, s0
	s_addc_u32 s7, s11, s1
	v_lshlrev_b32_e32 v5, 4, v0
	global_load_dwordx4 v[1:4], v5, s[6:7]
	v_mov_b32_e32 v6, s12
	v_mov_b32_e32 v7, s13
	s_mov_b32 s5, 0x5040100
	s_add_u32 s0, s8, s0
	s_addc_u32 s1, s9, s1
	s_waitcnt vmcnt(0)
	v_cmp_ge_f16_e32 vcc, s3, v1
	v_cndmask_b32_e32 v8, v6, v7, vcc
	v_cmp_le_f16_sdwa vcc, v1, s3 src0_sel:WORD_1 src1_sel:DWORD
	v_cndmask_b32_e32 v1, v6, v7, vcc
	v_cmp_ge_f16_e32 vcc, s3, v2
	v_cndmask_b32_e32 v9, v6, v7, vcc
	v_cmp_le_f16_sdwa vcc, v2, s3 src0_sel:WORD_1 src1_sel:DWORD
	v_cndmask_b32_e32 v2, v6, v7, vcc
	;; [unrolled: 4-line block ×4, first 2 shown]
	v_perm_b32 v4, v4, v11, s5
	v_perm_b32 v3, v3, v10, s5
	v_perm_b32 v2, v2, v9, s5
	v_perm_b32 v1, v1, v8, s5
	global_store_dwordx4 v5, v[1:4], s[0:1]
	s_mov_b64 s[0:1], 0
.LBB201_2:
	s_andn2_b64 vcc, exec, s[0:1]
	s_cbranch_vccnz .LBB201_26
; %bb.3:
	v_cmp_gt_i32_e32 vcc, s2, v0
	v_mov_b32_e32 v5, 0
	v_or_b32_e32 v1, s4, v0
	v_mov_b32_e32 v2, 0
	v_mov_b32_e32 v10, v0
	s_and_saveexec_b64 s[6:7], vcc
	s_cbranch_execz .LBB201_5
; %bb.4:
	v_mov_b32_e32 v2, 0
	v_lshlrev_b64 v[2:3], 1, v[1:2]
	v_mov_b32_e32 v4, s11
	v_add_co_u32_e64 v2, s[0:1], s10, v2
	v_addc_co_u32_e64 v3, s[0:1], v4, v3, s[0:1]
	global_load_ushort v2, v[2:3], off
	v_or_b32_e32 v10, 0x100, v0
.LBB201_5:
	s_or_b64 exec, exec, s[6:7]
	v_cmp_gt_i32_e64 s[0:1], s2, v10
	s_and_saveexec_b64 s[6:7], s[0:1]
	s_cbranch_execz .LBB201_7
; %bb.6:
	v_add_u32_e32 v3, s4, v10
	v_mov_b32_e32 v4, 0
	v_lshlrev_b64 v[3:4], 1, v[3:4]
	v_mov_b32_e32 v5, s11
	v_add_co_u32_e64 v3, s[0:1], s10, v3
	v_addc_co_u32_e64 v4, s[0:1], v5, v4, s[0:1]
	global_load_ushort v5, v[3:4], off
	v_add_u32_e32 v10, 0x100, v10
.LBB201_7:
	s_or_b64 exec, exec, s[6:7]
	v_cmp_gt_i32_e64 s[0:1], s2, v10
	v_mov_b32_e32 v6, 0
	v_mov_b32_e32 v9, 0
	s_and_saveexec_b64 s[6:7], s[0:1]
	s_cbranch_execz .LBB201_9
; %bb.8:
	v_add_u32_e32 v3, s4, v10
	v_mov_b32_e32 v4, 0
	v_lshlrev_b64 v[3:4], 1, v[3:4]
	v_mov_b32_e32 v7, s11
	v_add_co_u32_e64 v3, s[0:1], s10, v3
	v_addc_co_u32_e64 v4, s[0:1], v7, v4, s[0:1]
	global_load_ushort v9, v[3:4], off
	v_add_u32_e32 v10, 0x100, v10
.LBB201_9:
	s_or_b64 exec, exec, s[6:7]
	v_cmp_gt_i32_e64 s[0:1], s2, v10
	s_and_saveexec_b64 s[6:7], s[0:1]
	s_cbranch_execz .LBB201_11
; %bb.10:
	v_add_u32_e32 v3, s4, v10
	v_mov_b32_e32 v4, 0
	v_lshlrev_b64 v[3:4], 1, v[3:4]
	v_mov_b32_e32 v6, s11
	v_add_co_u32_e64 v3, s[0:1], s10, v3
	v_addc_co_u32_e64 v4, s[0:1], v6, v4, s[0:1]
	global_load_ushort v6, v[3:4], off
	v_add_u32_e32 v10, 0x100, v10
.LBB201_11:
	s_or_b64 exec, exec, s[6:7]
	v_cmp_gt_i32_e64 s[0:1], s2, v10
	v_mov_b32_e32 v4, 0
	v_mov_b32_e32 v8, 0
	s_and_saveexec_b64 s[6:7], s[0:1]
	s_cbranch_execz .LBB201_13
; %bb.12:
	v_add_u32_e32 v7, s4, v10
	v_mov_b32_e32 v8, 0
	v_lshlrev_b64 v[7:8], 1, v[7:8]
	v_mov_b32_e32 v3, s11
	v_add_co_u32_e64 v7, s[0:1], s10, v7
	v_addc_co_u32_e64 v8, s[0:1], v3, v8, s[0:1]
	global_load_ushort v8, v[7:8], off
	v_add_u32_e32 v10, 0x100, v10
.LBB201_13:
	s_or_b64 exec, exec, s[6:7]
	v_cmp_gt_i32_e64 s[0:1], s2, v10
	s_and_saveexec_b64 s[6:7], s[0:1]
	s_cbranch_execz .LBB201_15
; %bb.14:
	v_add_u32_e32 v3, s4, v10
	v_mov_b32_e32 v4, 0
	v_lshlrev_b64 v[3:4], 1, v[3:4]
	v_mov_b32_e32 v7, s11
	v_add_co_u32_e64 v3, s[0:1], s10, v3
	v_addc_co_u32_e64 v4, s[0:1], v7, v4, s[0:1]
	global_load_ushort v4, v[3:4], off
	v_add_u32_e32 v10, 0x100, v10
.LBB201_15:
	s_or_b64 exec, exec, s[6:7]
	v_cmp_gt_i32_e64 s[0:1], s2, v10
	v_mov_b32_e32 v3, 0
	v_mov_b32_e32 v7, 0
	s_and_saveexec_b64 s[6:7], s[0:1]
	s_cbranch_execnz .LBB201_27
; %bb.16:
	s_or_b64 exec, exec, s[6:7]
	v_cmp_gt_i32_e64 s[0:1], s2, v10
	s_and_saveexec_b64 s[6:7], s[0:1]
	s_cbranch_execnz .LBB201_28
.LBB201_17:
	s_or_b64 exec, exec, s[6:7]
	s_lshr_b32 s5, s3, 16
	s_and_saveexec_b64 s[0:1], vcc
	s_cbranch_execnz .LBB201_29
.LBB201_18:
	s_or_b64 exec, exec, s[0:1]
	v_cmp_gt_i32_e32 vcc, s2, v0
	s_and_saveexec_b64 s[0:1], vcc
	s_cbranch_execnz .LBB201_30
.LBB201_19:
	s_or_b64 exec, exec, s[0:1]
	v_cmp_gt_i32_e32 vcc, s2, v0
	s_and_saveexec_b64 s[0:1], vcc
	s_cbranch_execnz .LBB201_31
.LBB201_20:
	s_or_b64 exec, exec, s[0:1]
	v_cmp_gt_i32_e32 vcc, s2, v0
	s_and_saveexec_b64 s[0:1], vcc
	s_cbranch_execnz .LBB201_32
.LBB201_21:
	s_or_b64 exec, exec, s[0:1]
	v_cmp_gt_i32_e32 vcc, s2, v0
	s_and_saveexec_b64 s[0:1], vcc
	s_cbranch_execnz .LBB201_33
.LBB201_22:
	s_or_b64 exec, exec, s[0:1]
	v_cmp_gt_i32_e32 vcc, s2, v0
	s_and_saveexec_b64 s[0:1], vcc
	s_cbranch_execnz .LBB201_34
.LBB201_23:
	s_or_b64 exec, exec, s[0:1]
	v_cmp_gt_i32_e32 vcc, s2, v0
	s_and_saveexec_b64 s[0:1], vcc
	s_cbranch_execnz .LBB201_35
.LBB201_24:
	s_or_b64 exec, exec, s[0:1]
	v_cmp_gt_i32_e32 vcc, s2, v0
	s_and_saveexec_b64 s[0:1], vcc
	s_cbranch_execz .LBB201_26
.LBB201_25:
	v_mov_b32_e32 v1, s12
	s_waitcnt vmcnt(0)
	v_mov_b32_e32 v2, s5
	v_cmp_ge_f16_e32 vcc, s3, v3
	v_cndmask_b32_e32 v2, v1, v2, vcc
	v_add_u32_e32 v0, s4, v0
	v_mov_b32_e32 v1, 0
	v_lshlrev_b64 v[0:1], 1, v[0:1]
	v_mov_b32_e32 v3, s9
	v_add_co_u32_e32 v0, vcc, s8, v0
	v_addc_co_u32_e32 v1, vcc, v3, v1, vcc
	global_store_short v[0:1], v2, off
.LBB201_26:
	s_endpgm
.LBB201_27:
	v_add_u32_e32 v11, s4, v10
	v_mov_b32_e32 v12, 0
	v_lshlrev_b64 v[11:12], 1, v[11:12]
	v_mov_b32_e32 v7, s11
	v_add_co_u32_e64 v11, s[0:1], s10, v11
	v_addc_co_u32_e64 v12, s[0:1], v7, v12, s[0:1]
	global_load_ushort v7, v[11:12], off
	v_add_u32_e32 v10, 0x100, v10
	s_or_b64 exec, exec, s[6:7]
	v_cmp_gt_i32_e64 s[0:1], s2, v10
	s_and_saveexec_b64 s[6:7], s[0:1]
	s_cbranch_execz .LBB201_17
.LBB201_28:
	v_add_u32_e32 v10, s4, v10
	v_mov_b32_e32 v11, 0
	v_lshlrev_b64 v[10:11], 1, v[10:11]
	v_mov_b32_e32 v3, s11
	v_add_co_u32_e64 v10, s[0:1], s10, v10
	v_addc_co_u32_e64 v11, s[0:1], v3, v11, s[0:1]
	global_load_ushort v3, v[10:11], off
	s_or_b64 exec, exec, s[6:7]
	s_lshr_b32 s5, s3, 16
	s_and_saveexec_b64 s[0:1], vcc
	s_cbranch_execz .LBB201_18
.LBB201_29:
	s_waitcnt vmcnt(0)
	v_cmp_ge_f16_e32 vcc, s3, v2
	v_mov_b32_e32 v2, 0
	v_lshlrev_b64 v[1:2], 1, v[1:2]
	v_mov_b32_e32 v10, s12
	v_mov_b32_e32 v11, s5
	v_cndmask_b32_e32 v10, v10, v11, vcc
	v_mov_b32_e32 v11, s9
	v_add_co_u32_e32 v1, vcc, s8, v1
	v_or_b32_e32 v0, 0x100, v0
	v_addc_co_u32_e32 v2, vcc, v11, v2, vcc
	global_store_short v[1:2], v10, off
	s_or_b64 exec, exec, s[0:1]
	v_cmp_gt_i32_e32 vcc, s2, v0
	s_and_saveexec_b64 s[0:1], vcc
	s_cbranch_execz .LBB201_19
.LBB201_30:
	v_mov_b32_e32 v1, s12
	s_waitcnt vmcnt(0)
	v_mov_b32_e32 v2, s5
	v_cmp_ge_f16_e32 vcc, s3, v5
	v_cndmask_b32_e32 v5, v1, v2, vcc
	v_add_u32_e32 v1, s4, v0
	v_mov_b32_e32 v2, 0
	v_lshlrev_b64 v[1:2], 1, v[1:2]
	v_mov_b32_e32 v10, s9
	v_add_co_u32_e32 v1, vcc, s8, v1
	v_addc_co_u32_e32 v2, vcc, v10, v2, vcc
	v_add_u32_e32 v0, 0x100, v0
	global_store_short v[1:2], v5, off
	s_or_b64 exec, exec, s[0:1]
	v_cmp_gt_i32_e32 vcc, s2, v0
	s_and_saveexec_b64 s[0:1], vcc
	s_cbranch_execz .LBB201_20
.LBB201_31:
	v_mov_b32_e32 v1, s12
	s_waitcnt vmcnt(0)
	v_mov_b32_e32 v2, s5
	v_cmp_ge_f16_e32 vcc, s3, v9
	v_cndmask_b32_e32 v5, v1, v2, vcc
	v_add_u32_e32 v1, s4, v0
	v_mov_b32_e32 v2, 0
	v_lshlrev_b64 v[1:2], 1, v[1:2]
	v_mov_b32_e32 v9, s9
	v_add_co_u32_e32 v1, vcc, s8, v1
	v_addc_co_u32_e32 v2, vcc, v9, v2, vcc
	v_add_u32_e32 v0, 0x100, v0
	global_store_short v[1:2], v5, off
	s_or_b64 exec, exec, s[0:1]
	v_cmp_gt_i32_e32 vcc, s2, v0
	s_and_saveexec_b64 s[0:1], vcc
	s_cbranch_execz .LBB201_21
.LBB201_32:
	v_mov_b32_e32 v1, s12
	s_waitcnt vmcnt(0)
	v_mov_b32_e32 v2, s5
	v_cmp_ge_f16_e32 vcc, s3, v6
	v_cndmask_b32_e32 v5, v1, v2, vcc
	v_add_u32_e32 v1, s4, v0
	v_mov_b32_e32 v2, 0
	v_lshlrev_b64 v[1:2], 1, v[1:2]
	v_mov_b32_e32 v6, s9
	v_add_co_u32_e32 v1, vcc, s8, v1
	v_addc_co_u32_e32 v2, vcc, v6, v2, vcc
	v_add_u32_e32 v0, 0x100, v0
	global_store_short v[1:2], v5, off
	s_or_b64 exec, exec, s[0:1]
	v_cmp_gt_i32_e32 vcc, s2, v0
	s_and_saveexec_b64 s[0:1], vcc
	s_cbranch_execz .LBB201_22
.LBB201_33:
	v_mov_b32_e32 v1, s12
	s_waitcnt vmcnt(0)
	v_mov_b32_e32 v2, s5
	v_cmp_ge_f16_e32 vcc, s3, v8
	v_cndmask_b32_e32 v5, v1, v2, vcc
	v_add_u32_e32 v1, s4, v0
	v_mov_b32_e32 v2, 0
	v_lshlrev_b64 v[1:2], 1, v[1:2]
	v_mov_b32_e32 v6, s9
	v_add_co_u32_e32 v1, vcc, s8, v1
	v_addc_co_u32_e32 v2, vcc, v6, v2, vcc
	v_add_u32_e32 v0, 0x100, v0
	global_store_short v[1:2], v5, off
	s_or_b64 exec, exec, s[0:1]
	v_cmp_gt_i32_e32 vcc, s2, v0
	s_and_saveexec_b64 s[0:1], vcc
	s_cbranch_execz .LBB201_23
.LBB201_34:
	v_mov_b32_e32 v1, s12
	s_waitcnt vmcnt(0)
	v_mov_b32_e32 v2, s5
	v_cmp_ge_f16_e32 vcc, s3, v4
	v_cndmask_b32_e32 v4, v1, v2, vcc
	v_add_u32_e32 v1, s4, v0
	v_mov_b32_e32 v2, 0
	v_lshlrev_b64 v[1:2], 1, v[1:2]
	v_mov_b32_e32 v5, s9
	v_add_co_u32_e32 v1, vcc, s8, v1
	v_addc_co_u32_e32 v2, vcc, v5, v2, vcc
	v_add_u32_e32 v0, 0x100, v0
	global_store_short v[1:2], v4, off
	s_or_b64 exec, exec, s[0:1]
	v_cmp_gt_i32_e32 vcc, s2, v0
	s_and_saveexec_b64 s[0:1], vcc
	s_cbranch_execz .LBB201_24
.LBB201_35:
	v_mov_b32_e32 v1, s12
	s_waitcnt vmcnt(0)
	v_mov_b32_e32 v2, s5
	v_cmp_ge_f16_e32 vcc, s3, v7
	v_cndmask_b32_e32 v4, v1, v2, vcc
	v_add_u32_e32 v1, s4, v0
	v_mov_b32_e32 v2, 0
	v_lshlrev_b64 v[1:2], 1, v[1:2]
	v_mov_b32_e32 v5, s9
	v_add_co_u32_e32 v1, vcc, s8, v1
	v_addc_co_u32_e32 v2, vcc, v5, v2, vcc
	v_add_u32_e32 v0, 0x100, v0
	global_store_short v[1:2], v4, off
	s_or_b64 exec, exec, s[0:1]
	v_cmp_gt_i32_e32 vcc, s2, v0
	s_and_saveexec_b64 s[0:1], vcc
	s_cbranch_execnz .LBB201_25
	s_branch .LBB201_26
	.section	.rodata,"a",@progbits
	.p2align	6, 0x0
	.amdhsa_kernel _ZN2at6native29vectorized_elementwise_kernelILi16ENS0_13BUnaryFunctorIN3c104HalfES4_S4_ZNS0_12_GLOBAL__N_121threshold_kernel_implIS4_EEvRNS_18TensorIteratorBaseET_S9_EUlS4_S4_E_EESt5arrayIPcLm2EEEEviT0_T1_
		.amdhsa_group_segment_fixed_size 0
		.amdhsa_private_segment_fixed_size 0
		.amdhsa_kernarg_size 32
		.amdhsa_user_sgpr_count 6
		.amdhsa_user_sgpr_private_segment_buffer 1
		.amdhsa_user_sgpr_dispatch_ptr 0
		.amdhsa_user_sgpr_queue_ptr 0
		.amdhsa_user_sgpr_kernarg_segment_ptr 1
		.amdhsa_user_sgpr_dispatch_id 0
		.amdhsa_user_sgpr_flat_scratch_init 0
		.amdhsa_user_sgpr_private_segment_size 0
		.amdhsa_uses_dynamic_stack 0
		.amdhsa_system_sgpr_private_segment_wavefront_offset 0
		.amdhsa_system_sgpr_workgroup_id_x 1
		.amdhsa_system_sgpr_workgroup_id_y 0
		.amdhsa_system_sgpr_workgroup_id_z 0
		.amdhsa_system_sgpr_workgroup_info 0
		.amdhsa_system_vgpr_workitem_id 0
		.amdhsa_next_free_vgpr 13
		.amdhsa_next_free_sgpr 14
		.amdhsa_reserve_vcc 1
		.amdhsa_reserve_flat_scratch 0
		.amdhsa_float_round_mode_32 0
		.amdhsa_float_round_mode_16_64 0
		.amdhsa_float_denorm_mode_32 3
		.amdhsa_float_denorm_mode_16_64 3
		.amdhsa_dx10_clamp 1
		.amdhsa_ieee_mode 1
		.amdhsa_fp16_overflow 0
		.amdhsa_exception_fp_ieee_invalid_op 0
		.amdhsa_exception_fp_denorm_src 0
		.amdhsa_exception_fp_ieee_div_zero 0
		.amdhsa_exception_fp_ieee_overflow 0
		.amdhsa_exception_fp_ieee_underflow 0
		.amdhsa_exception_fp_ieee_inexact 0
		.amdhsa_exception_int_div_zero 0
	.end_amdhsa_kernel
	.section	.text._ZN2at6native29vectorized_elementwise_kernelILi16ENS0_13BUnaryFunctorIN3c104HalfES4_S4_ZNS0_12_GLOBAL__N_121threshold_kernel_implIS4_EEvRNS_18TensorIteratorBaseET_S9_EUlS4_S4_E_EESt5arrayIPcLm2EEEEviT0_T1_,"axG",@progbits,_ZN2at6native29vectorized_elementwise_kernelILi16ENS0_13BUnaryFunctorIN3c104HalfES4_S4_ZNS0_12_GLOBAL__N_121threshold_kernel_implIS4_EEvRNS_18TensorIteratorBaseET_S9_EUlS4_S4_E_EESt5arrayIPcLm2EEEEviT0_T1_,comdat
.Lfunc_end201:
	.size	_ZN2at6native29vectorized_elementwise_kernelILi16ENS0_13BUnaryFunctorIN3c104HalfES4_S4_ZNS0_12_GLOBAL__N_121threshold_kernel_implIS4_EEvRNS_18TensorIteratorBaseET_S9_EUlS4_S4_E_EESt5arrayIPcLm2EEEEviT0_T1_, .Lfunc_end201-_ZN2at6native29vectorized_elementwise_kernelILi16ENS0_13BUnaryFunctorIN3c104HalfES4_S4_ZNS0_12_GLOBAL__N_121threshold_kernel_implIS4_EEvRNS_18TensorIteratorBaseET_S9_EUlS4_S4_E_EESt5arrayIPcLm2EEEEviT0_T1_
                                        ; -- End function
	.set _ZN2at6native29vectorized_elementwise_kernelILi16ENS0_13BUnaryFunctorIN3c104HalfES4_S4_ZNS0_12_GLOBAL__N_121threshold_kernel_implIS4_EEvRNS_18TensorIteratorBaseET_S9_EUlS4_S4_E_EESt5arrayIPcLm2EEEEviT0_T1_.num_vgpr, 13
	.set _ZN2at6native29vectorized_elementwise_kernelILi16ENS0_13BUnaryFunctorIN3c104HalfES4_S4_ZNS0_12_GLOBAL__N_121threshold_kernel_implIS4_EEvRNS_18TensorIteratorBaseET_S9_EUlS4_S4_E_EESt5arrayIPcLm2EEEEviT0_T1_.num_agpr, 0
	.set _ZN2at6native29vectorized_elementwise_kernelILi16ENS0_13BUnaryFunctorIN3c104HalfES4_S4_ZNS0_12_GLOBAL__N_121threshold_kernel_implIS4_EEvRNS_18TensorIteratorBaseET_S9_EUlS4_S4_E_EESt5arrayIPcLm2EEEEviT0_T1_.numbered_sgpr, 14
	.set _ZN2at6native29vectorized_elementwise_kernelILi16ENS0_13BUnaryFunctorIN3c104HalfES4_S4_ZNS0_12_GLOBAL__N_121threshold_kernel_implIS4_EEvRNS_18TensorIteratorBaseET_S9_EUlS4_S4_E_EESt5arrayIPcLm2EEEEviT0_T1_.num_named_barrier, 0
	.set _ZN2at6native29vectorized_elementwise_kernelILi16ENS0_13BUnaryFunctorIN3c104HalfES4_S4_ZNS0_12_GLOBAL__N_121threshold_kernel_implIS4_EEvRNS_18TensorIteratorBaseET_S9_EUlS4_S4_E_EESt5arrayIPcLm2EEEEviT0_T1_.private_seg_size, 0
	.set _ZN2at6native29vectorized_elementwise_kernelILi16ENS0_13BUnaryFunctorIN3c104HalfES4_S4_ZNS0_12_GLOBAL__N_121threshold_kernel_implIS4_EEvRNS_18TensorIteratorBaseET_S9_EUlS4_S4_E_EESt5arrayIPcLm2EEEEviT0_T1_.uses_vcc, 1
	.set _ZN2at6native29vectorized_elementwise_kernelILi16ENS0_13BUnaryFunctorIN3c104HalfES4_S4_ZNS0_12_GLOBAL__N_121threshold_kernel_implIS4_EEvRNS_18TensorIteratorBaseET_S9_EUlS4_S4_E_EESt5arrayIPcLm2EEEEviT0_T1_.uses_flat_scratch, 0
	.set _ZN2at6native29vectorized_elementwise_kernelILi16ENS0_13BUnaryFunctorIN3c104HalfES4_S4_ZNS0_12_GLOBAL__N_121threshold_kernel_implIS4_EEvRNS_18TensorIteratorBaseET_S9_EUlS4_S4_E_EESt5arrayIPcLm2EEEEviT0_T1_.has_dyn_sized_stack, 0
	.set _ZN2at6native29vectorized_elementwise_kernelILi16ENS0_13BUnaryFunctorIN3c104HalfES4_S4_ZNS0_12_GLOBAL__N_121threshold_kernel_implIS4_EEvRNS_18TensorIteratorBaseET_S9_EUlS4_S4_E_EESt5arrayIPcLm2EEEEviT0_T1_.has_recursion, 0
	.set _ZN2at6native29vectorized_elementwise_kernelILi16ENS0_13BUnaryFunctorIN3c104HalfES4_S4_ZNS0_12_GLOBAL__N_121threshold_kernel_implIS4_EEvRNS_18TensorIteratorBaseET_S9_EUlS4_S4_E_EESt5arrayIPcLm2EEEEviT0_T1_.has_indirect_call, 0
	.section	.AMDGPU.csdata,"",@progbits
; Kernel info:
; codeLenInByte = 1620
; TotalNumSgprs: 18
; NumVgprs: 13
; ScratchSize: 0
; MemoryBound: 0
; FloatMode: 240
; IeeeMode: 1
; LDSByteSize: 0 bytes/workgroup (compile time only)
; SGPRBlocks: 2
; VGPRBlocks: 3
; NumSGPRsForWavesPerEU: 18
; NumVGPRsForWavesPerEU: 13
; Occupancy: 10
; WaveLimiterHint : 0
; COMPUTE_PGM_RSRC2:SCRATCH_EN: 0
; COMPUTE_PGM_RSRC2:USER_SGPR: 6
; COMPUTE_PGM_RSRC2:TRAP_HANDLER: 0
; COMPUTE_PGM_RSRC2:TGID_X_EN: 1
; COMPUTE_PGM_RSRC2:TGID_Y_EN: 0
; COMPUTE_PGM_RSRC2:TGID_Z_EN: 0
; COMPUTE_PGM_RSRC2:TIDIG_COMP_CNT: 0
	.section	.text._ZN2at6native29vectorized_elementwise_kernelILi8ENS0_13BUnaryFunctorIN3c104HalfES4_S4_ZNS0_12_GLOBAL__N_121threshold_kernel_implIS4_EEvRNS_18TensorIteratorBaseET_S9_EUlS4_S4_E_EESt5arrayIPcLm2EEEEviT0_T1_,"axG",@progbits,_ZN2at6native29vectorized_elementwise_kernelILi8ENS0_13BUnaryFunctorIN3c104HalfES4_S4_ZNS0_12_GLOBAL__N_121threshold_kernel_implIS4_EEvRNS_18TensorIteratorBaseET_S9_EUlS4_S4_E_EESt5arrayIPcLm2EEEEviT0_T1_,comdat
	.globl	_ZN2at6native29vectorized_elementwise_kernelILi8ENS0_13BUnaryFunctorIN3c104HalfES4_S4_ZNS0_12_GLOBAL__N_121threshold_kernel_implIS4_EEvRNS_18TensorIteratorBaseET_S9_EUlS4_S4_E_EESt5arrayIPcLm2EEEEviT0_T1_ ; -- Begin function _ZN2at6native29vectorized_elementwise_kernelILi8ENS0_13BUnaryFunctorIN3c104HalfES4_S4_ZNS0_12_GLOBAL__N_121threshold_kernel_implIS4_EEvRNS_18TensorIteratorBaseET_S9_EUlS4_S4_E_EESt5arrayIPcLm2EEEEviT0_T1_
	.p2align	8
	.type	_ZN2at6native29vectorized_elementwise_kernelILi8ENS0_13BUnaryFunctorIN3c104HalfES4_S4_ZNS0_12_GLOBAL__N_121threshold_kernel_implIS4_EEvRNS_18TensorIteratorBaseET_S9_EUlS4_S4_E_EESt5arrayIPcLm2EEEEviT0_T1_,@function
_ZN2at6native29vectorized_elementwise_kernelILi8ENS0_13BUnaryFunctorIN3c104HalfES4_S4_ZNS0_12_GLOBAL__N_121threshold_kernel_implIS4_EEvRNS_18TensorIteratorBaseET_S9_EUlS4_S4_E_EESt5arrayIPcLm2EEEEviT0_T1_: ; @_ZN2at6native29vectorized_elementwise_kernelILi8ENS0_13BUnaryFunctorIN3c104HalfES4_S4_ZNS0_12_GLOBAL__N_121threshold_kernel_implIS4_EEvRNS_18TensorIteratorBaseET_S9_EUlS4_S4_E_EESt5arrayIPcLm2EEEEviT0_T1_
; %bb.0:
	s_load_dwordx2 s[2:3], s[4:5], 0x0
	s_load_dword s12, s[4:5], 0x8
	s_load_dwordx4 s[8:11], s[4:5], 0x10
	s_lshl_b32 s4, s6, 11
	s_mov_b64 s[0:1], -1
	s_waitcnt lgkmcnt(0)
	s_sub_i32 s2, s2, s4
	s_cmpk_gt_i32 s2, 0x7ff
	s_cbranch_scc0 .LBB202_2
; %bb.1:
	s_ashr_i32 s5, s4, 31
	s_lshr_b32 s13, s3, 16
	s_lshl_b64 s[0:1], s[4:5], 1
	s_add_u32 s6, s10, s0
	s_addc_u32 s7, s11, s1
	v_lshlrev_b32_e32 v5, 4, v0
	global_load_dwordx4 v[1:4], v5, s[6:7]
	v_mov_b32_e32 v6, s12
	v_mov_b32_e32 v7, s13
	s_mov_b32 s5, 0x5040100
	s_add_u32 s0, s8, s0
	s_addc_u32 s1, s9, s1
	s_waitcnt vmcnt(0)
	v_cmp_ge_f16_e32 vcc, s3, v1
	v_cndmask_b32_e32 v8, v6, v7, vcc
	v_cmp_le_f16_sdwa vcc, v1, s3 src0_sel:WORD_1 src1_sel:DWORD
	v_cndmask_b32_e32 v1, v6, v7, vcc
	v_cmp_ge_f16_e32 vcc, s3, v2
	v_cndmask_b32_e32 v9, v6, v7, vcc
	v_cmp_le_f16_sdwa vcc, v2, s3 src0_sel:WORD_1 src1_sel:DWORD
	v_cndmask_b32_e32 v2, v6, v7, vcc
	;; [unrolled: 4-line block ×4, first 2 shown]
	v_perm_b32 v4, v4, v11, s5
	v_perm_b32 v3, v3, v10, s5
	;; [unrolled: 1-line block ×4, first 2 shown]
	global_store_dwordx4 v5, v[1:4], s[0:1]
	s_mov_b64 s[0:1], 0
.LBB202_2:
	s_andn2_b64 vcc, exec, s[0:1]
	s_cbranch_vccnz .LBB202_26
; %bb.3:
	v_cmp_gt_i32_e32 vcc, s2, v0
	v_mov_b32_e32 v5, 0
	v_or_b32_e32 v1, s4, v0
	v_mov_b32_e32 v2, 0
	v_mov_b32_e32 v10, v0
	s_and_saveexec_b64 s[6:7], vcc
	s_cbranch_execz .LBB202_5
; %bb.4:
	v_mov_b32_e32 v2, 0
	v_lshlrev_b64 v[2:3], 1, v[1:2]
	v_mov_b32_e32 v4, s11
	v_add_co_u32_e64 v2, s[0:1], s10, v2
	v_addc_co_u32_e64 v3, s[0:1], v4, v3, s[0:1]
	global_load_ushort v2, v[2:3], off
	v_or_b32_e32 v10, 0x100, v0
.LBB202_5:
	s_or_b64 exec, exec, s[6:7]
	v_cmp_gt_i32_e64 s[0:1], s2, v10
	s_and_saveexec_b64 s[6:7], s[0:1]
	s_cbranch_execz .LBB202_7
; %bb.6:
	v_add_u32_e32 v3, s4, v10
	v_mov_b32_e32 v4, 0
	v_lshlrev_b64 v[3:4], 1, v[3:4]
	v_mov_b32_e32 v5, s11
	v_add_co_u32_e64 v3, s[0:1], s10, v3
	v_addc_co_u32_e64 v4, s[0:1], v5, v4, s[0:1]
	global_load_ushort v5, v[3:4], off
	v_add_u32_e32 v10, 0x100, v10
.LBB202_7:
	s_or_b64 exec, exec, s[6:7]
	v_cmp_gt_i32_e64 s[0:1], s2, v10
	v_mov_b32_e32 v6, 0
	v_mov_b32_e32 v9, 0
	s_and_saveexec_b64 s[6:7], s[0:1]
	s_cbranch_execz .LBB202_9
; %bb.8:
	v_add_u32_e32 v3, s4, v10
	v_mov_b32_e32 v4, 0
	v_lshlrev_b64 v[3:4], 1, v[3:4]
	v_mov_b32_e32 v7, s11
	v_add_co_u32_e64 v3, s[0:1], s10, v3
	v_addc_co_u32_e64 v4, s[0:1], v7, v4, s[0:1]
	global_load_ushort v9, v[3:4], off
	v_add_u32_e32 v10, 0x100, v10
.LBB202_9:
	s_or_b64 exec, exec, s[6:7]
	v_cmp_gt_i32_e64 s[0:1], s2, v10
	s_and_saveexec_b64 s[6:7], s[0:1]
	s_cbranch_execz .LBB202_11
; %bb.10:
	v_add_u32_e32 v3, s4, v10
	v_mov_b32_e32 v4, 0
	v_lshlrev_b64 v[3:4], 1, v[3:4]
	v_mov_b32_e32 v6, s11
	v_add_co_u32_e64 v3, s[0:1], s10, v3
	v_addc_co_u32_e64 v4, s[0:1], v6, v4, s[0:1]
	global_load_ushort v6, v[3:4], off
	v_add_u32_e32 v10, 0x100, v10
.LBB202_11:
	s_or_b64 exec, exec, s[6:7]
	v_cmp_gt_i32_e64 s[0:1], s2, v10
	v_mov_b32_e32 v4, 0
	v_mov_b32_e32 v8, 0
	s_and_saveexec_b64 s[6:7], s[0:1]
	s_cbranch_execz .LBB202_13
; %bb.12:
	v_add_u32_e32 v7, s4, v10
	v_mov_b32_e32 v8, 0
	v_lshlrev_b64 v[7:8], 1, v[7:8]
	v_mov_b32_e32 v3, s11
	v_add_co_u32_e64 v7, s[0:1], s10, v7
	v_addc_co_u32_e64 v8, s[0:1], v3, v8, s[0:1]
	global_load_ushort v8, v[7:8], off
	v_add_u32_e32 v10, 0x100, v10
.LBB202_13:
	s_or_b64 exec, exec, s[6:7]
	v_cmp_gt_i32_e64 s[0:1], s2, v10
	s_and_saveexec_b64 s[6:7], s[0:1]
	s_cbranch_execz .LBB202_15
; %bb.14:
	v_add_u32_e32 v3, s4, v10
	v_mov_b32_e32 v4, 0
	v_lshlrev_b64 v[3:4], 1, v[3:4]
	v_mov_b32_e32 v7, s11
	v_add_co_u32_e64 v3, s[0:1], s10, v3
	v_addc_co_u32_e64 v4, s[0:1], v7, v4, s[0:1]
	global_load_ushort v4, v[3:4], off
	v_add_u32_e32 v10, 0x100, v10
.LBB202_15:
	s_or_b64 exec, exec, s[6:7]
	v_cmp_gt_i32_e64 s[0:1], s2, v10
	v_mov_b32_e32 v3, 0
	v_mov_b32_e32 v7, 0
	s_and_saveexec_b64 s[6:7], s[0:1]
	s_cbranch_execnz .LBB202_27
; %bb.16:
	s_or_b64 exec, exec, s[6:7]
	v_cmp_gt_i32_e64 s[0:1], s2, v10
	s_and_saveexec_b64 s[6:7], s[0:1]
	s_cbranch_execnz .LBB202_28
.LBB202_17:
	s_or_b64 exec, exec, s[6:7]
	s_lshr_b32 s5, s3, 16
	s_and_saveexec_b64 s[0:1], vcc
	s_cbranch_execnz .LBB202_29
.LBB202_18:
	s_or_b64 exec, exec, s[0:1]
	v_cmp_gt_i32_e32 vcc, s2, v0
	s_and_saveexec_b64 s[0:1], vcc
	s_cbranch_execnz .LBB202_30
.LBB202_19:
	s_or_b64 exec, exec, s[0:1]
	v_cmp_gt_i32_e32 vcc, s2, v0
	s_and_saveexec_b64 s[0:1], vcc
	s_cbranch_execnz .LBB202_31
.LBB202_20:
	s_or_b64 exec, exec, s[0:1]
	v_cmp_gt_i32_e32 vcc, s2, v0
	s_and_saveexec_b64 s[0:1], vcc
	s_cbranch_execnz .LBB202_32
.LBB202_21:
	s_or_b64 exec, exec, s[0:1]
	v_cmp_gt_i32_e32 vcc, s2, v0
	s_and_saveexec_b64 s[0:1], vcc
	s_cbranch_execnz .LBB202_33
.LBB202_22:
	s_or_b64 exec, exec, s[0:1]
	v_cmp_gt_i32_e32 vcc, s2, v0
	s_and_saveexec_b64 s[0:1], vcc
	s_cbranch_execnz .LBB202_34
.LBB202_23:
	s_or_b64 exec, exec, s[0:1]
	v_cmp_gt_i32_e32 vcc, s2, v0
	s_and_saveexec_b64 s[0:1], vcc
	s_cbranch_execnz .LBB202_35
.LBB202_24:
	s_or_b64 exec, exec, s[0:1]
	v_cmp_gt_i32_e32 vcc, s2, v0
	s_and_saveexec_b64 s[0:1], vcc
	s_cbranch_execz .LBB202_26
.LBB202_25:
	v_mov_b32_e32 v1, s12
	s_waitcnt vmcnt(0)
	v_mov_b32_e32 v2, s5
	v_cmp_ge_f16_e32 vcc, s3, v3
	v_cndmask_b32_e32 v2, v1, v2, vcc
	v_add_u32_e32 v0, s4, v0
	v_mov_b32_e32 v1, 0
	v_lshlrev_b64 v[0:1], 1, v[0:1]
	v_mov_b32_e32 v3, s9
	v_add_co_u32_e32 v0, vcc, s8, v0
	v_addc_co_u32_e32 v1, vcc, v3, v1, vcc
	global_store_short v[0:1], v2, off
.LBB202_26:
	s_endpgm
.LBB202_27:
	v_add_u32_e32 v11, s4, v10
	v_mov_b32_e32 v12, 0
	v_lshlrev_b64 v[11:12], 1, v[11:12]
	v_mov_b32_e32 v7, s11
	v_add_co_u32_e64 v11, s[0:1], s10, v11
	v_addc_co_u32_e64 v12, s[0:1], v7, v12, s[0:1]
	global_load_ushort v7, v[11:12], off
	v_add_u32_e32 v10, 0x100, v10
	s_or_b64 exec, exec, s[6:7]
	v_cmp_gt_i32_e64 s[0:1], s2, v10
	s_and_saveexec_b64 s[6:7], s[0:1]
	s_cbranch_execz .LBB202_17
.LBB202_28:
	v_add_u32_e32 v10, s4, v10
	v_mov_b32_e32 v11, 0
	v_lshlrev_b64 v[10:11], 1, v[10:11]
	v_mov_b32_e32 v3, s11
	v_add_co_u32_e64 v10, s[0:1], s10, v10
	v_addc_co_u32_e64 v11, s[0:1], v3, v11, s[0:1]
	global_load_ushort v3, v[10:11], off
	s_or_b64 exec, exec, s[6:7]
	s_lshr_b32 s5, s3, 16
	s_and_saveexec_b64 s[0:1], vcc
	s_cbranch_execz .LBB202_18
.LBB202_29:
	s_waitcnt vmcnt(0)
	v_cmp_ge_f16_e32 vcc, s3, v2
	v_mov_b32_e32 v2, 0
	v_lshlrev_b64 v[1:2], 1, v[1:2]
	v_mov_b32_e32 v10, s12
	v_mov_b32_e32 v11, s5
	v_cndmask_b32_e32 v10, v10, v11, vcc
	v_mov_b32_e32 v11, s9
	v_add_co_u32_e32 v1, vcc, s8, v1
	v_or_b32_e32 v0, 0x100, v0
	v_addc_co_u32_e32 v2, vcc, v11, v2, vcc
	global_store_short v[1:2], v10, off
	s_or_b64 exec, exec, s[0:1]
	v_cmp_gt_i32_e32 vcc, s2, v0
	s_and_saveexec_b64 s[0:1], vcc
	s_cbranch_execz .LBB202_19
.LBB202_30:
	v_mov_b32_e32 v1, s12
	s_waitcnt vmcnt(0)
	v_mov_b32_e32 v2, s5
	v_cmp_ge_f16_e32 vcc, s3, v5
	v_cndmask_b32_e32 v5, v1, v2, vcc
	v_add_u32_e32 v1, s4, v0
	v_mov_b32_e32 v2, 0
	v_lshlrev_b64 v[1:2], 1, v[1:2]
	v_mov_b32_e32 v10, s9
	v_add_co_u32_e32 v1, vcc, s8, v1
	v_addc_co_u32_e32 v2, vcc, v10, v2, vcc
	v_add_u32_e32 v0, 0x100, v0
	global_store_short v[1:2], v5, off
	s_or_b64 exec, exec, s[0:1]
	v_cmp_gt_i32_e32 vcc, s2, v0
	s_and_saveexec_b64 s[0:1], vcc
	s_cbranch_execz .LBB202_20
.LBB202_31:
	v_mov_b32_e32 v1, s12
	s_waitcnt vmcnt(0)
	v_mov_b32_e32 v2, s5
	v_cmp_ge_f16_e32 vcc, s3, v9
	v_cndmask_b32_e32 v5, v1, v2, vcc
	v_add_u32_e32 v1, s4, v0
	v_mov_b32_e32 v2, 0
	v_lshlrev_b64 v[1:2], 1, v[1:2]
	v_mov_b32_e32 v9, s9
	v_add_co_u32_e32 v1, vcc, s8, v1
	v_addc_co_u32_e32 v2, vcc, v9, v2, vcc
	v_add_u32_e32 v0, 0x100, v0
	global_store_short v[1:2], v5, off
	s_or_b64 exec, exec, s[0:1]
	v_cmp_gt_i32_e32 vcc, s2, v0
	s_and_saveexec_b64 s[0:1], vcc
	s_cbranch_execz .LBB202_21
.LBB202_32:
	v_mov_b32_e32 v1, s12
	s_waitcnt vmcnt(0)
	v_mov_b32_e32 v2, s5
	v_cmp_ge_f16_e32 vcc, s3, v6
	v_cndmask_b32_e32 v5, v1, v2, vcc
	v_add_u32_e32 v1, s4, v0
	v_mov_b32_e32 v2, 0
	v_lshlrev_b64 v[1:2], 1, v[1:2]
	v_mov_b32_e32 v6, s9
	v_add_co_u32_e32 v1, vcc, s8, v1
	v_addc_co_u32_e32 v2, vcc, v6, v2, vcc
	v_add_u32_e32 v0, 0x100, v0
	global_store_short v[1:2], v5, off
	s_or_b64 exec, exec, s[0:1]
	v_cmp_gt_i32_e32 vcc, s2, v0
	s_and_saveexec_b64 s[0:1], vcc
	s_cbranch_execz .LBB202_22
.LBB202_33:
	v_mov_b32_e32 v1, s12
	s_waitcnt vmcnt(0)
	v_mov_b32_e32 v2, s5
	v_cmp_ge_f16_e32 vcc, s3, v8
	v_cndmask_b32_e32 v5, v1, v2, vcc
	v_add_u32_e32 v1, s4, v0
	v_mov_b32_e32 v2, 0
	v_lshlrev_b64 v[1:2], 1, v[1:2]
	v_mov_b32_e32 v6, s9
	v_add_co_u32_e32 v1, vcc, s8, v1
	v_addc_co_u32_e32 v2, vcc, v6, v2, vcc
	v_add_u32_e32 v0, 0x100, v0
	global_store_short v[1:2], v5, off
	s_or_b64 exec, exec, s[0:1]
	v_cmp_gt_i32_e32 vcc, s2, v0
	s_and_saveexec_b64 s[0:1], vcc
	s_cbranch_execz .LBB202_23
.LBB202_34:
	v_mov_b32_e32 v1, s12
	s_waitcnt vmcnt(0)
	v_mov_b32_e32 v2, s5
	v_cmp_ge_f16_e32 vcc, s3, v4
	v_cndmask_b32_e32 v4, v1, v2, vcc
	v_add_u32_e32 v1, s4, v0
	v_mov_b32_e32 v2, 0
	v_lshlrev_b64 v[1:2], 1, v[1:2]
	v_mov_b32_e32 v5, s9
	v_add_co_u32_e32 v1, vcc, s8, v1
	v_addc_co_u32_e32 v2, vcc, v5, v2, vcc
	v_add_u32_e32 v0, 0x100, v0
	global_store_short v[1:2], v4, off
	s_or_b64 exec, exec, s[0:1]
	v_cmp_gt_i32_e32 vcc, s2, v0
	s_and_saveexec_b64 s[0:1], vcc
	s_cbranch_execz .LBB202_24
.LBB202_35:
	v_mov_b32_e32 v1, s12
	s_waitcnt vmcnt(0)
	v_mov_b32_e32 v2, s5
	v_cmp_ge_f16_e32 vcc, s3, v7
	v_cndmask_b32_e32 v4, v1, v2, vcc
	v_add_u32_e32 v1, s4, v0
	v_mov_b32_e32 v2, 0
	v_lshlrev_b64 v[1:2], 1, v[1:2]
	v_mov_b32_e32 v5, s9
	v_add_co_u32_e32 v1, vcc, s8, v1
	v_addc_co_u32_e32 v2, vcc, v5, v2, vcc
	v_add_u32_e32 v0, 0x100, v0
	global_store_short v[1:2], v4, off
	s_or_b64 exec, exec, s[0:1]
	v_cmp_gt_i32_e32 vcc, s2, v0
	s_and_saveexec_b64 s[0:1], vcc
	s_cbranch_execnz .LBB202_25
	s_branch .LBB202_26
	.section	.rodata,"a",@progbits
	.p2align	6, 0x0
	.amdhsa_kernel _ZN2at6native29vectorized_elementwise_kernelILi8ENS0_13BUnaryFunctorIN3c104HalfES4_S4_ZNS0_12_GLOBAL__N_121threshold_kernel_implIS4_EEvRNS_18TensorIteratorBaseET_S9_EUlS4_S4_E_EESt5arrayIPcLm2EEEEviT0_T1_
		.amdhsa_group_segment_fixed_size 0
		.amdhsa_private_segment_fixed_size 0
		.amdhsa_kernarg_size 32
		.amdhsa_user_sgpr_count 6
		.amdhsa_user_sgpr_private_segment_buffer 1
		.amdhsa_user_sgpr_dispatch_ptr 0
		.amdhsa_user_sgpr_queue_ptr 0
		.amdhsa_user_sgpr_kernarg_segment_ptr 1
		.amdhsa_user_sgpr_dispatch_id 0
		.amdhsa_user_sgpr_flat_scratch_init 0
		.amdhsa_user_sgpr_private_segment_size 0
		.amdhsa_uses_dynamic_stack 0
		.amdhsa_system_sgpr_private_segment_wavefront_offset 0
		.amdhsa_system_sgpr_workgroup_id_x 1
		.amdhsa_system_sgpr_workgroup_id_y 0
		.amdhsa_system_sgpr_workgroup_id_z 0
		.amdhsa_system_sgpr_workgroup_info 0
		.amdhsa_system_vgpr_workitem_id 0
		.amdhsa_next_free_vgpr 13
		.amdhsa_next_free_sgpr 14
		.amdhsa_reserve_vcc 1
		.amdhsa_reserve_flat_scratch 0
		.amdhsa_float_round_mode_32 0
		.amdhsa_float_round_mode_16_64 0
		.amdhsa_float_denorm_mode_32 3
		.amdhsa_float_denorm_mode_16_64 3
		.amdhsa_dx10_clamp 1
		.amdhsa_ieee_mode 1
		.amdhsa_fp16_overflow 0
		.amdhsa_exception_fp_ieee_invalid_op 0
		.amdhsa_exception_fp_denorm_src 0
		.amdhsa_exception_fp_ieee_div_zero 0
		.amdhsa_exception_fp_ieee_overflow 0
		.amdhsa_exception_fp_ieee_underflow 0
		.amdhsa_exception_fp_ieee_inexact 0
		.amdhsa_exception_int_div_zero 0
	.end_amdhsa_kernel
	.section	.text._ZN2at6native29vectorized_elementwise_kernelILi8ENS0_13BUnaryFunctorIN3c104HalfES4_S4_ZNS0_12_GLOBAL__N_121threshold_kernel_implIS4_EEvRNS_18TensorIteratorBaseET_S9_EUlS4_S4_E_EESt5arrayIPcLm2EEEEviT0_T1_,"axG",@progbits,_ZN2at6native29vectorized_elementwise_kernelILi8ENS0_13BUnaryFunctorIN3c104HalfES4_S4_ZNS0_12_GLOBAL__N_121threshold_kernel_implIS4_EEvRNS_18TensorIteratorBaseET_S9_EUlS4_S4_E_EESt5arrayIPcLm2EEEEviT0_T1_,comdat
.Lfunc_end202:
	.size	_ZN2at6native29vectorized_elementwise_kernelILi8ENS0_13BUnaryFunctorIN3c104HalfES4_S4_ZNS0_12_GLOBAL__N_121threshold_kernel_implIS4_EEvRNS_18TensorIteratorBaseET_S9_EUlS4_S4_E_EESt5arrayIPcLm2EEEEviT0_T1_, .Lfunc_end202-_ZN2at6native29vectorized_elementwise_kernelILi8ENS0_13BUnaryFunctorIN3c104HalfES4_S4_ZNS0_12_GLOBAL__N_121threshold_kernel_implIS4_EEvRNS_18TensorIteratorBaseET_S9_EUlS4_S4_E_EESt5arrayIPcLm2EEEEviT0_T1_
                                        ; -- End function
	.set _ZN2at6native29vectorized_elementwise_kernelILi8ENS0_13BUnaryFunctorIN3c104HalfES4_S4_ZNS0_12_GLOBAL__N_121threshold_kernel_implIS4_EEvRNS_18TensorIteratorBaseET_S9_EUlS4_S4_E_EESt5arrayIPcLm2EEEEviT0_T1_.num_vgpr, 13
	.set _ZN2at6native29vectorized_elementwise_kernelILi8ENS0_13BUnaryFunctorIN3c104HalfES4_S4_ZNS0_12_GLOBAL__N_121threshold_kernel_implIS4_EEvRNS_18TensorIteratorBaseET_S9_EUlS4_S4_E_EESt5arrayIPcLm2EEEEviT0_T1_.num_agpr, 0
	.set _ZN2at6native29vectorized_elementwise_kernelILi8ENS0_13BUnaryFunctorIN3c104HalfES4_S4_ZNS0_12_GLOBAL__N_121threshold_kernel_implIS4_EEvRNS_18TensorIteratorBaseET_S9_EUlS4_S4_E_EESt5arrayIPcLm2EEEEviT0_T1_.numbered_sgpr, 14
	.set _ZN2at6native29vectorized_elementwise_kernelILi8ENS0_13BUnaryFunctorIN3c104HalfES4_S4_ZNS0_12_GLOBAL__N_121threshold_kernel_implIS4_EEvRNS_18TensorIteratorBaseET_S9_EUlS4_S4_E_EESt5arrayIPcLm2EEEEviT0_T1_.num_named_barrier, 0
	.set _ZN2at6native29vectorized_elementwise_kernelILi8ENS0_13BUnaryFunctorIN3c104HalfES4_S4_ZNS0_12_GLOBAL__N_121threshold_kernel_implIS4_EEvRNS_18TensorIteratorBaseET_S9_EUlS4_S4_E_EESt5arrayIPcLm2EEEEviT0_T1_.private_seg_size, 0
	.set _ZN2at6native29vectorized_elementwise_kernelILi8ENS0_13BUnaryFunctorIN3c104HalfES4_S4_ZNS0_12_GLOBAL__N_121threshold_kernel_implIS4_EEvRNS_18TensorIteratorBaseET_S9_EUlS4_S4_E_EESt5arrayIPcLm2EEEEviT0_T1_.uses_vcc, 1
	.set _ZN2at6native29vectorized_elementwise_kernelILi8ENS0_13BUnaryFunctorIN3c104HalfES4_S4_ZNS0_12_GLOBAL__N_121threshold_kernel_implIS4_EEvRNS_18TensorIteratorBaseET_S9_EUlS4_S4_E_EESt5arrayIPcLm2EEEEviT0_T1_.uses_flat_scratch, 0
	.set _ZN2at6native29vectorized_elementwise_kernelILi8ENS0_13BUnaryFunctorIN3c104HalfES4_S4_ZNS0_12_GLOBAL__N_121threshold_kernel_implIS4_EEvRNS_18TensorIteratorBaseET_S9_EUlS4_S4_E_EESt5arrayIPcLm2EEEEviT0_T1_.has_dyn_sized_stack, 0
	.set _ZN2at6native29vectorized_elementwise_kernelILi8ENS0_13BUnaryFunctorIN3c104HalfES4_S4_ZNS0_12_GLOBAL__N_121threshold_kernel_implIS4_EEvRNS_18TensorIteratorBaseET_S9_EUlS4_S4_E_EESt5arrayIPcLm2EEEEviT0_T1_.has_recursion, 0
	.set _ZN2at6native29vectorized_elementwise_kernelILi8ENS0_13BUnaryFunctorIN3c104HalfES4_S4_ZNS0_12_GLOBAL__N_121threshold_kernel_implIS4_EEvRNS_18TensorIteratorBaseET_S9_EUlS4_S4_E_EESt5arrayIPcLm2EEEEviT0_T1_.has_indirect_call, 0
	.section	.AMDGPU.csdata,"",@progbits
; Kernel info:
; codeLenInByte = 1620
; TotalNumSgprs: 18
; NumVgprs: 13
; ScratchSize: 0
; MemoryBound: 0
; FloatMode: 240
; IeeeMode: 1
; LDSByteSize: 0 bytes/workgroup (compile time only)
; SGPRBlocks: 2
; VGPRBlocks: 3
; NumSGPRsForWavesPerEU: 18
; NumVGPRsForWavesPerEU: 13
; Occupancy: 10
; WaveLimiterHint : 0
; COMPUTE_PGM_RSRC2:SCRATCH_EN: 0
; COMPUTE_PGM_RSRC2:USER_SGPR: 6
; COMPUTE_PGM_RSRC2:TRAP_HANDLER: 0
; COMPUTE_PGM_RSRC2:TGID_X_EN: 1
; COMPUTE_PGM_RSRC2:TGID_Y_EN: 0
; COMPUTE_PGM_RSRC2:TGID_Z_EN: 0
; COMPUTE_PGM_RSRC2:TIDIG_COMP_CNT: 0
	.section	.text._ZN2at6native29vectorized_elementwise_kernelILi4ENS0_13BUnaryFunctorIN3c104HalfES4_S4_ZNS0_12_GLOBAL__N_121threshold_kernel_implIS4_EEvRNS_18TensorIteratorBaseET_S9_EUlS4_S4_E_EESt5arrayIPcLm2EEEEviT0_T1_,"axG",@progbits,_ZN2at6native29vectorized_elementwise_kernelILi4ENS0_13BUnaryFunctorIN3c104HalfES4_S4_ZNS0_12_GLOBAL__N_121threshold_kernel_implIS4_EEvRNS_18TensorIteratorBaseET_S9_EUlS4_S4_E_EESt5arrayIPcLm2EEEEviT0_T1_,comdat
	.globl	_ZN2at6native29vectorized_elementwise_kernelILi4ENS0_13BUnaryFunctorIN3c104HalfES4_S4_ZNS0_12_GLOBAL__N_121threshold_kernel_implIS4_EEvRNS_18TensorIteratorBaseET_S9_EUlS4_S4_E_EESt5arrayIPcLm2EEEEviT0_T1_ ; -- Begin function _ZN2at6native29vectorized_elementwise_kernelILi4ENS0_13BUnaryFunctorIN3c104HalfES4_S4_ZNS0_12_GLOBAL__N_121threshold_kernel_implIS4_EEvRNS_18TensorIteratorBaseET_S9_EUlS4_S4_E_EESt5arrayIPcLm2EEEEviT0_T1_
	.p2align	8
	.type	_ZN2at6native29vectorized_elementwise_kernelILi4ENS0_13BUnaryFunctorIN3c104HalfES4_S4_ZNS0_12_GLOBAL__N_121threshold_kernel_implIS4_EEvRNS_18TensorIteratorBaseET_S9_EUlS4_S4_E_EESt5arrayIPcLm2EEEEviT0_T1_,@function
_ZN2at6native29vectorized_elementwise_kernelILi4ENS0_13BUnaryFunctorIN3c104HalfES4_S4_ZNS0_12_GLOBAL__N_121threshold_kernel_implIS4_EEvRNS_18TensorIteratorBaseET_S9_EUlS4_S4_E_EESt5arrayIPcLm2EEEEviT0_T1_: ; @_ZN2at6native29vectorized_elementwise_kernelILi4ENS0_13BUnaryFunctorIN3c104HalfES4_S4_ZNS0_12_GLOBAL__N_121threshold_kernel_implIS4_EEvRNS_18TensorIteratorBaseET_S9_EUlS4_S4_E_EESt5arrayIPcLm2EEEEviT0_T1_
; %bb.0:
	s_load_dword s0, s[4:5], 0x8
	s_load_dwordx2 s[2:3], s[4:5], 0x0
	s_load_dwordx4 s[8:11], s[4:5], 0x10
	s_lshl_b32 s4, s6, 11
	s_waitcnt lgkmcnt(0)
	s_and_b32 s12, s0, 0xffff
	s_sub_i32 s2, s2, s4
	s_cmpk_gt_i32 s2, 0x7ff
	s_mov_b64 s[0:1], -1
	s_cbranch_scc0 .LBB203_2
; %bb.1:
	s_ashr_i32 s5, s4, 31
	s_lshr_b32 s13, s3, 16
	s_lshl_b64 s[0:1], s[4:5], 1
	s_add_u32 s6, s10, s0
	s_addc_u32 s7, s11, s1
	v_lshlrev_b32_e32 v5, 3, v0
	global_load_dwordx2 v[1:2], v5, s[6:7]
	global_load_dwordx2 v[3:4], v5, s[6:7] offset:2048
	v_mov_b32_e32 v6, s12
	v_mov_b32_e32 v7, s13
	s_add_u32 s0, s8, s0
	s_addc_u32 s1, s9, s1
	s_waitcnt vmcnt(1)
	v_cmp_le_f16_sdwa vcc, v1, s3 src0_sel:WORD_1 src1_sel:DWORD
	v_cndmask_b32_e32 v8, v6, v7, vcc
	v_cmp_ge_f16_e32 vcc, s3, v1
	v_cndmask_b32_e32 v1, v6, v7, vcc
	v_cmp_ge_f16_e32 vcc, s3, v2
	v_cndmask_b32_e32 v9, v6, v7, vcc
	v_cmp_le_f16_sdwa vcc, v2, s3 src0_sel:WORD_1 src1_sel:DWORD
	v_cndmask_b32_e32 v2, v6, v7, vcc
	s_waitcnt vmcnt(0)
	v_cmp_le_f16_sdwa vcc, v3, s3 src0_sel:WORD_1 src1_sel:DWORD
	v_cndmask_b32_e32 v10, v6, v7, vcc
	v_cmp_ge_f16_e32 vcc, s3, v3
	v_cndmask_b32_e32 v3, v6, v7, vcc
	v_cmp_ge_f16_e32 vcc, s3, v4
	v_cndmask_b32_e32 v11, v6, v7, vcc
	v_cmp_le_f16_sdwa vcc, v4, s3 src0_sel:WORD_1 src1_sel:DWORD
	v_cndmask_b32_e32 v4, v6, v7, vcc
	v_lshlrev_b32_e32 v2, 16, v2
	v_lshl_or_b32 v1, v8, 16, v1
	v_lshlrev_b32_e32 v4, 16, v4
	v_or_b32_e32 v2, v9, v2
	v_lshl_or_b32 v3, v10, 16, v3
	v_or_b32_e32 v4, v11, v4
	global_store_dwordx2 v5, v[1:2], s[0:1]
	global_store_dwordx2 v5, v[3:4], s[0:1] offset:2048
	s_mov_b64 s[0:1], 0
.LBB203_2:
	s_andn2_b64 vcc, exec, s[0:1]
	s_cbranch_vccnz .LBB203_26
; %bb.3:
	v_cmp_gt_i32_e32 vcc, s2, v0
	v_mov_b32_e32 v5, 0
	v_or_b32_e32 v1, s4, v0
	v_mov_b32_e32 v2, 0
	v_mov_b32_e32 v10, v0
	s_and_saveexec_b64 s[6:7], vcc
	s_cbranch_execz .LBB203_5
; %bb.4:
	v_mov_b32_e32 v2, 0
	v_lshlrev_b64 v[2:3], 1, v[1:2]
	v_mov_b32_e32 v4, s11
	v_add_co_u32_e64 v2, s[0:1], s10, v2
	v_addc_co_u32_e64 v3, s[0:1], v4, v3, s[0:1]
	global_load_ushort v2, v[2:3], off
	v_or_b32_e32 v10, 0x100, v0
.LBB203_5:
	s_or_b64 exec, exec, s[6:7]
	v_cmp_gt_i32_e64 s[0:1], s2, v10
	s_and_saveexec_b64 s[6:7], s[0:1]
	s_cbranch_execz .LBB203_7
; %bb.6:
	v_add_u32_e32 v3, s4, v10
	v_mov_b32_e32 v4, 0
	v_lshlrev_b64 v[3:4], 1, v[3:4]
	v_mov_b32_e32 v5, s11
	v_add_co_u32_e64 v3, s[0:1], s10, v3
	v_addc_co_u32_e64 v4, s[0:1], v5, v4, s[0:1]
	global_load_ushort v5, v[3:4], off
	v_add_u32_e32 v10, 0x100, v10
.LBB203_7:
	s_or_b64 exec, exec, s[6:7]
	v_cmp_gt_i32_e64 s[0:1], s2, v10
	v_mov_b32_e32 v6, 0
	v_mov_b32_e32 v9, 0
	s_and_saveexec_b64 s[6:7], s[0:1]
	s_cbranch_execz .LBB203_9
; %bb.8:
	v_add_u32_e32 v3, s4, v10
	v_mov_b32_e32 v4, 0
	v_lshlrev_b64 v[3:4], 1, v[3:4]
	v_mov_b32_e32 v7, s11
	v_add_co_u32_e64 v3, s[0:1], s10, v3
	v_addc_co_u32_e64 v4, s[0:1], v7, v4, s[0:1]
	global_load_ushort v9, v[3:4], off
	v_add_u32_e32 v10, 0x100, v10
.LBB203_9:
	s_or_b64 exec, exec, s[6:7]
	v_cmp_gt_i32_e64 s[0:1], s2, v10
	s_and_saveexec_b64 s[6:7], s[0:1]
	s_cbranch_execz .LBB203_11
; %bb.10:
	v_add_u32_e32 v3, s4, v10
	v_mov_b32_e32 v4, 0
	v_lshlrev_b64 v[3:4], 1, v[3:4]
	v_mov_b32_e32 v6, s11
	v_add_co_u32_e64 v3, s[0:1], s10, v3
	v_addc_co_u32_e64 v4, s[0:1], v6, v4, s[0:1]
	global_load_ushort v6, v[3:4], off
	v_add_u32_e32 v10, 0x100, v10
.LBB203_11:
	s_or_b64 exec, exec, s[6:7]
	v_cmp_gt_i32_e64 s[0:1], s2, v10
	v_mov_b32_e32 v4, 0
	v_mov_b32_e32 v8, 0
	s_and_saveexec_b64 s[6:7], s[0:1]
	s_cbranch_execz .LBB203_13
; %bb.12:
	v_add_u32_e32 v7, s4, v10
	v_mov_b32_e32 v8, 0
	v_lshlrev_b64 v[7:8], 1, v[7:8]
	v_mov_b32_e32 v3, s11
	v_add_co_u32_e64 v7, s[0:1], s10, v7
	v_addc_co_u32_e64 v8, s[0:1], v3, v8, s[0:1]
	global_load_ushort v8, v[7:8], off
	v_add_u32_e32 v10, 0x100, v10
.LBB203_13:
	s_or_b64 exec, exec, s[6:7]
	v_cmp_gt_i32_e64 s[0:1], s2, v10
	s_and_saveexec_b64 s[6:7], s[0:1]
	s_cbranch_execz .LBB203_15
; %bb.14:
	v_add_u32_e32 v3, s4, v10
	v_mov_b32_e32 v4, 0
	v_lshlrev_b64 v[3:4], 1, v[3:4]
	v_mov_b32_e32 v7, s11
	v_add_co_u32_e64 v3, s[0:1], s10, v3
	v_addc_co_u32_e64 v4, s[0:1], v7, v4, s[0:1]
	global_load_ushort v4, v[3:4], off
	v_add_u32_e32 v10, 0x100, v10
.LBB203_15:
	s_or_b64 exec, exec, s[6:7]
	v_cmp_gt_i32_e64 s[0:1], s2, v10
	v_mov_b32_e32 v3, 0
	v_mov_b32_e32 v7, 0
	s_and_saveexec_b64 s[6:7], s[0:1]
	s_cbranch_execnz .LBB203_27
; %bb.16:
	s_or_b64 exec, exec, s[6:7]
	v_cmp_gt_i32_e64 s[0:1], s2, v10
	s_and_saveexec_b64 s[6:7], s[0:1]
	s_cbranch_execnz .LBB203_28
.LBB203_17:
	s_or_b64 exec, exec, s[6:7]
	s_lshr_b32 s5, s3, 16
	s_and_saveexec_b64 s[0:1], vcc
	s_cbranch_execnz .LBB203_29
.LBB203_18:
	s_or_b64 exec, exec, s[0:1]
	v_cmp_gt_i32_e32 vcc, s2, v0
	s_and_saveexec_b64 s[0:1], vcc
	s_cbranch_execnz .LBB203_30
.LBB203_19:
	s_or_b64 exec, exec, s[0:1]
	v_cmp_gt_i32_e32 vcc, s2, v0
	s_and_saveexec_b64 s[0:1], vcc
	s_cbranch_execnz .LBB203_31
.LBB203_20:
	s_or_b64 exec, exec, s[0:1]
	v_cmp_gt_i32_e32 vcc, s2, v0
	s_and_saveexec_b64 s[0:1], vcc
	s_cbranch_execnz .LBB203_32
.LBB203_21:
	s_or_b64 exec, exec, s[0:1]
	v_cmp_gt_i32_e32 vcc, s2, v0
	s_and_saveexec_b64 s[0:1], vcc
	s_cbranch_execnz .LBB203_33
.LBB203_22:
	s_or_b64 exec, exec, s[0:1]
	v_cmp_gt_i32_e32 vcc, s2, v0
	s_and_saveexec_b64 s[0:1], vcc
	s_cbranch_execnz .LBB203_34
.LBB203_23:
	s_or_b64 exec, exec, s[0:1]
	v_cmp_gt_i32_e32 vcc, s2, v0
	s_and_saveexec_b64 s[0:1], vcc
	s_cbranch_execnz .LBB203_35
.LBB203_24:
	s_or_b64 exec, exec, s[0:1]
	v_cmp_gt_i32_e32 vcc, s2, v0
	s_and_saveexec_b64 s[0:1], vcc
	s_cbranch_execz .LBB203_26
.LBB203_25:
	v_mov_b32_e32 v1, s12
	s_waitcnt vmcnt(0)
	v_mov_b32_e32 v2, s5
	v_cmp_ge_f16_e32 vcc, s3, v3
	v_cndmask_b32_e32 v2, v1, v2, vcc
	v_add_u32_e32 v0, s4, v0
	v_mov_b32_e32 v1, 0
	v_lshlrev_b64 v[0:1], 1, v[0:1]
	v_mov_b32_e32 v3, s9
	v_add_co_u32_e32 v0, vcc, s8, v0
	v_addc_co_u32_e32 v1, vcc, v3, v1, vcc
	global_store_short v[0:1], v2, off
.LBB203_26:
	s_endpgm
.LBB203_27:
	v_add_u32_e32 v11, s4, v10
	v_mov_b32_e32 v12, 0
	v_lshlrev_b64 v[11:12], 1, v[11:12]
	v_mov_b32_e32 v7, s11
	v_add_co_u32_e64 v11, s[0:1], s10, v11
	v_addc_co_u32_e64 v12, s[0:1], v7, v12, s[0:1]
	global_load_ushort v7, v[11:12], off
	v_add_u32_e32 v10, 0x100, v10
	s_or_b64 exec, exec, s[6:7]
	v_cmp_gt_i32_e64 s[0:1], s2, v10
	s_and_saveexec_b64 s[6:7], s[0:1]
	s_cbranch_execz .LBB203_17
.LBB203_28:
	v_add_u32_e32 v10, s4, v10
	v_mov_b32_e32 v11, 0
	v_lshlrev_b64 v[10:11], 1, v[10:11]
	v_mov_b32_e32 v3, s11
	v_add_co_u32_e64 v10, s[0:1], s10, v10
	v_addc_co_u32_e64 v11, s[0:1], v3, v11, s[0:1]
	global_load_ushort v3, v[10:11], off
	s_or_b64 exec, exec, s[6:7]
	s_lshr_b32 s5, s3, 16
	s_and_saveexec_b64 s[0:1], vcc
	s_cbranch_execz .LBB203_18
.LBB203_29:
	s_waitcnt vmcnt(0)
	v_cmp_ge_f16_e32 vcc, s3, v2
	v_mov_b32_e32 v2, 0
	v_lshlrev_b64 v[1:2], 1, v[1:2]
	v_mov_b32_e32 v10, s12
	v_mov_b32_e32 v11, s5
	v_cndmask_b32_e32 v10, v10, v11, vcc
	v_mov_b32_e32 v11, s9
	v_add_co_u32_e32 v1, vcc, s8, v1
	v_or_b32_e32 v0, 0x100, v0
	v_addc_co_u32_e32 v2, vcc, v11, v2, vcc
	global_store_short v[1:2], v10, off
	s_or_b64 exec, exec, s[0:1]
	v_cmp_gt_i32_e32 vcc, s2, v0
	s_and_saveexec_b64 s[0:1], vcc
	s_cbranch_execz .LBB203_19
.LBB203_30:
	v_mov_b32_e32 v1, s12
	s_waitcnt vmcnt(0)
	v_mov_b32_e32 v2, s5
	v_cmp_ge_f16_e32 vcc, s3, v5
	v_cndmask_b32_e32 v5, v1, v2, vcc
	v_add_u32_e32 v1, s4, v0
	v_mov_b32_e32 v2, 0
	v_lshlrev_b64 v[1:2], 1, v[1:2]
	v_mov_b32_e32 v10, s9
	v_add_co_u32_e32 v1, vcc, s8, v1
	v_addc_co_u32_e32 v2, vcc, v10, v2, vcc
	v_add_u32_e32 v0, 0x100, v0
	global_store_short v[1:2], v5, off
	s_or_b64 exec, exec, s[0:1]
	v_cmp_gt_i32_e32 vcc, s2, v0
	s_and_saveexec_b64 s[0:1], vcc
	s_cbranch_execz .LBB203_20
.LBB203_31:
	v_mov_b32_e32 v1, s12
	s_waitcnt vmcnt(0)
	v_mov_b32_e32 v2, s5
	v_cmp_ge_f16_e32 vcc, s3, v9
	v_cndmask_b32_e32 v5, v1, v2, vcc
	v_add_u32_e32 v1, s4, v0
	v_mov_b32_e32 v2, 0
	v_lshlrev_b64 v[1:2], 1, v[1:2]
	v_mov_b32_e32 v9, s9
	v_add_co_u32_e32 v1, vcc, s8, v1
	v_addc_co_u32_e32 v2, vcc, v9, v2, vcc
	v_add_u32_e32 v0, 0x100, v0
	global_store_short v[1:2], v5, off
	s_or_b64 exec, exec, s[0:1]
	v_cmp_gt_i32_e32 vcc, s2, v0
	s_and_saveexec_b64 s[0:1], vcc
	s_cbranch_execz .LBB203_21
.LBB203_32:
	v_mov_b32_e32 v1, s12
	s_waitcnt vmcnt(0)
	v_mov_b32_e32 v2, s5
	v_cmp_ge_f16_e32 vcc, s3, v6
	v_cndmask_b32_e32 v5, v1, v2, vcc
	v_add_u32_e32 v1, s4, v0
	v_mov_b32_e32 v2, 0
	v_lshlrev_b64 v[1:2], 1, v[1:2]
	v_mov_b32_e32 v6, s9
	v_add_co_u32_e32 v1, vcc, s8, v1
	v_addc_co_u32_e32 v2, vcc, v6, v2, vcc
	v_add_u32_e32 v0, 0x100, v0
	global_store_short v[1:2], v5, off
	s_or_b64 exec, exec, s[0:1]
	v_cmp_gt_i32_e32 vcc, s2, v0
	s_and_saveexec_b64 s[0:1], vcc
	s_cbranch_execz .LBB203_22
.LBB203_33:
	v_mov_b32_e32 v1, s12
	s_waitcnt vmcnt(0)
	v_mov_b32_e32 v2, s5
	v_cmp_ge_f16_e32 vcc, s3, v8
	v_cndmask_b32_e32 v5, v1, v2, vcc
	v_add_u32_e32 v1, s4, v0
	v_mov_b32_e32 v2, 0
	v_lshlrev_b64 v[1:2], 1, v[1:2]
	v_mov_b32_e32 v6, s9
	v_add_co_u32_e32 v1, vcc, s8, v1
	v_addc_co_u32_e32 v2, vcc, v6, v2, vcc
	v_add_u32_e32 v0, 0x100, v0
	global_store_short v[1:2], v5, off
	s_or_b64 exec, exec, s[0:1]
	v_cmp_gt_i32_e32 vcc, s2, v0
	s_and_saveexec_b64 s[0:1], vcc
	s_cbranch_execz .LBB203_23
.LBB203_34:
	v_mov_b32_e32 v1, s12
	s_waitcnt vmcnt(0)
	v_mov_b32_e32 v2, s5
	v_cmp_ge_f16_e32 vcc, s3, v4
	v_cndmask_b32_e32 v4, v1, v2, vcc
	v_add_u32_e32 v1, s4, v0
	v_mov_b32_e32 v2, 0
	v_lshlrev_b64 v[1:2], 1, v[1:2]
	v_mov_b32_e32 v5, s9
	v_add_co_u32_e32 v1, vcc, s8, v1
	v_addc_co_u32_e32 v2, vcc, v5, v2, vcc
	v_add_u32_e32 v0, 0x100, v0
	global_store_short v[1:2], v4, off
	s_or_b64 exec, exec, s[0:1]
	v_cmp_gt_i32_e32 vcc, s2, v0
	s_and_saveexec_b64 s[0:1], vcc
	s_cbranch_execz .LBB203_24
.LBB203_35:
	v_mov_b32_e32 v1, s12
	s_waitcnt vmcnt(0)
	v_mov_b32_e32 v2, s5
	v_cmp_ge_f16_e32 vcc, s3, v7
	v_cndmask_b32_e32 v4, v1, v2, vcc
	v_add_u32_e32 v1, s4, v0
	v_mov_b32_e32 v2, 0
	v_lshlrev_b64 v[1:2], 1, v[1:2]
	v_mov_b32_e32 v5, s9
	v_add_co_u32_e32 v1, vcc, s8, v1
	v_addc_co_u32_e32 v2, vcc, v5, v2, vcc
	v_add_u32_e32 v0, 0x100, v0
	global_store_short v[1:2], v4, off
	s_or_b64 exec, exec, s[0:1]
	v_cmp_gt_i32_e32 vcc, s2, v0
	s_and_saveexec_b64 s[0:1], vcc
	s_cbranch_execnz .LBB203_25
	s_branch .LBB203_26
	.section	.rodata,"a",@progbits
	.p2align	6, 0x0
	.amdhsa_kernel _ZN2at6native29vectorized_elementwise_kernelILi4ENS0_13BUnaryFunctorIN3c104HalfES4_S4_ZNS0_12_GLOBAL__N_121threshold_kernel_implIS4_EEvRNS_18TensorIteratorBaseET_S9_EUlS4_S4_E_EESt5arrayIPcLm2EEEEviT0_T1_
		.amdhsa_group_segment_fixed_size 0
		.amdhsa_private_segment_fixed_size 0
		.amdhsa_kernarg_size 32
		.amdhsa_user_sgpr_count 6
		.amdhsa_user_sgpr_private_segment_buffer 1
		.amdhsa_user_sgpr_dispatch_ptr 0
		.amdhsa_user_sgpr_queue_ptr 0
		.amdhsa_user_sgpr_kernarg_segment_ptr 1
		.amdhsa_user_sgpr_dispatch_id 0
		.amdhsa_user_sgpr_flat_scratch_init 0
		.amdhsa_user_sgpr_private_segment_size 0
		.amdhsa_uses_dynamic_stack 0
		.amdhsa_system_sgpr_private_segment_wavefront_offset 0
		.amdhsa_system_sgpr_workgroup_id_x 1
		.amdhsa_system_sgpr_workgroup_id_y 0
		.amdhsa_system_sgpr_workgroup_id_z 0
		.amdhsa_system_sgpr_workgroup_info 0
		.amdhsa_system_vgpr_workitem_id 0
		.amdhsa_next_free_vgpr 13
		.amdhsa_next_free_sgpr 14
		.amdhsa_reserve_vcc 1
		.amdhsa_reserve_flat_scratch 0
		.amdhsa_float_round_mode_32 0
		.amdhsa_float_round_mode_16_64 0
		.amdhsa_float_denorm_mode_32 3
		.amdhsa_float_denorm_mode_16_64 3
		.amdhsa_dx10_clamp 1
		.amdhsa_ieee_mode 1
		.amdhsa_fp16_overflow 0
		.amdhsa_exception_fp_ieee_invalid_op 0
		.amdhsa_exception_fp_denorm_src 0
		.amdhsa_exception_fp_ieee_div_zero 0
		.amdhsa_exception_fp_ieee_overflow 0
		.amdhsa_exception_fp_ieee_underflow 0
		.amdhsa_exception_fp_ieee_inexact 0
		.amdhsa_exception_int_div_zero 0
	.end_amdhsa_kernel
	.section	.text._ZN2at6native29vectorized_elementwise_kernelILi4ENS0_13BUnaryFunctorIN3c104HalfES4_S4_ZNS0_12_GLOBAL__N_121threshold_kernel_implIS4_EEvRNS_18TensorIteratorBaseET_S9_EUlS4_S4_E_EESt5arrayIPcLm2EEEEviT0_T1_,"axG",@progbits,_ZN2at6native29vectorized_elementwise_kernelILi4ENS0_13BUnaryFunctorIN3c104HalfES4_S4_ZNS0_12_GLOBAL__N_121threshold_kernel_implIS4_EEvRNS_18TensorIteratorBaseET_S9_EUlS4_S4_E_EESt5arrayIPcLm2EEEEviT0_T1_,comdat
.Lfunc_end203:
	.size	_ZN2at6native29vectorized_elementwise_kernelILi4ENS0_13BUnaryFunctorIN3c104HalfES4_S4_ZNS0_12_GLOBAL__N_121threshold_kernel_implIS4_EEvRNS_18TensorIteratorBaseET_S9_EUlS4_S4_E_EESt5arrayIPcLm2EEEEviT0_T1_, .Lfunc_end203-_ZN2at6native29vectorized_elementwise_kernelILi4ENS0_13BUnaryFunctorIN3c104HalfES4_S4_ZNS0_12_GLOBAL__N_121threshold_kernel_implIS4_EEvRNS_18TensorIteratorBaseET_S9_EUlS4_S4_E_EESt5arrayIPcLm2EEEEviT0_T1_
                                        ; -- End function
	.set _ZN2at6native29vectorized_elementwise_kernelILi4ENS0_13BUnaryFunctorIN3c104HalfES4_S4_ZNS0_12_GLOBAL__N_121threshold_kernel_implIS4_EEvRNS_18TensorIteratorBaseET_S9_EUlS4_S4_E_EESt5arrayIPcLm2EEEEviT0_T1_.num_vgpr, 13
	.set _ZN2at6native29vectorized_elementwise_kernelILi4ENS0_13BUnaryFunctorIN3c104HalfES4_S4_ZNS0_12_GLOBAL__N_121threshold_kernel_implIS4_EEvRNS_18TensorIteratorBaseET_S9_EUlS4_S4_E_EESt5arrayIPcLm2EEEEviT0_T1_.num_agpr, 0
	.set _ZN2at6native29vectorized_elementwise_kernelILi4ENS0_13BUnaryFunctorIN3c104HalfES4_S4_ZNS0_12_GLOBAL__N_121threshold_kernel_implIS4_EEvRNS_18TensorIteratorBaseET_S9_EUlS4_S4_E_EESt5arrayIPcLm2EEEEviT0_T1_.numbered_sgpr, 14
	.set _ZN2at6native29vectorized_elementwise_kernelILi4ENS0_13BUnaryFunctorIN3c104HalfES4_S4_ZNS0_12_GLOBAL__N_121threshold_kernel_implIS4_EEvRNS_18TensorIteratorBaseET_S9_EUlS4_S4_E_EESt5arrayIPcLm2EEEEviT0_T1_.num_named_barrier, 0
	.set _ZN2at6native29vectorized_elementwise_kernelILi4ENS0_13BUnaryFunctorIN3c104HalfES4_S4_ZNS0_12_GLOBAL__N_121threshold_kernel_implIS4_EEvRNS_18TensorIteratorBaseET_S9_EUlS4_S4_E_EESt5arrayIPcLm2EEEEviT0_T1_.private_seg_size, 0
	.set _ZN2at6native29vectorized_elementwise_kernelILi4ENS0_13BUnaryFunctorIN3c104HalfES4_S4_ZNS0_12_GLOBAL__N_121threshold_kernel_implIS4_EEvRNS_18TensorIteratorBaseET_S9_EUlS4_S4_E_EESt5arrayIPcLm2EEEEviT0_T1_.uses_vcc, 1
	.set _ZN2at6native29vectorized_elementwise_kernelILi4ENS0_13BUnaryFunctorIN3c104HalfES4_S4_ZNS0_12_GLOBAL__N_121threshold_kernel_implIS4_EEvRNS_18TensorIteratorBaseET_S9_EUlS4_S4_E_EESt5arrayIPcLm2EEEEviT0_T1_.uses_flat_scratch, 0
	.set _ZN2at6native29vectorized_elementwise_kernelILi4ENS0_13BUnaryFunctorIN3c104HalfES4_S4_ZNS0_12_GLOBAL__N_121threshold_kernel_implIS4_EEvRNS_18TensorIteratorBaseET_S9_EUlS4_S4_E_EESt5arrayIPcLm2EEEEviT0_T1_.has_dyn_sized_stack, 0
	.set _ZN2at6native29vectorized_elementwise_kernelILi4ENS0_13BUnaryFunctorIN3c104HalfES4_S4_ZNS0_12_GLOBAL__N_121threshold_kernel_implIS4_EEvRNS_18TensorIteratorBaseET_S9_EUlS4_S4_E_EESt5arrayIPcLm2EEEEviT0_T1_.has_recursion, 0
	.set _ZN2at6native29vectorized_elementwise_kernelILi4ENS0_13BUnaryFunctorIN3c104HalfES4_S4_ZNS0_12_GLOBAL__N_121threshold_kernel_implIS4_EEvRNS_18TensorIteratorBaseET_S9_EUlS4_S4_E_EESt5arrayIPcLm2EEEEviT0_T1_.has_indirect_call, 0
	.section	.AMDGPU.csdata,"",@progbits
; Kernel info:
; codeLenInByte = 1640
; TotalNumSgprs: 18
; NumVgprs: 13
; ScratchSize: 0
; MemoryBound: 0
; FloatMode: 240
; IeeeMode: 1
; LDSByteSize: 0 bytes/workgroup (compile time only)
; SGPRBlocks: 2
; VGPRBlocks: 3
; NumSGPRsForWavesPerEU: 18
; NumVGPRsForWavesPerEU: 13
; Occupancy: 10
; WaveLimiterHint : 1
; COMPUTE_PGM_RSRC2:SCRATCH_EN: 0
; COMPUTE_PGM_RSRC2:USER_SGPR: 6
; COMPUTE_PGM_RSRC2:TRAP_HANDLER: 0
; COMPUTE_PGM_RSRC2:TGID_X_EN: 1
; COMPUTE_PGM_RSRC2:TGID_Y_EN: 0
; COMPUTE_PGM_RSRC2:TGID_Z_EN: 0
; COMPUTE_PGM_RSRC2:TIDIG_COMP_CNT: 0
	.section	.text._ZN2at6native29vectorized_elementwise_kernelILi2ENS0_13BUnaryFunctorIN3c104HalfES4_S4_ZNS0_12_GLOBAL__N_121threshold_kernel_implIS4_EEvRNS_18TensorIteratorBaseET_S9_EUlS4_S4_E_EESt5arrayIPcLm2EEEEviT0_T1_,"axG",@progbits,_ZN2at6native29vectorized_elementwise_kernelILi2ENS0_13BUnaryFunctorIN3c104HalfES4_S4_ZNS0_12_GLOBAL__N_121threshold_kernel_implIS4_EEvRNS_18TensorIteratorBaseET_S9_EUlS4_S4_E_EESt5arrayIPcLm2EEEEviT0_T1_,comdat
	.globl	_ZN2at6native29vectorized_elementwise_kernelILi2ENS0_13BUnaryFunctorIN3c104HalfES4_S4_ZNS0_12_GLOBAL__N_121threshold_kernel_implIS4_EEvRNS_18TensorIteratorBaseET_S9_EUlS4_S4_E_EESt5arrayIPcLm2EEEEviT0_T1_ ; -- Begin function _ZN2at6native29vectorized_elementwise_kernelILi2ENS0_13BUnaryFunctorIN3c104HalfES4_S4_ZNS0_12_GLOBAL__N_121threshold_kernel_implIS4_EEvRNS_18TensorIteratorBaseET_S9_EUlS4_S4_E_EESt5arrayIPcLm2EEEEviT0_T1_
	.p2align	8
	.type	_ZN2at6native29vectorized_elementwise_kernelILi2ENS0_13BUnaryFunctorIN3c104HalfES4_S4_ZNS0_12_GLOBAL__N_121threshold_kernel_implIS4_EEvRNS_18TensorIteratorBaseET_S9_EUlS4_S4_E_EESt5arrayIPcLm2EEEEviT0_T1_,@function
_ZN2at6native29vectorized_elementwise_kernelILi2ENS0_13BUnaryFunctorIN3c104HalfES4_S4_ZNS0_12_GLOBAL__N_121threshold_kernel_implIS4_EEvRNS_18TensorIteratorBaseET_S9_EUlS4_S4_E_EESt5arrayIPcLm2EEEEviT0_T1_: ; @_ZN2at6native29vectorized_elementwise_kernelILi2ENS0_13BUnaryFunctorIN3c104HalfES4_S4_ZNS0_12_GLOBAL__N_121threshold_kernel_implIS4_EEvRNS_18TensorIteratorBaseET_S9_EUlS4_S4_E_EESt5arrayIPcLm2EEEEviT0_T1_
; %bb.0:
	s_load_dword s0, s[4:5], 0x8
	s_load_dwordx2 s[2:3], s[4:5], 0x0
	s_load_dwordx4 s[8:11], s[4:5], 0x10
	s_lshl_b32 s4, s6, 11
	s_waitcnt lgkmcnt(0)
	s_and_b32 s12, s0, 0xffff
	s_sub_i32 s2, s2, s4
	s_cmpk_gt_i32 s2, 0x7ff
	s_mov_b64 s[0:1], -1
	s_cbranch_scc0 .LBB204_2
; %bb.1:
	s_ashr_i32 s5, s4, 31
	s_lshr_b32 s13, s3, 16
	s_lshl_b64 s[0:1], s[4:5], 1
	s_add_u32 s6, s10, s0
	s_addc_u32 s7, s11, s1
	v_lshlrev_b32_e32 v1, 2, v0
	global_load_dword v2, v1, s[6:7]
	global_load_dword v3, v1, s[6:7] offset:1024
	global_load_dword v4, v1, s[6:7] offset:2048
	;; [unrolled: 1-line block ×3, first 2 shown]
	v_mov_b32_e32 v6, s12
	v_mov_b32_e32 v7, s13
	s_add_u32 s0, s8, s0
	s_addc_u32 s1, s9, s1
	s_waitcnt vmcnt(3)
	v_cmp_ge_f16_e32 vcc, s3, v2
	v_cndmask_b32_e32 v8, v6, v7, vcc
	v_cmp_le_f16_sdwa vcc, v2, s3 src0_sel:WORD_1 src1_sel:DWORD
	v_cndmask_b32_e32 v2, v6, v7, vcc
	s_waitcnt vmcnt(2)
	v_cmp_ge_f16_e32 vcc, s3, v3
	v_cndmask_b32_e32 v9, v6, v7, vcc
	v_cmp_le_f16_sdwa vcc, v3, s3 src0_sel:WORD_1 src1_sel:DWORD
	v_cndmask_b32_e32 v3, v6, v7, vcc
	;; [unrolled: 5-line block ×4, first 2 shown]
	v_lshl_or_b32 v2, v2, 16, v8
	v_lshl_or_b32 v3, v3, 16, v9
	;; [unrolled: 1-line block ×4, first 2 shown]
	global_store_dword v1, v2, s[0:1]
	global_store_dword v1, v3, s[0:1] offset:1024
	global_store_dword v1, v4, s[0:1] offset:2048
	;; [unrolled: 1-line block ×3, first 2 shown]
	s_mov_b64 s[0:1], 0
.LBB204_2:
	s_andn2_b64 vcc, exec, s[0:1]
	s_cbranch_vccnz .LBB204_26
; %bb.3:
	v_cmp_gt_i32_e32 vcc, s2, v0
	v_mov_b32_e32 v5, 0
	v_or_b32_e32 v1, s4, v0
	v_mov_b32_e32 v2, 0
	v_mov_b32_e32 v10, v0
	s_and_saveexec_b64 s[6:7], vcc
	s_cbranch_execz .LBB204_5
; %bb.4:
	v_mov_b32_e32 v2, 0
	v_lshlrev_b64 v[2:3], 1, v[1:2]
	v_mov_b32_e32 v4, s11
	v_add_co_u32_e64 v2, s[0:1], s10, v2
	v_addc_co_u32_e64 v3, s[0:1], v4, v3, s[0:1]
	global_load_ushort v2, v[2:3], off
	v_or_b32_e32 v10, 0x100, v0
.LBB204_5:
	s_or_b64 exec, exec, s[6:7]
	v_cmp_gt_i32_e64 s[0:1], s2, v10
	s_and_saveexec_b64 s[6:7], s[0:1]
	s_cbranch_execz .LBB204_7
; %bb.6:
	v_add_u32_e32 v3, s4, v10
	v_mov_b32_e32 v4, 0
	v_lshlrev_b64 v[3:4], 1, v[3:4]
	v_mov_b32_e32 v5, s11
	v_add_co_u32_e64 v3, s[0:1], s10, v3
	v_addc_co_u32_e64 v4, s[0:1], v5, v4, s[0:1]
	global_load_ushort v5, v[3:4], off
	v_add_u32_e32 v10, 0x100, v10
.LBB204_7:
	s_or_b64 exec, exec, s[6:7]
	v_cmp_gt_i32_e64 s[0:1], s2, v10
	v_mov_b32_e32 v6, 0
	v_mov_b32_e32 v9, 0
	s_and_saveexec_b64 s[6:7], s[0:1]
	s_cbranch_execz .LBB204_9
; %bb.8:
	v_add_u32_e32 v3, s4, v10
	v_mov_b32_e32 v4, 0
	v_lshlrev_b64 v[3:4], 1, v[3:4]
	v_mov_b32_e32 v7, s11
	v_add_co_u32_e64 v3, s[0:1], s10, v3
	v_addc_co_u32_e64 v4, s[0:1], v7, v4, s[0:1]
	global_load_ushort v9, v[3:4], off
	v_add_u32_e32 v10, 0x100, v10
.LBB204_9:
	s_or_b64 exec, exec, s[6:7]
	v_cmp_gt_i32_e64 s[0:1], s2, v10
	s_and_saveexec_b64 s[6:7], s[0:1]
	s_cbranch_execz .LBB204_11
; %bb.10:
	v_add_u32_e32 v3, s4, v10
	v_mov_b32_e32 v4, 0
	v_lshlrev_b64 v[3:4], 1, v[3:4]
	v_mov_b32_e32 v6, s11
	v_add_co_u32_e64 v3, s[0:1], s10, v3
	v_addc_co_u32_e64 v4, s[0:1], v6, v4, s[0:1]
	global_load_ushort v6, v[3:4], off
	v_add_u32_e32 v10, 0x100, v10
.LBB204_11:
	s_or_b64 exec, exec, s[6:7]
	v_cmp_gt_i32_e64 s[0:1], s2, v10
	v_mov_b32_e32 v4, 0
	v_mov_b32_e32 v8, 0
	s_and_saveexec_b64 s[6:7], s[0:1]
	s_cbranch_execz .LBB204_13
; %bb.12:
	v_add_u32_e32 v7, s4, v10
	v_mov_b32_e32 v8, 0
	v_lshlrev_b64 v[7:8], 1, v[7:8]
	v_mov_b32_e32 v3, s11
	v_add_co_u32_e64 v7, s[0:1], s10, v7
	v_addc_co_u32_e64 v8, s[0:1], v3, v8, s[0:1]
	global_load_ushort v8, v[7:8], off
	v_add_u32_e32 v10, 0x100, v10
.LBB204_13:
	s_or_b64 exec, exec, s[6:7]
	v_cmp_gt_i32_e64 s[0:1], s2, v10
	s_and_saveexec_b64 s[6:7], s[0:1]
	s_cbranch_execz .LBB204_15
; %bb.14:
	v_add_u32_e32 v3, s4, v10
	v_mov_b32_e32 v4, 0
	v_lshlrev_b64 v[3:4], 1, v[3:4]
	v_mov_b32_e32 v7, s11
	v_add_co_u32_e64 v3, s[0:1], s10, v3
	v_addc_co_u32_e64 v4, s[0:1], v7, v4, s[0:1]
	global_load_ushort v4, v[3:4], off
	v_add_u32_e32 v10, 0x100, v10
.LBB204_15:
	s_or_b64 exec, exec, s[6:7]
	v_cmp_gt_i32_e64 s[0:1], s2, v10
	v_mov_b32_e32 v3, 0
	v_mov_b32_e32 v7, 0
	s_and_saveexec_b64 s[6:7], s[0:1]
	s_cbranch_execnz .LBB204_27
; %bb.16:
	s_or_b64 exec, exec, s[6:7]
	v_cmp_gt_i32_e64 s[0:1], s2, v10
	s_and_saveexec_b64 s[6:7], s[0:1]
	s_cbranch_execnz .LBB204_28
.LBB204_17:
	s_or_b64 exec, exec, s[6:7]
	s_lshr_b32 s5, s3, 16
	s_and_saveexec_b64 s[0:1], vcc
	s_cbranch_execnz .LBB204_29
.LBB204_18:
	s_or_b64 exec, exec, s[0:1]
	v_cmp_gt_i32_e32 vcc, s2, v0
	s_and_saveexec_b64 s[0:1], vcc
	s_cbranch_execnz .LBB204_30
.LBB204_19:
	s_or_b64 exec, exec, s[0:1]
	v_cmp_gt_i32_e32 vcc, s2, v0
	s_and_saveexec_b64 s[0:1], vcc
	s_cbranch_execnz .LBB204_31
.LBB204_20:
	s_or_b64 exec, exec, s[0:1]
	v_cmp_gt_i32_e32 vcc, s2, v0
	s_and_saveexec_b64 s[0:1], vcc
	s_cbranch_execnz .LBB204_32
.LBB204_21:
	s_or_b64 exec, exec, s[0:1]
	v_cmp_gt_i32_e32 vcc, s2, v0
	s_and_saveexec_b64 s[0:1], vcc
	s_cbranch_execnz .LBB204_33
.LBB204_22:
	s_or_b64 exec, exec, s[0:1]
	v_cmp_gt_i32_e32 vcc, s2, v0
	s_and_saveexec_b64 s[0:1], vcc
	s_cbranch_execnz .LBB204_34
.LBB204_23:
	s_or_b64 exec, exec, s[0:1]
	v_cmp_gt_i32_e32 vcc, s2, v0
	s_and_saveexec_b64 s[0:1], vcc
	s_cbranch_execnz .LBB204_35
.LBB204_24:
	s_or_b64 exec, exec, s[0:1]
	v_cmp_gt_i32_e32 vcc, s2, v0
	s_and_saveexec_b64 s[0:1], vcc
	s_cbranch_execz .LBB204_26
.LBB204_25:
	v_mov_b32_e32 v1, s12
	s_waitcnt vmcnt(0)
	v_mov_b32_e32 v2, s5
	v_cmp_ge_f16_e32 vcc, s3, v3
	v_cndmask_b32_e32 v2, v1, v2, vcc
	v_add_u32_e32 v0, s4, v0
	v_mov_b32_e32 v1, 0
	v_lshlrev_b64 v[0:1], 1, v[0:1]
	v_mov_b32_e32 v3, s9
	v_add_co_u32_e32 v0, vcc, s8, v0
	v_addc_co_u32_e32 v1, vcc, v3, v1, vcc
	global_store_short v[0:1], v2, off
.LBB204_26:
	s_endpgm
.LBB204_27:
	v_add_u32_e32 v11, s4, v10
	v_mov_b32_e32 v12, 0
	v_lshlrev_b64 v[11:12], 1, v[11:12]
	v_mov_b32_e32 v7, s11
	v_add_co_u32_e64 v11, s[0:1], s10, v11
	v_addc_co_u32_e64 v12, s[0:1], v7, v12, s[0:1]
	global_load_ushort v7, v[11:12], off
	v_add_u32_e32 v10, 0x100, v10
	s_or_b64 exec, exec, s[6:7]
	v_cmp_gt_i32_e64 s[0:1], s2, v10
	s_and_saveexec_b64 s[6:7], s[0:1]
	s_cbranch_execz .LBB204_17
.LBB204_28:
	v_add_u32_e32 v10, s4, v10
	v_mov_b32_e32 v11, 0
	v_lshlrev_b64 v[10:11], 1, v[10:11]
	v_mov_b32_e32 v3, s11
	v_add_co_u32_e64 v10, s[0:1], s10, v10
	v_addc_co_u32_e64 v11, s[0:1], v3, v11, s[0:1]
	global_load_ushort v3, v[10:11], off
	s_or_b64 exec, exec, s[6:7]
	s_lshr_b32 s5, s3, 16
	s_and_saveexec_b64 s[0:1], vcc
	s_cbranch_execz .LBB204_18
.LBB204_29:
	s_waitcnt vmcnt(0)
	v_cmp_ge_f16_e32 vcc, s3, v2
	v_mov_b32_e32 v2, 0
	v_lshlrev_b64 v[1:2], 1, v[1:2]
	v_mov_b32_e32 v10, s12
	v_mov_b32_e32 v11, s5
	v_cndmask_b32_e32 v10, v10, v11, vcc
	v_mov_b32_e32 v11, s9
	v_add_co_u32_e32 v1, vcc, s8, v1
	v_or_b32_e32 v0, 0x100, v0
	v_addc_co_u32_e32 v2, vcc, v11, v2, vcc
	global_store_short v[1:2], v10, off
	s_or_b64 exec, exec, s[0:1]
	v_cmp_gt_i32_e32 vcc, s2, v0
	s_and_saveexec_b64 s[0:1], vcc
	s_cbranch_execz .LBB204_19
.LBB204_30:
	v_mov_b32_e32 v1, s12
	s_waitcnt vmcnt(0)
	v_mov_b32_e32 v2, s5
	v_cmp_ge_f16_e32 vcc, s3, v5
	v_cndmask_b32_e32 v5, v1, v2, vcc
	v_add_u32_e32 v1, s4, v0
	v_mov_b32_e32 v2, 0
	v_lshlrev_b64 v[1:2], 1, v[1:2]
	v_mov_b32_e32 v10, s9
	v_add_co_u32_e32 v1, vcc, s8, v1
	v_addc_co_u32_e32 v2, vcc, v10, v2, vcc
	v_add_u32_e32 v0, 0x100, v0
	global_store_short v[1:2], v5, off
	s_or_b64 exec, exec, s[0:1]
	v_cmp_gt_i32_e32 vcc, s2, v0
	s_and_saveexec_b64 s[0:1], vcc
	s_cbranch_execz .LBB204_20
.LBB204_31:
	v_mov_b32_e32 v1, s12
	s_waitcnt vmcnt(0)
	v_mov_b32_e32 v2, s5
	v_cmp_ge_f16_e32 vcc, s3, v9
	v_cndmask_b32_e32 v5, v1, v2, vcc
	v_add_u32_e32 v1, s4, v0
	v_mov_b32_e32 v2, 0
	v_lshlrev_b64 v[1:2], 1, v[1:2]
	v_mov_b32_e32 v9, s9
	v_add_co_u32_e32 v1, vcc, s8, v1
	v_addc_co_u32_e32 v2, vcc, v9, v2, vcc
	v_add_u32_e32 v0, 0x100, v0
	global_store_short v[1:2], v5, off
	s_or_b64 exec, exec, s[0:1]
	v_cmp_gt_i32_e32 vcc, s2, v0
	s_and_saveexec_b64 s[0:1], vcc
	s_cbranch_execz .LBB204_21
.LBB204_32:
	v_mov_b32_e32 v1, s12
	s_waitcnt vmcnt(0)
	v_mov_b32_e32 v2, s5
	v_cmp_ge_f16_e32 vcc, s3, v6
	v_cndmask_b32_e32 v5, v1, v2, vcc
	v_add_u32_e32 v1, s4, v0
	v_mov_b32_e32 v2, 0
	v_lshlrev_b64 v[1:2], 1, v[1:2]
	v_mov_b32_e32 v6, s9
	v_add_co_u32_e32 v1, vcc, s8, v1
	v_addc_co_u32_e32 v2, vcc, v6, v2, vcc
	v_add_u32_e32 v0, 0x100, v0
	global_store_short v[1:2], v5, off
	s_or_b64 exec, exec, s[0:1]
	v_cmp_gt_i32_e32 vcc, s2, v0
	s_and_saveexec_b64 s[0:1], vcc
	s_cbranch_execz .LBB204_22
.LBB204_33:
	v_mov_b32_e32 v1, s12
	s_waitcnt vmcnt(0)
	v_mov_b32_e32 v2, s5
	v_cmp_ge_f16_e32 vcc, s3, v8
	v_cndmask_b32_e32 v5, v1, v2, vcc
	v_add_u32_e32 v1, s4, v0
	v_mov_b32_e32 v2, 0
	v_lshlrev_b64 v[1:2], 1, v[1:2]
	v_mov_b32_e32 v6, s9
	v_add_co_u32_e32 v1, vcc, s8, v1
	v_addc_co_u32_e32 v2, vcc, v6, v2, vcc
	v_add_u32_e32 v0, 0x100, v0
	global_store_short v[1:2], v5, off
	s_or_b64 exec, exec, s[0:1]
	v_cmp_gt_i32_e32 vcc, s2, v0
	s_and_saveexec_b64 s[0:1], vcc
	s_cbranch_execz .LBB204_23
.LBB204_34:
	v_mov_b32_e32 v1, s12
	s_waitcnt vmcnt(0)
	v_mov_b32_e32 v2, s5
	v_cmp_ge_f16_e32 vcc, s3, v4
	v_cndmask_b32_e32 v4, v1, v2, vcc
	v_add_u32_e32 v1, s4, v0
	v_mov_b32_e32 v2, 0
	v_lshlrev_b64 v[1:2], 1, v[1:2]
	v_mov_b32_e32 v5, s9
	v_add_co_u32_e32 v1, vcc, s8, v1
	v_addc_co_u32_e32 v2, vcc, v5, v2, vcc
	v_add_u32_e32 v0, 0x100, v0
	global_store_short v[1:2], v4, off
	s_or_b64 exec, exec, s[0:1]
	v_cmp_gt_i32_e32 vcc, s2, v0
	s_and_saveexec_b64 s[0:1], vcc
	s_cbranch_execz .LBB204_24
.LBB204_35:
	v_mov_b32_e32 v1, s12
	s_waitcnt vmcnt(0)
	v_mov_b32_e32 v2, s5
	v_cmp_ge_f16_e32 vcc, s3, v7
	v_cndmask_b32_e32 v4, v1, v2, vcc
	v_add_u32_e32 v1, s4, v0
	v_mov_b32_e32 v2, 0
	v_lshlrev_b64 v[1:2], 1, v[1:2]
	v_mov_b32_e32 v5, s9
	v_add_co_u32_e32 v1, vcc, s8, v1
	v_addc_co_u32_e32 v2, vcc, v5, v2, vcc
	v_add_u32_e32 v0, 0x100, v0
	global_store_short v[1:2], v4, off
	s_or_b64 exec, exec, s[0:1]
	v_cmp_gt_i32_e32 vcc, s2, v0
	s_and_saveexec_b64 s[0:1], vcc
	s_cbranch_execnz .LBB204_25
	s_branch .LBB204_26
	.section	.rodata,"a",@progbits
	.p2align	6, 0x0
	.amdhsa_kernel _ZN2at6native29vectorized_elementwise_kernelILi2ENS0_13BUnaryFunctorIN3c104HalfES4_S4_ZNS0_12_GLOBAL__N_121threshold_kernel_implIS4_EEvRNS_18TensorIteratorBaseET_S9_EUlS4_S4_E_EESt5arrayIPcLm2EEEEviT0_T1_
		.amdhsa_group_segment_fixed_size 0
		.amdhsa_private_segment_fixed_size 0
		.amdhsa_kernarg_size 32
		.amdhsa_user_sgpr_count 6
		.amdhsa_user_sgpr_private_segment_buffer 1
		.amdhsa_user_sgpr_dispatch_ptr 0
		.amdhsa_user_sgpr_queue_ptr 0
		.amdhsa_user_sgpr_kernarg_segment_ptr 1
		.amdhsa_user_sgpr_dispatch_id 0
		.amdhsa_user_sgpr_flat_scratch_init 0
		.amdhsa_user_sgpr_private_segment_size 0
		.amdhsa_uses_dynamic_stack 0
		.amdhsa_system_sgpr_private_segment_wavefront_offset 0
		.amdhsa_system_sgpr_workgroup_id_x 1
		.amdhsa_system_sgpr_workgroup_id_y 0
		.amdhsa_system_sgpr_workgroup_id_z 0
		.amdhsa_system_sgpr_workgroup_info 0
		.amdhsa_system_vgpr_workitem_id 0
		.amdhsa_next_free_vgpr 13
		.amdhsa_next_free_sgpr 14
		.amdhsa_reserve_vcc 1
		.amdhsa_reserve_flat_scratch 0
		.amdhsa_float_round_mode_32 0
		.amdhsa_float_round_mode_16_64 0
		.amdhsa_float_denorm_mode_32 3
		.amdhsa_float_denorm_mode_16_64 3
		.amdhsa_dx10_clamp 1
		.amdhsa_ieee_mode 1
		.amdhsa_fp16_overflow 0
		.amdhsa_exception_fp_ieee_invalid_op 0
		.amdhsa_exception_fp_denorm_src 0
		.amdhsa_exception_fp_ieee_div_zero 0
		.amdhsa_exception_fp_ieee_overflow 0
		.amdhsa_exception_fp_ieee_underflow 0
		.amdhsa_exception_fp_ieee_inexact 0
		.amdhsa_exception_int_div_zero 0
	.end_amdhsa_kernel
	.section	.text._ZN2at6native29vectorized_elementwise_kernelILi2ENS0_13BUnaryFunctorIN3c104HalfES4_S4_ZNS0_12_GLOBAL__N_121threshold_kernel_implIS4_EEvRNS_18TensorIteratorBaseET_S9_EUlS4_S4_E_EESt5arrayIPcLm2EEEEviT0_T1_,"axG",@progbits,_ZN2at6native29vectorized_elementwise_kernelILi2ENS0_13BUnaryFunctorIN3c104HalfES4_S4_ZNS0_12_GLOBAL__N_121threshold_kernel_implIS4_EEvRNS_18TensorIteratorBaseET_S9_EUlS4_S4_E_EESt5arrayIPcLm2EEEEviT0_T1_,comdat
.Lfunc_end204:
	.size	_ZN2at6native29vectorized_elementwise_kernelILi2ENS0_13BUnaryFunctorIN3c104HalfES4_S4_ZNS0_12_GLOBAL__N_121threshold_kernel_implIS4_EEvRNS_18TensorIteratorBaseET_S9_EUlS4_S4_E_EESt5arrayIPcLm2EEEEviT0_T1_, .Lfunc_end204-_ZN2at6native29vectorized_elementwise_kernelILi2ENS0_13BUnaryFunctorIN3c104HalfES4_S4_ZNS0_12_GLOBAL__N_121threshold_kernel_implIS4_EEvRNS_18TensorIteratorBaseET_S9_EUlS4_S4_E_EESt5arrayIPcLm2EEEEviT0_T1_
                                        ; -- End function
	.set _ZN2at6native29vectorized_elementwise_kernelILi2ENS0_13BUnaryFunctorIN3c104HalfES4_S4_ZNS0_12_GLOBAL__N_121threshold_kernel_implIS4_EEvRNS_18TensorIteratorBaseET_S9_EUlS4_S4_E_EESt5arrayIPcLm2EEEEviT0_T1_.num_vgpr, 13
	.set _ZN2at6native29vectorized_elementwise_kernelILi2ENS0_13BUnaryFunctorIN3c104HalfES4_S4_ZNS0_12_GLOBAL__N_121threshold_kernel_implIS4_EEvRNS_18TensorIteratorBaseET_S9_EUlS4_S4_E_EESt5arrayIPcLm2EEEEviT0_T1_.num_agpr, 0
	.set _ZN2at6native29vectorized_elementwise_kernelILi2ENS0_13BUnaryFunctorIN3c104HalfES4_S4_ZNS0_12_GLOBAL__N_121threshold_kernel_implIS4_EEvRNS_18TensorIteratorBaseET_S9_EUlS4_S4_E_EESt5arrayIPcLm2EEEEviT0_T1_.numbered_sgpr, 14
	.set _ZN2at6native29vectorized_elementwise_kernelILi2ENS0_13BUnaryFunctorIN3c104HalfES4_S4_ZNS0_12_GLOBAL__N_121threshold_kernel_implIS4_EEvRNS_18TensorIteratorBaseET_S9_EUlS4_S4_E_EESt5arrayIPcLm2EEEEviT0_T1_.num_named_barrier, 0
	.set _ZN2at6native29vectorized_elementwise_kernelILi2ENS0_13BUnaryFunctorIN3c104HalfES4_S4_ZNS0_12_GLOBAL__N_121threshold_kernel_implIS4_EEvRNS_18TensorIteratorBaseET_S9_EUlS4_S4_E_EESt5arrayIPcLm2EEEEviT0_T1_.private_seg_size, 0
	.set _ZN2at6native29vectorized_elementwise_kernelILi2ENS0_13BUnaryFunctorIN3c104HalfES4_S4_ZNS0_12_GLOBAL__N_121threshold_kernel_implIS4_EEvRNS_18TensorIteratorBaseET_S9_EUlS4_S4_E_EESt5arrayIPcLm2EEEEviT0_T1_.uses_vcc, 1
	.set _ZN2at6native29vectorized_elementwise_kernelILi2ENS0_13BUnaryFunctorIN3c104HalfES4_S4_ZNS0_12_GLOBAL__N_121threshold_kernel_implIS4_EEvRNS_18TensorIteratorBaseET_S9_EUlS4_S4_E_EESt5arrayIPcLm2EEEEviT0_T1_.uses_flat_scratch, 0
	.set _ZN2at6native29vectorized_elementwise_kernelILi2ENS0_13BUnaryFunctorIN3c104HalfES4_S4_ZNS0_12_GLOBAL__N_121threshold_kernel_implIS4_EEvRNS_18TensorIteratorBaseET_S9_EUlS4_S4_E_EESt5arrayIPcLm2EEEEviT0_T1_.has_dyn_sized_stack, 0
	.set _ZN2at6native29vectorized_elementwise_kernelILi2ENS0_13BUnaryFunctorIN3c104HalfES4_S4_ZNS0_12_GLOBAL__N_121threshold_kernel_implIS4_EEvRNS_18TensorIteratorBaseET_S9_EUlS4_S4_E_EESt5arrayIPcLm2EEEEviT0_T1_.has_recursion, 0
	.set _ZN2at6native29vectorized_elementwise_kernelILi2ENS0_13BUnaryFunctorIN3c104HalfES4_S4_ZNS0_12_GLOBAL__N_121threshold_kernel_implIS4_EEvRNS_18TensorIteratorBaseET_S9_EUlS4_S4_E_EESt5arrayIPcLm2EEEEviT0_T1_.has_indirect_call, 0
	.section	.AMDGPU.csdata,"",@progbits
; Kernel info:
; codeLenInByte = 1680
; TotalNumSgprs: 18
; NumVgprs: 13
; ScratchSize: 0
; MemoryBound: 0
; FloatMode: 240
; IeeeMode: 1
; LDSByteSize: 0 bytes/workgroup (compile time only)
; SGPRBlocks: 2
; VGPRBlocks: 3
; NumSGPRsForWavesPerEU: 18
; NumVGPRsForWavesPerEU: 13
; Occupancy: 10
; WaveLimiterHint : 1
; COMPUTE_PGM_RSRC2:SCRATCH_EN: 0
; COMPUTE_PGM_RSRC2:USER_SGPR: 6
; COMPUTE_PGM_RSRC2:TRAP_HANDLER: 0
; COMPUTE_PGM_RSRC2:TGID_X_EN: 1
; COMPUTE_PGM_RSRC2:TGID_Y_EN: 0
; COMPUTE_PGM_RSRC2:TGID_Z_EN: 0
; COMPUTE_PGM_RSRC2:TIDIG_COMP_CNT: 0
	.section	.text._ZN2at6native27unrolled_elementwise_kernelINS0_13BUnaryFunctorIN3c104HalfES4_S4_ZNS0_12_GLOBAL__N_121threshold_kernel_implIS4_EEvRNS_18TensorIteratorBaseET_S9_EUlS4_S4_E_EESt5arrayIPcLm2EELi4E23TrivialOffsetCalculatorILi1EjESG_NS0_6memory15LoadWithoutCastENSH_16StoreWithoutCastEEEviS9_T0_T2_T3_T4_T5_,"axG",@progbits,_ZN2at6native27unrolled_elementwise_kernelINS0_13BUnaryFunctorIN3c104HalfES4_S4_ZNS0_12_GLOBAL__N_121threshold_kernel_implIS4_EEvRNS_18TensorIteratorBaseET_S9_EUlS4_S4_E_EESt5arrayIPcLm2EELi4E23TrivialOffsetCalculatorILi1EjESG_NS0_6memory15LoadWithoutCastENSH_16StoreWithoutCastEEEviS9_T0_T2_T3_T4_T5_,comdat
	.globl	_ZN2at6native27unrolled_elementwise_kernelINS0_13BUnaryFunctorIN3c104HalfES4_S4_ZNS0_12_GLOBAL__N_121threshold_kernel_implIS4_EEvRNS_18TensorIteratorBaseET_S9_EUlS4_S4_E_EESt5arrayIPcLm2EELi4E23TrivialOffsetCalculatorILi1EjESG_NS0_6memory15LoadWithoutCastENSH_16StoreWithoutCastEEEviS9_T0_T2_T3_T4_T5_ ; -- Begin function _ZN2at6native27unrolled_elementwise_kernelINS0_13BUnaryFunctorIN3c104HalfES4_S4_ZNS0_12_GLOBAL__N_121threshold_kernel_implIS4_EEvRNS_18TensorIteratorBaseET_S9_EUlS4_S4_E_EESt5arrayIPcLm2EELi4E23TrivialOffsetCalculatorILi1EjESG_NS0_6memory15LoadWithoutCastENSH_16StoreWithoutCastEEEviS9_T0_T2_T3_T4_T5_
	.p2align	8
	.type	_ZN2at6native27unrolled_elementwise_kernelINS0_13BUnaryFunctorIN3c104HalfES4_S4_ZNS0_12_GLOBAL__N_121threshold_kernel_implIS4_EEvRNS_18TensorIteratorBaseET_S9_EUlS4_S4_E_EESt5arrayIPcLm2EELi4E23TrivialOffsetCalculatorILi1EjESG_NS0_6memory15LoadWithoutCastENSH_16StoreWithoutCastEEEviS9_T0_T2_T3_T4_T5_,@function
_ZN2at6native27unrolled_elementwise_kernelINS0_13BUnaryFunctorIN3c104HalfES4_S4_ZNS0_12_GLOBAL__N_121threshold_kernel_implIS4_EEvRNS_18TensorIteratorBaseET_S9_EUlS4_S4_E_EESt5arrayIPcLm2EELi4E23TrivialOffsetCalculatorILi1EjESG_NS0_6memory15LoadWithoutCastENSH_16StoreWithoutCastEEEviS9_T0_T2_T3_T4_T5_: ; @_ZN2at6native27unrolled_elementwise_kernelINS0_13BUnaryFunctorIN3c104HalfES4_S4_ZNS0_12_GLOBAL__N_121threshold_kernel_implIS4_EEvRNS_18TensorIteratorBaseET_S9_EUlS4_S4_E_EESt5arrayIPcLm2EELi4E23TrivialOffsetCalculatorILi1EjESG_NS0_6memory15LoadWithoutCastENSH_16StoreWithoutCastEEEviS9_T0_T2_T3_T4_T5_
; %bb.0:
	s_load_dwordx2 s[2:3], s[4:5], 0x0
	s_load_dwordx4 s[8:11], s[4:5], 0x10
	s_lshl_b32 s12, s6, 10
	v_mov_b32_e32 v4, 0
	v_or_b32_e32 v1, s12, v0
	s_waitcnt lgkmcnt(0)
	s_sub_i32 s2, s2, s12
	v_cmp_gt_i32_e32 vcc, s2, v0
	v_mov_b32_e32 v5, 0
	v_mov_b32_e32 v2, v0
	s_and_saveexec_b64 s[6:7], vcc
	s_cbranch_execz .LBB205_2
; %bb.1:
	v_mov_b32_e32 v2, 0
	v_lshlrev_b64 v[2:3], 1, v[1:2]
	v_mov_b32_e32 v5, s11
	v_add_co_u32_e64 v2, s[0:1], s10, v2
	v_addc_co_u32_e64 v3, s[0:1], v5, v3, s[0:1]
	global_load_ushort v5, v[2:3], off
	v_or_b32_e32 v2, 0x100, v0
.LBB205_2:
	s_or_b64 exec, exec, s[6:7]
	v_cmp_gt_i32_e64 s[0:1], s2, v2
	s_and_saveexec_b64 s[6:7], s[0:1]
	s_cbranch_execz .LBB205_4
; %bb.3:
	v_add_u32_e32 v3, s12, v2
	v_mov_b32_e32 v4, 0
	v_lshlrev_b64 v[3:4], 1, v[3:4]
	v_mov_b32_e32 v6, s11
	v_add_co_u32_e64 v3, s[0:1], s10, v3
	v_addc_co_u32_e64 v4, s[0:1], v6, v4, s[0:1]
	global_load_ushort v4, v[3:4], off
	v_add_u32_e32 v2, 0x100, v2
.LBB205_4:
	s_or_b64 exec, exec, s[6:7]
	v_cmp_gt_i32_e64 s[0:1], s2, v2
	v_mov_b32_e32 v3, 0
	v_mov_b32_e32 v6, 0
	s_and_saveexec_b64 s[6:7], s[0:1]
	s_cbranch_execz .LBB205_6
; %bb.5:
	v_add_u32_e32 v6, s12, v2
	v_mov_b32_e32 v7, 0
	v_lshlrev_b64 v[6:7], 1, v[6:7]
	v_mov_b32_e32 v8, s11
	v_add_co_u32_e64 v6, s[0:1], s10, v6
	v_addc_co_u32_e64 v7, s[0:1], v8, v7, s[0:1]
	global_load_ushort v6, v[6:7], off
	v_add_u32_e32 v2, 0x100, v2
.LBB205_6:
	s_or_b64 exec, exec, s[6:7]
	s_load_dword s6, s[4:5], 0x8
	v_cmp_gt_i32_e64 s[0:1], s2, v2
	s_and_saveexec_b64 s[4:5], s[0:1]
	s_cbranch_execnz .LBB205_12
; %bb.7:
	s_or_b64 exec, exec, s[4:5]
	s_lshr_b32 s4, s3, 16
	s_and_saveexec_b64 s[0:1], vcc
	s_cbranch_execnz .LBB205_13
.LBB205_8:
	s_or_b64 exec, exec, s[0:1]
	v_cmp_gt_i32_e32 vcc, s2, v0
	s_and_saveexec_b64 s[0:1], vcc
	s_cbranch_execnz .LBB205_14
.LBB205_9:
	s_or_b64 exec, exec, s[0:1]
	v_cmp_gt_i32_e32 vcc, s2, v0
	s_and_saveexec_b64 s[0:1], vcc
	s_cbranch_execnz .LBB205_15
.LBB205_10:
	s_or_b64 exec, exec, s[0:1]
	v_cmp_gt_i32_e32 vcc, s2, v0
	s_and_saveexec_b64 s[0:1], vcc
	s_cbranch_execnz .LBB205_16
.LBB205_11:
	s_endpgm
.LBB205_12:
	v_add_u32_e32 v2, s12, v2
	v_mov_b32_e32 v3, 0
	v_lshlrev_b64 v[2:3], 1, v[2:3]
	v_mov_b32_e32 v7, s11
	v_add_co_u32_e64 v2, s[0:1], s10, v2
	v_addc_co_u32_e64 v3, s[0:1], v7, v3, s[0:1]
	global_load_ushort v3, v[2:3], off
	s_or_b64 exec, exec, s[4:5]
	s_lshr_b32 s4, s3, 16
	s_and_saveexec_b64 s[0:1], vcc
	s_cbranch_execz .LBB205_8
.LBB205_13:
	v_mov_b32_e32 v2, 0
	v_lshlrev_b64 v[1:2], 1, v[1:2]
	v_mov_b32_e32 v7, s9
	v_add_co_u32_e32 v1, vcc, s8, v1
	v_addc_co_u32_e32 v2, vcc, v7, v2, vcc
	s_waitcnt lgkmcnt(0)
	v_mov_b32_e32 v7, s6
	v_mov_b32_e32 v8, s4
	s_waitcnt vmcnt(0)
	v_cmp_ge_f16_e32 vcc, s3, v5
	v_or_b32_e32 v0, 0x100, v0
	v_cndmask_b32_e32 v5, v7, v8, vcc
	global_store_short v[1:2], v5, off
	s_or_b64 exec, exec, s[0:1]
	v_cmp_gt_i32_e32 vcc, s2, v0
	s_and_saveexec_b64 s[0:1], vcc
	s_cbranch_execz .LBB205_9
.LBB205_14:
	s_waitcnt lgkmcnt(0)
	v_mov_b32_e32 v1, s6
	v_mov_b32_e32 v2, s4
	s_waitcnt vmcnt(0)
	v_cmp_ge_f16_e32 vcc, s3, v4
	v_cndmask_b32_e32 v2, v1, v2, vcc
	v_add_u32_e32 v4, 0x100, v0
	v_add_u32_e32 v0, s12, v0
	v_mov_b32_e32 v1, 0
	v_lshlrev_b64 v[0:1], 1, v[0:1]
	v_mov_b32_e32 v5, s9
	v_add_co_u32_e32 v0, vcc, s8, v0
	v_addc_co_u32_e32 v1, vcc, v5, v1, vcc
	global_store_short v[0:1], v2, off
	v_mov_b32_e32 v0, v4
	s_or_b64 exec, exec, s[0:1]
	v_cmp_gt_i32_e32 vcc, s2, v0
	s_and_saveexec_b64 s[0:1], vcc
	s_cbranch_execz .LBB205_10
.LBB205_15:
	s_waitcnt lgkmcnt(0)
	v_mov_b32_e32 v1, s6
	v_mov_b32_e32 v2, s4
	s_waitcnt vmcnt(0)
	v_cmp_ge_f16_e32 vcc, s3, v6
	v_cndmask_b32_e32 v2, v1, v2, vcc
	v_add_u32_e32 v4, 0x100, v0
	v_add_u32_e32 v0, s12, v0
	v_mov_b32_e32 v1, 0
	v_lshlrev_b64 v[0:1], 1, v[0:1]
	v_mov_b32_e32 v5, s9
	v_add_co_u32_e32 v0, vcc, s8, v0
	v_addc_co_u32_e32 v1, vcc, v5, v1, vcc
	global_store_short v[0:1], v2, off
	v_mov_b32_e32 v0, v4
	s_or_b64 exec, exec, s[0:1]
	v_cmp_gt_i32_e32 vcc, s2, v0
	s_and_saveexec_b64 s[0:1], vcc
	s_cbranch_execz .LBB205_11
.LBB205_16:
	s_waitcnt lgkmcnt(0)
	v_mov_b32_e32 v1, s6
	v_mov_b32_e32 v2, s4
	s_waitcnt vmcnt(0)
	v_cmp_ge_f16_e32 vcc, s3, v3
	v_cndmask_b32_e32 v2, v1, v2, vcc
	v_add_u32_e32 v0, s12, v0
	v_mov_b32_e32 v1, 0
	v_lshlrev_b64 v[0:1], 1, v[0:1]
	v_mov_b32_e32 v3, s9
	v_add_co_u32_e32 v0, vcc, s8, v0
	v_addc_co_u32_e32 v1, vcc, v3, v1, vcc
	global_store_short v[0:1], v2, off
	s_endpgm
	.section	.rodata,"a",@progbits
	.p2align	6, 0x0
	.amdhsa_kernel _ZN2at6native27unrolled_elementwise_kernelINS0_13BUnaryFunctorIN3c104HalfES4_S4_ZNS0_12_GLOBAL__N_121threshold_kernel_implIS4_EEvRNS_18TensorIteratorBaseET_S9_EUlS4_S4_E_EESt5arrayIPcLm2EELi4E23TrivialOffsetCalculatorILi1EjESG_NS0_6memory15LoadWithoutCastENSH_16StoreWithoutCastEEEviS9_T0_T2_T3_T4_T5_
		.amdhsa_group_segment_fixed_size 0
		.amdhsa_private_segment_fixed_size 0
		.amdhsa_kernarg_size 36
		.amdhsa_user_sgpr_count 6
		.amdhsa_user_sgpr_private_segment_buffer 1
		.amdhsa_user_sgpr_dispatch_ptr 0
		.amdhsa_user_sgpr_queue_ptr 0
		.amdhsa_user_sgpr_kernarg_segment_ptr 1
		.amdhsa_user_sgpr_dispatch_id 0
		.amdhsa_user_sgpr_flat_scratch_init 0
		.amdhsa_user_sgpr_private_segment_size 0
		.amdhsa_uses_dynamic_stack 0
		.amdhsa_system_sgpr_private_segment_wavefront_offset 0
		.amdhsa_system_sgpr_workgroup_id_x 1
		.amdhsa_system_sgpr_workgroup_id_y 0
		.amdhsa_system_sgpr_workgroup_id_z 0
		.amdhsa_system_sgpr_workgroup_info 0
		.amdhsa_system_vgpr_workitem_id 0
		.amdhsa_next_free_vgpr 9
		.amdhsa_next_free_sgpr 13
		.amdhsa_reserve_vcc 1
		.amdhsa_reserve_flat_scratch 0
		.amdhsa_float_round_mode_32 0
		.amdhsa_float_round_mode_16_64 0
		.amdhsa_float_denorm_mode_32 3
		.amdhsa_float_denorm_mode_16_64 3
		.amdhsa_dx10_clamp 1
		.amdhsa_ieee_mode 1
		.amdhsa_fp16_overflow 0
		.amdhsa_exception_fp_ieee_invalid_op 0
		.amdhsa_exception_fp_denorm_src 0
		.amdhsa_exception_fp_ieee_div_zero 0
		.amdhsa_exception_fp_ieee_overflow 0
		.amdhsa_exception_fp_ieee_underflow 0
		.amdhsa_exception_fp_ieee_inexact 0
		.amdhsa_exception_int_div_zero 0
	.end_amdhsa_kernel
	.section	.text._ZN2at6native27unrolled_elementwise_kernelINS0_13BUnaryFunctorIN3c104HalfES4_S4_ZNS0_12_GLOBAL__N_121threshold_kernel_implIS4_EEvRNS_18TensorIteratorBaseET_S9_EUlS4_S4_E_EESt5arrayIPcLm2EELi4E23TrivialOffsetCalculatorILi1EjESG_NS0_6memory15LoadWithoutCastENSH_16StoreWithoutCastEEEviS9_T0_T2_T3_T4_T5_,"axG",@progbits,_ZN2at6native27unrolled_elementwise_kernelINS0_13BUnaryFunctorIN3c104HalfES4_S4_ZNS0_12_GLOBAL__N_121threshold_kernel_implIS4_EEvRNS_18TensorIteratorBaseET_S9_EUlS4_S4_E_EESt5arrayIPcLm2EELi4E23TrivialOffsetCalculatorILi1EjESG_NS0_6memory15LoadWithoutCastENSH_16StoreWithoutCastEEEviS9_T0_T2_T3_T4_T5_,comdat
.Lfunc_end205:
	.size	_ZN2at6native27unrolled_elementwise_kernelINS0_13BUnaryFunctorIN3c104HalfES4_S4_ZNS0_12_GLOBAL__N_121threshold_kernel_implIS4_EEvRNS_18TensorIteratorBaseET_S9_EUlS4_S4_E_EESt5arrayIPcLm2EELi4E23TrivialOffsetCalculatorILi1EjESG_NS0_6memory15LoadWithoutCastENSH_16StoreWithoutCastEEEviS9_T0_T2_T3_T4_T5_, .Lfunc_end205-_ZN2at6native27unrolled_elementwise_kernelINS0_13BUnaryFunctorIN3c104HalfES4_S4_ZNS0_12_GLOBAL__N_121threshold_kernel_implIS4_EEvRNS_18TensorIteratorBaseET_S9_EUlS4_S4_E_EESt5arrayIPcLm2EELi4E23TrivialOffsetCalculatorILi1EjESG_NS0_6memory15LoadWithoutCastENSH_16StoreWithoutCastEEEviS9_T0_T2_T3_T4_T5_
                                        ; -- End function
	.set _ZN2at6native27unrolled_elementwise_kernelINS0_13BUnaryFunctorIN3c104HalfES4_S4_ZNS0_12_GLOBAL__N_121threshold_kernel_implIS4_EEvRNS_18TensorIteratorBaseET_S9_EUlS4_S4_E_EESt5arrayIPcLm2EELi4E23TrivialOffsetCalculatorILi1EjESG_NS0_6memory15LoadWithoutCastENSH_16StoreWithoutCastEEEviS9_T0_T2_T3_T4_T5_.num_vgpr, 9
	.set _ZN2at6native27unrolled_elementwise_kernelINS0_13BUnaryFunctorIN3c104HalfES4_S4_ZNS0_12_GLOBAL__N_121threshold_kernel_implIS4_EEvRNS_18TensorIteratorBaseET_S9_EUlS4_S4_E_EESt5arrayIPcLm2EELi4E23TrivialOffsetCalculatorILi1EjESG_NS0_6memory15LoadWithoutCastENSH_16StoreWithoutCastEEEviS9_T0_T2_T3_T4_T5_.num_agpr, 0
	.set _ZN2at6native27unrolled_elementwise_kernelINS0_13BUnaryFunctorIN3c104HalfES4_S4_ZNS0_12_GLOBAL__N_121threshold_kernel_implIS4_EEvRNS_18TensorIteratorBaseET_S9_EUlS4_S4_E_EESt5arrayIPcLm2EELi4E23TrivialOffsetCalculatorILi1EjESG_NS0_6memory15LoadWithoutCastENSH_16StoreWithoutCastEEEviS9_T0_T2_T3_T4_T5_.numbered_sgpr, 13
	.set _ZN2at6native27unrolled_elementwise_kernelINS0_13BUnaryFunctorIN3c104HalfES4_S4_ZNS0_12_GLOBAL__N_121threshold_kernel_implIS4_EEvRNS_18TensorIteratorBaseET_S9_EUlS4_S4_E_EESt5arrayIPcLm2EELi4E23TrivialOffsetCalculatorILi1EjESG_NS0_6memory15LoadWithoutCastENSH_16StoreWithoutCastEEEviS9_T0_T2_T3_T4_T5_.num_named_barrier, 0
	.set _ZN2at6native27unrolled_elementwise_kernelINS0_13BUnaryFunctorIN3c104HalfES4_S4_ZNS0_12_GLOBAL__N_121threshold_kernel_implIS4_EEvRNS_18TensorIteratorBaseET_S9_EUlS4_S4_E_EESt5arrayIPcLm2EELi4E23TrivialOffsetCalculatorILi1EjESG_NS0_6memory15LoadWithoutCastENSH_16StoreWithoutCastEEEviS9_T0_T2_T3_T4_T5_.private_seg_size, 0
	.set _ZN2at6native27unrolled_elementwise_kernelINS0_13BUnaryFunctorIN3c104HalfES4_S4_ZNS0_12_GLOBAL__N_121threshold_kernel_implIS4_EEvRNS_18TensorIteratorBaseET_S9_EUlS4_S4_E_EESt5arrayIPcLm2EELi4E23TrivialOffsetCalculatorILi1EjESG_NS0_6memory15LoadWithoutCastENSH_16StoreWithoutCastEEEviS9_T0_T2_T3_T4_T5_.uses_vcc, 1
	.set _ZN2at6native27unrolled_elementwise_kernelINS0_13BUnaryFunctorIN3c104HalfES4_S4_ZNS0_12_GLOBAL__N_121threshold_kernel_implIS4_EEvRNS_18TensorIteratorBaseET_S9_EUlS4_S4_E_EESt5arrayIPcLm2EELi4E23TrivialOffsetCalculatorILi1EjESG_NS0_6memory15LoadWithoutCastENSH_16StoreWithoutCastEEEviS9_T0_T2_T3_T4_T5_.uses_flat_scratch, 0
	.set _ZN2at6native27unrolled_elementwise_kernelINS0_13BUnaryFunctorIN3c104HalfES4_S4_ZNS0_12_GLOBAL__N_121threshold_kernel_implIS4_EEvRNS_18TensorIteratorBaseET_S9_EUlS4_S4_E_EESt5arrayIPcLm2EELi4E23TrivialOffsetCalculatorILi1EjESG_NS0_6memory15LoadWithoutCastENSH_16StoreWithoutCastEEEviS9_T0_T2_T3_T4_T5_.has_dyn_sized_stack, 0
	.set _ZN2at6native27unrolled_elementwise_kernelINS0_13BUnaryFunctorIN3c104HalfES4_S4_ZNS0_12_GLOBAL__N_121threshold_kernel_implIS4_EEvRNS_18TensorIteratorBaseET_S9_EUlS4_S4_E_EESt5arrayIPcLm2EELi4E23TrivialOffsetCalculatorILi1EjESG_NS0_6memory15LoadWithoutCastENSH_16StoreWithoutCastEEEviS9_T0_T2_T3_T4_T5_.has_recursion, 0
	.set _ZN2at6native27unrolled_elementwise_kernelINS0_13BUnaryFunctorIN3c104HalfES4_S4_ZNS0_12_GLOBAL__N_121threshold_kernel_implIS4_EEvRNS_18TensorIteratorBaseET_S9_EUlS4_S4_E_EESt5arrayIPcLm2EELi4E23TrivialOffsetCalculatorILi1EjESG_NS0_6memory15LoadWithoutCastENSH_16StoreWithoutCastEEEviS9_T0_T2_T3_T4_T5_.has_indirect_call, 0
	.section	.AMDGPU.csdata,"",@progbits
; Kernel info:
; codeLenInByte = 732
; TotalNumSgprs: 17
; NumVgprs: 9
; ScratchSize: 0
; MemoryBound: 0
; FloatMode: 240
; IeeeMode: 1
; LDSByteSize: 0 bytes/workgroup (compile time only)
; SGPRBlocks: 2
; VGPRBlocks: 2
; NumSGPRsForWavesPerEU: 17
; NumVGPRsForWavesPerEU: 9
; Occupancy: 10
; WaveLimiterHint : 0
; COMPUTE_PGM_RSRC2:SCRATCH_EN: 0
; COMPUTE_PGM_RSRC2:USER_SGPR: 6
; COMPUTE_PGM_RSRC2:TRAP_HANDLER: 0
; COMPUTE_PGM_RSRC2:TGID_X_EN: 1
; COMPUTE_PGM_RSRC2:TGID_Y_EN: 0
; COMPUTE_PGM_RSRC2:TGID_Z_EN: 0
; COMPUTE_PGM_RSRC2:TIDIG_COMP_CNT: 0
	.section	.text._ZN2at6native32elementwise_kernel_manual_unrollILi128ELi8EZNS0_22gpu_kernel_impl_nocastINS0_13BUnaryFunctorIN3c104HalfES5_S5_ZNS0_12_GLOBAL__N_121threshold_kernel_implIS5_EEvRNS_18TensorIteratorBaseET_SA_EUlS5_S5_E_EEEEvS9_RKSA_EUlibE_EEviT1_,"axG",@progbits,_ZN2at6native32elementwise_kernel_manual_unrollILi128ELi8EZNS0_22gpu_kernel_impl_nocastINS0_13BUnaryFunctorIN3c104HalfES5_S5_ZNS0_12_GLOBAL__N_121threshold_kernel_implIS5_EEvRNS_18TensorIteratorBaseET_SA_EUlS5_S5_E_EEEEvS9_RKSA_EUlibE_EEviT1_,comdat
	.globl	_ZN2at6native32elementwise_kernel_manual_unrollILi128ELi8EZNS0_22gpu_kernel_impl_nocastINS0_13BUnaryFunctorIN3c104HalfES5_S5_ZNS0_12_GLOBAL__N_121threshold_kernel_implIS5_EEvRNS_18TensorIteratorBaseET_SA_EUlS5_S5_E_EEEEvS9_RKSA_EUlibE_EEviT1_ ; -- Begin function _ZN2at6native32elementwise_kernel_manual_unrollILi128ELi8EZNS0_22gpu_kernel_impl_nocastINS0_13BUnaryFunctorIN3c104HalfES5_S5_ZNS0_12_GLOBAL__N_121threshold_kernel_implIS5_EEvRNS_18TensorIteratorBaseET_SA_EUlS5_S5_E_EEEEvS9_RKSA_EUlibE_EEviT1_
	.p2align	8
	.type	_ZN2at6native32elementwise_kernel_manual_unrollILi128ELi8EZNS0_22gpu_kernel_impl_nocastINS0_13BUnaryFunctorIN3c104HalfES5_S5_ZNS0_12_GLOBAL__N_121threshold_kernel_implIS5_EEvRNS_18TensorIteratorBaseET_SA_EUlS5_S5_E_EEEEvS9_RKSA_EUlibE_EEviT1_,@function
_ZN2at6native32elementwise_kernel_manual_unrollILi128ELi8EZNS0_22gpu_kernel_impl_nocastINS0_13BUnaryFunctorIN3c104HalfES5_S5_ZNS0_12_GLOBAL__N_121threshold_kernel_implIS5_EEvRNS_18TensorIteratorBaseET_SA_EUlS5_S5_E_EEEEvS9_RKSA_EUlibE_EEviT1_: ; @_ZN2at6native32elementwise_kernel_manual_unrollILi128ELi8EZNS0_22gpu_kernel_impl_nocastINS0_13BUnaryFunctorIN3c104HalfES5_S5_ZNS0_12_GLOBAL__N_121threshold_kernel_implIS5_EEvRNS_18TensorIteratorBaseET_SA_EUlS5_S5_E_EEEEvS9_RKSA_EUlibE_EEviT1_
; %bb.0:
	s_load_dword s58, s[4:5], 0x0
	s_load_dword s33, s[4:5], 0x8
	s_add_u32 s34, s4, 8
	s_addc_u32 s35, s5, 0
	v_lshl_or_b32 v19, s6, 10, v0
	v_or_b32_e32 v25, 0x380, v19
	s_waitcnt lgkmcnt(0)
	s_add_i32 s56, s33, -1
	s_cmp_gt_u32 s56, 1
	v_cmp_le_i32_e32 vcc, s58, v25
	s_cselect_b64 s[36:37], -1, 0
	s_and_saveexec_b64 s[0:1], vcc
	s_xor_b64 s[38:39], exec, s[0:1]
	s_cbranch_execz .LBB206_7
; %bb.1:
	s_cmp_lg_u32 s33, 0
	s_cselect_b64 s[48:49], -1, 0
	s_add_u32 s46, s34, 0xc4
	s_load_dwordx4 s[20:23], s[34:35], 0x4
	s_load_dwordx2 s[42:43], s[34:35], 0x14
	s_load_dwordx2 s[40:41], s[34:35], 0x158
	s_load_dwordx4 s[24:27], s[34:35], 0xc4
	s_load_dwordx4 s[16:19], s[34:35], 0x148
	s_addc_u32 s47, s35, 0
	s_min_u32 s59, s56, 15
	s_cmp_gt_u32 s33, 1
	s_cselect_b64 s[44:45], -1, 0
	s_waitcnt lgkmcnt(0)
	s_lshr_b32 s57, s40, 16
	v_cmp_gt_i32_e32 vcc, s58, v19
	s_and_saveexec_b64 s[50:51], vcc
	s_cbranch_execz .LBB206_14
; %bb.2:
	s_andn2_b64 vcc, exec, s[36:37]
	s_cbranch_vccnz .LBB206_21
; %bb.3:
	s_andn2_b64 vcc, exec, s[48:49]
	s_cbranch_vccnz .LBB206_129
; %bb.4:
	s_add_i32 s61, s59, 1
	s_cmp_eq_u32 s56, 2
	s_cbranch_scc1 .LBB206_131
; %bb.5:
	s_and_b32 s60, s61, 28
	v_mov_b32_e32 v2, 0
	s_mov_b32 s62, 0
	s_mov_b64 s[52:53], s[34:35]
	s_mov_b64 s[54:55], s[46:47]
	v_mov_b32_e32 v0, 0
	v_mov_b32_e32 v1, v19
.LBB206_6:                              ; =>This Inner Loop Header: Depth=1
	s_load_dwordx8 s[8:15], s[52:53], 0x4
	s_load_dwordx4 s[28:31], s[52:53], 0x24
	s_load_dwordx8 s[0:7], s[54:55], 0x0
	s_add_u32 s52, s52, 48
	s_addc_u32 s53, s53, 0
	s_waitcnt lgkmcnt(0)
	v_mul_hi_u32 v3, s9, v1
	s_add_i32 s62, s62, 4
	s_add_u32 s54, s54, 32
	s_addc_u32 s55, s55, 0
	v_add_u32_e32 v3, v1, v3
	v_lshrrev_b32_e32 v3, s10, v3
	v_mul_lo_u32 v4, v3, s8
	v_mul_hi_u32 v5, s12, v3
	s_cmp_lg_u32 s60, s62
	v_sub_u32_e32 v1, v1, v4
	v_add_u32_e32 v4, v3, v5
	v_mul_lo_u32 v5, v1, s0
	v_mul_lo_u32 v6, v1, s1
	v_lshrrev_b32_e32 v1, s13, v4
	v_mul_lo_u32 v4, v1, s11
	v_mul_hi_u32 v7, s15, v1
	v_sub_u32_e32 v3, v3, v4
	v_add_u32_e32 v4, v1, v7
	v_lshrrev_b32_e32 v4, s28, v4
	v_mul_hi_u32 v8, s30, v4
	v_mul_lo_u32 v9, v4, s14
	v_mul_lo_u32 v7, v3, s2
	v_mul_lo_u32 v3, v3, s3
	v_sub_u32_e32 v9, v1, v9
	v_add_u32_e32 v1, v4, v8
	v_lshrrev_b32_e32 v1, s31, v1
	v_mul_lo_u32 v8, v1, s29
	v_mul_lo_u32 v10, v9, s4
	;; [unrolled: 1-line block ×3, first 2 shown]
	v_add3_u32 v0, v5, v0, v7
	v_sub_u32_e32 v4, v4, v8
	v_mul_lo_u32 v8, v4, s6
	v_mul_lo_u32 v4, v4, s7
	v_add3_u32 v2, v6, v2, v3
	v_add3_u32 v0, v10, v0, v8
	;; [unrolled: 1-line block ×3, first 2 shown]
	s_cbranch_scc1 .LBB206_6
	s_branch .LBB206_132
.LBB206_7:
	s_andn2_saveexec_b64 s[0:1], s[38:39]
	s_cbranch_execz .LBB206_221
.LBB206_8:
	v_cndmask_b32_e64 v0, 0, 1, s[36:37]
	v_cmp_ne_u32_e64 s[0:1], 1, v0
	s_andn2_b64 vcc, exec, s[36:37]
	s_cbranch_vccnz .LBB206_20
; %bb.9:
	s_cmp_lg_u32 s33, 0
	s_mov_b32 s26, 0
	s_cbranch_scc0 .LBB206_23
; %bb.10:
	s_min_u32 s27, s56, 15
	s_add_i32 s27, s27, 1
	s_cmp_eq_u32 s56, 2
	s_cbranch_scc1 .LBB206_24
; %bb.11:
	s_and_b32 s26, s27, 28
	s_add_u32 s2, s34, 0xc4
	s_addc_u32 s3, s35, 0
	v_mov_b32_e32 v2, 0
	s_mov_b32 s28, 0
	s_mov_b64 s[24:25], s[34:35]
	v_mov_b32_e32 v0, 0
	v_mov_b32_e32 v1, v19
.LBB206_12:                             ; =>This Inner Loop Header: Depth=1
	s_load_dwordx8 s[12:19], s[24:25], 0x4
	s_load_dwordx4 s[20:23], s[24:25], 0x24
	s_load_dwordx8 s[4:11], s[2:3], 0x0
	s_add_u32 s24, s24, 48
	s_addc_u32 s25, s25, 0
	s_waitcnt lgkmcnt(0)
	v_mul_hi_u32 v3, s13, v1
	s_add_i32 s28, s28, 4
	s_add_u32 s2, s2, 32
	s_addc_u32 s3, s3, 0
	v_add_u32_e32 v3, v1, v3
	v_lshrrev_b32_e32 v3, s14, v3
	v_mul_lo_u32 v4, v3, s12
	v_mul_hi_u32 v5, s16, v3
	s_cmp_lg_u32 s26, s28
	v_sub_u32_e32 v1, v1, v4
	v_add_u32_e32 v4, v3, v5
	v_mul_lo_u32 v5, v1, s4
	v_mul_lo_u32 v6, v1, s5
	v_lshrrev_b32_e32 v1, s17, v4
	v_mul_lo_u32 v4, v1, s15
	v_mul_hi_u32 v7, s19, v1
	v_sub_u32_e32 v3, v3, v4
	v_add_u32_e32 v4, v1, v7
	v_lshrrev_b32_e32 v4, s20, v4
	v_mul_hi_u32 v8, s22, v4
	v_mul_lo_u32 v9, v4, s18
	v_mul_lo_u32 v7, v3, s6
	;; [unrolled: 1-line block ×3, first 2 shown]
	v_sub_u32_e32 v9, v1, v9
	v_add_u32_e32 v1, v4, v8
	v_lshrrev_b32_e32 v1, s23, v1
	v_mul_lo_u32 v8, v1, s21
	v_mul_lo_u32 v10, v9, s8
	;; [unrolled: 1-line block ×3, first 2 shown]
	v_add3_u32 v0, v5, v0, v7
	v_sub_u32_e32 v4, v4, v8
	v_mul_lo_u32 v8, v4, s10
	v_mul_lo_u32 v4, v4, s11
	v_add3_u32 v2, v6, v2, v3
	v_add3_u32 v0, v10, v0, v8
	v_add3_u32 v2, v9, v2, v4
	s_cbranch_scc1 .LBB206_12
; %bb.13:
	s_and_b32 s6, s27, 3
	s_cmp_eq_u32 s6, 0
	s_cbranch_scc0 .LBB206_25
	s_branch .LBB206_27
.LBB206_14:
	s_or_b64 exec, exec, s[50:51]
	v_cmp_gt_i32_e32 vcc, s58, v19
	s_and_saveexec_b64 s[50:51], vcc
	s_cbranch_execz .LBB206_139
.LBB206_15:
	s_andn2_b64 vcc, exec, s[36:37]
	s_cbranch_vccnz .LBB206_22
; %bb.16:
	s_andn2_b64 vcc, exec, s[48:49]
	s_cbranch_vccnz .LBB206_130
; %bb.17:
	s_add_i32 s61, s59, 1
	s_cmp_eq_u32 s56, 2
	s_cbranch_scc1 .LBB206_147
; %bb.18:
	s_and_b32 s60, s61, 28
	v_mov_b32_e32 v2, 0
	s_mov_b32 s62, 0
	s_mov_b64 s[52:53], s[34:35]
	s_mov_b64 s[54:55], s[46:47]
	v_mov_b32_e32 v0, 0
	v_mov_b32_e32 v1, v19
.LBB206_19:                             ; =>This Inner Loop Header: Depth=1
	s_load_dwordx8 s[8:15], s[52:53], 0x4
	s_load_dwordx4 s[28:31], s[52:53], 0x24
	s_load_dwordx8 s[0:7], s[54:55], 0x0
	s_add_u32 s52, s52, 48
	s_addc_u32 s53, s53, 0
	s_waitcnt lgkmcnt(0)
	v_mul_hi_u32 v3, s9, v1
	s_add_i32 s62, s62, 4
	s_add_u32 s54, s54, 32
	s_addc_u32 s55, s55, 0
	v_add_u32_e32 v3, v1, v3
	v_lshrrev_b32_e32 v3, s10, v3
	v_mul_lo_u32 v4, v3, s8
	v_mul_hi_u32 v5, s12, v3
	s_cmp_eq_u32 s60, s62
	v_sub_u32_e32 v1, v1, v4
	v_add_u32_e32 v4, v3, v5
	v_mul_lo_u32 v5, v1, s0
	v_mul_lo_u32 v6, v1, s1
	v_lshrrev_b32_e32 v1, s13, v4
	v_mul_lo_u32 v4, v1, s11
	v_mul_hi_u32 v7, s15, v1
	v_sub_u32_e32 v3, v3, v4
	v_add_u32_e32 v4, v1, v7
	v_lshrrev_b32_e32 v4, s28, v4
	v_mul_hi_u32 v8, s30, v4
	v_mul_lo_u32 v9, v4, s14
	v_mul_lo_u32 v7, v3, s2
	;; [unrolled: 1-line block ×3, first 2 shown]
	v_sub_u32_e32 v9, v1, v9
	v_add_u32_e32 v1, v4, v8
	v_lshrrev_b32_e32 v1, s31, v1
	v_mul_lo_u32 v8, v1, s29
	v_mul_lo_u32 v10, v9, s4
	;; [unrolled: 1-line block ×3, first 2 shown]
	v_add3_u32 v0, v5, v0, v7
	v_sub_u32_e32 v4, v4, v8
	v_mul_lo_u32 v8, v4, s6
	v_mul_lo_u32 v4, v4, s7
	v_add3_u32 v2, v6, v2, v3
	v_add3_u32 v0, v10, v0, v8
	;; [unrolled: 1-line block ×3, first 2 shown]
	s_cbranch_scc0 .LBB206_19
	s_branch .LBB206_148
.LBB206_20:
                                        ; implicit-def: $vgpr0
                                        ; implicit-def: $vgpr2
	s_branch .LBB206_28
.LBB206_21:
                                        ; implicit-def: $vgpr0
                                        ; implicit-def: $vgpr2
	s_branch .LBB206_136
.LBB206_22:
                                        ; implicit-def: $vgpr0
                                        ; implicit-def: $vgpr2
	s_branch .LBB206_152
.LBB206_23:
	v_mov_b32_e32 v0, 0
	v_mov_b32_e32 v2, 0
	s_branch .LBB206_27
.LBB206_24:
	v_mov_b32_e32 v0, 0
	v_mov_b32_e32 v2, 0
	;; [unrolled: 1-line block ×3, first 2 shown]
	s_and_b32 s6, s27, 3
	s_cmp_eq_u32 s6, 0
	s_cbranch_scc1 .LBB206_27
.LBB206_25:
	s_lshl_b32 s2, s26, 3
	s_add_u32 s2, s34, s2
	s_addc_u32 s3, s35, 0
	s_add_u32 s2, s2, 0xc4
	s_addc_u32 s3, s3, 0
	s_mul_i32 s4, s26, 12
	s_add_u32 s4, s34, s4
	s_addc_u32 s5, s35, 0
.LBB206_26:                             ; =>This Inner Loop Header: Depth=1
	s_load_dwordx2 s[8:9], s[4:5], 0x4
	s_load_dword s7, s[4:5], 0xc
	s_load_dwordx2 s[10:11], s[2:3], 0x0
	s_add_u32 s4, s4, 12
	s_addc_u32 s5, s5, 0
	s_waitcnt lgkmcnt(0)
	v_mul_hi_u32 v4, s9, v1
	s_add_u32 s2, s2, 8
	s_addc_u32 s3, s3, 0
	s_add_i32 s6, s6, -1
	v_add_u32_e32 v4, v1, v4
	v_lshrrev_b32_e32 v4, s7, v4
	v_mul_lo_u32 v5, v4, s8
	s_cmp_lg_u32 s6, 0
	v_sub_u32_e32 v5, v1, v5
	v_mad_u64_u32 v[0:1], s[8:9], v5, s10, v[0:1]
	v_mad_u64_u32 v[2:3], s[8:9], v5, s11, v[2:3]
	v_mov_b32_e32 v1, v4
	s_cbranch_scc1 .LBB206_26
.LBB206_27:
	s_cbranch_execnz .LBB206_30
.LBB206_28:
	s_load_dwordx4 s[4:7], s[34:35], 0x4
	s_load_dwordx2 s[2:3], s[34:35], 0xc4
	s_cmp_lt_u32 s33, 2
	s_waitcnt lgkmcnt(0)
	v_mul_hi_u32 v0, s5, v19
	v_add_u32_e32 v0, v19, v0
	v_lshrrev_b32_e32 v1, s6, v0
	v_mul_lo_u32 v0, v1, s4
	v_sub_u32_e32 v2, v19, v0
	v_mul_lo_u32 v0, v2, s2
	v_mul_lo_u32 v2, v2, s3
	s_cbranch_scc1 .LBB206_30
; %bb.29:
	s_load_dwordx4 s[4:7], s[34:35], 0x10
	s_load_dwordx2 s[2:3], s[34:35], 0xcc
	s_waitcnt lgkmcnt(0)
	v_mul_hi_u32 v3, s5, v1
	v_add_u32_e32 v3, v1, v3
	v_lshrrev_b32_e32 v3, s6, v3
	v_mul_lo_u32 v3, v3, s4
	v_sub_u32_e32 v3, v1, v3
	v_mad_u64_u32 v[0:1], s[4:5], v3, s2, v[0:1]
	v_mad_u64_u32 v[2:3], s[2:3], v3, s3, v[2:3]
.LBB206_30:
	s_and_b64 vcc, exec, s[0:1]
	v_add_u32_e32 v1, 0x80, v19
	s_cbranch_vccnz .LBB206_36
; %bb.31:
	s_cmp_lg_u32 s33, 0
	s_mov_b32 s26, 0
	s_cbranch_scc0 .LBB206_37
; %bb.32:
	s_min_u32 s27, s56, 15
	s_add_i32 s27, s27, 1
	s_cmp_eq_u32 s56, 2
	s_cbranch_scc1 .LBB206_38
; %bb.33:
	s_and_b32 s26, s27, 28
	s_add_u32 s2, s34, 0xc4
	s_addc_u32 s3, s35, 0
	v_mov_b32_e32 v5, 0
	s_mov_b32 s28, 0
	s_mov_b64 s[24:25], s[34:35]
	v_mov_b32_e32 v3, 0
	v_mov_b32_e32 v4, v1
.LBB206_34:                             ; =>This Inner Loop Header: Depth=1
	s_load_dwordx8 s[12:19], s[24:25], 0x4
	s_load_dwordx4 s[20:23], s[24:25], 0x24
	s_load_dwordx8 s[4:11], s[2:3], 0x0
	s_add_u32 s24, s24, 48
	s_addc_u32 s25, s25, 0
	s_waitcnt lgkmcnt(0)
	v_mul_hi_u32 v6, s13, v4
	s_add_i32 s28, s28, 4
	s_add_u32 s2, s2, 32
	s_addc_u32 s3, s3, 0
	v_add_u32_e32 v6, v4, v6
	v_lshrrev_b32_e32 v6, s14, v6
	v_mul_lo_u32 v7, v6, s12
	v_mul_hi_u32 v8, s16, v6
	s_cmp_lg_u32 s26, s28
	v_sub_u32_e32 v4, v4, v7
	v_add_u32_e32 v7, v6, v8
	v_mul_lo_u32 v8, v4, s4
	v_mul_lo_u32 v9, v4, s5
	v_lshrrev_b32_e32 v4, s17, v7
	v_mul_lo_u32 v7, v4, s15
	v_mul_hi_u32 v10, s19, v4
	v_sub_u32_e32 v6, v6, v7
	v_add_u32_e32 v7, v4, v10
	v_lshrrev_b32_e32 v7, s20, v7
	v_mul_hi_u32 v11, s22, v7
	v_mul_lo_u32 v12, v7, s18
	v_mul_lo_u32 v10, v6, s6
	;; [unrolled: 1-line block ×3, first 2 shown]
	v_sub_u32_e32 v12, v4, v12
	v_add_u32_e32 v4, v7, v11
	v_lshrrev_b32_e32 v4, s23, v4
	v_mul_lo_u32 v11, v4, s21
	v_mul_lo_u32 v13, v12, s8
	;; [unrolled: 1-line block ×3, first 2 shown]
	v_add3_u32 v3, v8, v3, v10
	v_sub_u32_e32 v7, v7, v11
	v_mul_lo_u32 v11, v7, s10
	v_mul_lo_u32 v7, v7, s11
	v_add3_u32 v5, v9, v5, v6
	v_add3_u32 v3, v13, v3, v11
	;; [unrolled: 1-line block ×3, first 2 shown]
	s_cbranch_scc1 .LBB206_34
; %bb.35:
	s_and_b32 s6, s27, 3
	s_cmp_eq_u32 s6, 0
	s_cbranch_scc0 .LBB206_39
	s_branch .LBB206_41
.LBB206_36:
                                        ; implicit-def: $vgpr3
                                        ; implicit-def: $vgpr5
	s_branch .LBB206_42
.LBB206_37:
	v_mov_b32_e32 v3, 0
	v_mov_b32_e32 v5, 0
	s_branch .LBB206_41
.LBB206_38:
	v_mov_b32_e32 v3, 0
	v_mov_b32_e32 v5, 0
	;; [unrolled: 1-line block ×3, first 2 shown]
	s_and_b32 s6, s27, 3
	s_cmp_eq_u32 s6, 0
	s_cbranch_scc1 .LBB206_41
.LBB206_39:
	s_lshl_b32 s2, s26, 3
	s_add_u32 s2, s34, s2
	s_addc_u32 s3, s35, 0
	s_add_u32 s2, s2, 0xc4
	s_addc_u32 s3, s3, 0
	s_mul_i32 s4, s26, 12
	s_add_u32 s4, s34, s4
	s_addc_u32 s5, s35, 0
.LBB206_40:                             ; =>This Inner Loop Header: Depth=1
	s_load_dwordx2 s[8:9], s[4:5], 0x4
	s_load_dword s7, s[4:5], 0xc
	s_load_dwordx2 s[10:11], s[2:3], 0x0
	s_add_u32 s4, s4, 12
	s_addc_u32 s5, s5, 0
	s_waitcnt lgkmcnt(0)
	v_mul_hi_u32 v7, s9, v4
	s_add_u32 s2, s2, 8
	s_addc_u32 s3, s3, 0
	s_add_i32 s6, s6, -1
	v_add_u32_e32 v7, v4, v7
	v_lshrrev_b32_e32 v7, s7, v7
	v_mul_lo_u32 v8, v7, s8
	s_cmp_lg_u32 s6, 0
	v_sub_u32_e32 v8, v4, v8
	v_mad_u64_u32 v[3:4], s[8:9], v8, s10, v[3:4]
	v_mad_u64_u32 v[5:6], s[8:9], v8, s11, v[5:6]
	v_mov_b32_e32 v4, v7
	s_cbranch_scc1 .LBB206_40
.LBB206_41:
	s_cbranch_execnz .LBB206_44
.LBB206_42:
	s_load_dwordx4 s[4:7], s[34:35], 0x4
	s_load_dwordx2 s[2:3], s[34:35], 0xc4
	s_cmp_lt_u32 s33, 2
	s_waitcnt lgkmcnt(0)
	v_mul_hi_u32 v3, s5, v1
	v_add_u32_e32 v3, v1, v3
	v_lshrrev_b32_e32 v4, s6, v3
	v_mul_lo_u32 v3, v4, s4
	v_sub_u32_e32 v1, v1, v3
	v_mul_lo_u32 v3, v1, s2
	v_mul_lo_u32 v5, v1, s3
	s_cbranch_scc1 .LBB206_44
; %bb.43:
	s_load_dwordx4 s[4:7], s[34:35], 0x10
	s_load_dwordx2 s[2:3], s[34:35], 0xcc
	s_waitcnt lgkmcnt(0)
	v_mul_hi_u32 v1, s5, v4
	v_add_u32_e32 v1, v4, v1
	v_lshrrev_b32_e32 v1, s6, v1
	v_mul_lo_u32 v1, v1, s4
	v_sub_u32_e32 v1, v4, v1
	v_mad_u64_u32 v[3:4], s[4:5], v1, s2, v[3:4]
	v_mad_u64_u32 v[5:6], s[2:3], v1, s3, v[5:6]
.LBB206_44:
	s_and_b64 vcc, exec, s[0:1]
	v_add_u32_e32 v1, 0x100, v19
	s_cbranch_vccnz .LBB206_50
; %bb.45:
	s_cmp_lg_u32 s33, 0
	s_mov_b32 s26, 0
	s_cbranch_scc0 .LBB206_51
; %bb.46:
	s_min_u32 s27, s56, 15
	s_add_i32 s27, s27, 1
	s_cmp_eq_u32 s56, 2
	s_cbranch_scc1 .LBB206_52
; %bb.47:
	s_and_b32 s26, s27, 28
	s_add_u32 s2, s34, 0xc4
	s_addc_u32 s3, s35, 0
	v_mov_b32_e32 v8, 0
	s_mov_b32 s28, 0
	s_mov_b64 s[24:25], s[34:35]
	v_mov_b32_e32 v6, 0
	v_mov_b32_e32 v4, v1
.LBB206_48:                             ; =>This Inner Loop Header: Depth=1
	s_load_dwordx8 s[12:19], s[24:25], 0x4
	s_load_dwordx4 s[20:23], s[24:25], 0x24
	s_load_dwordx8 s[4:11], s[2:3], 0x0
	s_add_u32 s24, s24, 48
	s_addc_u32 s25, s25, 0
	s_waitcnt lgkmcnt(0)
	v_mul_hi_u32 v7, s13, v4
	s_add_i32 s28, s28, 4
	s_add_u32 s2, s2, 32
	s_addc_u32 s3, s3, 0
	v_add_u32_e32 v7, v4, v7
	v_lshrrev_b32_e32 v7, s14, v7
	v_mul_lo_u32 v9, v7, s12
	v_mul_hi_u32 v10, s16, v7
	s_cmp_lg_u32 s26, s28
	v_sub_u32_e32 v4, v4, v9
	v_add_u32_e32 v9, v7, v10
	v_mul_lo_u32 v10, v4, s4
	v_mul_lo_u32 v11, v4, s5
	v_lshrrev_b32_e32 v4, s17, v9
	v_mul_lo_u32 v9, v4, s15
	v_mul_hi_u32 v12, s19, v4
	v_sub_u32_e32 v7, v7, v9
	v_add_u32_e32 v9, v4, v12
	v_lshrrev_b32_e32 v9, s20, v9
	v_mul_hi_u32 v13, s22, v9
	v_mul_lo_u32 v14, v9, s18
	v_mul_lo_u32 v12, v7, s6
	;; [unrolled: 1-line block ×3, first 2 shown]
	v_sub_u32_e32 v14, v4, v14
	v_add_u32_e32 v4, v9, v13
	v_lshrrev_b32_e32 v4, s23, v4
	v_mul_lo_u32 v13, v4, s21
	v_mul_lo_u32 v15, v14, s8
	;; [unrolled: 1-line block ×3, first 2 shown]
	v_add3_u32 v6, v10, v6, v12
	v_sub_u32_e32 v9, v9, v13
	v_mul_lo_u32 v13, v9, s10
	v_mul_lo_u32 v9, v9, s11
	v_add3_u32 v7, v11, v8, v7
	v_add3_u32 v6, v15, v6, v13
	;; [unrolled: 1-line block ×3, first 2 shown]
	s_cbranch_scc1 .LBB206_48
; %bb.49:
	s_and_b32 s6, s27, 3
	s_cmp_eq_u32 s6, 0
	s_cbranch_scc0 .LBB206_53
	s_branch .LBB206_55
.LBB206_50:
                                        ; implicit-def: $vgpr6
                                        ; implicit-def: $vgpr8
	s_branch .LBB206_56
.LBB206_51:
	v_mov_b32_e32 v6, 0
	v_mov_b32_e32 v8, 0
	s_branch .LBB206_55
.LBB206_52:
	v_mov_b32_e32 v6, 0
	v_mov_b32_e32 v8, 0
	;; [unrolled: 1-line block ×3, first 2 shown]
	s_and_b32 s6, s27, 3
	s_cmp_eq_u32 s6, 0
	s_cbranch_scc1 .LBB206_55
.LBB206_53:
	s_lshl_b32 s2, s26, 3
	s_add_u32 s2, s34, s2
	s_addc_u32 s3, s35, 0
	s_add_u32 s2, s2, 0xc4
	s_addc_u32 s3, s3, 0
	s_mul_i32 s4, s26, 12
	s_add_u32 s4, s34, s4
	s_addc_u32 s5, s35, 0
.LBB206_54:                             ; =>This Inner Loop Header: Depth=1
	s_load_dwordx2 s[8:9], s[4:5], 0x4
	s_load_dword s7, s[4:5], 0xc
	s_load_dwordx2 s[10:11], s[2:3], 0x0
	s_add_u32 s4, s4, 12
	s_addc_u32 s5, s5, 0
	s_waitcnt lgkmcnt(0)
	v_mul_hi_u32 v7, s9, v4
	s_add_u32 s2, s2, 8
	s_addc_u32 s3, s3, 0
	s_add_i32 s6, s6, -1
	v_add_u32_e32 v7, v4, v7
	v_lshrrev_b32_e32 v10, s7, v7
	v_mul_lo_u32 v7, v10, s8
	s_cmp_lg_u32 s6, 0
	v_sub_u32_e32 v4, v4, v7
	v_mad_u64_u32 v[6:7], s[8:9], v4, s10, v[6:7]
	v_mad_u64_u32 v[8:9], s[8:9], v4, s11, v[8:9]
	v_mov_b32_e32 v4, v10
	s_cbranch_scc1 .LBB206_54
.LBB206_55:
	s_cbranch_execnz .LBB206_58
.LBB206_56:
	s_load_dwordx4 s[4:7], s[34:35], 0x4
	s_load_dwordx2 s[2:3], s[34:35], 0xc4
	s_cmp_lt_u32 s33, 2
	s_waitcnt lgkmcnt(0)
	v_mul_hi_u32 v4, s5, v1
	v_add_u32_e32 v4, v1, v4
	v_lshrrev_b32_e32 v4, s6, v4
	v_mul_lo_u32 v6, v4, s4
	v_sub_u32_e32 v1, v1, v6
	v_mul_lo_u32 v6, v1, s2
	v_mul_lo_u32 v8, v1, s3
	s_cbranch_scc1 .LBB206_58
; %bb.57:
	s_load_dwordx4 s[4:7], s[34:35], 0x10
	s_load_dwordx2 s[2:3], s[34:35], 0xcc
	s_waitcnt lgkmcnt(0)
	v_mul_hi_u32 v1, s5, v4
	v_add_u32_e32 v1, v4, v1
	v_lshrrev_b32_e32 v1, s6, v1
	v_mul_lo_u32 v1, v1, s4
	v_sub_u32_e32 v1, v4, v1
	v_mad_u64_u32 v[6:7], s[4:5], v1, s2, v[6:7]
	v_mad_u64_u32 v[8:9], s[2:3], v1, s3, v[8:9]
.LBB206_58:
	s_and_b64 vcc, exec, s[0:1]
	v_add_u32_e32 v1, 0x180, v19
	s_cbranch_vccnz .LBB206_64
; %bb.59:
	s_cmp_lg_u32 s33, 0
	s_mov_b32 s26, 0
	s_cbranch_scc0 .LBB206_65
; %bb.60:
	s_min_u32 s27, s56, 15
	s_add_i32 s27, s27, 1
	s_cmp_eq_u32 s56, 2
	s_cbranch_scc1 .LBB206_66
; %bb.61:
	s_and_b32 s26, s27, 28
	s_add_u32 s2, s34, 0xc4
	s_addc_u32 s3, s35, 0
	v_mov_b32_e32 v11, 0
	s_mov_b32 s28, 0
	s_mov_b64 s[24:25], s[34:35]
	v_mov_b32_e32 v9, 0
	v_mov_b32_e32 v4, v1
.LBB206_62:                             ; =>This Inner Loop Header: Depth=1
	s_load_dwordx8 s[12:19], s[24:25], 0x4
	s_load_dwordx4 s[20:23], s[24:25], 0x24
	s_load_dwordx8 s[4:11], s[2:3], 0x0
	s_add_u32 s24, s24, 48
	s_addc_u32 s25, s25, 0
	s_waitcnt lgkmcnt(0)
	v_mul_hi_u32 v7, s13, v4
	s_add_i32 s28, s28, 4
	s_add_u32 s2, s2, 32
	s_addc_u32 s3, s3, 0
	v_add_u32_e32 v7, v4, v7
	v_lshrrev_b32_e32 v7, s14, v7
	v_mul_lo_u32 v10, v7, s12
	v_mul_hi_u32 v12, s16, v7
	s_cmp_lg_u32 s26, s28
	v_sub_u32_e32 v4, v4, v10
	v_add_u32_e32 v10, v7, v12
	v_mul_lo_u32 v12, v4, s4
	v_mul_lo_u32 v13, v4, s5
	v_lshrrev_b32_e32 v4, s17, v10
	v_mul_lo_u32 v10, v4, s15
	v_mul_hi_u32 v14, s19, v4
	v_sub_u32_e32 v7, v7, v10
	v_add_u32_e32 v10, v4, v14
	v_lshrrev_b32_e32 v10, s20, v10
	v_mul_hi_u32 v15, s22, v10
	v_mul_lo_u32 v16, v10, s18
	v_mul_lo_u32 v14, v7, s6
	v_mul_lo_u32 v7, v7, s7
	v_sub_u32_e32 v16, v4, v16
	v_add_u32_e32 v4, v10, v15
	v_lshrrev_b32_e32 v4, s23, v4
	v_mul_lo_u32 v15, v4, s21
	v_mul_lo_u32 v17, v16, s8
	;; [unrolled: 1-line block ×3, first 2 shown]
	v_add3_u32 v9, v12, v9, v14
	v_sub_u32_e32 v10, v10, v15
	v_mul_lo_u32 v15, v10, s10
	v_mul_lo_u32 v10, v10, s11
	v_add3_u32 v7, v13, v11, v7
	v_add3_u32 v9, v17, v9, v15
	;; [unrolled: 1-line block ×3, first 2 shown]
	s_cbranch_scc1 .LBB206_62
; %bb.63:
	s_and_b32 s6, s27, 3
	s_cmp_eq_u32 s6, 0
	s_cbranch_scc0 .LBB206_67
	s_branch .LBB206_69
.LBB206_64:
                                        ; implicit-def: $vgpr9
                                        ; implicit-def: $vgpr11
	s_branch .LBB206_70
.LBB206_65:
	v_mov_b32_e32 v9, 0
	v_mov_b32_e32 v11, 0
	s_branch .LBB206_69
.LBB206_66:
	v_mov_b32_e32 v9, 0
	v_mov_b32_e32 v11, 0
	;; [unrolled: 1-line block ×3, first 2 shown]
	s_and_b32 s6, s27, 3
	s_cmp_eq_u32 s6, 0
	s_cbranch_scc1 .LBB206_69
.LBB206_67:
	s_lshl_b32 s2, s26, 3
	s_add_u32 s2, s34, s2
	s_addc_u32 s3, s35, 0
	s_add_u32 s2, s2, 0xc4
	s_addc_u32 s3, s3, 0
	s_mul_i32 s4, s26, 12
	s_add_u32 s4, s34, s4
	s_addc_u32 s5, s35, 0
.LBB206_68:                             ; =>This Inner Loop Header: Depth=1
	s_load_dwordx2 s[8:9], s[4:5], 0x4
	s_load_dword s7, s[4:5], 0xc
	s_load_dwordx2 s[10:11], s[2:3], 0x0
	s_add_u32 s4, s4, 12
	s_addc_u32 s5, s5, 0
	s_waitcnt lgkmcnt(0)
	v_mul_hi_u32 v7, s9, v4
	s_add_u32 s2, s2, 8
	s_addc_u32 s3, s3, 0
	s_add_i32 s6, s6, -1
	v_add_u32_e32 v7, v4, v7
	v_lshrrev_b32_e32 v7, s7, v7
	v_mul_lo_u32 v10, v7, s8
	s_cmp_lg_u32 s6, 0
	v_sub_u32_e32 v4, v4, v10
	v_mad_u64_u32 v[9:10], s[8:9], v4, s10, v[9:10]
	v_mad_u64_u32 v[11:12], s[8:9], v4, s11, v[11:12]
	v_mov_b32_e32 v4, v7
	s_cbranch_scc1 .LBB206_68
.LBB206_69:
	s_cbranch_execnz .LBB206_72
.LBB206_70:
	s_load_dwordx4 s[4:7], s[34:35], 0x4
	s_load_dwordx2 s[2:3], s[34:35], 0xc4
	s_cmp_lt_u32 s33, 2
	s_waitcnt lgkmcnt(0)
	v_mul_hi_u32 v4, s5, v1
	v_add_u32_e32 v4, v1, v4
	v_lshrrev_b32_e32 v4, s6, v4
	v_mul_lo_u32 v7, v4, s4
	v_sub_u32_e32 v1, v1, v7
	v_mul_lo_u32 v9, v1, s2
	v_mul_lo_u32 v11, v1, s3
	s_cbranch_scc1 .LBB206_72
; %bb.71:
	s_load_dwordx4 s[4:7], s[34:35], 0x10
	s_load_dwordx2 s[2:3], s[34:35], 0xcc
	s_waitcnt lgkmcnt(0)
	v_mul_hi_u32 v1, s5, v4
	v_add_u32_e32 v1, v4, v1
	v_lshrrev_b32_e32 v1, s6, v1
	v_mul_lo_u32 v1, v1, s4
	v_sub_u32_e32 v1, v4, v1
	v_mad_u64_u32 v[9:10], s[4:5], v1, s2, v[9:10]
	v_mad_u64_u32 v[11:12], s[2:3], v1, s3, v[11:12]
.LBB206_72:
	s_and_b64 vcc, exec, s[0:1]
	v_add_u32_e32 v1, 0x200, v19
	s_cbranch_vccnz .LBB206_78
; %bb.73:
	s_cmp_lg_u32 s33, 0
	s_mov_b32 s26, 0
	s_cbranch_scc0 .LBB206_79
; %bb.74:
	s_min_u32 s27, s56, 15
	s_add_i32 s27, s27, 1
	s_cmp_eq_u32 s56, 2
	s_cbranch_scc1 .LBB206_80
; %bb.75:
	s_and_b32 s26, s27, 28
	s_add_u32 s2, s34, 0xc4
	s_addc_u32 s3, s35, 0
	v_mov_b32_e32 v14, 0
	s_mov_b32 s28, 0
	s_mov_b64 s[24:25], s[34:35]
	v_mov_b32_e32 v12, 0
	v_mov_b32_e32 v4, v1
.LBB206_76:                             ; =>This Inner Loop Header: Depth=1
	s_load_dwordx8 s[12:19], s[24:25], 0x4
	s_load_dwordx4 s[20:23], s[24:25], 0x24
	s_load_dwordx8 s[4:11], s[2:3], 0x0
	s_add_u32 s24, s24, 48
	s_addc_u32 s25, s25, 0
	s_waitcnt lgkmcnt(0)
	v_mul_hi_u32 v7, s13, v4
	s_add_i32 s28, s28, 4
	s_add_u32 s2, s2, 32
	s_addc_u32 s3, s3, 0
	v_add_u32_e32 v7, v4, v7
	v_lshrrev_b32_e32 v7, s14, v7
	v_mul_lo_u32 v10, v7, s12
	v_mul_hi_u32 v13, s16, v7
	s_cmp_lg_u32 s26, s28
	v_sub_u32_e32 v4, v4, v10
	v_add_u32_e32 v10, v7, v13
	v_mul_lo_u32 v13, v4, s4
	v_mul_lo_u32 v15, v4, s5
	v_lshrrev_b32_e32 v4, s17, v10
	v_mul_lo_u32 v10, v4, s15
	v_mul_hi_u32 v16, s19, v4
	v_sub_u32_e32 v7, v7, v10
	v_add_u32_e32 v10, v4, v16
	v_lshrrev_b32_e32 v10, s20, v10
	v_mul_hi_u32 v17, s22, v10
	v_mul_lo_u32 v18, v10, s18
	v_mul_lo_u32 v16, v7, s6
	;; [unrolled: 1-line block ×3, first 2 shown]
	v_sub_u32_e32 v18, v4, v18
	v_add_u32_e32 v4, v10, v17
	v_lshrrev_b32_e32 v4, s23, v4
	v_mul_lo_u32 v17, v4, s21
	v_mul_lo_u32 v20, v18, s8
	;; [unrolled: 1-line block ×3, first 2 shown]
	v_add3_u32 v12, v13, v12, v16
	v_sub_u32_e32 v10, v10, v17
	v_mul_lo_u32 v17, v10, s10
	v_mul_lo_u32 v10, v10, s11
	v_add3_u32 v7, v15, v14, v7
	v_add3_u32 v12, v20, v12, v17
	;; [unrolled: 1-line block ×3, first 2 shown]
	s_cbranch_scc1 .LBB206_76
; %bb.77:
	s_and_b32 s6, s27, 3
	s_cmp_eq_u32 s6, 0
	s_cbranch_scc0 .LBB206_81
	s_branch .LBB206_83
.LBB206_78:
                                        ; implicit-def: $vgpr12
                                        ; implicit-def: $vgpr14
	s_branch .LBB206_84
.LBB206_79:
	v_mov_b32_e32 v12, 0
	v_mov_b32_e32 v14, 0
	s_branch .LBB206_83
.LBB206_80:
	v_mov_b32_e32 v12, 0
	v_mov_b32_e32 v14, 0
	v_mov_b32_e32 v4, v1
	s_and_b32 s6, s27, 3
	s_cmp_eq_u32 s6, 0
	s_cbranch_scc1 .LBB206_83
.LBB206_81:
	s_lshl_b32 s2, s26, 3
	s_add_u32 s2, s34, s2
	s_addc_u32 s3, s35, 0
	s_add_u32 s2, s2, 0xc4
	s_addc_u32 s3, s3, 0
	s_mul_i32 s4, s26, 12
	s_add_u32 s4, s34, s4
	s_addc_u32 s5, s35, 0
.LBB206_82:                             ; =>This Inner Loop Header: Depth=1
	s_load_dwordx2 s[8:9], s[4:5], 0x4
	s_load_dword s7, s[4:5], 0xc
	s_load_dwordx2 s[10:11], s[2:3], 0x0
	s_add_u32 s4, s4, 12
	s_addc_u32 s5, s5, 0
	s_waitcnt lgkmcnt(0)
	v_mul_hi_u32 v7, s9, v4
	s_add_u32 s2, s2, 8
	s_addc_u32 s3, s3, 0
	s_add_i32 s6, s6, -1
	v_add_u32_e32 v7, v4, v7
	v_lshrrev_b32_e32 v7, s7, v7
	v_mul_lo_u32 v10, v7, s8
	s_cmp_lg_u32 s6, 0
	v_sub_u32_e32 v4, v4, v10
	v_mad_u64_u32 v[12:13], s[8:9], v4, s10, v[12:13]
	v_mad_u64_u32 v[14:15], s[8:9], v4, s11, v[14:15]
	v_mov_b32_e32 v4, v7
	s_cbranch_scc1 .LBB206_82
.LBB206_83:
	s_cbranch_execnz .LBB206_86
.LBB206_84:
	s_load_dwordx4 s[4:7], s[34:35], 0x4
	s_load_dwordx2 s[2:3], s[34:35], 0xc4
	s_cmp_lt_u32 s33, 2
	s_waitcnt lgkmcnt(0)
	v_mul_hi_u32 v4, s5, v1
	v_add_u32_e32 v4, v1, v4
	v_lshrrev_b32_e32 v4, s6, v4
	v_mul_lo_u32 v7, v4, s4
	v_sub_u32_e32 v1, v1, v7
	v_mul_lo_u32 v12, v1, s2
	v_mul_lo_u32 v14, v1, s3
	s_cbranch_scc1 .LBB206_86
; %bb.85:
	s_load_dwordx4 s[4:7], s[34:35], 0x10
	s_load_dwordx2 s[2:3], s[34:35], 0xcc
	s_waitcnt lgkmcnt(0)
	v_mul_hi_u32 v1, s5, v4
	v_add_u32_e32 v1, v4, v1
	v_lshrrev_b32_e32 v1, s6, v1
	v_mul_lo_u32 v1, v1, s4
	v_sub_u32_e32 v1, v4, v1
	v_mad_u64_u32 v[12:13], s[4:5], v1, s2, v[12:13]
	v_mad_u64_u32 v[14:15], s[2:3], v1, s3, v[14:15]
.LBB206_86:
	s_and_b64 vcc, exec, s[0:1]
	v_add_u32_e32 v1, 0x280, v19
	s_cbranch_vccnz .LBB206_92
; %bb.87:
	s_cmp_lg_u32 s33, 0
	s_mov_b32 s26, 0
	s_cbranch_scc0 .LBB206_93
; %bb.88:
	s_min_u32 s27, s56, 15
	s_add_i32 s27, s27, 1
	s_cmp_eq_u32 s56, 2
	s_cbranch_scc1 .LBB206_94
; %bb.89:
	s_and_b32 s26, s27, 28
	s_add_u32 s2, s34, 0xc4
	s_addc_u32 s3, s35, 0
	v_mov_b32_e32 v17, 0
	s_mov_b32 s28, 0
	s_mov_b64 s[24:25], s[34:35]
	v_mov_b32_e32 v15, 0
	v_mov_b32_e32 v4, v1
.LBB206_90:                             ; =>This Inner Loop Header: Depth=1
	s_load_dwordx8 s[12:19], s[24:25], 0x4
	s_load_dwordx4 s[20:23], s[24:25], 0x24
	s_load_dwordx8 s[4:11], s[2:3], 0x0
	s_add_u32 s24, s24, 48
	s_addc_u32 s25, s25, 0
	s_waitcnt lgkmcnt(0)
	v_mul_hi_u32 v7, s13, v4
	s_add_i32 s28, s28, 4
	s_add_u32 s2, s2, 32
	s_addc_u32 s3, s3, 0
	v_add_u32_e32 v7, v4, v7
	v_lshrrev_b32_e32 v7, s14, v7
	v_mul_lo_u32 v10, v7, s12
	v_mul_hi_u32 v13, s16, v7
	s_cmp_lg_u32 s26, s28
	v_sub_u32_e32 v4, v4, v10
	v_add_u32_e32 v10, v7, v13
	v_mul_lo_u32 v13, v4, s4
	v_mul_lo_u32 v16, v4, s5
	v_lshrrev_b32_e32 v4, s17, v10
	v_mul_lo_u32 v10, v4, s15
	v_mul_hi_u32 v18, s19, v4
	v_sub_u32_e32 v7, v7, v10
	v_add_u32_e32 v10, v4, v18
	v_lshrrev_b32_e32 v10, s20, v10
	v_mul_hi_u32 v20, s22, v10
	v_mul_lo_u32 v21, v10, s18
	v_mul_lo_u32 v18, v7, s6
	;; [unrolled: 1-line block ×3, first 2 shown]
	v_sub_u32_e32 v21, v4, v21
	v_add_u32_e32 v4, v10, v20
	v_lshrrev_b32_e32 v4, s23, v4
	v_mul_lo_u32 v20, v4, s21
	v_mul_lo_u32 v22, v21, s8
	;; [unrolled: 1-line block ×3, first 2 shown]
	v_add3_u32 v13, v13, v15, v18
	v_sub_u32_e32 v10, v10, v20
	v_mul_lo_u32 v20, v10, s10
	v_mul_lo_u32 v10, v10, s11
	v_add3_u32 v7, v16, v17, v7
	v_add3_u32 v15, v22, v13, v20
	;; [unrolled: 1-line block ×3, first 2 shown]
	s_cbranch_scc1 .LBB206_90
; %bb.91:
	s_and_b32 s6, s27, 3
	s_cmp_eq_u32 s6, 0
	s_cbranch_scc0 .LBB206_95
	s_branch .LBB206_97
.LBB206_92:
                                        ; implicit-def: $vgpr15
                                        ; implicit-def: $vgpr17
	s_branch .LBB206_98
.LBB206_93:
	v_mov_b32_e32 v15, 0
	v_mov_b32_e32 v17, 0
	s_branch .LBB206_97
.LBB206_94:
	v_mov_b32_e32 v15, 0
	v_mov_b32_e32 v17, 0
	;; [unrolled: 1-line block ×3, first 2 shown]
	s_and_b32 s6, s27, 3
	s_cmp_eq_u32 s6, 0
	s_cbranch_scc1 .LBB206_97
.LBB206_95:
	s_lshl_b32 s2, s26, 3
	s_add_u32 s2, s34, s2
	s_addc_u32 s3, s35, 0
	s_add_u32 s2, s2, 0xc4
	s_addc_u32 s3, s3, 0
	s_mul_i32 s4, s26, 12
	s_add_u32 s4, s34, s4
	s_addc_u32 s5, s35, 0
.LBB206_96:                             ; =>This Inner Loop Header: Depth=1
	s_load_dwordx2 s[8:9], s[4:5], 0x4
	s_load_dword s7, s[4:5], 0xc
	s_load_dwordx2 s[10:11], s[2:3], 0x0
	s_add_u32 s4, s4, 12
	s_addc_u32 s5, s5, 0
	s_waitcnt lgkmcnt(0)
	v_mul_hi_u32 v7, s9, v4
	s_add_u32 s2, s2, 8
	s_addc_u32 s3, s3, 0
	s_add_i32 s6, s6, -1
	v_add_u32_e32 v7, v4, v7
	v_lshrrev_b32_e32 v7, s7, v7
	v_mul_lo_u32 v10, v7, s8
	s_cmp_lg_u32 s6, 0
	v_sub_u32_e32 v4, v4, v10
	v_mad_u64_u32 v[15:16], s[8:9], v4, s10, v[15:16]
	v_mad_u64_u32 v[17:18], s[8:9], v4, s11, v[17:18]
	v_mov_b32_e32 v4, v7
	s_cbranch_scc1 .LBB206_96
.LBB206_97:
	s_cbranch_execnz .LBB206_100
.LBB206_98:
	s_load_dwordx4 s[4:7], s[34:35], 0x4
	s_load_dwordx2 s[2:3], s[34:35], 0xc4
	s_cmp_lt_u32 s33, 2
	s_waitcnt lgkmcnt(0)
	v_mul_hi_u32 v4, s5, v1
	v_add_u32_e32 v4, v1, v4
	v_lshrrev_b32_e32 v4, s6, v4
	v_mul_lo_u32 v7, v4, s4
	v_sub_u32_e32 v1, v1, v7
	v_mul_lo_u32 v15, v1, s2
	v_mul_lo_u32 v17, v1, s3
	s_cbranch_scc1 .LBB206_100
; %bb.99:
	s_load_dwordx4 s[4:7], s[34:35], 0x10
	s_load_dwordx2 s[2:3], s[34:35], 0xcc
	s_waitcnt lgkmcnt(0)
	v_mul_hi_u32 v1, s5, v4
	v_add_u32_e32 v1, v4, v1
	v_lshrrev_b32_e32 v1, s6, v1
	v_mul_lo_u32 v1, v1, s4
	v_sub_u32_e32 v1, v4, v1
	v_mad_u64_u32 v[15:16], s[4:5], v1, s2, v[15:16]
	v_mad_u64_u32 v[17:18], s[2:3], v1, s3, v[17:18]
.LBB206_100:
	s_and_b64 vcc, exec, s[0:1]
	v_add_u32_e32 v1, 0x300, v19
	s_cbranch_vccnz .LBB206_106
; %bb.101:
	s_cmp_lg_u32 s33, 0
	s_mov_b32 s26, 0
	s_cbranch_scc0 .LBB206_107
; %bb.102:
	s_min_u32 s27, s56, 15
	s_add_i32 s27, s27, 1
	s_cmp_eq_u32 s56, 2
	s_cbranch_scc1 .LBB206_108
; %bb.103:
	s_and_b32 s26, s27, 28
	s_add_u32 s2, s34, 0xc4
	s_addc_u32 s3, s35, 0
	v_mov_b32_e32 v20, 0
	s_mov_b32 s28, 0
	s_mov_b64 s[24:25], s[34:35]
	v_mov_b32_e32 v18, 0
	v_mov_b32_e32 v4, v1
.LBB206_104:                            ; =>This Inner Loop Header: Depth=1
	s_load_dwordx8 s[12:19], s[24:25], 0x4
	s_load_dwordx4 s[20:23], s[24:25], 0x24
	s_load_dwordx8 s[4:11], s[2:3], 0x0
	s_add_u32 s24, s24, 48
	s_addc_u32 s25, s25, 0
	s_waitcnt lgkmcnt(0)
	v_mul_hi_u32 v7, s13, v4
	s_add_i32 s28, s28, 4
	s_add_u32 s2, s2, 32
	s_addc_u32 s3, s3, 0
	v_add_u32_e32 v7, v4, v7
	v_lshrrev_b32_e32 v7, s14, v7
	v_mul_lo_u32 v10, v7, s12
	v_mul_hi_u32 v13, s16, v7
	s_cmp_lg_u32 s26, s28
	v_sub_u32_e32 v4, v4, v10
	v_add_u32_e32 v10, v7, v13
	v_mul_lo_u32 v13, v4, s4
	v_mul_lo_u32 v16, v4, s5
	v_lshrrev_b32_e32 v4, s17, v10
	v_mul_lo_u32 v10, v4, s15
	v_mul_hi_u32 v19, s19, v4
	v_sub_u32_e32 v7, v7, v10
	v_add_u32_e32 v10, v4, v19
	v_lshrrev_b32_e32 v10, s20, v10
	v_mul_hi_u32 v21, s22, v10
	v_mul_lo_u32 v22, v10, s18
	v_mul_lo_u32 v19, v7, s6
	;; [unrolled: 1-line block ×3, first 2 shown]
	v_sub_u32_e32 v22, v4, v22
	v_add_u32_e32 v4, v10, v21
	v_lshrrev_b32_e32 v4, s23, v4
	v_mul_lo_u32 v21, v4, s21
	v_mul_lo_u32 v23, v22, s8
	;; [unrolled: 1-line block ×3, first 2 shown]
	v_add3_u32 v13, v13, v18, v19
	v_sub_u32_e32 v10, v10, v21
	v_mul_lo_u32 v21, v10, s10
	v_mul_lo_u32 v10, v10, s11
	v_add3_u32 v7, v16, v20, v7
	v_add3_u32 v18, v23, v13, v21
	;; [unrolled: 1-line block ×3, first 2 shown]
	s_cbranch_scc1 .LBB206_104
; %bb.105:
	s_and_b32 s6, s27, 3
	s_cmp_eq_u32 s6, 0
	s_cbranch_scc0 .LBB206_109
	s_branch .LBB206_111
.LBB206_106:
                                        ; implicit-def: $vgpr18
                                        ; implicit-def: $vgpr20
	s_branch .LBB206_112
.LBB206_107:
	v_mov_b32_e32 v18, 0
	v_mov_b32_e32 v20, 0
	s_branch .LBB206_111
.LBB206_108:
	v_mov_b32_e32 v18, 0
	v_mov_b32_e32 v20, 0
	;; [unrolled: 1-line block ×3, first 2 shown]
	s_and_b32 s6, s27, 3
	s_cmp_eq_u32 s6, 0
	s_cbranch_scc1 .LBB206_111
.LBB206_109:
	s_lshl_b32 s2, s26, 3
	s_add_u32 s2, s34, s2
	s_addc_u32 s3, s35, 0
	s_add_u32 s2, s2, 0xc4
	s_addc_u32 s3, s3, 0
	s_mul_i32 s4, s26, 12
	s_add_u32 s4, s34, s4
	s_addc_u32 s5, s35, 0
.LBB206_110:                            ; =>This Inner Loop Header: Depth=1
	s_load_dwordx2 s[8:9], s[4:5], 0x4
	s_load_dword s7, s[4:5], 0xc
	s_load_dwordx2 s[10:11], s[2:3], 0x0
	s_add_u32 s4, s4, 12
	s_addc_u32 s5, s5, 0
	s_waitcnt lgkmcnt(0)
	v_mul_hi_u32 v7, s9, v4
	s_add_u32 s2, s2, 8
	s_addc_u32 s3, s3, 0
	s_add_i32 s6, s6, -1
	v_add_u32_e32 v7, v4, v7
	v_lshrrev_b32_e32 v7, s7, v7
	v_mul_lo_u32 v10, v7, s8
	s_cmp_lg_u32 s6, 0
	v_sub_u32_e32 v4, v4, v10
	v_mad_u64_u32 v[18:19], s[8:9], v4, s10, v[18:19]
	v_mad_u64_u32 v[20:21], s[8:9], v4, s11, v[20:21]
	v_mov_b32_e32 v4, v7
	s_cbranch_scc1 .LBB206_110
.LBB206_111:
	s_cbranch_execnz .LBB206_114
.LBB206_112:
	s_load_dwordx4 s[4:7], s[34:35], 0x4
	s_load_dwordx2 s[2:3], s[34:35], 0xc4
	s_cmp_lt_u32 s33, 2
	s_waitcnt lgkmcnt(0)
	v_mul_hi_u32 v4, s5, v1
	v_add_u32_e32 v4, v1, v4
	v_lshrrev_b32_e32 v4, s6, v4
	v_mul_lo_u32 v7, v4, s4
	v_sub_u32_e32 v1, v1, v7
	v_mul_lo_u32 v18, v1, s2
	v_mul_lo_u32 v20, v1, s3
	s_cbranch_scc1 .LBB206_114
; %bb.113:
	s_load_dwordx4 s[4:7], s[34:35], 0x10
	s_load_dwordx2 s[2:3], s[34:35], 0xcc
	s_waitcnt lgkmcnt(0)
	v_mul_hi_u32 v1, s5, v4
	v_add_u32_e32 v1, v4, v1
	v_lshrrev_b32_e32 v1, s6, v1
	v_mul_lo_u32 v1, v1, s4
	v_sub_u32_e32 v1, v4, v1
	v_mad_u64_u32 v[18:19], s[4:5], v1, s2, v[18:19]
	v_mad_u64_u32 v[20:21], s[2:3], v1, s3, v[20:21]
.LBB206_114:
	s_and_b64 vcc, exec, s[0:1]
	s_cbranch_vccnz .LBB206_120
; %bb.115:
	s_cmp_lg_u32 s33, 0
	s_mov_b32 s24, 0
	s_cbranch_scc0 .LBB206_121
; %bb.116:
	s_min_u32 s25, s56, 15
	s_add_i32 s25, s25, 1
	s_cmp_eq_u32 s56, 2
	s_cbranch_scc1 .LBB206_122
; %bb.117:
	s_and_b32 s24, s25, 28
	s_add_u32 s20, s34, 0xc4
	s_addc_u32 s21, s35, 0
	v_mov_b32_e32 v23, 0
	s_mov_b32 s26, 0
	s_mov_b64 s[22:23], s[34:35]
	v_mov_b32_e32 v21, 0
	v_mov_b32_e32 v1, v25
.LBB206_118:                            ; =>This Inner Loop Header: Depth=1
	s_load_dwordx8 s[8:15], s[22:23], 0x4
	s_load_dwordx4 s[16:19], s[22:23], 0x24
	s_load_dwordx8 s[0:7], s[20:21], 0x0
	s_add_u32 s22, s22, 48
	s_addc_u32 s23, s23, 0
	s_waitcnt lgkmcnt(0)
	v_mul_hi_u32 v4, s9, v1
	s_add_i32 s26, s26, 4
	s_add_u32 s20, s20, 32
	s_addc_u32 s21, s21, 0
	v_add_u32_e32 v4, v1, v4
	v_lshrrev_b32_e32 v4, s10, v4
	v_mul_lo_u32 v7, v4, s8
	v_mul_hi_u32 v10, s12, v4
	s_cmp_lg_u32 s24, s26
	v_sub_u32_e32 v1, v1, v7
	v_add_u32_e32 v7, v4, v10
	v_mul_lo_u32 v10, v1, s0
	v_mul_lo_u32 v13, v1, s1
	v_lshrrev_b32_e32 v1, s13, v7
	v_mul_lo_u32 v7, v1, s11
	v_mul_hi_u32 v16, s15, v1
	v_sub_u32_e32 v4, v4, v7
	v_add_u32_e32 v7, v1, v16
	v_lshrrev_b32_e32 v7, s16, v7
	v_mul_hi_u32 v19, s18, v7
	v_mul_lo_u32 v22, v7, s14
	v_mul_lo_u32 v16, v4, s2
	;; [unrolled: 1-line block ×3, first 2 shown]
	v_sub_u32_e32 v22, v1, v22
	v_add_u32_e32 v1, v7, v19
	v_lshrrev_b32_e32 v1, s19, v1
	v_mul_lo_u32 v19, v1, s17
	v_mul_lo_u32 v24, v22, s4
	;; [unrolled: 1-line block ×3, first 2 shown]
	v_add3_u32 v10, v10, v21, v16
	v_sub_u32_e32 v7, v7, v19
	v_mul_lo_u32 v19, v7, s6
	v_mul_lo_u32 v7, v7, s7
	v_add3_u32 v4, v13, v23, v4
	v_add3_u32 v21, v24, v10, v19
	;; [unrolled: 1-line block ×3, first 2 shown]
	s_cbranch_scc1 .LBB206_118
; %bb.119:
	s_and_b32 s4, s25, 3
	s_cmp_eq_u32 s4, 0
	s_cbranch_scc0 .LBB206_123
	s_branch .LBB206_125
.LBB206_120:
                                        ; implicit-def: $vgpr21
                                        ; implicit-def: $vgpr23
	s_branch .LBB206_126
.LBB206_121:
	v_mov_b32_e32 v21, 0
	v_mov_b32_e32 v23, 0
	s_branch .LBB206_125
.LBB206_122:
	v_mov_b32_e32 v21, 0
	v_mov_b32_e32 v23, 0
	v_mov_b32_e32 v1, v25
	s_and_b32 s4, s25, 3
	s_cmp_eq_u32 s4, 0
	s_cbranch_scc1 .LBB206_125
.LBB206_123:
	s_lshl_b32 s0, s24, 3
	s_add_u32 s0, s34, s0
	s_addc_u32 s1, s35, 0
	s_add_u32 s0, s0, 0xc4
	s_addc_u32 s1, s1, 0
	s_mul_i32 s2, s24, 12
	s_add_u32 s2, s34, s2
	s_addc_u32 s3, s35, 0
.LBB206_124:                            ; =>This Inner Loop Header: Depth=1
	s_load_dwordx2 s[6:7], s[2:3], 0x4
	s_load_dword s5, s[2:3], 0xc
	s_load_dwordx2 s[8:9], s[0:1], 0x0
	s_add_u32 s2, s2, 12
	s_addc_u32 s3, s3, 0
	s_waitcnt lgkmcnt(0)
	v_mul_hi_u32 v4, s7, v1
	s_add_u32 s0, s0, 8
	s_addc_u32 s1, s1, 0
	s_add_i32 s4, s4, -1
	v_add_u32_e32 v4, v1, v4
	v_lshrrev_b32_e32 v4, s5, v4
	v_mul_lo_u32 v7, v4, s6
	s_cmp_lg_u32 s4, 0
	v_sub_u32_e32 v1, v1, v7
	v_mad_u64_u32 v[21:22], s[6:7], v1, s8, v[21:22]
	v_mad_u64_u32 v[23:24], s[6:7], v1, s9, v[23:24]
	v_mov_b32_e32 v1, v4
	s_cbranch_scc1 .LBB206_124
.LBB206_125:
	s_cbranch_execnz .LBB206_128
.LBB206_126:
	s_load_dwordx4 s[0:3], s[34:35], 0x4
	s_load_dwordx2 s[4:5], s[34:35], 0xc4
	s_cmp_lt_u32 s33, 2
	s_waitcnt lgkmcnt(0)
	v_mul_hi_u32 v1, s1, v25
	v_add_u32_e32 v1, v25, v1
	v_lshrrev_b32_e32 v1, s2, v1
	v_mul_lo_u32 v4, v1, s0
	v_sub_u32_e32 v4, v25, v4
	v_mul_lo_u32 v21, v4, s4
	v_mul_lo_u32 v23, v4, s5
	s_cbranch_scc1 .LBB206_128
; %bb.127:
	s_load_dwordx4 s[0:3], s[34:35], 0x10
	s_load_dwordx2 s[4:5], s[34:35], 0xcc
	s_waitcnt lgkmcnt(0)
	v_mul_hi_u32 v4, s1, v1
	v_add_u32_e32 v4, v1, v4
	v_lshrrev_b32_e32 v4, s2, v4
	v_mul_lo_u32 v4, v4, s0
	v_sub_u32_e32 v1, v1, v4
	v_mad_u64_u32 v[21:22], s[0:1], v1, s4, v[21:22]
	v_mad_u64_u32 v[23:24], s[0:1], v1, s5, v[23:24]
.LBB206_128:
	s_load_dwordx4 s[4:7], s[34:35], 0x148
	s_load_dwordx2 s[8:9], s[34:35], 0x158
	s_waitcnt lgkmcnt(0)
	global_load_ushort v1, v20, s[6:7]
	global_load_ushort v4, v17, s[6:7]
	;; [unrolled: 1-line block ×8, first 2 shown]
	s_lshr_b32 s0, s8, 16
	v_mov_b32_e32 v2, s9
	v_mov_b32_e32 v5, s0
	s_waitcnt vmcnt(7)
	v_cmp_ge_f16_e32 vcc, s8, v1
	s_waitcnt vmcnt(5)
	v_cmp_ge_f16_e64 s[0:1], s8, v7
	s_waitcnt vmcnt(4)
	v_cmp_ge_f16_e64 s[2:3], s8, v10
	v_cndmask_b32_e64 v1, v2, v5, s[2:3]
	s_waitcnt vmcnt(3)
	v_cmp_ge_f16_e64 s[2:3], s8, v13
	v_cndmask_b32_e64 v7, v2, v5, s[2:3]
	;; [unrolled: 3-line block ×5, first 2 shown]
	v_cmp_ge_f16_e64 s[2:3], s8, v4
	v_cndmask_b32_e64 v4, v2, v5, s[2:3]
	v_cndmask_b32_e32 v13, v2, v5, vcc
	v_cndmask_b32_e64 v2, v2, v5, s[0:1]
	global_store_short v0, v1, s[4:5]
	global_store_short v3, v7, s[4:5]
	;; [unrolled: 1-line block ×8, first 2 shown]
	s_endpgm
.LBB206_129:
	v_mov_b32_e32 v0, 0
	v_mov_b32_e32 v2, 0
	s_branch .LBB206_135
.LBB206_130:
	v_mov_b32_e32 v0, 0
	v_mov_b32_e32 v2, 0
	s_branch .LBB206_151
.LBB206_131:
	s_mov_b32 s60, 0
	v_mov_b32_e32 v0, 0
	v_mov_b32_e32 v2, 0
	;; [unrolled: 1-line block ×3, first 2 shown]
.LBB206_132:
	s_and_b32 s4, s61, 3
	s_cmp_eq_u32 s4, 0
	s_cbranch_scc1 .LBB206_135
; %bb.133:
	s_lshl_b32 s0, s60, 3
	s_add_u32 s0, s34, s0
	s_addc_u32 s1, s35, 0
	s_add_u32 s0, s0, 0xc4
	s_addc_u32 s1, s1, 0
	s_mul_i32 s2, s60, 12
	s_add_u32 s2, s34, s2
	s_addc_u32 s3, s35, 0
.LBB206_134:                            ; =>This Inner Loop Header: Depth=1
	s_load_dwordx2 s[6:7], s[2:3], 0x4
	s_load_dword s5, s[2:3], 0xc
	s_load_dwordx2 s[8:9], s[0:1], 0x0
	s_add_u32 s2, s2, 12
	s_addc_u32 s3, s3, 0
	s_waitcnt lgkmcnt(0)
	v_mul_hi_u32 v3, s7, v1
	s_add_u32 s0, s0, 8
	s_addc_u32 s1, s1, 0
	s_add_i32 s4, s4, -1
	v_add_u32_e32 v3, v1, v3
	v_lshrrev_b32_e32 v4, s5, v3
	v_mul_lo_u32 v3, v4, s6
	s_cmp_lg_u32 s4, 0
	v_sub_u32_e32 v3, v1, v3
	v_mad_u64_u32 v[0:1], s[6:7], v3, s8, v[0:1]
	v_mad_u64_u32 v[2:3], s[6:7], v3, s9, v[2:3]
	v_mov_b32_e32 v1, v4
	s_cbranch_scc1 .LBB206_134
.LBB206_135:
	s_cbranch_execnz .LBB206_138
.LBB206_136:
	v_mul_hi_u32 v0, s21, v19
	s_andn2_b64 vcc, exec, s[44:45]
	v_add_u32_e32 v0, v19, v0
	v_lshrrev_b32_e32 v1, s22, v0
	v_mul_lo_u32 v0, v1, s20
	v_sub_u32_e32 v2, v19, v0
	v_mul_lo_u32 v0, v2, s24
	v_mul_lo_u32 v2, v2, s25
	s_cbranch_vccnz .LBB206_138
; %bb.137:
	v_mul_hi_u32 v3, s42, v1
	v_add_u32_e32 v3, v1, v3
	v_lshrrev_b32_e32 v3, s43, v3
	v_mul_lo_u32 v3, v3, s23
	v_sub_u32_e32 v3, v1, v3
	v_mad_u64_u32 v[0:1], s[0:1], v3, s26, v[0:1]
	v_mad_u64_u32 v[2:3], s[0:1], v3, s27, v[2:3]
.LBB206_138:
	global_load_ushort v1, v2, s[18:19]
	v_mov_b32_e32 v2, s41
	v_mov_b32_e32 v3, s57
	v_add_u32_e32 v19, 0x80, v19
	s_waitcnt vmcnt(0)
	v_cmp_ge_f16_e32 vcc, s40, v1
	v_cndmask_b32_e32 v1, v2, v3, vcc
	global_store_short v0, v1, s[16:17]
	s_or_b64 exec, exec, s[50:51]
	v_cmp_gt_i32_e32 vcc, s58, v19
	s_and_saveexec_b64 s[50:51], vcc
	s_cbranch_execnz .LBB206_15
.LBB206_139:
	s_or_b64 exec, exec, s[50:51]
	v_cmp_gt_i32_e32 vcc, s58, v19
	s_and_saveexec_b64 s[50:51], vcc
	s_cbranch_execz .LBB206_155
.LBB206_140:
	s_andn2_b64 vcc, exec, s[36:37]
	s_cbranch_vccnz .LBB206_145
; %bb.141:
	s_andn2_b64 vcc, exec, s[48:49]
	s_cbranch_vccnz .LBB206_146
; %bb.142:
	s_add_i32 s61, s59, 1
	s_cmp_eq_u32 s56, 2
	s_cbranch_scc1 .LBB206_163
; %bb.143:
	s_and_b32 s60, s61, 28
	v_mov_b32_e32 v2, 0
	s_mov_b32 s62, 0
	s_mov_b64 s[52:53], s[34:35]
	s_mov_b64 s[54:55], s[46:47]
	v_mov_b32_e32 v0, 0
	v_mov_b32_e32 v1, v19
.LBB206_144:                            ; =>This Inner Loop Header: Depth=1
	s_load_dwordx8 s[8:15], s[52:53], 0x4
	s_load_dwordx4 s[28:31], s[52:53], 0x24
	s_load_dwordx8 s[0:7], s[54:55], 0x0
	s_add_u32 s52, s52, 48
	s_addc_u32 s53, s53, 0
	s_waitcnt lgkmcnt(0)
	v_mul_hi_u32 v3, s9, v1
	s_add_i32 s62, s62, 4
	s_add_u32 s54, s54, 32
	s_addc_u32 s55, s55, 0
	v_add_u32_e32 v3, v1, v3
	v_lshrrev_b32_e32 v3, s10, v3
	v_mul_lo_u32 v4, v3, s8
	v_mul_hi_u32 v5, s12, v3
	s_cmp_eq_u32 s60, s62
	v_sub_u32_e32 v1, v1, v4
	v_add_u32_e32 v4, v3, v5
	v_mul_lo_u32 v5, v1, s0
	v_mul_lo_u32 v6, v1, s1
	v_lshrrev_b32_e32 v1, s13, v4
	v_mul_lo_u32 v4, v1, s11
	v_mul_hi_u32 v7, s15, v1
	v_sub_u32_e32 v3, v3, v4
	v_add_u32_e32 v4, v1, v7
	v_lshrrev_b32_e32 v4, s28, v4
	v_mul_hi_u32 v8, s30, v4
	v_mul_lo_u32 v9, v4, s14
	v_mul_lo_u32 v7, v3, s2
	;; [unrolled: 1-line block ×3, first 2 shown]
	v_sub_u32_e32 v9, v1, v9
	v_add_u32_e32 v1, v4, v8
	v_lshrrev_b32_e32 v1, s31, v1
	v_mul_lo_u32 v8, v1, s29
	v_mul_lo_u32 v10, v9, s4
	;; [unrolled: 1-line block ×3, first 2 shown]
	v_add3_u32 v0, v5, v0, v7
	v_sub_u32_e32 v4, v4, v8
	v_mul_lo_u32 v8, v4, s6
	v_mul_lo_u32 v4, v4, s7
	v_add3_u32 v2, v6, v2, v3
	v_add3_u32 v0, v10, v0, v8
	;; [unrolled: 1-line block ×3, first 2 shown]
	s_cbranch_scc0 .LBB206_144
	s_branch .LBB206_164
.LBB206_145:
                                        ; implicit-def: $vgpr0
                                        ; implicit-def: $vgpr2
	s_branch .LBB206_168
.LBB206_146:
	v_mov_b32_e32 v0, 0
	v_mov_b32_e32 v2, 0
	s_branch .LBB206_167
.LBB206_147:
	s_mov_b32 s60, 0
	v_mov_b32_e32 v0, 0
	v_mov_b32_e32 v2, 0
	;; [unrolled: 1-line block ×3, first 2 shown]
.LBB206_148:
	s_and_b32 s4, s61, 3
	s_cmp_eq_u32 s4, 0
	s_cbranch_scc1 .LBB206_151
; %bb.149:
	s_lshl_b32 s0, s60, 3
	s_add_u32 s0, s34, s0
	s_addc_u32 s1, s35, 0
	s_add_u32 s0, s0, 0xc4
	s_addc_u32 s1, s1, 0
	s_mul_i32 s2, s60, 12
	s_add_u32 s2, s34, s2
	s_addc_u32 s3, s35, 0
.LBB206_150:                            ; =>This Inner Loop Header: Depth=1
	s_load_dwordx2 s[6:7], s[2:3], 0x4
	s_load_dword s5, s[2:3], 0xc
	s_load_dwordx2 s[8:9], s[0:1], 0x0
	s_add_u32 s2, s2, 12
	s_addc_u32 s3, s3, 0
	s_waitcnt lgkmcnt(0)
	v_mul_hi_u32 v3, s7, v1
	s_add_u32 s0, s0, 8
	s_addc_u32 s1, s1, 0
	s_add_i32 s4, s4, -1
	v_add_u32_e32 v3, v1, v3
	v_lshrrev_b32_e32 v4, s5, v3
	v_mul_lo_u32 v3, v4, s6
	s_cmp_lg_u32 s4, 0
	v_sub_u32_e32 v3, v1, v3
	v_mad_u64_u32 v[0:1], s[6:7], v3, s8, v[0:1]
	v_mad_u64_u32 v[2:3], s[6:7], v3, s9, v[2:3]
	v_mov_b32_e32 v1, v4
	s_cbranch_scc1 .LBB206_150
.LBB206_151:
	s_cbranch_execnz .LBB206_154
.LBB206_152:
	v_mul_hi_u32 v0, s21, v19
	s_andn2_b64 vcc, exec, s[44:45]
	v_add_u32_e32 v0, v19, v0
	v_lshrrev_b32_e32 v1, s22, v0
	v_mul_lo_u32 v0, v1, s20
	v_sub_u32_e32 v2, v19, v0
	v_mul_lo_u32 v0, v2, s24
	v_mul_lo_u32 v2, v2, s25
	s_cbranch_vccnz .LBB206_154
; %bb.153:
	v_mul_hi_u32 v3, s42, v1
	v_add_u32_e32 v3, v1, v3
	v_lshrrev_b32_e32 v3, s43, v3
	v_mul_lo_u32 v3, v3, s23
	v_sub_u32_e32 v3, v1, v3
	v_mad_u64_u32 v[0:1], s[0:1], v3, s26, v[0:1]
	v_mad_u64_u32 v[2:3], s[0:1], v3, s27, v[2:3]
.LBB206_154:
	global_load_ushort v1, v2, s[18:19]
	v_mov_b32_e32 v2, s41
	v_mov_b32_e32 v3, s57
	v_add_u32_e32 v19, 0x80, v19
	s_waitcnt vmcnt(0)
	v_cmp_ge_f16_e32 vcc, s40, v1
	v_cndmask_b32_e32 v1, v2, v3, vcc
	global_store_short v0, v1, s[16:17]
	s_or_b64 exec, exec, s[50:51]
	v_cmp_gt_i32_e32 vcc, s58, v19
	s_and_saveexec_b64 s[50:51], vcc
	s_cbranch_execnz .LBB206_140
.LBB206_155:
	s_or_b64 exec, exec, s[50:51]
	v_cmp_gt_i32_e32 vcc, s58, v19
	s_and_saveexec_b64 s[50:51], vcc
	s_cbranch_execz .LBB206_171
.LBB206_156:
	s_andn2_b64 vcc, exec, s[36:37]
	s_cbranch_vccnz .LBB206_161
; %bb.157:
	s_andn2_b64 vcc, exec, s[48:49]
	s_cbranch_vccnz .LBB206_162
; %bb.158:
	s_add_i32 s61, s59, 1
	s_cmp_eq_u32 s56, 2
	s_cbranch_scc1 .LBB206_179
; %bb.159:
	s_and_b32 s60, s61, 28
	v_mov_b32_e32 v2, 0
	s_mov_b32 s62, 0
	s_mov_b64 s[52:53], s[34:35]
	s_mov_b64 s[54:55], s[46:47]
	v_mov_b32_e32 v0, 0
	v_mov_b32_e32 v1, v19
.LBB206_160:                            ; =>This Inner Loop Header: Depth=1
	s_load_dwordx8 s[8:15], s[52:53], 0x4
	s_load_dwordx4 s[28:31], s[52:53], 0x24
	s_load_dwordx8 s[0:7], s[54:55], 0x0
	s_add_u32 s52, s52, 48
	s_addc_u32 s53, s53, 0
	s_waitcnt lgkmcnt(0)
	v_mul_hi_u32 v3, s9, v1
	s_add_i32 s62, s62, 4
	s_add_u32 s54, s54, 32
	s_addc_u32 s55, s55, 0
	v_add_u32_e32 v3, v1, v3
	v_lshrrev_b32_e32 v3, s10, v3
	v_mul_lo_u32 v4, v3, s8
	v_mul_hi_u32 v5, s12, v3
	s_cmp_eq_u32 s60, s62
	v_sub_u32_e32 v1, v1, v4
	v_add_u32_e32 v4, v3, v5
	v_mul_lo_u32 v5, v1, s0
	v_mul_lo_u32 v6, v1, s1
	v_lshrrev_b32_e32 v1, s13, v4
	v_mul_lo_u32 v4, v1, s11
	v_mul_hi_u32 v7, s15, v1
	v_sub_u32_e32 v3, v3, v4
	v_add_u32_e32 v4, v1, v7
	v_lshrrev_b32_e32 v4, s28, v4
	v_mul_hi_u32 v8, s30, v4
	v_mul_lo_u32 v9, v4, s14
	v_mul_lo_u32 v7, v3, s2
	;; [unrolled: 1-line block ×3, first 2 shown]
	v_sub_u32_e32 v9, v1, v9
	v_add_u32_e32 v1, v4, v8
	v_lshrrev_b32_e32 v1, s31, v1
	v_mul_lo_u32 v8, v1, s29
	v_mul_lo_u32 v10, v9, s4
	;; [unrolled: 1-line block ×3, first 2 shown]
	v_add3_u32 v0, v5, v0, v7
	v_sub_u32_e32 v4, v4, v8
	v_mul_lo_u32 v8, v4, s6
	v_mul_lo_u32 v4, v4, s7
	v_add3_u32 v2, v6, v2, v3
	v_add3_u32 v0, v10, v0, v8
	;; [unrolled: 1-line block ×3, first 2 shown]
	s_cbranch_scc0 .LBB206_160
	s_branch .LBB206_180
.LBB206_161:
                                        ; implicit-def: $vgpr0
                                        ; implicit-def: $vgpr2
	s_branch .LBB206_184
.LBB206_162:
	v_mov_b32_e32 v0, 0
	v_mov_b32_e32 v2, 0
	s_branch .LBB206_183
.LBB206_163:
	s_mov_b32 s60, 0
	v_mov_b32_e32 v0, 0
	v_mov_b32_e32 v2, 0
	v_mov_b32_e32 v1, v19
.LBB206_164:
	s_and_b32 s4, s61, 3
	s_cmp_eq_u32 s4, 0
	s_cbranch_scc1 .LBB206_167
; %bb.165:
	s_lshl_b32 s0, s60, 3
	s_add_u32 s0, s34, s0
	s_addc_u32 s1, s35, 0
	s_add_u32 s0, s0, 0xc4
	s_addc_u32 s1, s1, 0
	s_mul_i32 s2, s60, 12
	s_add_u32 s2, s34, s2
	s_addc_u32 s3, s35, 0
.LBB206_166:                            ; =>This Inner Loop Header: Depth=1
	s_load_dwordx2 s[6:7], s[2:3], 0x4
	s_load_dword s5, s[2:3], 0xc
	s_load_dwordx2 s[8:9], s[0:1], 0x0
	s_add_u32 s2, s2, 12
	s_addc_u32 s3, s3, 0
	s_waitcnt lgkmcnt(0)
	v_mul_hi_u32 v3, s7, v1
	s_add_u32 s0, s0, 8
	s_addc_u32 s1, s1, 0
	s_add_i32 s4, s4, -1
	v_add_u32_e32 v3, v1, v3
	v_lshrrev_b32_e32 v4, s5, v3
	v_mul_lo_u32 v3, v4, s6
	s_cmp_lg_u32 s4, 0
	v_sub_u32_e32 v3, v1, v3
	v_mad_u64_u32 v[0:1], s[6:7], v3, s8, v[0:1]
	v_mad_u64_u32 v[2:3], s[6:7], v3, s9, v[2:3]
	v_mov_b32_e32 v1, v4
	s_cbranch_scc1 .LBB206_166
.LBB206_167:
	s_cbranch_execnz .LBB206_170
.LBB206_168:
	v_mul_hi_u32 v0, s21, v19
	s_andn2_b64 vcc, exec, s[44:45]
	v_add_u32_e32 v0, v19, v0
	v_lshrrev_b32_e32 v1, s22, v0
	v_mul_lo_u32 v0, v1, s20
	v_sub_u32_e32 v2, v19, v0
	v_mul_lo_u32 v0, v2, s24
	v_mul_lo_u32 v2, v2, s25
	s_cbranch_vccnz .LBB206_170
; %bb.169:
	v_mul_hi_u32 v3, s42, v1
	v_add_u32_e32 v3, v1, v3
	v_lshrrev_b32_e32 v3, s43, v3
	v_mul_lo_u32 v3, v3, s23
	v_sub_u32_e32 v3, v1, v3
	v_mad_u64_u32 v[0:1], s[0:1], v3, s26, v[0:1]
	v_mad_u64_u32 v[2:3], s[0:1], v3, s27, v[2:3]
.LBB206_170:
	global_load_ushort v1, v2, s[18:19]
	v_mov_b32_e32 v2, s41
	v_mov_b32_e32 v3, s57
	v_add_u32_e32 v19, 0x80, v19
	s_waitcnt vmcnt(0)
	v_cmp_ge_f16_e32 vcc, s40, v1
	v_cndmask_b32_e32 v1, v2, v3, vcc
	global_store_short v0, v1, s[16:17]
	s_or_b64 exec, exec, s[50:51]
	v_cmp_gt_i32_e32 vcc, s58, v19
	s_and_saveexec_b64 s[50:51], vcc
	s_cbranch_execnz .LBB206_156
.LBB206_171:
	s_or_b64 exec, exec, s[50:51]
	v_cmp_gt_i32_e32 vcc, s58, v19
	s_and_saveexec_b64 s[50:51], vcc
	s_cbranch_execz .LBB206_187
.LBB206_172:
	s_andn2_b64 vcc, exec, s[36:37]
	s_cbranch_vccnz .LBB206_177
; %bb.173:
	s_andn2_b64 vcc, exec, s[48:49]
	s_cbranch_vccnz .LBB206_178
; %bb.174:
	s_add_i32 s61, s59, 1
	s_cmp_eq_u32 s56, 2
	s_cbranch_scc1 .LBB206_195
; %bb.175:
	s_and_b32 s60, s61, 28
	v_mov_b32_e32 v2, 0
	s_mov_b32 s62, 0
	s_mov_b64 s[52:53], s[34:35]
	s_mov_b64 s[54:55], s[46:47]
	v_mov_b32_e32 v0, 0
	v_mov_b32_e32 v1, v19
.LBB206_176:                            ; =>This Inner Loop Header: Depth=1
	s_load_dwordx8 s[8:15], s[52:53], 0x4
	s_load_dwordx4 s[28:31], s[52:53], 0x24
	s_load_dwordx8 s[0:7], s[54:55], 0x0
	s_add_u32 s52, s52, 48
	s_addc_u32 s53, s53, 0
	s_waitcnt lgkmcnt(0)
	v_mul_hi_u32 v3, s9, v1
	s_add_i32 s62, s62, 4
	s_add_u32 s54, s54, 32
	s_addc_u32 s55, s55, 0
	v_add_u32_e32 v3, v1, v3
	v_lshrrev_b32_e32 v3, s10, v3
	v_mul_lo_u32 v4, v3, s8
	v_mul_hi_u32 v5, s12, v3
	s_cmp_eq_u32 s60, s62
	v_sub_u32_e32 v1, v1, v4
	v_add_u32_e32 v4, v3, v5
	v_mul_lo_u32 v5, v1, s0
	v_mul_lo_u32 v6, v1, s1
	v_lshrrev_b32_e32 v1, s13, v4
	v_mul_lo_u32 v4, v1, s11
	v_mul_hi_u32 v7, s15, v1
	v_sub_u32_e32 v3, v3, v4
	v_add_u32_e32 v4, v1, v7
	v_lshrrev_b32_e32 v4, s28, v4
	v_mul_hi_u32 v8, s30, v4
	v_mul_lo_u32 v9, v4, s14
	v_mul_lo_u32 v7, v3, s2
	;; [unrolled: 1-line block ×3, first 2 shown]
	v_sub_u32_e32 v9, v1, v9
	v_add_u32_e32 v1, v4, v8
	v_lshrrev_b32_e32 v1, s31, v1
	v_mul_lo_u32 v8, v1, s29
	v_mul_lo_u32 v10, v9, s4
	;; [unrolled: 1-line block ×3, first 2 shown]
	v_add3_u32 v0, v5, v0, v7
	v_sub_u32_e32 v4, v4, v8
	v_mul_lo_u32 v8, v4, s6
	v_mul_lo_u32 v4, v4, s7
	v_add3_u32 v2, v6, v2, v3
	v_add3_u32 v0, v10, v0, v8
	;; [unrolled: 1-line block ×3, first 2 shown]
	s_cbranch_scc0 .LBB206_176
	s_branch .LBB206_196
.LBB206_177:
                                        ; implicit-def: $vgpr0
                                        ; implicit-def: $vgpr2
	s_branch .LBB206_200
.LBB206_178:
	v_mov_b32_e32 v0, 0
	v_mov_b32_e32 v2, 0
	s_branch .LBB206_199
.LBB206_179:
	s_mov_b32 s60, 0
	v_mov_b32_e32 v0, 0
	v_mov_b32_e32 v2, 0
	;; [unrolled: 1-line block ×3, first 2 shown]
.LBB206_180:
	s_and_b32 s4, s61, 3
	s_cmp_eq_u32 s4, 0
	s_cbranch_scc1 .LBB206_183
; %bb.181:
	s_lshl_b32 s0, s60, 3
	s_add_u32 s0, s34, s0
	s_addc_u32 s1, s35, 0
	s_add_u32 s0, s0, 0xc4
	s_addc_u32 s1, s1, 0
	s_mul_i32 s2, s60, 12
	s_add_u32 s2, s34, s2
	s_addc_u32 s3, s35, 0
.LBB206_182:                            ; =>This Inner Loop Header: Depth=1
	s_load_dwordx2 s[6:7], s[2:3], 0x4
	s_load_dword s5, s[2:3], 0xc
	s_load_dwordx2 s[8:9], s[0:1], 0x0
	s_add_u32 s2, s2, 12
	s_addc_u32 s3, s3, 0
	s_waitcnt lgkmcnt(0)
	v_mul_hi_u32 v3, s7, v1
	s_add_u32 s0, s0, 8
	s_addc_u32 s1, s1, 0
	s_add_i32 s4, s4, -1
	v_add_u32_e32 v3, v1, v3
	v_lshrrev_b32_e32 v4, s5, v3
	v_mul_lo_u32 v3, v4, s6
	s_cmp_lg_u32 s4, 0
	v_sub_u32_e32 v3, v1, v3
	v_mad_u64_u32 v[0:1], s[6:7], v3, s8, v[0:1]
	v_mad_u64_u32 v[2:3], s[6:7], v3, s9, v[2:3]
	v_mov_b32_e32 v1, v4
	s_cbranch_scc1 .LBB206_182
.LBB206_183:
	s_cbranch_execnz .LBB206_186
.LBB206_184:
	v_mul_hi_u32 v0, s21, v19
	s_andn2_b64 vcc, exec, s[44:45]
	v_add_u32_e32 v0, v19, v0
	v_lshrrev_b32_e32 v1, s22, v0
	v_mul_lo_u32 v0, v1, s20
	v_sub_u32_e32 v2, v19, v0
	v_mul_lo_u32 v0, v2, s24
	v_mul_lo_u32 v2, v2, s25
	s_cbranch_vccnz .LBB206_186
; %bb.185:
	v_mul_hi_u32 v3, s42, v1
	v_add_u32_e32 v3, v1, v3
	v_lshrrev_b32_e32 v3, s43, v3
	v_mul_lo_u32 v3, v3, s23
	v_sub_u32_e32 v3, v1, v3
	v_mad_u64_u32 v[0:1], s[0:1], v3, s26, v[0:1]
	v_mad_u64_u32 v[2:3], s[0:1], v3, s27, v[2:3]
.LBB206_186:
	global_load_ushort v1, v2, s[18:19]
	v_mov_b32_e32 v2, s41
	v_mov_b32_e32 v3, s57
	v_add_u32_e32 v19, 0x80, v19
	s_waitcnt vmcnt(0)
	v_cmp_ge_f16_e32 vcc, s40, v1
	v_cndmask_b32_e32 v1, v2, v3, vcc
	global_store_short v0, v1, s[16:17]
	s_or_b64 exec, exec, s[50:51]
	v_cmp_gt_i32_e32 vcc, s58, v19
	s_and_saveexec_b64 s[50:51], vcc
	s_cbranch_execnz .LBB206_172
.LBB206_187:
	s_or_b64 exec, exec, s[50:51]
	v_cmp_gt_i32_e32 vcc, s58, v19
	s_and_saveexec_b64 s[50:51], vcc
	s_cbranch_execz .LBB206_203
.LBB206_188:
	s_andn2_b64 vcc, exec, s[36:37]
	s_cbranch_vccnz .LBB206_193
; %bb.189:
	s_andn2_b64 vcc, exec, s[48:49]
	s_cbranch_vccnz .LBB206_194
; %bb.190:
	s_add_i32 s61, s59, 1
	s_cmp_eq_u32 s56, 2
	s_cbranch_scc1 .LBB206_211
; %bb.191:
	s_and_b32 s60, s61, 28
	v_mov_b32_e32 v2, 0
	s_mov_b32 s62, 0
	s_mov_b64 s[52:53], s[34:35]
	s_mov_b64 s[54:55], s[46:47]
	v_mov_b32_e32 v0, 0
	v_mov_b32_e32 v1, v19
.LBB206_192:                            ; =>This Inner Loop Header: Depth=1
	s_load_dwordx8 s[8:15], s[52:53], 0x4
	s_load_dwordx4 s[28:31], s[52:53], 0x24
	s_load_dwordx8 s[0:7], s[54:55], 0x0
	s_add_u32 s52, s52, 48
	s_addc_u32 s53, s53, 0
	s_waitcnt lgkmcnt(0)
	v_mul_hi_u32 v3, s9, v1
	s_add_i32 s62, s62, 4
	s_add_u32 s54, s54, 32
	s_addc_u32 s55, s55, 0
	v_add_u32_e32 v3, v1, v3
	v_lshrrev_b32_e32 v3, s10, v3
	v_mul_lo_u32 v4, v3, s8
	v_mul_hi_u32 v5, s12, v3
	s_cmp_eq_u32 s60, s62
	v_sub_u32_e32 v1, v1, v4
	v_add_u32_e32 v4, v3, v5
	v_mul_lo_u32 v5, v1, s0
	v_mul_lo_u32 v6, v1, s1
	v_lshrrev_b32_e32 v1, s13, v4
	v_mul_lo_u32 v4, v1, s11
	v_mul_hi_u32 v7, s15, v1
	v_sub_u32_e32 v3, v3, v4
	v_add_u32_e32 v4, v1, v7
	v_lshrrev_b32_e32 v4, s28, v4
	v_mul_hi_u32 v8, s30, v4
	v_mul_lo_u32 v9, v4, s14
	v_mul_lo_u32 v7, v3, s2
	;; [unrolled: 1-line block ×3, first 2 shown]
	v_sub_u32_e32 v9, v1, v9
	v_add_u32_e32 v1, v4, v8
	v_lshrrev_b32_e32 v1, s31, v1
	v_mul_lo_u32 v8, v1, s29
	v_mul_lo_u32 v10, v9, s4
	;; [unrolled: 1-line block ×3, first 2 shown]
	v_add3_u32 v0, v5, v0, v7
	v_sub_u32_e32 v4, v4, v8
	v_mul_lo_u32 v8, v4, s6
	v_mul_lo_u32 v4, v4, s7
	v_add3_u32 v2, v6, v2, v3
	v_add3_u32 v0, v10, v0, v8
	;; [unrolled: 1-line block ×3, first 2 shown]
	s_cbranch_scc0 .LBB206_192
	s_branch .LBB206_212
.LBB206_193:
                                        ; implicit-def: $vgpr0
                                        ; implicit-def: $vgpr2
	s_branch .LBB206_216
.LBB206_194:
	v_mov_b32_e32 v0, 0
	v_mov_b32_e32 v2, 0
	s_branch .LBB206_215
.LBB206_195:
	s_mov_b32 s60, 0
	v_mov_b32_e32 v0, 0
	v_mov_b32_e32 v2, 0
	;; [unrolled: 1-line block ×3, first 2 shown]
.LBB206_196:
	s_and_b32 s4, s61, 3
	s_cmp_eq_u32 s4, 0
	s_cbranch_scc1 .LBB206_199
; %bb.197:
	s_lshl_b32 s0, s60, 3
	s_add_u32 s0, s34, s0
	s_addc_u32 s1, s35, 0
	s_add_u32 s0, s0, 0xc4
	s_addc_u32 s1, s1, 0
	s_mul_i32 s2, s60, 12
	s_add_u32 s2, s34, s2
	s_addc_u32 s3, s35, 0
.LBB206_198:                            ; =>This Inner Loop Header: Depth=1
	s_load_dwordx2 s[6:7], s[2:3], 0x4
	s_load_dword s5, s[2:3], 0xc
	s_load_dwordx2 s[8:9], s[0:1], 0x0
	s_add_u32 s2, s2, 12
	s_addc_u32 s3, s3, 0
	s_waitcnt lgkmcnt(0)
	v_mul_hi_u32 v3, s7, v1
	s_add_u32 s0, s0, 8
	s_addc_u32 s1, s1, 0
	s_add_i32 s4, s4, -1
	v_add_u32_e32 v3, v1, v3
	v_lshrrev_b32_e32 v4, s5, v3
	v_mul_lo_u32 v3, v4, s6
	s_cmp_lg_u32 s4, 0
	v_sub_u32_e32 v3, v1, v3
	v_mad_u64_u32 v[0:1], s[6:7], v3, s8, v[0:1]
	v_mad_u64_u32 v[2:3], s[6:7], v3, s9, v[2:3]
	v_mov_b32_e32 v1, v4
	s_cbranch_scc1 .LBB206_198
.LBB206_199:
	s_cbranch_execnz .LBB206_202
.LBB206_200:
	v_mul_hi_u32 v0, s21, v19
	s_andn2_b64 vcc, exec, s[44:45]
	v_add_u32_e32 v0, v19, v0
	v_lshrrev_b32_e32 v1, s22, v0
	v_mul_lo_u32 v0, v1, s20
	v_sub_u32_e32 v2, v19, v0
	v_mul_lo_u32 v0, v2, s24
	v_mul_lo_u32 v2, v2, s25
	s_cbranch_vccnz .LBB206_202
; %bb.201:
	v_mul_hi_u32 v3, s42, v1
	v_add_u32_e32 v3, v1, v3
	v_lshrrev_b32_e32 v3, s43, v3
	v_mul_lo_u32 v3, v3, s23
	v_sub_u32_e32 v3, v1, v3
	v_mad_u64_u32 v[0:1], s[0:1], v3, s26, v[0:1]
	v_mad_u64_u32 v[2:3], s[0:1], v3, s27, v[2:3]
.LBB206_202:
	global_load_ushort v1, v2, s[18:19]
	v_mov_b32_e32 v2, s41
	v_mov_b32_e32 v3, s57
	v_add_u32_e32 v19, 0x80, v19
	s_waitcnt vmcnt(0)
	v_cmp_ge_f16_e32 vcc, s40, v1
	v_cndmask_b32_e32 v1, v2, v3, vcc
	global_store_short v0, v1, s[16:17]
	s_or_b64 exec, exec, s[50:51]
	v_cmp_gt_i32_e32 vcc, s58, v19
	s_and_saveexec_b64 s[50:51], vcc
	s_cbranch_execnz .LBB206_188
.LBB206_203:
	s_or_b64 exec, exec, s[50:51]
	v_cmp_gt_i32_e32 vcc, s58, v19
	s_and_saveexec_b64 s[50:51], vcc
	s_cbranch_execz .LBB206_219
.LBB206_204:
	s_andn2_b64 vcc, exec, s[36:37]
	s_cbranch_vccnz .LBB206_209
; %bb.205:
	s_andn2_b64 vcc, exec, s[48:49]
	s_cbranch_vccnz .LBB206_210
; %bb.206:
	s_add_i32 s61, s59, 1
	s_cmp_eq_u32 s56, 2
	s_cbranch_scc1 .LBB206_222
; %bb.207:
	s_and_b32 s60, s61, 28
	v_mov_b32_e32 v2, 0
	s_mov_b32 s62, 0
	s_mov_b64 s[52:53], s[34:35]
	s_mov_b64 s[54:55], s[46:47]
	v_mov_b32_e32 v0, 0
	v_mov_b32_e32 v1, v19
.LBB206_208:                            ; =>This Inner Loop Header: Depth=1
	s_load_dwordx8 s[8:15], s[52:53], 0x4
	s_load_dwordx4 s[28:31], s[52:53], 0x24
	s_load_dwordx8 s[0:7], s[54:55], 0x0
	s_add_u32 s52, s52, 48
	s_addc_u32 s53, s53, 0
	s_waitcnt lgkmcnt(0)
	v_mul_hi_u32 v3, s9, v1
	s_add_i32 s62, s62, 4
	s_add_u32 s54, s54, 32
	s_addc_u32 s55, s55, 0
	v_add_u32_e32 v3, v1, v3
	v_lshrrev_b32_e32 v3, s10, v3
	v_mul_lo_u32 v4, v3, s8
	v_mul_hi_u32 v5, s12, v3
	s_cmp_eq_u32 s60, s62
	v_sub_u32_e32 v1, v1, v4
	v_add_u32_e32 v4, v3, v5
	v_mul_lo_u32 v5, v1, s0
	v_mul_lo_u32 v6, v1, s1
	v_lshrrev_b32_e32 v1, s13, v4
	v_mul_lo_u32 v4, v1, s11
	v_mul_hi_u32 v7, s15, v1
	v_sub_u32_e32 v3, v3, v4
	v_add_u32_e32 v4, v1, v7
	v_lshrrev_b32_e32 v4, s28, v4
	v_mul_hi_u32 v8, s30, v4
	v_mul_lo_u32 v9, v4, s14
	v_mul_lo_u32 v7, v3, s2
	;; [unrolled: 1-line block ×3, first 2 shown]
	v_sub_u32_e32 v9, v1, v9
	v_add_u32_e32 v1, v4, v8
	v_lshrrev_b32_e32 v1, s31, v1
	v_mul_lo_u32 v8, v1, s29
	v_mul_lo_u32 v10, v9, s4
	;; [unrolled: 1-line block ×3, first 2 shown]
	v_add3_u32 v0, v5, v0, v7
	v_sub_u32_e32 v4, v4, v8
	v_mul_lo_u32 v8, v4, s6
	v_mul_lo_u32 v4, v4, s7
	v_add3_u32 v2, v6, v2, v3
	v_add3_u32 v0, v10, v0, v8
	;; [unrolled: 1-line block ×3, first 2 shown]
	s_cbranch_scc0 .LBB206_208
	s_branch .LBB206_223
.LBB206_209:
                                        ; implicit-def: $vgpr0
                                        ; implicit-def: $vgpr2
	s_branch .LBB206_227
.LBB206_210:
	v_mov_b32_e32 v0, 0
	v_mov_b32_e32 v2, 0
	s_branch .LBB206_226
.LBB206_211:
	s_mov_b32 s60, 0
	v_mov_b32_e32 v0, 0
	v_mov_b32_e32 v2, 0
	;; [unrolled: 1-line block ×3, first 2 shown]
.LBB206_212:
	s_and_b32 s4, s61, 3
	s_cmp_eq_u32 s4, 0
	s_cbranch_scc1 .LBB206_215
; %bb.213:
	s_lshl_b32 s0, s60, 3
	s_add_u32 s0, s34, s0
	s_addc_u32 s1, s35, 0
	s_add_u32 s0, s0, 0xc4
	s_addc_u32 s1, s1, 0
	s_mul_i32 s2, s60, 12
	s_add_u32 s2, s34, s2
	s_addc_u32 s3, s35, 0
.LBB206_214:                            ; =>This Inner Loop Header: Depth=1
	s_load_dwordx2 s[6:7], s[2:3], 0x4
	s_load_dword s5, s[2:3], 0xc
	s_load_dwordx2 s[8:9], s[0:1], 0x0
	s_add_u32 s2, s2, 12
	s_addc_u32 s3, s3, 0
	s_waitcnt lgkmcnt(0)
	v_mul_hi_u32 v3, s7, v1
	s_add_u32 s0, s0, 8
	s_addc_u32 s1, s1, 0
	s_add_i32 s4, s4, -1
	v_add_u32_e32 v3, v1, v3
	v_lshrrev_b32_e32 v4, s5, v3
	v_mul_lo_u32 v3, v4, s6
	s_cmp_lg_u32 s4, 0
	v_sub_u32_e32 v3, v1, v3
	v_mad_u64_u32 v[0:1], s[6:7], v3, s8, v[0:1]
	v_mad_u64_u32 v[2:3], s[6:7], v3, s9, v[2:3]
	v_mov_b32_e32 v1, v4
	s_cbranch_scc1 .LBB206_214
.LBB206_215:
	s_cbranch_execnz .LBB206_218
.LBB206_216:
	v_mul_hi_u32 v0, s21, v19
	s_andn2_b64 vcc, exec, s[44:45]
	v_add_u32_e32 v0, v19, v0
	v_lshrrev_b32_e32 v1, s22, v0
	v_mul_lo_u32 v0, v1, s20
	v_sub_u32_e32 v2, v19, v0
	v_mul_lo_u32 v0, v2, s24
	v_mul_lo_u32 v2, v2, s25
	s_cbranch_vccnz .LBB206_218
; %bb.217:
	v_mul_hi_u32 v3, s42, v1
	v_add_u32_e32 v3, v1, v3
	v_lshrrev_b32_e32 v3, s43, v3
	v_mul_lo_u32 v3, v3, s23
	v_sub_u32_e32 v3, v1, v3
	v_mad_u64_u32 v[0:1], s[0:1], v3, s26, v[0:1]
	v_mad_u64_u32 v[2:3], s[0:1], v3, s27, v[2:3]
.LBB206_218:
	global_load_ushort v1, v2, s[18:19]
	v_mov_b32_e32 v2, s41
	v_mov_b32_e32 v3, s57
	v_add_u32_e32 v19, 0x80, v19
	s_waitcnt vmcnt(0)
	v_cmp_ge_f16_e32 vcc, s40, v1
	v_cndmask_b32_e32 v1, v2, v3, vcc
	global_store_short v0, v1, s[16:17]
	s_or_b64 exec, exec, s[50:51]
	v_cmp_gt_i32_e32 vcc, s58, v19
	s_and_saveexec_b64 s[50:51], vcc
	s_cbranch_execnz .LBB206_204
.LBB206_219:
	s_or_b64 exec, exec, s[50:51]
	v_cmp_gt_i32_e32 vcc, s58, v19
	s_and_saveexec_b64 s[50:51], vcc
	s_cbranch_execnz .LBB206_230
.LBB206_220:
	s_or_b64 exec, exec, s[50:51]
                                        ; implicit-def: $vgpr25
                                        ; implicit-def: $vgpr19
	s_andn2_saveexec_b64 s[0:1], s[38:39]
	s_cbranch_execnz .LBB206_8
.LBB206_221:
	s_endpgm
.LBB206_222:
	s_mov_b32 s60, 0
	v_mov_b32_e32 v0, 0
	v_mov_b32_e32 v2, 0
	;; [unrolled: 1-line block ×3, first 2 shown]
.LBB206_223:
	s_and_b32 s4, s61, 3
	s_cmp_eq_u32 s4, 0
	s_cbranch_scc1 .LBB206_226
; %bb.224:
	s_lshl_b32 s0, s60, 3
	s_add_u32 s0, s34, s0
	s_addc_u32 s1, s35, 0
	s_add_u32 s0, s0, 0xc4
	s_addc_u32 s1, s1, 0
	s_mul_i32 s2, s60, 12
	s_add_u32 s2, s34, s2
	s_addc_u32 s3, s35, 0
.LBB206_225:                            ; =>This Inner Loop Header: Depth=1
	s_load_dwordx2 s[6:7], s[2:3], 0x4
	s_load_dword s5, s[2:3], 0xc
	s_load_dwordx2 s[8:9], s[0:1], 0x0
	s_add_u32 s2, s2, 12
	s_addc_u32 s3, s3, 0
	s_waitcnt lgkmcnt(0)
	v_mul_hi_u32 v3, s7, v1
	s_add_u32 s0, s0, 8
	s_addc_u32 s1, s1, 0
	s_add_i32 s4, s4, -1
	v_add_u32_e32 v3, v1, v3
	v_lshrrev_b32_e32 v4, s5, v3
	v_mul_lo_u32 v3, v4, s6
	s_cmp_lg_u32 s4, 0
	v_sub_u32_e32 v3, v1, v3
	v_mad_u64_u32 v[0:1], s[6:7], v3, s8, v[0:1]
	v_mad_u64_u32 v[2:3], s[6:7], v3, s9, v[2:3]
	v_mov_b32_e32 v1, v4
	s_cbranch_scc1 .LBB206_225
.LBB206_226:
	s_cbranch_execnz .LBB206_229
.LBB206_227:
	v_mul_hi_u32 v0, s21, v19
	s_andn2_b64 vcc, exec, s[44:45]
	v_add_u32_e32 v0, v19, v0
	v_lshrrev_b32_e32 v1, s22, v0
	v_mul_lo_u32 v0, v1, s20
	v_sub_u32_e32 v2, v19, v0
	v_mul_lo_u32 v0, v2, s24
	v_mul_lo_u32 v2, v2, s25
	s_cbranch_vccnz .LBB206_229
; %bb.228:
	v_mul_hi_u32 v3, s42, v1
	v_add_u32_e32 v3, v1, v3
	v_lshrrev_b32_e32 v3, s43, v3
	v_mul_lo_u32 v3, v3, s23
	v_sub_u32_e32 v3, v1, v3
	v_mad_u64_u32 v[0:1], s[0:1], v3, s26, v[0:1]
	v_mad_u64_u32 v[2:3], s[0:1], v3, s27, v[2:3]
.LBB206_229:
	global_load_ushort v1, v2, s[18:19]
	v_mov_b32_e32 v2, s41
	v_mov_b32_e32 v3, s57
	v_add_u32_e32 v19, 0x80, v19
	s_waitcnt vmcnt(0)
	v_cmp_ge_f16_e32 vcc, s40, v1
	v_cndmask_b32_e32 v1, v2, v3, vcc
	global_store_short v0, v1, s[16:17]
	s_or_b64 exec, exec, s[50:51]
	v_cmp_gt_i32_e32 vcc, s58, v19
	s_and_saveexec_b64 s[50:51], vcc
	s_cbranch_execz .LBB206_220
.LBB206_230:
	s_andn2_b64 vcc, exec, s[36:37]
	s_cbranch_vccnz .LBB206_235
; %bb.231:
	s_andn2_b64 vcc, exec, s[48:49]
	s_cbranch_vccnz .LBB206_236
; %bb.232:
	s_add_i32 s59, s59, 1
	s_cmp_eq_u32 s56, 2
	s_cbranch_scc1 .LBB206_237
; %bb.233:
	s_and_b32 s52, s59, 28
	v_mov_b32_e32 v2, 0
	s_mov_b32 s53, 0
	s_mov_b64 s[48:49], s[34:35]
	v_mov_b32_e32 v0, 0
	v_mov_b32_e32 v1, v19
.LBB206_234:                            ; =>This Inner Loop Header: Depth=1
	s_load_dwordx8 s[8:15], s[48:49], 0x4
	s_load_dwordx4 s[28:31], s[48:49], 0x24
	s_load_dwordx8 s[0:7], s[46:47], 0x0
	s_add_u32 s48, s48, 48
	s_addc_u32 s49, s49, 0
	s_waitcnt lgkmcnt(0)
	v_mul_hi_u32 v3, s9, v1
	s_add_i32 s53, s53, 4
	s_add_u32 s46, s46, 32
	s_addc_u32 s47, s47, 0
	v_add_u32_e32 v3, v1, v3
	v_lshrrev_b32_e32 v3, s10, v3
	v_mul_lo_u32 v4, v3, s8
	v_mul_hi_u32 v5, s12, v3
	s_cmp_eq_u32 s52, s53
	v_sub_u32_e32 v1, v1, v4
	v_add_u32_e32 v4, v3, v5
	v_mul_lo_u32 v5, v1, s0
	v_mul_lo_u32 v6, v1, s1
	v_lshrrev_b32_e32 v1, s13, v4
	v_mul_lo_u32 v4, v1, s11
	v_mul_hi_u32 v7, s15, v1
	v_sub_u32_e32 v3, v3, v4
	v_add_u32_e32 v4, v1, v7
	v_lshrrev_b32_e32 v4, s28, v4
	v_mul_hi_u32 v8, s30, v4
	v_mul_lo_u32 v9, v4, s14
	v_mul_lo_u32 v7, v3, s2
	;; [unrolled: 1-line block ×3, first 2 shown]
	v_sub_u32_e32 v9, v1, v9
	v_add_u32_e32 v1, v4, v8
	v_lshrrev_b32_e32 v1, s31, v1
	v_mul_lo_u32 v8, v1, s29
	v_mul_lo_u32 v10, v9, s4
	v_mul_lo_u32 v9, v9, s5
	v_add3_u32 v0, v5, v0, v7
	v_sub_u32_e32 v4, v4, v8
	v_mul_lo_u32 v8, v4, s6
	v_mul_lo_u32 v4, v4, s7
	v_add3_u32 v2, v6, v2, v3
	v_add3_u32 v0, v10, v0, v8
	;; [unrolled: 1-line block ×3, first 2 shown]
	s_cbranch_scc0 .LBB206_234
	s_branch .LBB206_238
.LBB206_235:
                                        ; implicit-def: $vgpr0
                                        ; implicit-def: $vgpr2
	s_branch .LBB206_242
.LBB206_236:
	v_mov_b32_e32 v0, 0
	v_mov_b32_e32 v2, 0
	s_branch .LBB206_241
.LBB206_237:
	s_mov_b32 s52, 0
	v_mov_b32_e32 v0, 0
	v_mov_b32_e32 v2, 0
	;; [unrolled: 1-line block ×3, first 2 shown]
.LBB206_238:
	s_and_b32 s4, s59, 3
	s_cmp_eq_u32 s4, 0
	s_cbranch_scc1 .LBB206_241
; %bb.239:
	s_lshl_b32 s0, s52, 3
	s_add_u32 s0, s34, s0
	s_addc_u32 s1, s35, 0
	s_add_u32 s0, s0, 0xc4
	s_addc_u32 s1, s1, 0
	s_mul_i32 s2, s52, 12
	s_add_u32 s2, s34, s2
	s_addc_u32 s3, s35, 0
.LBB206_240:                            ; =>This Inner Loop Header: Depth=1
	s_load_dwordx2 s[6:7], s[2:3], 0x4
	s_load_dword s5, s[2:3], 0xc
	s_load_dwordx2 s[8:9], s[0:1], 0x0
	s_add_u32 s2, s2, 12
	s_addc_u32 s3, s3, 0
	s_waitcnt lgkmcnt(0)
	v_mul_hi_u32 v3, s7, v1
	s_add_u32 s0, s0, 8
	s_addc_u32 s1, s1, 0
	s_add_i32 s4, s4, -1
	v_add_u32_e32 v3, v1, v3
	v_lshrrev_b32_e32 v4, s5, v3
	v_mul_lo_u32 v3, v4, s6
	s_cmp_lg_u32 s4, 0
	v_sub_u32_e32 v3, v1, v3
	v_mad_u64_u32 v[0:1], s[6:7], v3, s8, v[0:1]
	v_mad_u64_u32 v[2:3], s[6:7], v3, s9, v[2:3]
	v_mov_b32_e32 v1, v4
	s_cbranch_scc1 .LBB206_240
.LBB206_241:
	s_cbranch_execnz .LBB206_244
.LBB206_242:
	v_mul_hi_u32 v0, s21, v19
	s_andn2_b64 vcc, exec, s[44:45]
	v_add_u32_e32 v0, v19, v0
	v_lshrrev_b32_e32 v1, s22, v0
	v_mul_lo_u32 v0, v1, s20
	v_sub_u32_e32 v2, v19, v0
	v_mul_lo_u32 v0, v2, s24
	v_mul_lo_u32 v2, v2, s25
	s_cbranch_vccnz .LBB206_244
; %bb.243:
	v_mul_hi_u32 v3, s42, v1
	v_add_u32_e32 v3, v1, v3
	v_lshrrev_b32_e32 v3, s43, v3
	v_mul_lo_u32 v3, v3, s23
	v_sub_u32_e32 v3, v1, v3
	v_mad_u64_u32 v[0:1], s[0:1], v3, s26, v[0:1]
	v_mad_u64_u32 v[2:3], s[0:1], v3, s27, v[2:3]
.LBB206_244:
	global_load_ushort v1, v2, s[18:19]
	v_mov_b32_e32 v2, s41
	v_mov_b32_e32 v3, s57
	s_waitcnt vmcnt(0)
	v_cmp_ge_f16_e32 vcc, s40, v1
	v_cndmask_b32_e32 v1, v2, v3, vcc
	global_store_short v0, v1, s[16:17]
	s_or_b64 exec, exec, s[50:51]
                                        ; implicit-def: $vgpr25
                                        ; implicit-def: $vgpr19
	s_andn2_saveexec_b64 s[0:1], s[38:39]
	s_cbranch_execz .LBB206_221
	s_branch .LBB206_8
	.section	.rodata,"a",@progbits
	.p2align	6, 0x0
	.amdhsa_kernel _ZN2at6native32elementwise_kernel_manual_unrollILi128ELi8EZNS0_22gpu_kernel_impl_nocastINS0_13BUnaryFunctorIN3c104HalfES5_S5_ZNS0_12_GLOBAL__N_121threshold_kernel_implIS5_EEvRNS_18TensorIteratorBaseET_SA_EUlS5_S5_E_EEEEvS9_RKSA_EUlibE_EEviT1_
		.amdhsa_group_segment_fixed_size 0
		.amdhsa_private_segment_fixed_size 0
		.amdhsa_kernarg_size 360
		.amdhsa_user_sgpr_count 6
		.amdhsa_user_sgpr_private_segment_buffer 1
		.amdhsa_user_sgpr_dispatch_ptr 0
		.amdhsa_user_sgpr_queue_ptr 0
		.amdhsa_user_sgpr_kernarg_segment_ptr 1
		.amdhsa_user_sgpr_dispatch_id 0
		.amdhsa_user_sgpr_flat_scratch_init 0
		.amdhsa_user_sgpr_private_segment_size 0
		.amdhsa_uses_dynamic_stack 0
		.amdhsa_system_sgpr_private_segment_wavefront_offset 0
		.amdhsa_system_sgpr_workgroup_id_x 1
		.amdhsa_system_sgpr_workgroup_id_y 0
		.amdhsa_system_sgpr_workgroup_id_z 0
		.amdhsa_system_sgpr_workgroup_info 0
		.amdhsa_system_vgpr_workitem_id 0
		.amdhsa_next_free_vgpr 26
		.amdhsa_next_free_sgpr 63
		.amdhsa_reserve_vcc 1
		.amdhsa_reserve_flat_scratch 0
		.amdhsa_float_round_mode_32 0
		.amdhsa_float_round_mode_16_64 0
		.amdhsa_float_denorm_mode_32 3
		.amdhsa_float_denorm_mode_16_64 3
		.amdhsa_dx10_clamp 1
		.amdhsa_ieee_mode 1
		.amdhsa_fp16_overflow 0
		.amdhsa_exception_fp_ieee_invalid_op 0
		.amdhsa_exception_fp_denorm_src 0
		.amdhsa_exception_fp_ieee_div_zero 0
		.amdhsa_exception_fp_ieee_overflow 0
		.amdhsa_exception_fp_ieee_underflow 0
		.amdhsa_exception_fp_ieee_inexact 0
		.amdhsa_exception_int_div_zero 0
	.end_amdhsa_kernel
	.section	.text._ZN2at6native32elementwise_kernel_manual_unrollILi128ELi8EZNS0_22gpu_kernel_impl_nocastINS0_13BUnaryFunctorIN3c104HalfES5_S5_ZNS0_12_GLOBAL__N_121threshold_kernel_implIS5_EEvRNS_18TensorIteratorBaseET_SA_EUlS5_S5_E_EEEEvS9_RKSA_EUlibE_EEviT1_,"axG",@progbits,_ZN2at6native32elementwise_kernel_manual_unrollILi128ELi8EZNS0_22gpu_kernel_impl_nocastINS0_13BUnaryFunctorIN3c104HalfES5_S5_ZNS0_12_GLOBAL__N_121threshold_kernel_implIS5_EEvRNS_18TensorIteratorBaseET_SA_EUlS5_S5_E_EEEEvS9_RKSA_EUlibE_EEviT1_,comdat
.Lfunc_end206:
	.size	_ZN2at6native32elementwise_kernel_manual_unrollILi128ELi8EZNS0_22gpu_kernel_impl_nocastINS0_13BUnaryFunctorIN3c104HalfES5_S5_ZNS0_12_GLOBAL__N_121threshold_kernel_implIS5_EEvRNS_18TensorIteratorBaseET_SA_EUlS5_S5_E_EEEEvS9_RKSA_EUlibE_EEviT1_, .Lfunc_end206-_ZN2at6native32elementwise_kernel_manual_unrollILi128ELi8EZNS0_22gpu_kernel_impl_nocastINS0_13BUnaryFunctorIN3c104HalfES5_S5_ZNS0_12_GLOBAL__N_121threshold_kernel_implIS5_EEvRNS_18TensorIteratorBaseET_SA_EUlS5_S5_E_EEEEvS9_RKSA_EUlibE_EEviT1_
                                        ; -- End function
	.set _ZN2at6native32elementwise_kernel_manual_unrollILi128ELi8EZNS0_22gpu_kernel_impl_nocastINS0_13BUnaryFunctorIN3c104HalfES5_S5_ZNS0_12_GLOBAL__N_121threshold_kernel_implIS5_EEvRNS_18TensorIteratorBaseET_SA_EUlS5_S5_E_EEEEvS9_RKSA_EUlibE_EEviT1_.num_vgpr, 26
	.set _ZN2at6native32elementwise_kernel_manual_unrollILi128ELi8EZNS0_22gpu_kernel_impl_nocastINS0_13BUnaryFunctorIN3c104HalfES5_S5_ZNS0_12_GLOBAL__N_121threshold_kernel_implIS5_EEvRNS_18TensorIteratorBaseET_SA_EUlS5_S5_E_EEEEvS9_RKSA_EUlibE_EEviT1_.num_agpr, 0
	.set _ZN2at6native32elementwise_kernel_manual_unrollILi128ELi8EZNS0_22gpu_kernel_impl_nocastINS0_13BUnaryFunctorIN3c104HalfES5_S5_ZNS0_12_GLOBAL__N_121threshold_kernel_implIS5_EEvRNS_18TensorIteratorBaseET_SA_EUlS5_S5_E_EEEEvS9_RKSA_EUlibE_EEviT1_.numbered_sgpr, 63
	.set _ZN2at6native32elementwise_kernel_manual_unrollILi128ELi8EZNS0_22gpu_kernel_impl_nocastINS0_13BUnaryFunctorIN3c104HalfES5_S5_ZNS0_12_GLOBAL__N_121threshold_kernel_implIS5_EEvRNS_18TensorIteratorBaseET_SA_EUlS5_S5_E_EEEEvS9_RKSA_EUlibE_EEviT1_.num_named_barrier, 0
	.set _ZN2at6native32elementwise_kernel_manual_unrollILi128ELi8EZNS0_22gpu_kernel_impl_nocastINS0_13BUnaryFunctorIN3c104HalfES5_S5_ZNS0_12_GLOBAL__N_121threshold_kernel_implIS5_EEvRNS_18TensorIteratorBaseET_SA_EUlS5_S5_E_EEEEvS9_RKSA_EUlibE_EEviT1_.private_seg_size, 0
	.set _ZN2at6native32elementwise_kernel_manual_unrollILi128ELi8EZNS0_22gpu_kernel_impl_nocastINS0_13BUnaryFunctorIN3c104HalfES5_S5_ZNS0_12_GLOBAL__N_121threshold_kernel_implIS5_EEvRNS_18TensorIteratorBaseET_SA_EUlS5_S5_E_EEEEvS9_RKSA_EUlibE_EEviT1_.uses_vcc, 1
	.set _ZN2at6native32elementwise_kernel_manual_unrollILi128ELi8EZNS0_22gpu_kernel_impl_nocastINS0_13BUnaryFunctorIN3c104HalfES5_S5_ZNS0_12_GLOBAL__N_121threshold_kernel_implIS5_EEvRNS_18TensorIteratorBaseET_SA_EUlS5_S5_E_EEEEvS9_RKSA_EUlibE_EEviT1_.uses_flat_scratch, 0
	.set _ZN2at6native32elementwise_kernel_manual_unrollILi128ELi8EZNS0_22gpu_kernel_impl_nocastINS0_13BUnaryFunctorIN3c104HalfES5_S5_ZNS0_12_GLOBAL__N_121threshold_kernel_implIS5_EEvRNS_18TensorIteratorBaseET_SA_EUlS5_S5_E_EEEEvS9_RKSA_EUlibE_EEviT1_.has_dyn_sized_stack, 0
	.set _ZN2at6native32elementwise_kernel_manual_unrollILi128ELi8EZNS0_22gpu_kernel_impl_nocastINS0_13BUnaryFunctorIN3c104HalfES5_S5_ZNS0_12_GLOBAL__N_121threshold_kernel_implIS5_EEvRNS_18TensorIteratorBaseET_SA_EUlS5_S5_E_EEEEvS9_RKSA_EUlibE_EEviT1_.has_recursion, 0
	.set _ZN2at6native32elementwise_kernel_manual_unrollILi128ELi8EZNS0_22gpu_kernel_impl_nocastINS0_13BUnaryFunctorIN3c104HalfES5_S5_ZNS0_12_GLOBAL__N_121threshold_kernel_implIS5_EEvRNS_18TensorIteratorBaseET_SA_EUlS5_S5_E_EEEEvS9_RKSA_EUlibE_EEviT1_.has_indirect_call, 0
	.section	.AMDGPU.csdata,"",@progbits
; Kernel info:
; codeLenInByte = 11384
; TotalNumSgprs: 67
; NumVgprs: 26
; ScratchSize: 0
; MemoryBound: 0
; FloatMode: 240
; IeeeMode: 1
; LDSByteSize: 0 bytes/workgroup (compile time only)
; SGPRBlocks: 8
; VGPRBlocks: 6
; NumSGPRsForWavesPerEU: 67
; NumVGPRsForWavesPerEU: 26
; Occupancy: 9
; WaveLimiterHint : 1
; COMPUTE_PGM_RSRC2:SCRATCH_EN: 0
; COMPUTE_PGM_RSRC2:USER_SGPR: 6
; COMPUTE_PGM_RSRC2:TRAP_HANDLER: 0
; COMPUTE_PGM_RSRC2:TGID_X_EN: 1
; COMPUTE_PGM_RSRC2:TGID_Y_EN: 0
; COMPUTE_PGM_RSRC2:TGID_Z_EN: 0
; COMPUTE_PGM_RSRC2:TIDIG_COMP_CNT: 0
	.section	.text._ZN2at6native32elementwise_kernel_manual_unrollILi128ELi4EZNS0_15gpu_kernel_implINS0_13BUnaryFunctorIN3c104HalfES5_S5_ZNS0_12_GLOBAL__N_121threshold_kernel_implIS5_EEvRNS_18TensorIteratorBaseET_SA_EUlS5_S5_E_EEEEvS9_RKSA_EUlibE_EEviT1_,"axG",@progbits,_ZN2at6native32elementwise_kernel_manual_unrollILi128ELi4EZNS0_15gpu_kernel_implINS0_13BUnaryFunctorIN3c104HalfES5_S5_ZNS0_12_GLOBAL__N_121threshold_kernel_implIS5_EEvRNS_18TensorIteratorBaseET_SA_EUlS5_S5_E_EEEEvS9_RKSA_EUlibE_EEviT1_,comdat
	.globl	_ZN2at6native32elementwise_kernel_manual_unrollILi128ELi4EZNS0_15gpu_kernel_implINS0_13BUnaryFunctorIN3c104HalfES5_S5_ZNS0_12_GLOBAL__N_121threshold_kernel_implIS5_EEvRNS_18TensorIteratorBaseET_SA_EUlS5_S5_E_EEEEvS9_RKSA_EUlibE_EEviT1_ ; -- Begin function _ZN2at6native32elementwise_kernel_manual_unrollILi128ELi4EZNS0_15gpu_kernel_implINS0_13BUnaryFunctorIN3c104HalfES5_S5_ZNS0_12_GLOBAL__N_121threshold_kernel_implIS5_EEvRNS_18TensorIteratorBaseET_SA_EUlS5_S5_E_EEEEvS9_RKSA_EUlibE_EEviT1_
	.p2align	8
	.type	_ZN2at6native32elementwise_kernel_manual_unrollILi128ELi4EZNS0_15gpu_kernel_implINS0_13BUnaryFunctorIN3c104HalfES5_S5_ZNS0_12_GLOBAL__N_121threshold_kernel_implIS5_EEvRNS_18TensorIteratorBaseET_SA_EUlS5_S5_E_EEEEvS9_RKSA_EUlibE_EEviT1_,@function
_ZN2at6native32elementwise_kernel_manual_unrollILi128ELi4EZNS0_15gpu_kernel_implINS0_13BUnaryFunctorIN3c104HalfES5_S5_ZNS0_12_GLOBAL__N_121threshold_kernel_implIS5_EEvRNS_18TensorIteratorBaseET_SA_EUlS5_S5_E_EEEEvS9_RKSA_EUlibE_EEviT1_: ; @_ZN2at6native32elementwise_kernel_manual_unrollILi128ELi4EZNS0_15gpu_kernel_implINS0_13BUnaryFunctorIN3c104HalfES5_S5_ZNS0_12_GLOBAL__N_121threshold_kernel_implIS5_EEvRNS_18TensorIteratorBaseET_SA_EUlS5_S5_E_EEEEvS9_RKSA_EUlibE_EEviT1_
; %bb.0:
	s_load_dwordx8 s[8:15], s[4:5], 0x8
	s_load_dword s0, s[4:5], 0x24
	s_load_dword s40, s[4:5], 0x0
	v_lshl_or_b32 v2, s6, 9, v0
	v_or_b32_e32 v0, 0x180, v2
	s_waitcnt lgkmcnt(0)
	s_lshr_b32 s33, s14, 16
	s_lshr_b32 s44, s0, 16
	;; [unrolled: 1-line block ×3, first 2 shown]
	v_cmp_le_i32_e32 vcc, s40, v0
	s_mov_b64 s[2:3], 0
	s_mov_b64 s[6:7], 0
	s_and_saveexec_b64 s[0:1], vcc
	s_xor_b64 s[4:5], exec, s[0:1]
	s_cbranch_execz .LBB207_1027
; %bb.1:
	v_cmp_gt_i32_e32 vcc, s40, v2
	s_mov_b64 s[20:21], -1
	s_mov_b64 s[22:23], 0
	s_mov_b64 s[16:17], 0
	s_and_saveexec_b64 s[18:19], vcc
	s_cbranch_execz .LBB207_252
; %bb.2:
	v_mul_lo_u32 v0, v2, s13
	v_mov_b32_e32 v1, s11
	s_and_b32 s24, 0xffff, s45
	s_cmp_lt_i32 s24, 11
	v_ashrrev_i32_e32 v3, 31, v0
	v_add_co_u32_e32 v0, vcc, s10, v0
	v_addc_co_u32_e32 v1, vcc, v1, v3, vcc
	s_cbranch_scc1 .LBB207_9
; %bb.3:
	s_cmp_gt_i32 s24, 25
	s_cbranch_scc0 .LBB207_18
; %bb.4:
	s_cmp_gt_i32 s24, 28
	s_cbranch_scc0 .LBB207_22
	;; [unrolled: 3-line block ×4, first 2 shown]
; %bb.7:
	s_cmp_eq_u32 s24, 46
	s_cbranch_scc0 .LBB207_28
; %bb.8:
	global_load_dword v3, v[0:1], off
	s_mov_b64 s[0:1], -1
	s_waitcnt vmcnt(0)
	v_lshlrev_b32_e32 v3, 16, v3
	v_cvt_f16_f32_e32 v3, v3
	s_branch .LBB207_30
.LBB207_9:
                                        ; implicit-def: $vgpr3
	s_mov_b64 s[0:1], 0
	s_cbranch_execnz .LBB207_203
.LBB207_10:
	s_andn2_b64 vcc, exec, s[0:1]
	s_cbranch_vccnz .LBB207_250
.LBB207_11:
	v_mul_lo_u32 v1, v2, s12
	v_mov_b32_e32 v0, s15
	v_mov_b32_e32 v4, s33
	s_waitcnt vmcnt(0)
	v_cmp_ge_f16_e32 vcc, s14, v3
	v_cndmask_b32_e32 v3, v0, v4, vcc
	v_ashrrev_i32_e32 v4, 31, v1
	v_mov_b32_e32 v5, s9
	s_and_b32 s26, s44, 0xff
	v_add_co_u32_e32 v0, vcc, s8, v1
	s_cmp_lt_i32 s26, 11
	v_addc_co_u32_e32 v1, vcc, v5, v4, vcc
	s_cbranch_scc1 .LBB207_19
; %bb.12:
	s_and_b32 s27, 0xffff, s26
	s_cmp_gt_i32 s27, 25
	s_cbranch_scc0 .LBB207_23
; %bb.13:
	s_cmp_gt_i32 s27, 28
	s_cbranch_scc0 .LBB207_25
; %bb.14:
	;; [unrolled: 3-line block ×4, first 2 shown]
	s_mov_b64 s[20:21], 0
	s_mov_b64 s[0:1], -1
	s_cmp_eq_u32 s27, 46
	s_mov_b64 s[6:7], 0
	s_cbranch_scc0 .LBB207_34
; %bb.17:
	v_cvt_f32_f16_e32 v4, v3
	s_movk_i32 s0, 0x7fff
	v_cmp_o_f16_e32 vcc, v3, v3
	v_mov_b32_e32 v5, 0x7fc0
	v_bfe_u32 v6, v4, 16, 1
	v_add3_u32 v4, v4, v6, s0
	v_cndmask_b32_sdwa v4, v5, v4, vcc dst_sel:DWORD dst_unused:UNUSED_PAD src0_sel:DWORD src1_sel:WORD_1
	global_store_dword v[0:1], v4, off
	s_mov_b64 s[6:7], -1
	s_mov_b64 s[0:1], 0
	s_branch .LBB207_34
.LBB207_18:
	s_mov_b64 s[0:1], 0
                                        ; implicit-def: $vgpr3
	s_cbranch_execnz .LBB207_168
	s_branch .LBB207_202
.LBB207_19:
	s_mov_b64 s[0:1], 0
	s_mov_b64 s[6:7], 0
	s_cbranch_execnz .LBB207_103
.LBB207_20:
	s_andn2_b64 vcc, exec, s[6:7]
	s_cbranch_vccnz .LBB207_141
.LBB207_21:
	v_add_u32_e32 v2, 0x80, v2
	s_mov_b64 s[20:21], -1
	s_branch .LBB207_251
.LBB207_22:
	s_mov_b64 s[6:7], -1
	s_mov_b64 s[0:1], 0
                                        ; implicit-def: $vgpr3
	s_branch .LBB207_149
.LBB207_23:
	s_mov_b64 s[20:21], -1
	s_mov_b64 s[0:1], 0
	s_mov_b64 s[6:7], 0
	s_branch .LBB207_61
.LBB207_24:
	s_mov_b64 s[6:7], -1
	s_mov_b64 s[0:1], 0
                                        ; implicit-def: $vgpr3
	s_branch .LBB207_144
.LBB207_25:
	s_mov_b64 s[20:21], -1
	s_mov_b64 s[0:1], 0
	s_mov_b64 s[6:7], 0
	s_branch .LBB207_44
.LBB207_26:
	s_mov_b64 s[6:7], -1
	s_branch .LBB207_29
.LBB207_27:
	s_mov_b64 s[20:21], -1
	s_mov_b64 s[0:1], 0
	s_mov_b64 s[6:7], 0
	s_branch .LBB207_40
.LBB207_28:
	s_mov_b64 s[16:17], -1
.LBB207_29:
	s_mov_b64 s[0:1], 0
                                        ; implicit-def: $vgpr3
.LBB207_30:
	s_and_b64 vcc, exec, s[6:7]
	s_cbranch_vccz .LBB207_143
; %bb.31:
	s_cmp_eq_u32 s24, 44
	s_cbranch_scc0 .LBB207_142
; %bb.32:
	global_load_ubyte v3, v[0:1], off
	s_movk_i32 s6, 0xff
	v_mov_b32_e32 v5, 0x7e00
	s_mov_b64 s[0:1], -1
	s_mov_b64 s[16:17], 0
	s_waitcnt vmcnt(0)
	v_lshlrev_b32_e32 v4, 23, v3
	v_cvt_f16_f32_e32 v4, v4
	v_cmp_ne_u32_e32 vcc, s6, v3
	v_cndmask_b32_e32 v4, v5, v4, vcc
	v_cmp_ne_u32_e32 vcc, 0, v3
	v_cndmask_b32_e32 v3, 0, v4, vcc
	s_branch .LBB207_143
.LBB207_33:
	s_mov_b64 s[20:21], -1
	s_mov_b64 s[0:1], 0
	s_mov_b64 s[6:7], 0
.LBB207_34:
	s_and_b64 vcc, exec, s[20:21]
	s_cbranch_vccz .LBB207_39
; %bb.35:
	s_cmp_eq_u32 s27, 44
	s_mov_b64 s[0:1], -1
	s_cbranch_scc0 .LBB207_39
; %bb.36:
	v_cvt_f32_f16_e32 v4, v3
	s_movk_i32 s0, 0xff
	v_mov_b32_e32 v6, 0xff
	v_bfe_u32 v5, v4, 23, 8
	v_cmp_ne_u32_e32 vcc, s0, v5
	s_and_saveexec_b64 s[6:7], vcc
; %bb.37:
	s_mov_b32 s0, 0x3fffff
	v_lshrrev_b32_e32 v6, 23, v4
	v_and_b32_e32 v7, 0x400000, v4
	v_and_or_b32 v4, v4, s0, v5
	v_cmp_ne_u32_e32 vcc, 0, v7
	v_cmp_ne_u32_e64 s[0:1], 0, v4
	s_and_b64 s[0:1], vcc, s[0:1]
	v_cndmask_b32_e64 v4, 0, 1, s[0:1]
	v_add_u32_e32 v6, v6, v4
; %bb.38:
	s_or_b64 exec, exec, s[6:7]
	s_mov_b64 s[6:7], -1
	s_mov_b64 s[0:1], 0
	global_store_byte v[0:1], v6, off
.LBB207_39:
	s_mov_b64 s[20:21], 0
.LBB207_40:
	s_and_b64 vcc, exec, s[20:21]
	s_cbranch_vccz .LBB207_43
; %bb.41:
	s_cmp_eq_u32 s27, 29
	s_mov_b64 s[0:1], -1
	s_cbranch_scc0 .LBB207_43
; %bb.42:
	v_cvt_f32_f16_e32 v4, v3
	v_mov_b32_e32 v5, 0
	s_mov_b64 s[6:7], -1
	s_mov_b64 s[0:1], 0
	v_cvt_u32_f32_e32 v4, v4
	s_mov_b64 s[20:21], 0
	global_store_dwordx2 v[0:1], v[4:5], off
	s_branch .LBB207_44
.LBB207_43:
	s_mov_b64 s[20:21], 0
.LBB207_44:
	s_and_b64 vcc, exec, s[20:21]
	s_cbranch_vccz .LBB207_60
; %bb.45:
	s_cmp_lt_i32 s27, 27
	s_mov_b64 s[6:7], -1
	s_cbranch_scc1 .LBB207_51
; %bb.46:
	s_cmp_gt_i32 s27, 27
	s_cbranch_scc0 .LBB207_48
; %bb.47:
	v_cvt_f32_f16_e32 v4, v3
	s_mov_b64 s[6:7], 0
	v_cvt_u32_f32_e32 v4, v4
	global_store_dword v[0:1], v4, off
.LBB207_48:
	s_andn2_b64 vcc, exec, s[6:7]
	s_cbranch_vccnz .LBB207_50
; %bb.49:
	v_cvt_u16_f16_e32 v4, v3
	global_store_short v[0:1], v4, off
.LBB207_50:
	s_mov_b64 s[6:7], 0
.LBB207_51:
	s_andn2_b64 vcc, exec, s[6:7]
	s_cbranch_vccnz .LBB207_59
; %bb.52:
	v_cvt_f32_f16_e32 v4, v3
	s_mov_b32 s6, 0x43800000
	v_mov_b32_e32 v6, 0x80
	v_and_b32_e32 v5, 0x7fffffff, v4
	v_cmp_gt_u32_e32 vcc, s6, v5
	s_and_saveexec_b64 s[6:7], vcc
	s_cbranch_execz .LBB207_58
; %bb.53:
	s_mov_b32 s20, 0x3bffffff
	v_cmp_lt_u32_e32 vcc, s20, v5
	s_mov_b64 s[20:21], 0
                                        ; implicit-def: $vgpr5
	s_and_saveexec_b64 s[24:25], vcc
	s_xor_b64 s[24:25], exec, s[24:25]
	s_cbranch_execz .LBB207_279
; %bb.54:
	v_bfe_u32 v5, v4, 20, 1
	s_mov_b32 s28, 0x487ffff
	v_add3_u32 v5, v4, v5, s28
	s_mov_b64 s[20:21], exec
	v_lshrrev_b32_e32 v5, 20, v5
	s_andn2_saveexec_b64 s[24:25], s[24:25]
	s_cbranch_execnz .LBB207_280
.LBB207_55:
	s_or_b64 exec, exec, s[24:25]
	v_mov_b32_e32 v6, 0
	s_and_saveexec_b64 s[24:25], s[20:21]
.LBB207_56:
	v_lshrrev_b32_e32 v4, 24, v4
	s_movk_i32 s20, 0x80
	v_and_or_b32 v6, v4, s20, v5
.LBB207_57:
	s_or_b64 exec, exec, s[24:25]
.LBB207_58:
	s_or_b64 exec, exec, s[6:7]
	global_store_byte v[0:1], v6, off
.LBB207_59:
	s_mov_b64 s[6:7], -1
.LBB207_60:
	s_mov_b64 s[20:21], 0
.LBB207_61:
	s_and_b64 vcc, exec, s[20:21]
	s_cbranch_vccz .LBB207_102
; %bb.62:
	s_cmp_gt_i32 s27, 22
	s_mov_b64 s[20:21], -1
	s_cbranch_scc0 .LBB207_94
; %bb.63:
	s_cmp_lt_i32 s27, 24
	s_mov_b64 s[6:7], -1
	s_cbranch_scc1 .LBB207_83
; %bb.64:
	s_cmp_gt_i32 s27, 24
	s_cbranch_scc0 .LBB207_72
; %bb.65:
	v_cvt_f32_f16_e32 v4, v3
	s_mov_b32 s6, 0x47800000
	v_mov_b32_e32 v6, 0x80
	v_and_b32_e32 v5, 0x7fffffff, v4
	v_cmp_gt_u32_e32 vcc, s6, v5
	s_and_saveexec_b64 s[6:7], vcc
	s_cbranch_execz .LBB207_71
; %bb.66:
	s_mov_b32 s20, 0x37ffffff
	v_cmp_lt_u32_e32 vcc, s20, v5
	s_mov_b64 s[20:21], 0
                                        ; implicit-def: $vgpr5
	s_and_saveexec_b64 s[24:25], vcc
	s_xor_b64 s[24:25], exec, s[24:25]
	s_cbranch_execz .LBB207_283
; %bb.67:
	v_bfe_u32 v5, v4, 21, 1
	s_mov_b32 s28, 0x88fffff
	v_add3_u32 v5, v4, v5, s28
	s_mov_b64 s[20:21], exec
	v_lshrrev_b32_e32 v5, 21, v5
	s_andn2_saveexec_b64 s[24:25], s[24:25]
	s_cbranch_execnz .LBB207_284
.LBB207_68:
	s_or_b64 exec, exec, s[24:25]
	v_mov_b32_e32 v6, 0
	s_and_saveexec_b64 s[24:25], s[20:21]
.LBB207_69:
	v_lshrrev_b32_e32 v4, 24, v4
	s_movk_i32 s20, 0x80
	v_and_or_b32 v6, v4, s20, v5
.LBB207_70:
	s_or_b64 exec, exec, s[24:25]
.LBB207_71:
	s_or_b64 exec, exec, s[6:7]
	s_mov_b64 s[6:7], 0
	global_store_byte v[0:1], v6, off
.LBB207_72:
	s_and_b64 vcc, exec, s[6:7]
	s_cbranch_vccz .LBB207_82
; %bb.73:
	v_cvt_f32_f16_e32 v4, v3
	s_mov_b32 s6, 0x43f00000
                                        ; implicit-def: $vgpr5
	v_and_b32_e32 v6, 0x7fffffff, v4
	v_cmp_gt_u32_e32 vcc, s6, v6
	s_and_saveexec_b64 s[6:7], vcc
	s_xor_b64 s[6:7], exec, s[6:7]
	s_cbranch_execz .LBB207_79
; %bb.74:
	s_mov_b32 s20, 0x3c7fffff
	v_cmp_lt_u32_e32 vcc, s20, v6
                                        ; implicit-def: $vgpr5
	s_and_saveexec_b64 s[20:21], vcc
	s_xor_b64 s[20:21], exec, s[20:21]
; %bb.75:
	v_bfe_u32 v5, v4, 20, 1
	s_mov_b32 s24, 0x407ffff
	v_add3_u32 v5, v4, v5, s24
	v_lshrrev_b32_e32 v6, 20, v5
	v_and_b32_e32 v5, 0xff00000, v5
	s_mov_b32 s24, 0x7f00000
	v_mov_b32_e32 v7, 0x7e
	v_cmp_ne_u32_e32 vcc, s24, v5
	v_cndmask_b32_e32 v5, v7, v6, vcc
; %bb.76:
	s_andn2_saveexec_b64 s[20:21], s[20:21]
; %bb.77:
	s_mov_b32 s24, 0x46800000
	v_add_f32_e64 v5, |v4|, s24
; %bb.78:
	s_or_b64 exec, exec, s[20:21]
                                        ; implicit-def: $vgpr6
.LBB207_79:
	s_andn2_saveexec_b64 s[6:7], s[6:7]
; %bb.80:
	s_mov_b32 s20, 0x7f800000
	v_mov_b32_e32 v5, 0x7e
	v_mov_b32_e32 v7, 0x7f
	v_cmp_lt_u32_e32 vcc, s20, v6
	v_cndmask_b32_e32 v5, v5, v7, vcc
; %bb.81:
	s_or_b64 exec, exec, s[6:7]
	v_lshrrev_b32_e32 v4, 24, v4
	s_movk_i32 s6, 0x80
	v_and_or_b32 v4, v4, s6, v5
	global_store_byte v[0:1], v4, off
.LBB207_82:
	s_mov_b64 s[6:7], 0
.LBB207_83:
	s_andn2_b64 vcc, exec, s[6:7]
	s_cbranch_vccnz .LBB207_93
; %bb.84:
	v_cvt_f32_f16_e32 v4, v3
	s_mov_b32 s6, 0x47800000
                                        ; implicit-def: $vgpr5
	v_and_b32_e32 v6, 0x7fffffff, v4
	v_cmp_gt_u32_e32 vcc, s6, v6
	s_and_saveexec_b64 s[6:7], vcc
	s_xor_b64 s[6:7], exec, s[6:7]
	s_cbranch_execz .LBB207_90
; %bb.85:
	s_mov_b32 s20, 0x387fffff
	v_cmp_lt_u32_e32 vcc, s20, v6
                                        ; implicit-def: $vgpr5
	s_and_saveexec_b64 s[20:21], vcc
	s_xor_b64 s[20:21], exec, s[20:21]
; %bb.86:
	v_bfe_u32 v5, v4, 21, 1
	s_mov_b32 s24, 0x80fffff
	v_add3_u32 v5, v4, v5, s24
	v_lshrrev_b32_e32 v5, 21, v5
; %bb.87:
	s_andn2_saveexec_b64 s[20:21], s[20:21]
; %bb.88:
	s_mov_b32 s24, 0x43000000
	v_add_f32_e64 v5, |v4|, s24
; %bb.89:
	s_or_b64 exec, exec, s[20:21]
                                        ; implicit-def: $vgpr6
.LBB207_90:
	s_andn2_saveexec_b64 s[6:7], s[6:7]
; %bb.91:
	s_mov_b32 s20, 0x7f800000
	v_mov_b32_e32 v5, 0x7c
	v_mov_b32_e32 v7, 0x7f
	v_cmp_lt_u32_e32 vcc, s20, v6
	v_cndmask_b32_e32 v5, v5, v7, vcc
; %bb.92:
	s_or_b64 exec, exec, s[6:7]
	v_lshrrev_b32_e32 v4, 24, v4
	s_movk_i32 s6, 0x80
	v_and_or_b32 v4, v4, s6, v5
	global_store_byte v[0:1], v4, off
.LBB207_93:
	s_mov_b64 s[20:21], 0
	s_mov_b64 s[6:7], -1
.LBB207_94:
	s_andn2_b64 vcc, exec, s[20:21]
	s_cbranch_vccnz .LBB207_102
; %bb.95:
	s_cmp_gt_i32 s27, 14
	s_mov_b64 s[20:21], -1
	s_cbranch_scc0 .LBB207_99
; %bb.96:
	s_cmp_eq_u32 s27, 15
	s_mov_b64 s[0:1], -1
	s_cbranch_scc0 .LBB207_98
; %bb.97:
	v_cvt_f32_f16_e32 v4, v3
	s_movk_i32 s0, 0x7fff
	v_cmp_o_f16_e32 vcc, v3, v3
	v_mov_b32_e32 v5, 0x7fc0
	v_bfe_u32 v6, v4, 16, 1
	v_add3_u32 v4, v4, v6, s0
	v_cndmask_b32_sdwa v4, v5, v4, vcc dst_sel:DWORD dst_unused:UNUSED_PAD src0_sel:DWORD src1_sel:WORD_1
	global_store_short v[0:1], v4, off
	s_mov_b64 s[6:7], -1
	s_mov_b64 s[0:1], 0
.LBB207_98:
	s_mov_b64 s[20:21], 0
.LBB207_99:
	s_and_b64 vcc, exec, s[20:21]
	s_cbranch_vccz .LBB207_102
; %bb.100:
	s_cmp_eq_u32 s27, 11
	s_mov_b64 s[0:1], -1
	s_cbranch_scc0 .LBB207_102
; %bb.101:
	v_and_b32_e32 v4, 0x7fff, v3
	v_cmp_ne_u16_e32 vcc, 0, v4
	v_cndmask_b32_e64 v4, 0, 1, vcc
	s_mov_b64 s[6:7], -1
	s_mov_b64 s[0:1], 0
	global_store_byte v[0:1], v4, off
.LBB207_102:
	s_branch .LBB207_20
.LBB207_103:
	s_and_b32 s20, 0xffff, s26
	s_cmp_lt_i32 s20, 5
	s_mov_b64 s[6:7], -1
	s_cbranch_scc1 .LBB207_124
; %bb.104:
	s_cmp_lt_i32 s20, 8
	s_cbranch_scc1 .LBB207_114
; %bb.105:
	s_cmp_lt_i32 s20, 9
	s_cbranch_scc1 .LBB207_111
; %bb.106:
	s_cmp_gt_i32 s20, 9
	s_cbranch_scc0 .LBB207_108
; %bb.107:
	v_cvt_f32_f16_e32 v4, v3
	v_mov_b32_e32 v6, 0
	v_mov_b32_e32 v7, v6
	s_mov_b64 s[6:7], 0
	v_cvt_f64_f32_e32 v[4:5], v4
	global_store_dwordx4 v[0:1], v[4:7], off
.LBB207_108:
	s_andn2_b64 vcc, exec, s[6:7]
	s_cbranch_vccnz .LBB207_110
; %bb.109:
	v_cvt_f32_f16_e32 v4, v3
	v_mov_b32_e32 v5, 0
	global_store_dwordx2 v[0:1], v[4:5], off
.LBB207_110:
	s_mov_b64 s[6:7], 0
.LBB207_111:
	s_andn2_b64 vcc, exec, s[6:7]
	s_cbranch_vccnz .LBB207_113
; %bb.112:
	v_and_b32_e32 v4, 0xffff, v3
	global_store_dword v[0:1], v4, off
.LBB207_113:
	s_mov_b64 s[6:7], 0
.LBB207_114:
	s_andn2_b64 vcc, exec, s[6:7]
	s_cbranch_vccnz .LBB207_123
; %bb.115:
	s_cmp_lt_i32 s20, 6
	s_mov_b64 s[6:7], -1
	s_cbranch_scc1 .LBB207_121
; %bb.116:
	s_cmp_gt_i32 s20, 6
	s_cbranch_scc0 .LBB207_118
; %bb.117:
	v_cvt_f32_f16_e32 v4, v3
	s_mov_b64 s[6:7], 0
	v_cvt_f64_f32_e32 v[4:5], v4
	global_store_dwordx2 v[0:1], v[4:5], off
.LBB207_118:
	s_andn2_b64 vcc, exec, s[6:7]
	s_cbranch_vccnz .LBB207_120
; %bb.119:
	v_cvt_f32_f16_e32 v4, v3
	global_store_dword v[0:1], v4, off
.LBB207_120:
	s_mov_b64 s[6:7], 0
.LBB207_121:
	s_andn2_b64 vcc, exec, s[6:7]
	s_cbranch_vccnz .LBB207_123
; %bb.122:
	global_store_short v[0:1], v3, off
.LBB207_123:
	s_mov_b64 s[6:7], 0
.LBB207_124:
	s_andn2_b64 vcc, exec, s[6:7]
	s_cbranch_vccnz .LBB207_140
; %bb.125:
	s_cmp_lt_i32 s20, 2
	s_mov_b64 s[6:7], -1
	s_cbranch_scc1 .LBB207_135
; %bb.126:
	s_cmp_lt_i32 s20, 3
	s_cbranch_scc1 .LBB207_132
; %bb.127:
	s_cmp_gt_i32 s20, 3
	s_cbranch_scc0 .LBB207_129
; %bb.128:
	v_cvt_f32_f16_e32 v4, v3
	s_mov_b64 s[6:7], 0
	v_cvt_i32_f32_e32 v4, v4
	v_ashrrev_i32_e32 v5, 31, v4
	global_store_dwordx2 v[0:1], v[4:5], off
.LBB207_129:
	s_andn2_b64 vcc, exec, s[6:7]
	s_cbranch_vccnz .LBB207_131
; %bb.130:
	v_cvt_f32_f16_e32 v4, v3
	v_cvt_i32_f32_e32 v4, v4
	global_store_dword v[0:1], v4, off
.LBB207_131:
	s_mov_b64 s[6:7], 0
.LBB207_132:
	s_andn2_b64 vcc, exec, s[6:7]
	s_cbranch_vccnz .LBB207_134
; %bb.133:
	v_cvt_i16_f16_e32 v4, v3
	global_store_short v[0:1], v4, off
.LBB207_134:
	s_mov_b64 s[6:7], 0
.LBB207_135:
	s_andn2_b64 vcc, exec, s[6:7]
	s_cbranch_vccnz .LBB207_140
; %bb.136:
	s_cmp_gt_i32 s20, 0
	s_mov_b64 s[6:7], -1
	s_cbranch_scc0 .LBB207_138
; %bb.137:
	v_cvt_i16_f16_e32 v4, v3
	global_store_byte v[0:1], v4, off
	s_mov_b64 s[6:7], 0
.LBB207_138:
	s_andn2_b64 vcc, exec, s[6:7]
	s_cbranch_vccnz .LBB207_140
; %bb.139:
	v_cvt_f32_f16_e32 v3, v3
	v_cvt_i32_f32_e32 v3, v3
	global_store_byte v[0:1], v3, off
.LBB207_140:
	s_branch .LBB207_21
.LBB207_141:
	s_mov_b64 s[20:21], 0
                                        ; implicit-def: $vgpr2
	s_branch .LBB207_251
.LBB207_142:
	s_mov_b64 s[16:17], -1
                                        ; implicit-def: $vgpr3
.LBB207_143:
	s_mov_b64 s[6:7], 0
.LBB207_144:
	s_and_b64 vcc, exec, s[6:7]
	s_cbranch_vccz .LBB207_148
; %bb.145:
	s_cmp_eq_u32 s24, 29
	s_cbranch_scc0 .LBB207_147
; %bb.146:
	global_load_dwordx2 v[3:4], v[0:1], off
	s_mov_b64 s[0:1], -1
	s_mov_b64 s[16:17], 0
	s_mov_b64 s[6:7], 0
	s_waitcnt vmcnt(0)
	v_ffbh_u32_e32 v5, v4
	v_min_u32_e32 v5, 32, v5
	v_lshlrev_b64 v[3:4], v5, v[3:4]
	v_min_u32_e32 v3, 1, v3
	v_or_b32_e32 v3, v4, v3
	v_cvt_f32_u32_e32 v3, v3
	v_sub_u32_e32 v4, 32, v5
	v_ldexp_f32 v3, v3, v4
	v_cvt_f16_f32_e32 v3, v3
	s_branch .LBB207_149
.LBB207_147:
	s_mov_b64 s[16:17], -1
                                        ; implicit-def: $vgpr3
.LBB207_148:
	s_mov_b64 s[6:7], 0
.LBB207_149:
	s_and_b64 vcc, exec, s[6:7]
	s_cbranch_vccz .LBB207_167
; %bb.150:
	s_cmp_lt_i32 s24, 27
	s_cbranch_scc1 .LBB207_153
; %bb.151:
	s_cmp_gt_i32 s24, 27
	s_cbranch_scc0 .LBB207_154
; %bb.152:
	global_load_dword v3, v[0:1], off
	s_mov_b64 s[0:1], 0
	s_waitcnt vmcnt(0)
	v_cvt_f32_u32_e32 v3, v3
	v_cvt_f16_f32_e32 v3, v3
	s_branch .LBB207_155
.LBB207_153:
	s_mov_b64 s[0:1], -1
                                        ; implicit-def: $vgpr3
	s_branch .LBB207_158
.LBB207_154:
	s_mov_b64 s[0:1], -1
                                        ; implicit-def: $vgpr3
.LBB207_155:
	s_andn2_b64 vcc, exec, s[0:1]
	s_cbranch_vccnz .LBB207_157
; %bb.156:
	global_load_ushort v3, v[0:1], off
	s_waitcnt vmcnt(0)
	v_cvt_f16_u16_e32 v3, v3
.LBB207_157:
	s_mov_b64 s[0:1], 0
.LBB207_158:
	s_andn2_b64 vcc, exec, s[0:1]
	s_cbranch_vccnz .LBB207_166
; %bb.159:
	global_load_ubyte v4, v[0:1], off
	s_movk_i32 s0, 0x7f
	s_waitcnt vmcnt(0)
	v_cmp_lt_i16_e32 vcc, s0, v4
	s_mov_b64 s[0:1], 0
	s_and_saveexec_b64 s[6:7], vcc
	s_xor_b64 s[6:7], exec, s[6:7]
	s_cbranch_execz .LBB207_179
; %bb.160:
	s_movk_i32 s0, 0x80
	v_cmp_eq_u16_e32 vcc, s0, v4
	s_mov_b64 s[0:1], -1
	s_and_saveexec_b64 s[20:21], vcc
; %bb.161:
	s_xor_b64 s[0:1], exec, -1
; %bb.162:
	s_or_b64 exec, exec, s[20:21]
	s_and_b64 s[0:1], s[0:1], exec
	s_or_saveexec_b64 s[6:7], s[6:7]
	v_mov_b32_e32 v3, 0x7e00
	s_xor_b64 exec, exec, s[6:7]
	s_cbranch_execnz .LBB207_180
.LBB207_163:
	s_or_b64 exec, exec, s[6:7]
	s_and_saveexec_b64 s[6:7], s[0:1]
	s_cbranch_execz .LBB207_165
.LBB207_164:
	v_lshlrev_b32_e32 v3, 24, v4
	v_and_b32_e32 v4, 0xffff, v4
	v_and_b32_e32 v5, 7, v4
	v_ffbh_u32_e32 v7, v5
	v_min_u32_e32 v7, 32, v7
	v_subrev_u32_e32 v8, 28, v7
	v_bfe_u32 v6, v4, 3, 4
	v_lshlrev_b32_e32 v4, v8, v4
	v_sub_u32_e32 v7, 29, v7
	v_and_b32_e32 v4, 7, v4
	v_cmp_eq_u32_e32 vcc, 0, v6
	v_cndmask_b32_e32 v6, v6, v7, vcc
	v_cndmask_b32_e32 v4, v5, v4, vcc
	v_mov_b32_e32 v5, 0x3b800000
	v_lshlrev_b32_e32 v4, 20, v4
	v_and_b32_e32 v3, 0x80000000, v3
	v_lshl_add_u32 v5, v6, 23, v5
	v_or3_b32 v3, v3, v5, v4
	v_cvt_f16_f32_e32 v3, v3
.LBB207_165:
	s_or_b64 exec, exec, s[6:7]
.LBB207_166:
	s_mov_b64 s[0:1], -1
.LBB207_167:
	s_branch .LBB207_202
.LBB207_168:
	s_cmp_gt_i32 s24, 22
	s_cbranch_scc0 .LBB207_178
; %bb.169:
	s_cmp_lt_i32 s24, 24
	s_cbranch_scc1 .LBB207_181
; %bb.170:
	s_cmp_gt_i32 s24, 24
	s_cbranch_scc0 .LBB207_182
; %bb.171:
	global_load_ubyte v4, v[0:1], off
	s_movk_i32 s0, 0x7f
	s_waitcnt vmcnt(0)
	v_cmp_lt_i16_e32 vcc, s0, v4
	s_mov_b64 s[0:1], 0
	s_and_saveexec_b64 s[6:7], vcc
	s_xor_b64 s[6:7], exec, s[6:7]
	s_cbranch_execz .LBB207_194
; %bb.172:
	s_movk_i32 s0, 0x80
	v_cmp_eq_u16_e32 vcc, s0, v4
	s_mov_b64 s[0:1], -1
	s_and_saveexec_b64 s[20:21], vcc
; %bb.173:
	s_xor_b64 s[0:1], exec, -1
; %bb.174:
	s_or_b64 exec, exec, s[20:21]
	s_and_b64 s[0:1], s[0:1], exec
	s_or_saveexec_b64 s[6:7], s[6:7]
	v_mov_b32_e32 v3, 0x7e00
	s_xor_b64 exec, exec, s[6:7]
	s_cbranch_execnz .LBB207_195
.LBB207_175:
	s_or_b64 exec, exec, s[6:7]
	s_and_saveexec_b64 s[6:7], s[0:1]
	s_cbranch_execz .LBB207_177
.LBB207_176:
	v_lshlrev_b32_e32 v3, 24, v4
	v_and_b32_e32 v4, 0xffff, v4
	v_and_b32_e32 v5, 3, v4
	v_ffbh_u32_e32 v7, v5
	v_min_u32_e32 v7, 32, v7
	v_subrev_u32_e32 v8, 29, v7
	v_bfe_u32 v6, v4, 2, 5
	v_lshlrev_b32_e32 v4, v8, v4
	v_sub_u32_e32 v7, 30, v7
	v_and_b32_e32 v4, 3, v4
	v_cmp_eq_u32_e32 vcc, 0, v6
	v_cndmask_b32_e32 v6, v6, v7, vcc
	v_cndmask_b32_e32 v4, v5, v4, vcc
	v_mov_b32_e32 v5, 0x37800000
	v_lshlrev_b32_e32 v4, 21, v4
	v_and_b32_e32 v3, 0x80000000, v3
	v_lshl_add_u32 v5, v6, 23, v5
	v_or3_b32 v3, v3, v5, v4
	v_cvt_f16_f32_e32 v3, v3
.LBB207_177:
	s_or_b64 exec, exec, s[6:7]
	s_mov_b64 s[0:1], 0
	s_branch .LBB207_183
.LBB207_178:
	s_mov_b64 s[6:7], -1
                                        ; implicit-def: $vgpr3
	s_branch .LBB207_189
.LBB207_179:
	s_or_saveexec_b64 s[6:7], s[6:7]
	v_mov_b32_e32 v3, 0x7e00
	s_xor_b64 exec, exec, s[6:7]
	s_cbranch_execz .LBB207_163
.LBB207_180:
	v_cmp_ne_u16_e32 vcc, 0, v4
	s_andn2_b64 s[0:1], s[0:1], exec
	s_and_b64 s[20:21], vcc, exec
	s_or_b64 s[0:1], s[0:1], s[20:21]
	v_mov_b32_e32 v3, v4
	s_or_b64 exec, exec, s[6:7]
	s_and_saveexec_b64 s[6:7], s[0:1]
	s_cbranch_execnz .LBB207_164
	s_branch .LBB207_165
.LBB207_181:
	s_mov_b64 s[0:1], -1
                                        ; implicit-def: $vgpr3
	s_branch .LBB207_186
.LBB207_182:
	s_mov_b64 s[0:1], -1
                                        ; implicit-def: $vgpr3
.LBB207_183:
	s_and_b64 vcc, exec, s[0:1]
	s_cbranch_vccz .LBB207_185
; %bb.184:
	global_load_ubyte v3, v[0:1], off
	s_mov_b32 s0, 0x7f800000
	s_waitcnt vmcnt(0)
	v_lshlrev_b32_e32 v3, 24, v3
	v_and_b32_e32 v4, 0x7f000000, v3
	v_ffbh_u32_e32 v5, v4
	v_min_u32_e32 v5, 32, v5
	v_sub_u32_e64 v5, v5, 4 clamp
	v_lshlrev_b32_e32 v7, v5, v4
	v_lshlrev_b32_e32 v5, 23, v5
	v_lshrrev_b32_e32 v7, 4, v7
	v_add_u32_e32 v6, 0x1000000, v4
	v_sub_u32_e32 v5, v7, v5
	v_ashrrev_i32_e32 v6, 8, v6
	v_add_u32_e32 v5, 0x3c000000, v5
	v_and_or_b32 v5, v6, s0, v5
	v_cmp_ne_u32_e32 vcc, 0, v4
	v_cndmask_b32_e32 v4, 0, v5, vcc
	s_brev_b32 s0, 1
	v_and_or_b32 v3, v3, s0, v4
	v_cvt_f16_f32_e32 v3, v3
.LBB207_185:
	s_mov_b64 s[0:1], 0
.LBB207_186:
	s_andn2_b64 vcc, exec, s[0:1]
	s_cbranch_vccnz .LBB207_188
; %bb.187:
	global_load_ubyte v3, v[0:1], off
	s_movk_i32 s0, 0x7f00
	s_brev_b32 s1, 16
	s_waitcnt vmcnt(0)
	v_lshlrev_b16_e32 v4, 8, v3
	v_lshlrev_b32_e32 v3, 25, v3
	v_lshrrev_b32_e32 v5, 4, v3
	v_and_or_b32 v6, v4, s0, 0.5
	v_or_b32_e32 v5, 0x70000000, v5
	v_add_f32_e32 v6, -0.5, v6
	v_mul_f32_e32 v5, 0x7800000, v5
	v_cmp_gt_u32_e32 vcc, s1, v3
	v_bfe_i32 v4, v4, 0, 16
	v_cndmask_b32_e32 v3, v5, v6, vcc
	s_brev_b32 s0, 1
	v_and_or_b32 v3, v4, s0, v3
	v_cvt_f16_f32_e32 v3, v3
.LBB207_188:
	s_mov_b64 s[6:7], 0
	s_mov_b64 s[0:1], -1
.LBB207_189:
	s_andn2_b64 vcc, exec, s[6:7]
	s_cbranch_vccnz .LBB207_202
; %bb.190:
	s_cmp_gt_i32 s24, 14
	s_cbranch_scc0 .LBB207_193
; %bb.191:
	s_cmp_eq_u32 s24, 15
	s_cbranch_scc0 .LBB207_196
; %bb.192:
	global_load_ushort v3, v[0:1], off
	s_mov_b64 s[0:1], -1
	s_mov_b64 s[16:17], 0
	s_waitcnt vmcnt(0)
	v_lshlrev_b32_e32 v3, 16, v3
	v_cvt_f16_f32_e32 v3, v3
	s_branch .LBB207_197
.LBB207_193:
	s_mov_b64 s[6:7], -1
                                        ; implicit-def: $vgpr3
	s_branch .LBB207_198
.LBB207_194:
	s_or_saveexec_b64 s[6:7], s[6:7]
	v_mov_b32_e32 v3, 0x7e00
	s_xor_b64 exec, exec, s[6:7]
	s_cbranch_execz .LBB207_175
.LBB207_195:
	v_cmp_ne_u16_e32 vcc, 0, v4
	s_andn2_b64 s[0:1], s[0:1], exec
	s_and_b64 s[20:21], vcc, exec
	s_or_b64 s[0:1], s[0:1], s[20:21]
	v_mov_b32_e32 v3, v4
	s_or_b64 exec, exec, s[6:7]
	s_and_saveexec_b64 s[6:7], s[0:1]
	s_cbranch_execnz .LBB207_176
	s_branch .LBB207_177
.LBB207_196:
	s_mov_b64 s[16:17], -1
                                        ; implicit-def: $vgpr3
.LBB207_197:
	s_mov_b64 s[6:7], 0
.LBB207_198:
	s_and_b64 vcc, exec, s[6:7]
	s_cbranch_vccz .LBB207_202
; %bb.199:
	s_cmp_eq_u32 s24, 11
	s_cbranch_scc0 .LBB207_201
; %bb.200:
	global_load_ubyte v3, v[0:1], off
	v_mov_b32_e32 v4, 0x3c00
	s_mov_b64 s[0:1], -1
	s_mov_b64 s[16:17], 0
	s_waitcnt vmcnt(0)
	v_cmp_ne_u16_e32 vcc, 0, v3
	v_cndmask_b32_e32 v3, 0, v4, vcc
	s_branch .LBB207_202
.LBB207_201:
	s_mov_b64 s[16:17], -1
                                        ; implicit-def: $vgpr3
.LBB207_202:
	s_branch .LBB207_10
.LBB207_203:
	s_cmp_lt_i32 s24, 5
	s_cbranch_scc1 .LBB207_208
; %bb.204:
	s_cmp_lt_i32 s24, 8
	s_cbranch_scc1 .LBB207_209
; %bb.205:
	;; [unrolled: 3-line block ×3, first 2 shown]
	s_cmp_gt_i32 s24, 9
	s_cbranch_scc0 .LBB207_211
; %bb.207:
	global_load_dwordx2 v[3:4], v[0:1], off
	s_movk_i32 s0, 0x1ff
	s_movk_i32 s1, 0xffe
	v_mov_b32_e32 v5, 0x7c00
	v_mov_b32_e32 v6, 0x7e00
	s_movk_i32 s6, 0x40f
	s_mov_b32 s7, 0x8000
	s_waitcnt vmcnt(0)
	v_and_or_b32 v3, v4, s0, v3
	v_cmp_ne_u32_e32 vcc, 0, v3
	v_lshrrev_b32_e32 v7, 8, v4
	v_bfe_u32 v8, v4, 20, 11
	v_cndmask_b32_e64 v3, 0, 1, vcc
	v_sub_u32_e32 v9, 0x3f1, v8
	v_and_or_b32 v3, v7, s1, v3
	v_add_u32_e32 v8, 0xfffffc10, v8
	v_med3_i32 v7, v9, 0, 13
	v_or_b32_e32 v9, 0x1000, v3
	v_cmp_ne_u32_e32 vcc, 0, v3
	v_lshl_or_b32 v10, v8, 12, v3
	v_cndmask_b32_e32 v3, v5, v6, vcc
	v_lshrrev_b32_e32 v6, v7, v9
	v_lshlrev_b32_e32 v7, v7, v6
	v_cmp_ne_u32_e32 vcc, v7, v9
	v_cndmask_b32_e64 v7, 0, 1, vcc
	v_or_b32_e32 v6, v6, v7
	v_cmp_gt_i32_e32 vcc, 1, v8
	v_cndmask_b32_e32 v6, v10, v6, vcc
	v_and_b32_e32 v7, 7, v6
	v_cmp_lt_i32_e32 vcc, 5, v7
	v_cndmask_b32_e64 v9, 0, 1, vcc
	v_cmp_eq_u32_e32 vcc, 3, v7
	v_cndmask_b32_e64 v7, 0, 1, vcc
	v_lshrrev_b32_e32 v6, 2, v6
	v_or_b32_e32 v7, v7, v9
	v_add_u32_e32 v6, v6, v7
	v_cmp_gt_i32_e32 vcc, 31, v8
	v_cndmask_b32_e32 v5, v5, v6, vcc
	v_cmp_eq_u32_e32 vcc, s6, v8
	v_lshrrev_b32_e32 v4, 16, v4
	v_cndmask_b32_e32 v3, v5, v3, vcc
	v_and_or_b32 v3, v4, s7, v3
	s_mov_b64 s[0:1], 0
	s_branch .LBB207_212
.LBB207_208:
                                        ; implicit-def: $vgpr3
	s_branch .LBB207_230
.LBB207_209:
	s_mov_b64 s[0:1], -1
                                        ; implicit-def: $vgpr3
	s_branch .LBB207_218
.LBB207_210:
	s_mov_b64 s[0:1], -1
                                        ; implicit-def: $vgpr3
	s_branch .LBB207_215
.LBB207_211:
	s_mov_b64 s[0:1], -1
                                        ; implicit-def: $vgpr3
.LBB207_212:
	s_andn2_b64 vcc, exec, s[0:1]
	s_cbranch_vccnz .LBB207_214
; %bb.213:
	global_load_dword v3, v[0:1], off
	s_waitcnt vmcnt(0)
	v_cvt_f16_f32_e32 v3, v3
.LBB207_214:
	s_mov_b64 s[0:1], 0
.LBB207_215:
	s_andn2_b64 vcc, exec, s[0:1]
	s_cbranch_vccnz .LBB207_217
; %bb.216:
	global_load_dword v3, v[0:1], off
.LBB207_217:
	s_mov_b64 s[0:1], 0
.LBB207_218:
	s_andn2_b64 vcc, exec, s[0:1]
	s_cbranch_vccnz .LBB207_229
; %bb.219:
	s_cmp_lt_i32 s24, 6
	s_cbranch_scc1 .LBB207_222
; %bb.220:
	s_cmp_gt_i32 s24, 6
	s_cbranch_scc0 .LBB207_223
; %bb.221:
	global_load_dwordx2 v[3:4], v[0:1], off
	s_movk_i32 s0, 0x1ff
	s_movk_i32 s1, 0xffe
	v_mov_b32_e32 v5, 0x7c00
	v_mov_b32_e32 v6, 0x7e00
	s_movk_i32 s6, 0x40f
	s_mov_b32 s7, 0x8000
	s_waitcnt vmcnt(0)
	v_and_or_b32 v3, v4, s0, v3
	v_cmp_ne_u32_e32 vcc, 0, v3
	v_lshrrev_b32_e32 v7, 8, v4
	v_bfe_u32 v8, v4, 20, 11
	v_cndmask_b32_e64 v3, 0, 1, vcc
	v_sub_u32_e32 v9, 0x3f1, v8
	v_and_or_b32 v3, v7, s1, v3
	v_add_u32_e32 v8, 0xfffffc10, v8
	v_med3_i32 v7, v9, 0, 13
	v_or_b32_e32 v9, 0x1000, v3
	v_cmp_ne_u32_e32 vcc, 0, v3
	v_lshl_or_b32 v10, v8, 12, v3
	v_cndmask_b32_e32 v3, v5, v6, vcc
	v_lshrrev_b32_e32 v6, v7, v9
	v_lshlrev_b32_e32 v7, v7, v6
	v_cmp_ne_u32_e32 vcc, v7, v9
	v_cndmask_b32_e64 v7, 0, 1, vcc
	v_or_b32_e32 v6, v6, v7
	v_cmp_gt_i32_e32 vcc, 1, v8
	v_cndmask_b32_e32 v6, v10, v6, vcc
	v_and_b32_e32 v7, 7, v6
	v_cmp_lt_i32_e32 vcc, 5, v7
	v_cndmask_b32_e64 v9, 0, 1, vcc
	v_cmp_eq_u32_e32 vcc, 3, v7
	v_cndmask_b32_e64 v7, 0, 1, vcc
	v_lshrrev_b32_e32 v6, 2, v6
	v_or_b32_e32 v7, v7, v9
	v_add_u32_e32 v6, v6, v7
	v_cmp_gt_i32_e32 vcc, 31, v8
	v_cndmask_b32_e32 v5, v5, v6, vcc
	v_cmp_eq_u32_e32 vcc, s6, v8
	v_lshrrev_b32_e32 v4, 16, v4
	v_cndmask_b32_e32 v3, v5, v3, vcc
	v_and_or_b32 v3, v4, s7, v3
	s_mov_b64 s[0:1], 0
	s_branch .LBB207_224
.LBB207_222:
	s_mov_b64 s[0:1], -1
                                        ; implicit-def: $vgpr3
	s_branch .LBB207_227
.LBB207_223:
	s_mov_b64 s[0:1], -1
                                        ; implicit-def: $vgpr3
.LBB207_224:
	s_andn2_b64 vcc, exec, s[0:1]
	s_cbranch_vccnz .LBB207_226
; %bb.225:
	global_load_dword v3, v[0:1], off
	s_waitcnt vmcnt(0)
	v_cvt_f16_f32_e32 v3, v3
.LBB207_226:
	s_mov_b64 s[0:1], 0
.LBB207_227:
	s_andn2_b64 vcc, exec, s[0:1]
	s_cbranch_vccnz .LBB207_229
; %bb.228:
	global_load_ushort v3, v[0:1], off
.LBB207_229:
	s_cbranch_execnz .LBB207_249
.LBB207_230:
	s_cmp_lt_i32 s24, 2
	s_cbranch_scc1 .LBB207_234
; %bb.231:
	s_cmp_lt_i32 s24, 3
	s_cbranch_scc1 .LBB207_235
; %bb.232:
	s_cmp_gt_i32 s24, 3
	s_cbranch_scc0 .LBB207_236
; %bb.233:
	global_load_dwordx2 v[3:4], v[0:1], off
	s_mov_b64 s[0:1], 0
	s_waitcnt vmcnt(0)
	v_xor_b32_e32 v6, v3, v4
	v_ffbh_i32_e32 v5, v4
	v_ashrrev_i32_e32 v6, 31, v6
	v_add_u32_e32 v5, -1, v5
	v_add_u32_e32 v6, 32, v6
	v_min_u32_e32 v5, v5, v6
	v_lshlrev_b64 v[3:4], v5, v[3:4]
	v_min_u32_e32 v3, 1, v3
	v_or_b32_e32 v3, v4, v3
	v_cvt_f32_i32_e32 v3, v3
	v_sub_u32_e32 v4, 32, v5
	v_ldexp_f32 v3, v3, v4
	v_cvt_f16_f32_e32 v3, v3
	s_branch .LBB207_237
.LBB207_234:
	s_mov_b64 s[0:1], -1
                                        ; implicit-def: $vgpr3
	s_branch .LBB207_243
.LBB207_235:
	s_mov_b64 s[0:1], -1
                                        ; implicit-def: $vgpr3
	s_branch .LBB207_240
.LBB207_236:
	s_mov_b64 s[0:1], -1
                                        ; implicit-def: $vgpr3
.LBB207_237:
	s_andn2_b64 vcc, exec, s[0:1]
	s_cbranch_vccnz .LBB207_239
; %bb.238:
	global_load_dword v3, v[0:1], off
	s_waitcnt vmcnt(0)
	v_cvt_f32_i32_e32 v3, v3
	v_cvt_f16_f32_e32 v3, v3
.LBB207_239:
	s_mov_b64 s[0:1], 0
.LBB207_240:
	s_andn2_b64 vcc, exec, s[0:1]
	s_cbranch_vccnz .LBB207_242
; %bb.241:
	global_load_ushort v3, v[0:1], off
	s_waitcnt vmcnt(0)
	v_cvt_f16_i16_e32 v3, v3
.LBB207_242:
	s_mov_b64 s[0:1], 0
.LBB207_243:
	s_andn2_b64 vcc, exec, s[0:1]
	s_cbranch_vccnz .LBB207_249
; %bb.244:
	s_cmp_gt_i32 s24, 0
	s_cbranch_scc0 .LBB207_246
; %bb.245:
	global_load_sbyte v3, v[0:1], off
	s_mov_b64 s[0:1], 0
	s_waitcnt vmcnt(0)
	v_cvt_f16_i16_e32 v3, v3
	s_branch .LBB207_247
.LBB207_246:
	s_mov_b64 s[0:1], -1
                                        ; implicit-def: $vgpr3
.LBB207_247:
	s_andn2_b64 vcc, exec, s[0:1]
	s_cbranch_vccnz .LBB207_249
; %bb.248:
	global_load_ubyte v0, v[0:1], off
	s_waitcnt vmcnt(0)
	v_cvt_f16_u16_e32 v3, v0
.LBB207_249:
	s_branch .LBB207_11
.LBB207_250:
	s_mov_b64 s[0:1], 0
                                        ; implicit-def: $vgpr2
	s_mov_b64 s[20:21], 0
.LBB207_251:
	s_and_b64 s[6:7], s[0:1], exec
	s_and_b64 s[16:17], s[16:17], exec
	s_orn2_b64 s[20:21], s[20:21], exec
.LBB207_252:
	s_or_b64 exec, exec, s[18:19]
	s_mov_b64 s[24:25], 0
	s_mov_b64 s[0:1], 0
                                        ; implicit-def: $vgpr0_vgpr1
                                        ; implicit-def: $vgpr4
	s_and_saveexec_b64 s[18:19], s[20:21]
	s_cbranch_execz .LBB207_261
; %bb.253:
	v_cmp_gt_i32_e32 vcc, s40, v2
	s_mov_b64 s[0:1], -1
	s_mov_b64 s[20:21], s[16:17]
	s_mov_b64 s[22:23], s[6:7]
	s_and_saveexec_b64 s[24:25], vcc
	s_cbranch_execz .LBB207_513
; %bb.254:
	v_mul_lo_u32 v0, v2, s13
	v_mov_b32_e32 v1, s11
	s_and_b32 s28, 0xffff, s45
	s_cmp_lt_i32 s28, 11
	s_waitcnt vmcnt(0)
	v_ashrrev_i32_e32 v3, 31, v0
	v_add_co_u32_e32 v0, vcc, s10, v0
	v_addc_co_u32_e32 v1, vcc, v1, v3, vcc
	s_cbranch_scc1 .LBB207_264
; %bb.255:
	s_cmp_gt_i32 s28, 25
	s_cbranch_scc0 .LBB207_273
; %bb.256:
	s_cmp_gt_i32 s28, 28
	s_cbranch_scc0 .LBB207_275
	;; [unrolled: 3-line block ×4, first 2 shown]
; %bb.259:
	s_cmp_eq_u32 s28, 46
	s_mov_b64 s[22:23], 0
	s_cbranch_scc0 .LBB207_285
; %bb.260:
	global_load_dword v3, v[0:1], off
	s_mov_b64 s[20:21], 0
	s_waitcnt vmcnt(0)
	v_lshlrev_b32_e32 v3, 16, v3
	v_cvt_f16_f32_e32 v3, v3
	s_branch .LBB207_286
.LBB207_261:
	s_or_b64 exec, exec, s[18:19]
	s_mov_b64 s[18:19], 0
	s_and_saveexec_b64 s[20:21], s[16:17]
	s_cbranch_execnz .LBB207_859
.LBB207_262:
	s_or_b64 exec, exec, s[20:21]
	s_and_saveexec_b64 s[16:17], s[22:23]
	s_xor_b64 s[16:17], exec, s[16:17]
	s_cbranch_execz .LBB207_860
.LBB207_263:
	global_load_ubyte v3, v[0:1], off
	v_mov_b32_e32 v4, 0x3c00
	s_or_b64 s[0:1], s[0:1], exec
	s_waitcnt vmcnt(0)
	v_cmp_ne_u16_e32 vcc, 0, v3
	v_cndmask_b32_e32 v4, 0, v4, vcc
	s_or_b64 exec, exec, s[16:17]
	s_and_saveexec_b64 s[16:17], s[24:25]
	s_cbranch_execz .LBB207_906
	s_branch .LBB207_861
.LBB207_264:
	s_mov_b64 s[0:1], 0
                                        ; implicit-def: $vgpr3
	s_mov_b64 s[20:21], s[16:17]
	s_cbranch_execnz .LBB207_463
.LBB207_265:
	s_andn2_b64 vcc, exec, s[0:1]
	s_cbranch_vccnz .LBB207_511
.LBB207_266:
	v_mul_lo_u32 v1, v2, s12
	v_mov_b32_e32 v0, s15
	v_mov_b32_e32 v4, s33
	s_waitcnt vmcnt(0)
	v_cmp_ge_f16_e32 vcc, s14, v3
	v_cndmask_b32_e32 v3, v0, v4, vcc
	v_ashrrev_i32_e32 v4, 31, v1
	v_mov_b32_e32 v5, s9
	s_and_b32 s30, s44, 0xff
	v_add_co_u32_e32 v0, vcc, s8, v1
	s_cmp_lt_i32 s30, 11
	v_addc_co_u32_e32 v1, vcc, v5, v4, vcc
	s_cbranch_scc1 .LBB207_274
; %bb.267:
	s_and_b32 s31, 0xffff, s30
	s_cmp_gt_i32 s31, 25
	s_cbranch_scc0 .LBB207_276
; %bb.268:
	s_cmp_gt_i32 s31, 28
	s_cbranch_scc0 .LBB207_278
; %bb.269:
	;; [unrolled: 3-line block ×4, first 2 shown]
	s_mov_b64 s[26:27], 0
	s_mov_b64 s[0:1], -1
	s_cmp_eq_u32 s31, 46
	s_mov_b64 s[22:23], 0
	s_cbranch_scc0 .LBB207_290
; %bb.272:
	v_cvt_f32_f16_e32 v4, v3
	s_movk_i32 s0, 0x7fff
	v_cmp_o_f16_e32 vcc, v3, v3
	v_mov_b32_e32 v5, 0x7fc0
	v_bfe_u32 v6, v4, 16, 1
	v_add3_u32 v4, v4, v6, s0
	v_cndmask_b32_sdwa v4, v5, v4, vcc dst_sel:DWORD dst_unused:UNUSED_PAD src0_sel:DWORD src1_sel:WORD_1
	global_store_dword v[0:1], v4, off
	s_mov_b64 s[22:23], -1
	s_mov_b64 s[0:1], 0
	s_branch .LBB207_290
.LBB207_273:
	s_mov_b64 s[22:23], -1
	s_mov_b64 s[0:1], 0
	s_mov_b64 s[20:21], s[16:17]
                                        ; implicit-def: $vgpr3
	s_branch .LBB207_427
.LBB207_274:
	s_mov_b64 s[26:27], -1
	s_mov_b64 s[22:23], 0
	s_mov_b64 s[0:1], s[6:7]
	s_branch .LBB207_359
.LBB207_275:
	s_mov_b64 s[22:23], -1
	s_mov_b64 s[0:1], 0
	s_mov_b64 s[20:21], s[16:17]
                                        ; implicit-def: $vgpr3
	s_branch .LBB207_408
.LBB207_276:
	s_mov_b64 s[26:27], -1
	s_mov_b64 s[22:23], 0
	s_mov_b64 s[0:1], s[6:7]
	s_branch .LBB207_317
.LBB207_277:
	s_mov_b64 s[22:23], -1
	s_mov_b64 s[0:1], 0
	s_mov_b64 s[20:21], s[16:17]
                                        ; implicit-def: $vgpr3
	s_branch .LBB207_403
.LBB207_278:
	s_mov_b64 s[26:27], -1
	s_mov_b64 s[22:23], 0
	s_mov_b64 s[0:1], s[6:7]
	s_branch .LBB207_300
.LBB207_279:
	s_andn2_saveexec_b64 s[24:25], s[24:25]
	s_cbranch_execz .LBB207_55
.LBB207_280:
	s_mov_b32 s28, 0x46000000
	v_add_f32_e64 v5, |v4|, s28
	v_and_b32_e32 v5, 0xff, v5
	v_cmp_ne_u32_e32 vcc, 0, v5
	s_andn2_b64 s[20:21], s[20:21], exec
	s_and_b64 s[28:29], vcc, exec
	s_or_b64 s[20:21], s[20:21], s[28:29]
	s_or_b64 exec, exec, s[24:25]
	v_mov_b32_e32 v6, 0
	s_and_saveexec_b64 s[24:25], s[20:21]
	s_cbranch_execnz .LBB207_56
	s_branch .LBB207_57
.LBB207_281:
	s_mov_b64 s[22:23], -1
	s_mov_b64 s[0:1], 0
	s_mov_b64 s[20:21], s[16:17]
                                        ; implicit-def: $vgpr3
	s_branch .LBB207_286
.LBB207_282:
	s_mov_b64 s[26:27], -1
	s_mov_b64 s[22:23], 0
	s_mov_b64 s[0:1], s[6:7]
	s_branch .LBB207_296
.LBB207_283:
	s_andn2_saveexec_b64 s[24:25], s[24:25]
	s_cbranch_execz .LBB207_68
.LBB207_284:
	s_mov_b32 s28, 0x42800000
	v_add_f32_e64 v5, |v4|, s28
	v_and_b32_e32 v5, 0xff, v5
	v_cmp_ne_u32_e32 vcc, 0, v5
	s_andn2_b64 s[20:21], s[20:21], exec
	s_and_b64 s[28:29], vcc, exec
	s_or_b64 s[20:21], s[20:21], s[28:29]
	s_or_b64 exec, exec, s[24:25]
	v_mov_b32_e32 v6, 0
	s_and_saveexec_b64 s[24:25], s[20:21]
	s_cbranch_execnz .LBB207_69
	s_branch .LBB207_70
.LBB207_285:
	s_mov_b64 s[20:21], -1
                                        ; implicit-def: $vgpr3
	s_mov_b64 s[0:1], 0
.LBB207_286:
	s_and_b64 vcc, exec, s[22:23]
	s_cbranch_vccz .LBB207_402
; %bb.287:
	s_cmp_eq_u32 s28, 44
	s_cbranch_scc0 .LBB207_401
; %bb.288:
	global_load_ubyte v3, v[0:1], off
	s_movk_i32 s20, 0xff
	v_mov_b32_e32 v5, 0x7e00
	s_mov_b64 s[0:1], -1
	s_waitcnt vmcnt(0)
	v_lshlrev_b32_e32 v4, 23, v3
	v_cvt_f16_f32_e32 v4, v4
	v_cmp_ne_u32_e32 vcc, s20, v3
	s_mov_b64 s[20:21], 0
	v_cndmask_b32_e32 v4, v5, v4, vcc
	v_cmp_ne_u32_e32 vcc, 0, v3
	v_cndmask_b32_e32 v3, 0, v4, vcc
	s_branch .LBB207_402
.LBB207_289:
	s_mov_b64 s[26:27], -1
	s_mov_b64 s[22:23], 0
	s_mov_b64 s[0:1], s[6:7]
.LBB207_290:
	s_and_b64 vcc, exec, s[26:27]
	s_cbranch_vccz .LBB207_295
; %bb.291:
	s_cmp_eq_u32 s31, 44
	s_mov_b64 s[0:1], -1
	s_cbranch_scc0 .LBB207_295
; %bb.292:
	v_cvt_f32_f16_e32 v4, v3
	s_movk_i32 s0, 0xff
	v_mov_b32_e32 v6, 0xff
	v_bfe_u32 v5, v4, 23, 8
	v_cmp_ne_u32_e32 vcc, s0, v5
	s_and_saveexec_b64 s[22:23], vcc
; %bb.293:
	s_mov_b32 s0, 0x3fffff
	v_lshrrev_b32_e32 v6, 23, v4
	v_and_b32_e32 v7, 0x400000, v4
	v_and_or_b32 v4, v4, s0, v5
	v_cmp_ne_u32_e32 vcc, 0, v7
	v_cmp_ne_u32_e64 s[0:1], 0, v4
	s_and_b64 s[0:1], vcc, s[0:1]
	v_cndmask_b32_e64 v4, 0, 1, s[0:1]
	v_add_u32_e32 v6, v6, v4
; %bb.294:
	s_or_b64 exec, exec, s[22:23]
	s_mov_b64 s[22:23], -1
	s_mov_b64 s[0:1], 0
	global_store_byte v[0:1], v6, off
.LBB207_295:
	s_mov_b64 s[26:27], 0
.LBB207_296:
	s_and_b64 vcc, exec, s[26:27]
	s_cbranch_vccz .LBB207_299
; %bb.297:
	s_cmp_eq_u32 s31, 29
	s_mov_b64 s[0:1], -1
	s_cbranch_scc0 .LBB207_299
; %bb.298:
	v_cvt_f32_f16_e32 v4, v3
	v_mov_b32_e32 v5, 0
	s_mov_b64 s[22:23], -1
	s_mov_b64 s[0:1], 0
	v_cvt_u32_f32_e32 v4, v4
	s_mov_b64 s[26:27], 0
	global_store_dwordx2 v[0:1], v[4:5], off
	s_branch .LBB207_300
.LBB207_299:
	s_mov_b64 s[26:27], 0
.LBB207_300:
	s_and_b64 vcc, exec, s[26:27]
	s_cbranch_vccz .LBB207_316
; %bb.301:
	s_cmp_lt_i32 s31, 27
	s_mov_b64 s[22:23], -1
	s_cbranch_scc1 .LBB207_307
; %bb.302:
	s_cmp_gt_i32 s31, 27
	s_cbranch_scc0 .LBB207_304
; %bb.303:
	v_cvt_f32_f16_e32 v4, v3
	s_mov_b64 s[22:23], 0
	v_cvt_u32_f32_e32 v4, v4
	global_store_dword v[0:1], v4, off
.LBB207_304:
	s_andn2_b64 vcc, exec, s[22:23]
	s_cbranch_vccnz .LBB207_306
; %bb.305:
	v_cvt_u16_f16_e32 v4, v3
	global_store_short v[0:1], v4, off
.LBB207_306:
	s_mov_b64 s[22:23], 0
.LBB207_307:
	s_andn2_b64 vcc, exec, s[22:23]
	s_cbranch_vccnz .LBB207_315
; %bb.308:
	v_cvt_f32_f16_e32 v4, v3
	s_mov_b32 s22, 0x43800000
	v_mov_b32_e32 v6, 0x80
	v_and_b32_e32 v5, 0x7fffffff, v4
	v_cmp_gt_u32_e32 vcc, s22, v5
	s_and_saveexec_b64 s[22:23], vcc
	s_cbranch_execz .LBB207_314
; %bb.309:
	s_mov_b32 s26, 0x3bffffff
	v_cmp_lt_u32_e32 vcc, s26, v5
	s_mov_b64 s[26:27], 0
                                        ; implicit-def: $vgpr5
	s_and_saveexec_b64 s[28:29], vcc
	s_xor_b64 s[28:29], exec, s[28:29]
	s_cbranch_execz .LBB207_526
; %bb.310:
	v_bfe_u32 v5, v4, 20, 1
	s_mov_b32 s34, 0x487ffff
	v_add3_u32 v5, v4, v5, s34
	s_mov_b64 s[26:27], exec
	v_lshrrev_b32_e32 v5, 20, v5
	s_andn2_saveexec_b64 s[28:29], s[28:29]
	s_cbranch_execnz .LBB207_527
.LBB207_311:
	s_or_b64 exec, exec, s[28:29]
	v_mov_b32_e32 v6, 0
	s_and_saveexec_b64 s[28:29], s[26:27]
.LBB207_312:
	v_lshrrev_b32_e32 v4, 24, v4
	s_movk_i32 s26, 0x80
	v_and_or_b32 v6, v4, s26, v5
.LBB207_313:
	s_or_b64 exec, exec, s[28:29]
.LBB207_314:
	s_or_b64 exec, exec, s[22:23]
	global_store_byte v[0:1], v6, off
.LBB207_315:
	s_mov_b64 s[22:23], -1
.LBB207_316:
	s_mov_b64 s[26:27], 0
.LBB207_317:
	s_and_b64 vcc, exec, s[26:27]
	s_cbranch_vccz .LBB207_358
; %bb.318:
	s_cmp_gt_i32 s31, 22
	s_mov_b64 s[26:27], -1
	s_cbranch_scc0 .LBB207_350
; %bb.319:
	s_cmp_lt_i32 s31, 24
	s_mov_b64 s[22:23], -1
	s_cbranch_scc1 .LBB207_339
; %bb.320:
	s_cmp_gt_i32 s31, 24
	s_cbranch_scc0 .LBB207_328
; %bb.321:
	v_cvt_f32_f16_e32 v4, v3
	s_mov_b32 s22, 0x47800000
	v_mov_b32_e32 v6, 0x80
	v_and_b32_e32 v5, 0x7fffffff, v4
	v_cmp_gt_u32_e32 vcc, s22, v5
	s_and_saveexec_b64 s[22:23], vcc
	s_cbranch_execz .LBB207_327
; %bb.322:
	s_mov_b32 s26, 0x37ffffff
	v_cmp_lt_u32_e32 vcc, s26, v5
	s_mov_b64 s[26:27], 0
                                        ; implicit-def: $vgpr5
	s_and_saveexec_b64 s[28:29], vcc
	s_xor_b64 s[28:29], exec, s[28:29]
	s_cbranch_execz .LBB207_529
; %bb.323:
	v_bfe_u32 v5, v4, 21, 1
	s_mov_b32 s34, 0x88fffff
	v_add3_u32 v5, v4, v5, s34
	s_mov_b64 s[26:27], exec
	v_lshrrev_b32_e32 v5, 21, v5
	s_andn2_saveexec_b64 s[28:29], s[28:29]
	s_cbranch_execnz .LBB207_530
.LBB207_324:
	s_or_b64 exec, exec, s[28:29]
	v_mov_b32_e32 v6, 0
	s_and_saveexec_b64 s[28:29], s[26:27]
.LBB207_325:
	v_lshrrev_b32_e32 v4, 24, v4
	s_movk_i32 s26, 0x80
	v_and_or_b32 v6, v4, s26, v5
.LBB207_326:
	s_or_b64 exec, exec, s[28:29]
.LBB207_327:
	s_or_b64 exec, exec, s[22:23]
	s_mov_b64 s[22:23], 0
	global_store_byte v[0:1], v6, off
.LBB207_328:
	s_and_b64 vcc, exec, s[22:23]
	s_cbranch_vccz .LBB207_338
; %bb.329:
	v_cvt_f32_f16_e32 v4, v3
	s_mov_b32 s22, 0x43f00000
                                        ; implicit-def: $vgpr5
	v_and_b32_e32 v6, 0x7fffffff, v4
	v_cmp_gt_u32_e32 vcc, s22, v6
	s_and_saveexec_b64 s[22:23], vcc
	s_xor_b64 s[22:23], exec, s[22:23]
	s_cbranch_execz .LBB207_335
; %bb.330:
	s_mov_b32 s26, 0x3c7fffff
	v_cmp_lt_u32_e32 vcc, s26, v6
                                        ; implicit-def: $vgpr5
	s_and_saveexec_b64 s[26:27], vcc
	s_xor_b64 s[26:27], exec, s[26:27]
; %bb.331:
	v_bfe_u32 v5, v4, 20, 1
	s_mov_b32 s28, 0x407ffff
	v_add3_u32 v5, v4, v5, s28
	v_lshrrev_b32_e32 v6, 20, v5
	v_and_b32_e32 v5, 0xff00000, v5
	s_mov_b32 s28, 0x7f00000
	v_mov_b32_e32 v7, 0x7e
	v_cmp_ne_u32_e32 vcc, s28, v5
	v_cndmask_b32_e32 v5, v7, v6, vcc
; %bb.332:
	s_andn2_saveexec_b64 s[26:27], s[26:27]
; %bb.333:
	s_mov_b32 s28, 0x46800000
	v_add_f32_e64 v5, |v4|, s28
; %bb.334:
	s_or_b64 exec, exec, s[26:27]
                                        ; implicit-def: $vgpr6
.LBB207_335:
	s_andn2_saveexec_b64 s[22:23], s[22:23]
; %bb.336:
	s_mov_b32 s26, 0x7f800000
	v_mov_b32_e32 v5, 0x7e
	v_mov_b32_e32 v7, 0x7f
	v_cmp_lt_u32_e32 vcc, s26, v6
	v_cndmask_b32_e32 v5, v5, v7, vcc
; %bb.337:
	s_or_b64 exec, exec, s[22:23]
	v_lshrrev_b32_e32 v4, 24, v4
	s_movk_i32 s22, 0x80
	v_and_or_b32 v4, v4, s22, v5
	global_store_byte v[0:1], v4, off
.LBB207_338:
	s_mov_b64 s[22:23], 0
.LBB207_339:
	s_andn2_b64 vcc, exec, s[22:23]
	s_cbranch_vccnz .LBB207_349
; %bb.340:
	v_cvt_f32_f16_e32 v4, v3
	s_mov_b32 s22, 0x47800000
                                        ; implicit-def: $vgpr5
	v_and_b32_e32 v6, 0x7fffffff, v4
	v_cmp_gt_u32_e32 vcc, s22, v6
	s_and_saveexec_b64 s[22:23], vcc
	s_xor_b64 s[22:23], exec, s[22:23]
	s_cbranch_execz .LBB207_346
; %bb.341:
	s_mov_b32 s26, 0x387fffff
	v_cmp_lt_u32_e32 vcc, s26, v6
                                        ; implicit-def: $vgpr5
	s_and_saveexec_b64 s[26:27], vcc
	s_xor_b64 s[26:27], exec, s[26:27]
; %bb.342:
	v_bfe_u32 v5, v4, 21, 1
	s_mov_b32 s28, 0x80fffff
	v_add3_u32 v5, v4, v5, s28
	v_lshrrev_b32_e32 v5, 21, v5
; %bb.343:
	s_andn2_saveexec_b64 s[26:27], s[26:27]
; %bb.344:
	s_mov_b32 s28, 0x43000000
	v_add_f32_e64 v5, |v4|, s28
; %bb.345:
	s_or_b64 exec, exec, s[26:27]
                                        ; implicit-def: $vgpr6
.LBB207_346:
	s_andn2_saveexec_b64 s[22:23], s[22:23]
; %bb.347:
	s_mov_b32 s26, 0x7f800000
	v_mov_b32_e32 v5, 0x7c
	v_mov_b32_e32 v7, 0x7f
	v_cmp_lt_u32_e32 vcc, s26, v6
	v_cndmask_b32_e32 v5, v5, v7, vcc
; %bb.348:
	s_or_b64 exec, exec, s[22:23]
	v_lshrrev_b32_e32 v4, 24, v4
	s_movk_i32 s22, 0x80
	v_and_or_b32 v4, v4, s22, v5
	global_store_byte v[0:1], v4, off
.LBB207_349:
	s_mov_b64 s[26:27], 0
	s_mov_b64 s[22:23], -1
.LBB207_350:
	s_andn2_b64 vcc, exec, s[26:27]
	s_cbranch_vccnz .LBB207_358
; %bb.351:
	s_cmp_gt_i32 s31, 14
	s_mov_b64 s[26:27], -1
	s_cbranch_scc0 .LBB207_355
; %bb.352:
	s_cmp_eq_u32 s31, 15
	s_mov_b64 s[0:1], -1
	s_cbranch_scc0 .LBB207_354
; %bb.353:
	v_cvt_f32_f16_e32 v4, v3
	s_movk_i32 s0, 0x7fff
	v_cmp_o_f16_e32 vcc, v3, v3
	v_mov_b32_e32 v5, 0x7fc0
	v_bfe_u32 v6, v4, 16, 1
	v_add3_u32 v4, v4, v6, s0
	v_cndmask_b32_sdwa v4, v5, v4, vcc dst_sel:DWORD dst_unused:UNUSED_PAD src0_sel:DWORD src1_sel:WORD_1
	global_store_short v[0:1], v4, off
	s_mov_b64 s[22:23], -1
	s_mov_b64 s[0:1], 0
.LBB207_354:
	s_mov_b64 s[26:27], 0
.LBB207_355:
	s_and_b64 vcc, exec, s[26:27]
	s_cbranch_vccz .LBB207_358
; %bb.356:
	s_cmp_eq_u32 s31, 11
	s_mov_b64 s[0:1], -1
	s_cbranch_scc0 .LBB207_358
; %bb.357:
	v_and_b32_e32 v4, 0x7fff, v3
	v_cmp_ne_u16_e32 vcc, 0, v4
	v_cndmask_b32_e64 v4, 0, 1, vcc
	s_mov_b64 s[22:23], -1
	s_mov_b64 s[0:1], 0
	global_store_byte v[0:1], v4, off
.LBB207_358:
	s_mov_b64 s[26:27], 0
.LBB207_359:
	s_and_b64 vcc, exec, s[26:27]
	s_cbranch_vccz .LBB207_398
; %bb.360:
	s_and_b32 s26, 0xffff, s30
	s_cmp_lt_i32 s26, 5
	s_mov_b64 s[22:23], -1
	s_cbranch_scc1 .LBB207_381
; %bb.361:
	s_cmp_lt_i32 s26, 8
	s_cbranch_scc1 .LBB207_371
; %bb.362:
	s_cmp_lt_i32 s26, 9
	s_cbranch_scc1 .LBB207_368
; %bb.363:
	s_cmp_gt_i32 s26, 9
	s_cbranch_scc0 .LBB207_365
; %bb.364:
	v_cvt_f32_f16_e32 v4, v3
	v_mov_b32_e32 v6, 0
	v_mov_b32_e32 v7, v6
	s_mov_b64 s[22:23], 0
	v_cvt_f64_f32_e32 v[4:5], v4
	global_store_dwordx4 v[0:1], v[4:7], off
.LBB207_365:
	s_andn2_b64 vcc, exec, s[22:23]
	s_cbranch_vccnz .LBB207_367
; %bb.366:
	v_cvt_f32_f16_e32 v4, v3
	v_mov_b32_e32 v5, 0
	global_store_dwordx2 v[0:1], v[4:5], off
.LBB207_367:
	s_mov_b64 s[22:23], 0
.LBB207_368:
	s_andn2_b64 vcc, exec, s[22:23]
	s_cbranch_vccnz .LBB207_370
; %bb.369:
	v_and_b32_e32 v4, 0xffff, v3
	global_store_dword v[0:1], v4, off
.LBB207_370:
	s_mov_b64 s[22:23], 0
.LBB207_371:
	s_andn2_b64 vcc, exec, s[22:23]
	s_cbranch_vccnz .LBB207_380
; %bb.372:
	s_cmp_lt_i32 s26, 6
	s_mov_b64 s[22:23], -1
	s_cbranch_scc1 .LBB207_378
; %bb.373:
	s_cmp_gt_i32 s26, 6
	s_cbranch_scc0 .LBB207_375
; %bb.374:
	v_cvt_f32_f16_e32 v4, v3
	s_mov_b64 s[22:23], 0
	v_cvt_f64_f32_e32 v[4:5], v4
	global_store_dwordx2 v[0:1], v[4:5], off
.LBB207_375:
	s_andn2_b64 vcc, exec, s[22:23]
	s_cbranch_vccnz .LBB207_377
; %bb.376:
	v_cvt_f32_f16_e32 v4, v3
	global_store_dword v[0:1], v4, off
.LBB207_377:
	s_mov_b64 s[22:23], 0
.LBB207_378:
	s_andn2_b64 vcc, exec, s[22:23]
	s_cbranch_vccnz .LBB207_380
; %bb.379:
	global_store_short v[0:1], v3, off
.LBB207_380:
	s_mov_b64 s[22:23], 0
.LBB207_381:
	s_andn2_b64 vcc, exec, s[22:23]
	s_cbranch_vccnz .LBB207_397
; %bb.382:
	s_cmp_lt_i32 s26, 2
	s_mov_b64 s[22:23], -1
	s_cbranch_scc1 .LBB207_392
; %bb.383:
	s_cmp_lt_i32 s26, 3
	s_cbranch_scc1 .LBB207_389
; %bb.384:
	s_cmp_gt_i32 s26, 3
	s_cbranch_scc0 .LBB207_386
; %bb.385:
	v_cvt_f32_f16_e32 v4, v3
	s_mov_b64 s[22:23], 0
	v_cvt_i32_f32_e32 v4, v4
	v_ashrrev_i32_e32 v5, 31, v4
	global_store_dwordx2 v[0:1], v[4:5], off
.LBB207_386:
	s_andn2_b64 vcc, exec, s[22:23]
	s_cbranch_vccnz .LBB207_388
; %bb.387:
	v_cvt_f32_f16_e32 v4, v3
	v_cvt_i32_f32_e32 v4, v4
	global_store_dword v[0:1], v4, off
.LBB207_388:
	s_mov_b64 s[22:23], 0
.LBB207_389:
	s_andn2_b64 vcc, exec, s[22:23]
	s_cbranch_vccnz .LBB207_391
; %bb.390:
	v_cvt_i16_f16_e32 v4, v3
	global_store_short v[0:1], v4, off
.LBB207_391:
	s_mov_b64 s[22:23], 0
.LBB207_392:
	s_andn2_b64 vcc, exec, s[22:23]
	s_cbranch_vccnz .LBB207_397
; %bb.393:
	s_cmp_gt_i32 s26, 0
	s_mov_b64 s[22:23], -1
	s_cbranch_scc0 .LBB207_395
; %bb.394:
	v_cvt_i16_f16_e32 v4, v3
	s_mov_b64 s[22:23], 0
	global_store_byte v[0:1], v4, off
.LBB207_395:
	s_andn2_b64 vcc, exec, s[22:23]
	s_cbranch_vccnz .LBB207_397
; %bb.396:
	v_cvt_f32_f16_e32 v3, v3
	v_cvt_i32_f32_e32 v3, v3
	global_store_byte v[0:1], v3, off
.LBB207_397:
	s_mov_b64 s[22:23], -1
.LBB207_398:
	s_andn2_b64 vcc, exec, s[22:23]
	s_cbranch_vccnz .LBB207_400
; %bb.399:
	v_add_u32_e32 v2, 0x80, v2
	s_mov_b64 s[26:27], -1
	s_branch .LBB207_512
.LBB207_400:
	s_mov_b64 s[26:27], 0
                                        ; implicit-def: $vgpr2
	s_branch .LBB207_512
.LBB207_401:
	s_mov_b64 s[20:21], -1
                                        ; implicit-def: $vgpr3
.LBB207_402:
	s_mov_b64 s[22:23], 0
.LBB207_403:
	s_and_b64 vcc, exec, s[22:23]
	s_cbranch_vccz .LBB207_407
; %bb.404:
	s_cmp_eq_u32 s28, 29
	s_cbranch_scc0 .LBB207_406
; %bb.405:
	global_load_dwordx2 v[3:4], v[0:1], off
	s_mov_b64 s[0:1], -1
	s_mov_b64 s[20:21], 0
	s_mov_b64 s[22:23], 0
	s_waitcnt vmcnt(0)
	v_ffbh_u32_e32 v5, v4
	v_min_u32_e32 v5, 32, v5
	v_lshlrev_b64 v[3:4], v5, v[3:4]
	v_min_u32_e32 v3, 1, v3
	v_or_b32_e32 v3, v4, v3
	v_cvt_f32_u32_e32 v3, v3
	v_sub_u32_e32 v4, 32, v5
	v_ldexp_f32 v3, v3, v4
	v_cvt_f16_f32_e32 v3, v3
	s_branch .LBB207_408
.LBB207_406:
	s_mov_b64 s[20:21], -1
                                        ; implicit-def: $vgpr3
.LBB207_407:
	s_mov_b64 s[22:23], 0
.LBB207_408:
	s_and_b64 vcc, exec, s[22:23]
	s_cbranch_vccz .LBB207_426
; %bb.409:
	s_cmp_lt_i32 s28, 27
	s_cbranch_scc1 .LBB207_412
; %bb.410:
	s_cmp_gt_i32 s28, 27
	s_cbranch_scc0 .LBB207_413
; %bb.411:
	global_load_dword v3, v[0:1], off
	s_mov_b64 s[0:1], 0
	s_waitcnt vmcnt(0)
	v_cvt_f32_u32_e32 v3, v3
	v_cvt_f16_f32_e32 v3, v3
	s_branch .LBB207_414
.LBB207_412:
	s_mov_b64 s[0:1], -1
                                        ; implicit-def: $vgpr3
	s_branch .LBB207_417
.LBB207_413:
	s_mov_b64 s[0:1], -1
                                        ; implicit-def: $vgpr3
.LBB207_414:
	s_andn2_b64 vcc, exec, s[0:1]
	s_cbranch_vccnz .LBB207_416
; %bb.415:
	global_load_ushort v3, v[0:1], off
	s_waitcnt vmcnt(0)
	v_cvt_f16_u16_e32 v3, v3
.LBB207_416:
	s_mov_b64 s[0:1], 0
.LBB207_417:
	s_andn2_b64 vcc, exec, s[0:1]
	s_cbranch_vccnz .LBB207_425
; %bb.418:
	global_load_ubyte v4, v[0:1], off
	s_movk_i32 s0, 0x7f
	s_waitcnt vmcnt(0)
	v_cmp_lt_i16_e32 vcc, s0, v4
	s_mov_b64 s[0:1], 0
	s_and_saveexec_b64 s[22:23], vcc
	s_xor_b64 s[22:23], exec, s[22:23]
	s_cbranch_execz .LBB207_439
; %bb.419:
	s_movk_i32 s0, 0x80
	v_cmp_eq_u16_e32 vcc, s0, v4
	s_mov_b64 s[0:1], -1
	s_and_saveexec_b64 s[26:27], vcc
; %bb.420:
	s_xor_b64 s[0:1], exec, -1
; %bb.421:
	s_or_b64 exec, exec, s[26:27]
	s_and_b64 s[0:1], s[0:1], exec
	s_or_saveexec_b64 s[22:23], s[22:23]
	v_mov_b32_e32 v3, 0x7e00
	s_xor_b64 exec, exec, s[22:23]
	s_cbranch_execnz .LBB207_440
.LBB207_422:
	s_or_b64 exec, exec, s[22:23]
	s_and_saveexec_b64 s[22:23], s[0:1]
	s_cbranch_execz .LBB207_424
.LBB207_423:
	v_lshlrev_b32_e32 v3, 24, v4
	v_and_b32_e32 v4, 0xffff, v4
	v_and_b32_e32 v5, 7, v4
	v_ffbh_u32_e32 v7, v5
	v_min_u32_e32 v7, 32, v7
	v_subrev_u32_e32 v8, 28, v7
	v_bfe_u32 v6, v4, 3, 4
	v_lshlrev_b32_e32 v4, v8, v4
	v_sub_u32_e32 v7, 29, v7
	v_and_b32_e32 v4, 7, v4
	v_cmp_eq_u32_e32 vcc, 0, v6
	v_cndmask_b32_e32 v6, v6, v7, vcc
	v_cndmask_b32_e32 v4, v5, v4, vcc
	v_mov_b32_e32 v5, 0x3b800000
	v_lshlrev_b32_e32 v4, 20, v4
	v_and_b32_e32 v3, 0x80000000, v3
	v_lshl_add_u32 v5, v6, 23, v5
	v_or3_b32 v3, v3, v5, v4
	v_cvt_f16_f32_e32 v3, v3
.LBB207_424:
	s_or_b64 exec, exec, s[22:23]
.LBB207_425:
	s_mov_b64 s[0:1], -1
.LBB207_426:
	s_mov_b64 s[22:23], 0
.LBB207_427:
	s_and_b64 vcc, exec, s[22:23]
	s_cbranch_vccz .LBB207_462
; %bb.428:
	s_cmp_gt_i32 s28, 22
	s_cbranch_scc0 .LBB207_438
; %bb.429:
	s_cmp_lt_i32 s28, 24
	s_cbranch_scc1 .LBB207_441
; %bb.430:
	s_cmp_gt_i32 s28, 24
	s_cbranch_scc0 .LBB207_442
; %bb.431:
	global_load_ubyte v4, v[0:1], off
	s_movk_i32 s0, 0x7f
	s_waitcnt vmcnt(0)
	v_cmp_lt_i16_e32 vcc, s0, v4
	s_mov_b64 s[0:1], 0
	s_and_saveexec_b64 s[22:23], vcc
	s_xor_b64 s[22:23], exec, s[22:23]
	s_cbranch_execz .LBB207_454
; %bb.432:
	s_movk_i32 s0, 0x80
	v_cmp_eq_u16_e32 vcc, s0, v4
	s_mov_b64 s[0:1], -1
	s_and_saveexec_b64 s[26:27], vcc
; %bb.433:
	s_xor_b64 s[0:1], exec, -1
; %bb.434:
	s_or_b64 exec, exec, s[26:27]
	s_and_b64 s[0:1], s[0:1], exec
	s_or_saveexec_b64 s[22:23], s[22:23]
	v_mov_b32_e32 v3, 0x7e00
	s_xor_b64 exec, exec, s[22:23]
	s_cbranch_execnz .LBB207_455
.LBB207_435:
	s_or_b64 exec, exec, s[22:23]
	s_and_saveexec_b64 s[22:23], s[0:1]
	s_cbranch_execz .LBB207_437
.LBB207_436:
	v_lshlrev_b32_e32 v3, 24, v4
	v_and_b32_e32 v4, 0xffff, v4
	v_and_b32_e32 v5, 3, v4
	v_ffbh_u32_e32 v7, v5
	v_min_u32_e32 v7, 32, v7
	v_subrev_u32_e32 v8, 29, v7
	v_bfe_u32 v6, v4, 2, 5
	v_lshlrev_b32_e32 v4, v8, v4
	v_sub_u32_e32 v7, 30, v7
	v_and_b32_e32 v4, 3, v4
	v_cmp_eq_u32_e32 vcc, 0, v6
	v_cndmask_b32_e32 v6, v6, v7, vcc
	v_cndmask_b32_e32 v4, v5, v4, vcc
	v_mov_b32_e32 v5, 0x37800000
	v_lshlrev_b32_e32 v4, 21, v4
	v_and_b32_e32 v3, 0x80000000, v3
	v_lshl_add_u32 v5, v6, 23, v5
	v_or3_b32 v3, v3, v5, v4
	v_cvt_f16_f32_e32 v3, v3
.LBB207_437:
	s_or_b64 exec, exec, s[22:23]
	s_mov_b64 s[0:1], 0
	s_branch .LBB207_443
.LBB207_438:
	s_mov_b64 s[22:23], -1
                                        ; implicit-def: $vgpr3
	s_branch .LBB207_449
.LBB207_439:
	s_or_saveexec_b64 s[22:23], s[22:23]
	v_mov_b32_e32 v3, 0x7e00
	s_xor_b64 exec, exec, s[22:23]
	s_cbranch_execz .LBB207_422
.LBB207_440:
	v_cmp_ne_u16_e32 vcc, 0, v4
	s_andn2_b64 s[0:1], s[0:1], exec
	s_and_b64 s[26:27], vcc, exec
	s_or_b64 s[0:1], s[0:1], s[26:27]
	v_mov_b32_e32 v3, v4
	s_or_b64 exec, exec, s[22:23]
	s_and_saveexec_b64 s[22:23], s[0:1]
	s_cbranch_execnz .LBB207_423
	s_branch .LBB207_424
.LBB207_441:
	s_mov_b64 s[0:1], -1
                                        ; implicit-def: $vgpr3
	s_branch .LBB207_446
.LBB207_442:
	s_mov_b64 s[0:1], -1
                                        ; implicit-def: $vgpr3
.LBB207_443:
	s_and_b64 vcc, exec, s[0:1]
	s_cbranch_vccz .LBB207_445
; %bb.444:
	global_load_ubyte v3, v[0:1], off
	s_mov_b32 s0, 0x7f800000
	s_waitcnt vmcnt(0)
	v_lshlrev_b32_e32 v3, 24, v3
	v_and_b32_e32 v4, 0x7f000000, v3
	v_ffbh_u32_e32 v5, v4
	v_min_u32_e32 v5, 32, v5
	v_sub_u32_e64 v5, v5, 4 clamp
	v_lshlrev_b32_e32 v7, v5, v4
	v_lshlrev_b32_e32 v5, 23, v5
	v_lshrrev_b32_e32 v7, 4, v7
	v_add_u32_e32 v6, 0x1000000, v4
	v_sub_u32_e32 v5, v7, v5
	v_ashrrev_i32_e32 v6, 8, v6
	v_add_u32_e32 v5, 0x3c000000, v5
	v_and_or_b32 v5, v6, s0, v5
	v_cmp_ne_u32_e32 vcc, 0, v4
	v_cndmask_b32_e32 v4, 0, v5, vcc
	s_brev_b32 s0, 1
	v_and_or_b32 v3, v3, s0, v4
	v_cvt_f16_f32_e32 v3, v3
.LBB207_445:
	s_mov_b64 s[0:1], 0
.LBB207_446:
	s_andn2_b64 vcc, exec, s[0:1]
	s_cbranch_vccnz .LBB207_448
; %bb.447:
	global_load_ubyte v3, v[0:1], off
	s_movk_i32 s0, 0x7f00
	s_brev_b32 s1, 16
	s_waitcnt vmcnt(0)
	v_lshlrev_b16_e32 v4, 8, v3
	v_lshlrev_b32_e32 v3, 25, v3
	v_lshrrev_b32_e32 v5, 4, v3
	v_and_or_b32 v6, v4, s0, 0.5
	v_or_b32_e32 v5, 0x70000000, v5
	v_add_f32_e32 v6, -0.5, v6
	v_mul_f32_e32 v5, 0x7800000, v5
	v_cmp_gt_u32_e32 vcc, s1, v3
	v_bfe_i32 v4, v4, 0, 16
	v_cndmask_b32_e32 v3, v5, v6, vcc
	s_brev_b32 s0, 1
	v_and_or_b32 v3, v4, s0, v3
	v_cvt_f16_f32_e32 v3, v3
.LBB207_448:
	s_mov_b64 s[22:23], 0
	s_mov_b64 s[0:1], -1
.LBB207_449:
	s_andn2_b64 vcc, exec, s[22:23]
	s_cbranch_vccnz .LBB207_462
; %bb.450:
	s_cmp_gt_i32 s28, 14
	s_cbranch_scc0 .LBB207_453
; %bb.451:
	s_cmp_eq_u32 s28, 15
	s_cbranch_scc0 .LBB207_456
; %bb.452:
	global_load_ushort v3, v[0:1], off
	s_mov_b64 s[0:1], -1
	s_mov_b64 s[20:21], 0
	s_waitcnt vmcnt(0)
	v_lshlrev_b32_e32 v3, 16, v3
	v_cvt_f16_f32_e32 v3, v3
	s_branch .LBB207_457
.LBB207_453:
	s_mov_b64 s[22:23], -1
                                        ; implicit-def: $vgpr3
	s_branch .LBB207_458
.LBB207_454:
	s_or_saveexec_b64 s[22:23], s[22:23]
	v_mov_b32_e32 v3, 0x7e00
	s_xor_b64 exec, exec, s[22:23]
	s_cbranch_execz .LBB207_435
.LBB207_455:
	v_cmp_ne_u16_e32 vcc, 0, v4
	s_andn2_b64 s[0:1], s[0:1], exec
	s_and_b64 s[26:27], vcc, exec
	s_or_b64 s[0:1], s[0:1], s[26:27]
	v_mov_b32_e32 v3, v4
	s_or_b64 exec, exec, s[22:23]
	s_and_saveexec_b64 s[22:23], s[0:1]
	s_cbranch_execnz .LBB207_436
	s_branch .LBB207_437
.LBB207_456:
	s_mov_b64 s[20:21], -1
                                        ; implicit-def: $vgpr3
.LBB207_457:
	s_mov_b64 s[22:23], 0
.LBB207_458:
	s_and_b64 vcc, exec, s[22:23]
	s_cbranch_vccz .LBB207_462
; %bb.459:
	s_cmp_eq_u32 s28, 11
	s_cbranch_scc0 .LBB207_461
; %bb.460:
	global_load_ubyte v3, v[0:1], off
	v_mov_b32_e32 v4, 0x3c00
	s_mov_b64 s[0:1], -1
	s_mov_b64 s[20:21], 0
	s_waitcnt vmcnt(0)
	v_cmp_ne_u16_e32 vcc, 0, v3
	v_cndmask_b32_e32 v3, 0, v4, vcc
	s_branch .LBB207_462
.LBB207_461:
	s_mov_b64 s[20:21], -1
                                        ; implicit-def: $vgpr3
.LBB207_462:
	s_branch .LBB207_265
.LBB207_463:
	s_cmp_lt_i32 s28, 5
	s_cbranch_scc1 .LBB207_468
; %bb.464:
	s_cmp_lt_i32 s28, 8
	s_cbranch_scc1 .LBB207_469
; %bb.465:
	;; [unrolled: 3-line block ×3, first 2 shown]
	s_cmp_gt_i32 s28, 9
	s_cbranch_scc0 .LBB207_471
; %bb.467:
	global_load_dwordx2 v[3:4], v[0:1], off
	s_movk_i32 s0, 0x1ff
	s_movk_i32 s1, 0xffe
	v_mov_b32_e32 v5, 0x7c00
	v_mov_b32_e32 v6, 0x7e00
	s_movk_i32 s22, 0x40f
	s_mov_b32 s23, 0x8000
	s_waitcnt vmcnt(0)
	v_and_or_b32 v3, v4, s0, v3
	v_cmp_ne_u32_e32 vcc, 0, v3
	v_lshrrev_b32_e32 v7, 8, v4
	v_bfe_u32 v8, v4, 20, 11
	v_cndmask_b32_e64 v3, 0, 1, vcc
	v_sub_u32_e32 v9, 0x3f1, v8
	v_and_or_b32 v3, v7, s1, v3
	v_add_u32_e32 v8, 0xfffffc10, v8
	v_med3_i32 v7, v9, 0, 13
	v_or_b32_e32 v9, 0x1000, v3
	v_cmp_ne_u32_e32 vcc, 0, v3
	v_lshl_or_b32 v10, v8, 12, v3
	v_cndmask_b32_e32 v3, v5, v6, vcc
	v_lshrrev_b32_e32 v6, v7, v9
	v_lshlrev_b32_e32 v7, v7, v6
	v_cmp_ne_u32_e32 vcc, v7, v9
	v_cndmask_b32_e64 v7, 0, 1, vcc
	v_or_b32_e32 v6, v6, v7
	v_cmp_gt_i32_e32 vcc, 1, v8
	v_cndmask_b32_e32 v6, v10, v6, vcc
	v_and_b32_e32 v7, 7, v6
	v_cmp_lt_i32_e32 vcc, 5, v7
	v_cndmask_b32_e64 v9, 0, 1, vcc
	v_cmp_eq_u32_e32 vcc, 3, v7
	v_cndmask_b32_e64 v7, 0, 1, vcc
	v_lshrrev_b32_e32 v6, 2, v6
	v_or_b32_e32 v7, v7, v9
	v_add_u32_e32 v6, v6, v7
	v_cmp_gt_i32_e32 vcc, 31, v8
	v_cndmask_b32_e32 v5, v5, v6, vcc
	v_cmp_eq_u32_e32 vcc, s22, v8
	v_lshrrev_b32_e32 v4, 16, v4
	v_cndmask_b32_e32 v3, v5, v3, vcc
	v_and_or_b32 v3, v4, s23, v3
	s_mov_b64 s[0:1], 0
	s_branch .LBB207_472
.LBB207_468:
	s_mov_b64 s[0:1], -1
                                        ; implicit-def: $vgpr3
	s_branch .LBB207_490
.LBB207_469:
	s_mov_b64 s[0:1], -1
                                        ; implicit-def: $vgpr3
	s_branch .LBB207_478
.LBB207_470:
	s_mov_b64 s[0:1], -1
                                        ; implicit-def: $vgpr3
	s_branch .LBB207_475
.LBB207_471:
	s_mov_b64 s[0:1], -1
                                        ; implicit-def: $vgpr3
.LBB207_472:
	s_andn2_b64 vcc, exec, s[0:1]
	s_cbranch_vccnz .LBB207_474
; %bb.473:
	global_load_dword v3, v[0:1], off
	s_waitcnt vmcnt(0)
	v_cvt_f16_f32_e32 v3, v3
.LBB207_474:
	s_mov_b64 s[0:1], 0
.LBB207_475:
	s_andn2_b64 vcc, exec, s[0:1]
	s_cbranch_vccnz .LBB207_477
; %bb.476:
	global_load_dword v3, v[0:1], off
.LBB207_477:
	s_mov_b64 s[0:1], 0
.LBB207_478:
	s_andn2_b64 vcc, exec, s[0:1]
	s_cbranch_vccnz .LBB207_489
; %bb.479:
	s_cmp_lt_i32 s28, 6
	s_cbranch_scc1 .LBB207_482
; %bb.480:
	s_cmp_gt_i32 s28, 6
	s_cbranch_scc0 .LBB207_483
; %bb.481:
	global_load_dwordx2 v[3:4], v[0:1], off
	s_movk_i32 s0, 0x1ff
	s_movk_i32 s1, 0xffe
	v_mov_b32_e32 v5, 0x7c00
	v_mov_b32_e32 v6, 0x7e00
	s_movk_i32 s22, 0x40f
	s_mov_b32 s23, 0x8000
	s_waitcnt vmcnt(0)
	v_and_or_b32 v3, v4, s0, v3
	v_cmp_ne_u32_e32 vcc, 0, v3
	v_lshrrev_b32_e32 v7, 8, v4
	v_bfe_u32 v8, v4, 20, 11
	v_cndmask_b32_e64 v3, 0, 1, vcc
	v_sub_u32_e32 v9, 0x3f1, v8
	v_and_or_b32 v3, v7, s1, v3
	v_add_u32_e32 v8, 0xfffffc10, v8
	v_med3_i32 v7, v9, 0, 13
	v_or_b32_e32 v9, 0x1000, v3
	v_cmp_ne_u32_e32 vcc, 0, v3
	v_lshl_or_b32 v10, v8, 12, v3
	v_cndmask_b32_e32 v3, v5, v6, vcc
	v_lshrrev_b32_e32 v6, v7, v9
	v_lshlrev_b32_e32 v7, v7, v6
	v_cmp_ne_u32_e32 vcc, v7, v9
	v_cndmask_b32_e64 v7, 0, 1, vcc
	v_or_b32_e32 v6, v6, v7
	v_cmp_gt_i32_e32 vcc, 1, v8
	v_cndmask_b32_e32 v6, v10, v6, vcc
	v_and_b32_e32 v7, 7, v6
	v_cmp_lt_i32_e32 vcc, 5, v7
	v_cndmask_b32_e64 v9, 0, 1, vcc
	v_cmp_eq_u32_e32 vcc, 3, v7
	v_cndmask_b32_e64 v7, 0, 1, vcc
	v_lshrrev_b32_e32 v6, 2, v6
	v_or_b32_e32 v7, v7, v9
	v_add_u32_e32 v6, v6, v7
	v_cmp_gt_i32_e32 vcc, 31, v8
	v_cndmask_b32_e32 v5, v5, v6, vcc
	v_cmp_eq_u32_e32 vcc, s22, v8
	v_lshrrev_b32_e32 v4, 16, v4
	v_cndmask_b32_e32 v3, v5, v3, vcc
	v_and_or_b32 v3, v4, s23, v3
	s_mov_b64 s[0:1], 0
	s_branch .LBB207_484
.LBB207_482:
	s_mov_b64 s[0:1], -1
                                        ; implicit-def: $vgpr3
	s_branch .LBB207_487
.LBB207_483:
	s_mov_b64 s[0:1], -1
                                        ; implicit-def: $vgpr3
.LBB207_484:
	s_andn2_b64 vcc, exec, s[0:1]
	s_cbranch_vccnz .LBB207_486
; %bb.485:
	global_load_dword v3, v[0:1], off
	s_waitcnt vmcnt(0)
	v_cvt_f16_f32_e32 v3, v3
.LBB207_486:
	s_mov_b64 s[0:1], 0
.LBB207_487:
	s_andn2_b64 vcc, exec, s[0:1]
	s_cbranch_vccnz .LBB207_489
; %bb.488:
	global_load_ushort v3, v[0:1], off
.LBB207_489:
	s_mov_b64 s[0:1], 0
.LBB207_490:
	s_andn2_b64 vcc, exec, s[0:1]
	s_cbranch_vccnz .LBB207_510
; %bb.491:
	s_cmp_lt_i32 s28, 2
	s_cbranch_scc1 .LBB207_495
; %bb.492:
	s_cmp_lt_i32 s28, 3
	s_cbranch_scc1 .LBB207_496
; %bb.493:
	s_cmp_gt_i32 s28, 3
	s_cbranch_scc0 .LBB207_497
; %bb.494:
	global_load_dwordx2 v[3:4], v[0:1], off
	s_mov_b64 s[0:1], 0
	s_waitcnt vmcnt(0)
	v_xor_b32_e32 v6, v3, v4
	v_ffbh_i32_e32 v5, v4
	v_ashrrev_i32_e32 v6, 31, v6
	v_add_u32_e32 v5, -1, v5
	v_add_u32_e32 v6, 32, v6
	v_min_u32_e32 v5, v5, v6
	v_lshlrev_b64 v[3:4], v5, v[3:4]
	v_min_u32_e32 v3, 1, v3
	v_or_b32_e32 v3, v4, v3
	v_cvt_f32_i32_e32 v3, v3
	v_sub_u32_e32 v4, 32, v5
	v_ldexp_f32 v3, v3, v4
	v_cvt_f16_f32_e32 v3, v3
	s_branch .LBB207_498
.LBB207_495:
	s_mov_b64 s[0:1], -1
                                        ; implicit-def: $vgpr3
	s_branch .LBB207_504
.LBB207_496:
	s_mov_b64 s[0:1], -1
                                        ; implicit-def: $vgpr3
	s_branch .LBB207_501
.LBB207_497:
	s_mov_b64 s[0:1], -1
                                        ; implicit-def: $vgpr3
.LBB207_498:
	s_andn2_b64 vcc, exec, s[0:1]
	s_cbranch_vccnz .LBB207_500
; %bb.499:
	global_load_dword v3, v[0:1], off
	s_waitcnt vmcnt(0)
	v_cvt_f32_i32_e32 v3, v3
	v_cvt_f16_f32_e32 v3, v3
.LBB207_500:
	s_mov_b64 s[0:1], 0
.LBB207_501:
	s_andn2_b64 vcc, exec, s[0:1]
	s_cbranch_vccnz .LBB207_503
; %bb.502:
	global_load_ushort v3, v[0:1], off
	s_waitcnt vmcnt(0)
	v_cvt_f16_i16_e32 v3, v3
.LBB207_503:
	s_mov_b64 s[0:1], 0
.LBB207_504:
	s_andn2_b64 vcc, exec, s[0:1]
	s_cbranch_vccnz .LBB207_510
; %bb.505:
	s_cmp_gt_i32 s28, 0
	s_cbranch_scc0 .LBB207_507
; %bb.506:
	global_load_sbyte v3, v[0:1], off
	s_mov_b64 s[0:1], 0
	s_waitcnt vmcnt(0)
	v_cvt_f16_i16_e32 v3, v3
	s_branch .LBB207_508
.LBB207_507:
	s_mov_b64 s[0:1], -1
                                        ; implicit-def: $vgpr3
.LBB207_508:
	s_andn2_b64 vcc, exec, s[0:1]
	s_cbranch_vccnz .LBB207_510
; %bb.509:
	global_load_ubyte v0, v[0:1], off
	s_waitcnt vmcnt(0)
	v_cvt_f16_u16_e32 v3, v0
.LBB207_510:
	s_branch .LBB207_266
.LBB207_511:
	s_mov_b64 s[26:27], 0
                                        ; implicit-def: $vgpr2
	s_mov_b64 s[0:1], s[6:7]
.LBB207_512:
	s_andn2_b64 s[22:23], s[6:7], exec
	s_and_b64 s[0:1], s[0:1], exec
	s_or_b64 s[22:23], s[22:23], s[0:1]
	s_andn2_b64 s[0:1], s[16:17], exec
	s_and_b64 s[20:21], s[20:21], exec
	s_or_b64 s[20:21], s[0:1], s[20:21]
	s_orn2_b64 s[0:1], s[26:27], exec
.LBB207_513:
	s_or_b64 exec, exec, s[24:25]
	s_mov_b64 s[26:27], 0
	s_mov_b64 s[28:29], 0
	;; [unrolled: 1-line block ×3, first 2 shown]
                                        ; implicit-def: $vgpr0_vgpr1
                                        ; implicit-def: $vgpr4
	s_and_saveexec_b64 s[24:25], s[0:1]
	s_cbranch_execz .LBB207_858
; %bb.514:
	v_cmp_gt_i32_e32 vcc, s40, v2
	s_mov_b64 s[36:37], -1
	s_mov_b64 s[0:1], s[20:21]
	s_mov_b64 s[30:31], s[22:23]
	s_and_saveexec_b64 s[26:27], vcc
	s_cbranch_execz .LBB207_772
; %bb.515:
	v_mul_lo_u32 v0, v2, s13
	v_mov_b32_e32 v1, s11
	s_and_b32 s36, 0xffff, s45
	s_cmp_lt_i32 s36, 11
	s_waitcnt vmcnt(0)
	v_ashrrev_i32_e32 v3, 31, v0
	v_add_co_u32_e32 v0, vcc, s10, v0
	v_addc_co_u32_e32 v1, vcc, v1, v3, vcc
	s_cbranch_scc1 .LBB207_522
; %bb.516:
	s_cmp_gt_i32 s36, 25
	s_cbranch_scc0 .LBB207_523
; %bb.517:
	s_cmp_gt_i32 s36, 28
	s_cbranch_scc0 .LBB207_524
	;; [unrolled: 3-line block ×4, first 2 shown]
; %bb.520:
	s_cmp_eq_u32 s36, 46
	s_mov_b64 s[30:31], 0
	s_cbranch_scc0 .LBB207_531
; %bb.521:
	global_load_dword v3, v[0:1], off
	s_mov_b64 s[0:1], -1
	s_waitcnt vmcnt(0)
	v_lshlrev_b32_e32 v3, 16, v3
	v_cvt_f16_f32_e32 v3, v3
	s_branch .LBB207_532
.LBB207_522:
	s_mov_b64 s[30:31], -1
	s_mov_b64 s[0:1], 0
                                        ; implicit-def: $vgpr3
	s_mov_b64 s[28:29], s[20:21]
	s_branch .LBB207_597
.LBB207_523:
	s_mov_b64 s[30:31], -1
	s_mov_b64 s[0:1], 0
	s_mov_b64 s[28:29], s[20:21]
                                        ; implicit-def: $vgpr3
	s_branch .LBB207_561
.LBB207_524:
	s_mov_b64 s[30:31], -1
	s_mov_b64 s[0:1], 0
	s_mov_b64 s[28:29], s[20:21]
                                        ; implicit-def: $vgpr3
	s_branch .LBB207_542
.LBB207_525:
	s_mov_b64 s[30:31], -1
	s_mov_b64 s[0:1], 0
	s_mov_b64 s[28:29], s[20:21]
                                        ; implicit-def: $vgpr3
	s_branch .LBB207_537
.LBB207_526:
	s_andn2_saveexec_b64 s[28:29], s[28:29]
	s_cbranch_execz .LBB207_311
.LBB207_527:
	s_mov_b32 s34, 0x46000000
	v_add_f32_e64 v5, |v4|, s34
	v_and_b32_e32 v5, 0xff, v5
	v_cmp_ne_u32_e32 vcc, 0, v5
	s_andn2_b64 s[26:27], s[26:27], exec
	s_and_b64 s[34:35], vcc, exec
	s_or_b64 s[26:27], s[26:27], s[34:35]
	s_or_b64 exec, exec, s[28:29]
	v_mov_b32_e32 v6, 0
	s_and_saveexec_b64 s[28:29], s[26:27]
	s_cbranch_execnz .LBB207_312
	s_branch .LBB207_313
.LBB207_528:
	s_mov_b64 s[30:31], -1
	s_mov_b64 s[0:1], 0
	s_mov_b64 s[28:29], s[20:21]
                                        ; implicit-def: $vgpr3
	s_branch .LBB207_532
.LBB207_529:
	s_andn2_saveexec_b64 s[28:29], s[28:29]
	s_cbranch_execz .LBB207_324
.LBB207_530:
	s_mov_b32 s34, 0x42800000
	v_add_f32_e64 v5, |v4|, s34
	v_and_b32_e32 v5, 0xff, v5
	v_cmp_ne_u32_e32 vcc, 0, v5
	s_andn2_b64 s[26:27], s[26:27], exec
	s_and_b64 s[34:35], vcc, exec
	s_or_b64 s[26:27], s[26:27], s[34:35]
	s_or_b64 exec, exec, s[28:29]
	v_mov_b32_e32 v6, 0
	s_and_saveexec_b64 s[28:29], s[26:27]
	s_cbranch_execnz .LBB207_325
	s_branch .LBB207_326
.LBB207_531:
	s_mov_b64 s[28:29], -1
                                        ; implicit-def: $vgpr3
	s_mov_b64 s[0:1], 0
.LBB207_532:
	s_and_b64 vcc, exec, s[30:31]
	s_cbranch_vccz .LBB207_536
; %bb.533:
	s_cmp_eq_u32 s36, 44
	s_cbranch_scc0 .LBB207_535
; %bb.534:
	global_load_ubyte v3, v[0:1], off
	s_movk_i32 s28, 0xff
	v_mov_b32_e32 v5, 0x7e00
	s_mov_b64 s[0:1], -1
	s_waitcnt vmcnt(0)
	v_lshlrev_b32_e32 v4, 23, v3
	v_cvt_f16_f32_e32 v4, v4
	v_cmp_ne_u32_e32 vcc, s28, v3
	s_mov_b64 s[28:29], 0
	v_cndmask_b32_e32 v4, v5, v4, vcc
	v_cmp_ne_u32_e32 vcc, 0, v3
	v_cndmask_b32_e32 v3, 0, v4, vcc
	s_branch .LBB207_536
.LBB207_535:
	s_mov_b64 s[28:29], -1
                                        ; implicit-def: $vgpr3
.LBB207_536:
	s_mov_b64 s[30:31], 0
.LBB207_537:
	s_and_b64 vcc, exec, s[30:31]
	s_cbranch_vccz .LBB207_541
; %bb.538:
	s_cmp_eq_u32 s36, 29
	s_cbranch_scc0 .LBB207_540
; %bb.539:
	global_load_dwordx2 v[3:4], v[0:1], off
	s_mov_b64 s[0:1], -1
	s_mov_b64 s[28:29], 0
	s_mov_b64 s[30:31], 0
	s_waitcnt vmcnt(0)
	v_ffbh_u32_e32 v5, v4
	v_min_u32_e32 v5, 32, v5
	v_lshlrev_b64 v[3:4], v5, v[3:4]
	v_min_u32_e32 v3, 1, v3
	v_or_b32_e32 v3, v4, v3
	v_cvt_f32_u32_e32 v3, v3
	v_sub_u32_e32 v4, 32, v5
	v_ldexp_f32 v3, v3, v4
	v_cvt_f16_f32_e32 v3, v3
	s_branch .LBB207_542
.LBB207_540:
	s_mov_b64 s[28:29], -1
                                        ; implicit-def: $vgpr3
.LBB207_541:
	s_mov_b64 s[30:31], 0
.LBB207_542:
	s_and_b64 vcc, exec, s[30:31]
	s_cbranch_vccz .LBB207_560
; %bb.543:
	s_cmp_lt_i32 s36, 27
	s_cbranch_scc1 .LBB207_546
; %bb.544:
	s_cmp_gt_i32 s36, 27
	s_cbranch_scc0 .LBB207_547
; %bb.545:
	global_load_dword v3, v[0:1], off
	s_mov_b64 s[0:1], 0
	s_waitcnt vmcnt(0)
	v_cvt_f32_u32_e32 v3, v3
	v_cvt_f16_f32_e32 v3, v3
	s_branch .LBB207_548
.LBB207_546:
	s_mov_b64 s[0:1], -1
                                        ; implicit-def: $vgpr3
	s_branch .LBB207_551
.LBB207_547:
	s_mov_b64 s[0:1], -1
                                        ; implicit-def: $vgpr3
.LBB207_548:
	s_andn2_b64 vcc, exec, s[0:1]
	s_cbranch_vccnz .LBB207_550
; %bb.549:
	global_load_ushort v3, v[0:1], off
	s_waitcnt vmcnt(0)
	v_cvt_f16_u16_e32 v3, v3
.LBB207_550:
	s_mov_b64 s[0:1], 0
.LBB207_551:
	s_andn2_b64 vcc, exec, s[0:1]
	s_cbranch_vccnz .LBB207_559
; %bb.552:
	global_load_ubyte v4, v[0:1], off
	s_movk_i32 s0, 0x7f
	s_waitcnt vmcnt(0)
	v_cmp_lt_i16_e32 vcc, s0, v4
	s_mov_b64 s[0:1], 0
	s_and_saveexec_b64 s[30:31], vcc
	s_xor_b64 s[30:31], exec, s[30:31]
	s_cbranch_execz .LBB207_573
; %bb.553:
	s_movk_i32 s0, 0x80
	v_cmp_eq_u16_e32 vcc, s0, v4
	s_mov_b64 s[0:1], -1
	s_and_saveexec_b64 s[34:35], vcc
; %bb.554:
	s_xor_b64 s[0:1], exec, -1
; %bb.555:
	s_or_b64 exec, exec, s[34:35]
	s_and_b64 s[0:1], s[0:1], exec
	s_or_saveexec_b64 s[30:31], s[30:31]
	v_mov_b32_e32 v3, 0x7e00
	s_xor_b64 exec, exec, s[30:31]
	s_cbranch_execnz .LBB207_574
.LBB207_556:
	s_or_b64 exec, exec, s[30:31]
	s_and_saveexec_b64 s[30:31], s[0:1]
	s_cbranch_execz .LBB207_558
.LBB207_557:
	v_lshlrev_b32_e32 v3, 24, v4
	v_and_b32_e32 v4, 0xffff, v4
	v_and_b32_e32 v5, 7, v4
	v_ffbh_u32_e32 v7, v5
	v_min_u32_e32 v7, 32, v7
	v_subrev_u32_e32 v8, 28, v7
	v_bfe_u32 v6, v4, 3, 4
	v_lshlrev_b32_e32 v4, v8, v4
	v_sub_u32_e32 v7, 29, v7
	v_and_b32_e32 v4, 7, v4
	v_cmp_eq_u32_e32 vcc, 0, v6
	v_cndmask_b32_e32 v6, v6, v7, vcc
	v_cndmask_b32_e32 v4, v5, v4, vcc
	v_mov_b32_e32 v5, 0x3b800000
	v_lshlrev_b32_e32 v4, 20, v4
	v_and_b32_e32 v3, 0x80000000, v3
	v_lshl_add_u32 v5, v6, 23, v5
	v_or3_b32 v3, v3, v5, v4
	v_cvt_f16_f32_e32 v3, v3
.LBB207_558:
	s_or_b64 exec, exec, s[30:31]
.LBB207_559:
	s_mov_b64 s[0:1], -1
.LBB207_560:
	s_mov_b64 s[30:31], 0
.LBB207_561:
	s_and_b64 vcc, exec, s[30:31]
	s_cbranch_vccz .LBB207_596
; %bb.562:
	s_cmp_gt_i32 s36, 22
	s_cbranch_scc0 .LBB207_572
; %bb.563:
	s_cmp_lt_i32 s36, 24
	s_cbranch_scc1 .LBB207_575
; %bb.564:
	s_cmp_gt_i32 s36, 24
	s_cbranch_scc0 .LBB207_576
; %bb.565:
	global_load_ubyte v4, v[0:1], off
	s_movk_i32 s0, 0x7f
	s_waitcnt vmcnt(0)
	v_cmp_lt_i16_e32 vcc, s0, v4
	s_mov_b64 s[0:1], 0
	s_and_saveexec_b64 s[30:31], vcc
	s_xor_b64 s[30:31], exec, s[30:31]
	s_cbranch_execz .LBB207_588
; %bb.566:
	s_movk_i32 s0, 0x80
	v_cmp_eq_u16_e32 vcc, s0, v4
	s_mov_b64 s[0:1], -1
	s_and_saveexec_b64 s[34:35], vcc
; %bb.567:
	s_xor_b64 s[0:1], exec, -1
; %bb.568:
	s_or_b64 exec, exec, s[34:35]
	s_and_b64 s[0:1], s[0:1], exec
	s_or_saveexec_b64 s[30:31], s[30:31]
	v_mov_b32_e32 v3, 0x7e00
	s_xor_b64 exec, exec, s[30:31]
	s_cbranch_execnz .LBB207_589
.LBB207_569:
	s_or_b64 exec, exec, s[30:31]
	s_and_saveexec_b64 s[30:31], s[0:1]
	s_cbranch_execz .LBB207_571
.LBB207_570:
	v_lshlrev_b32_e32 v3, 24, v4
	v_and_b32_e32 v4, 0xffff, v4
	v_and_b32_e32 v5, 3, v4
	v_ffbh_u32_e32 v7, v5
	v_min_u32_e32 v7, 32, v7
	v_subrev_u32_e32 v8, 29, v7
	v_bfe_u32 v6, v4, 2, 5
	v_lshlrev_b32_e32 v4, v8, v4
	v_sub_u32_e32 v7, 30, v7
	v_and_b32_e32 v4, 3, v4
	v_cmp_eq_u32_e32 vcc, 0, v6
	v_cndmask_b32_e32 v6, v6, v7, vcc
	v_cndmask_b32_e32 v4, v5, v4, vcc
	v_mov_b32_e32 v5, 0x37800000
	v_lshlrev_b32_e32 v4, 21, v4
	v_and_b32_e32 v3, 0x80000000, v3
	v_lshl_add_u32 v5, v6, 23, v5
	v_or3_b32 v3, v3, v5, v4
	v_cvt_f16_f32_e32 v3, v3
.LBB207_571:
	s_or_b64 exec, exec, s[30:31]
	s_mov_b64 s[0:1], 0
	s_branch .LBB207_577
.LBB207_572:
	s_mov_b64 s[30:31], -1
                                        ; implicit-def: $vgpr3
	s_branch .LBB207_583
.LBB207_573:
	s_or_saveexec_b64 s[30:31], s[30:31]
	v_mov_b32_e32 v3, 0x7e00
	s_xor_b64 exec, exec, s[30:31]
	s_cbranch_execz .LBB207_556
.LBB207_574:
	v_cmp_ne_u16_e32 vcc, 0, v4
	s_andn2_b64 s[0:1], s[0:1], exec
	s_and_b64 s[34:35], vcc, exec
	s_or_b64 s[0:1], s[0:1], s[34:35]
	v_mov_b32_e32 v3, v4
	s_or_b64 exec, exec, s[30:31]
	s_and_saveexec_b64 s[30:31], s[0:1]
	s_cbranch_execnz .LBB207_557
	s_branch .LBB207_558
.LBB207_575:
	s_mov_b64 s[0:1], -1
                                        ; implicit-def: $vgpr3
	s_branch .LBB207_580
.LBB207_576:
	s_mov_b64 s[0:1], -1
                                        ; implicit-def: $vgpr3
.LBB207_577:
	s_and_b64 vcc, exec, s[0:1]
	s_cbranch_vccz .LBB207_579
; %bb.578:
	global_load_ubyte v3, v[0:1], off
	s_mov_b32 s0, 0x7f800000
	s_waitcnt vmcnt(0)
	v_lshlrev_b32_e32 v3, 24, v3
	v_and_b32_e32 v4, 0x7f000000, v3
	v_ffbh_u32_e32 v5, v4
	v_min_u32_e32 v5, 32, v5
	v_sub_u32_e64 v5, v5, 4 clamp
	v_lshlrev_b32_e32 v7, v5, v4
	v_lshlrev_b32_e32 v5, 23, v5
	v_lshrrev_b32_e32 v7, 4, v7
	v_add_u32_e32 v6, 0x1000000, v4
	v_sub_u32_e32 v5, v7, v5
	v_ashrrev_i32_e32 v6, 8, v6
	v_add_u32_e32 v5, 0x3c000000, v5
	v_and_or_b32 v5, v6, s0, v5
	v_cmp_ne_u32_e32 vcc, 0, v4
	v_cndmask_b32_e32 v4, 0, v5, vcc
	s_brev_b32 s0, 1
	v_and_or_b32 v3, v3, s0, v4
	v_cvt_f16_f32_e32 v3, v3
.LBB207_579:
	s_mov_b64 s[0:1], 0
.LBB207_580:
	s_andn2_b64 vcc, exec, s[0:1]
	s_cbranch_vccnz .LBB207_582
; %bb.581:
	global_load_ubyte v3, v[0:1], off
	s_movk_i32 s0, 0x7f00
	s_brev_b32 s1, 16
	s_waitcnt vmcnt(0)
	v_lshlrev_b16_e32 v4, 8, v3
	v_lshlrev_b32_e32 v3, 25, v3
	v_lshrrev_b32_e32 v5, 4, v3
	v_and_or_b32 v6, v4, s0, 0.5
	v_or_b32_e32 v5, 0x70000000, v5
	v_add_f32_e32 v6, -0.5, v6
	v_mul_f32_e32 v5, 0x7800000, v5
	v_cmp_gt_u32_e32 vcc, s1, v3
	v_bfe_i32 v4, v4, 0, 16
	v_cndmask_b32_e32 v3, v5, v6, vcc
	s_brev_b32 s0, 1
	v_and_or_b32 v3, v4, s0, v3
	v_cvt_f16_f32_e32 v3, v3
.LBB207_582:
	s_mov_b64 s[30:31], 0
	s_mov_b64 s[0:1], -1
.LBB207_583:
	s_andn2_b64 vcc, exec, s[30:31]
	s_cbranch_vccnz .LBB207_596
; %bb.584:
	s_cmp_gt_i32 s36, 14
	s_cbranch_scc0 .LBB207_587
; %bb.585:
	s_cmp_eq_u32 s36, 15
	s_cbranch_scc0 .LBB207_590
; %bb.586:
	global_load_ushort v3, v[0:1], off
	s_mov_b64 s[0:1], -1
	s_mov_b64 s[28:29], 0
	s_waitcnt vmcnt(0)
	v_lshlrev_b32_e32 v3, 16, v3
	v_cvt_f16_f32_e32 v3, v3
	s_branch .LBB207_591
.LBB207_587:
	s_mov_b64 s[30:31], -1
                                        ; implicit-def: $vgpr3
	s_branch .LBB207_592
.LBB207_588:
	s_or_saveexec_b64 s[30:31], s[30:31]
	v_mov_b32_e32 v3, 0x7e00
	s_xor_b64 exec, exec, s[30:31]
	s_cbranch_execz .LBB207_569
.LBB207_589:
	v_cmp_ne_u16_e32 vcc, 0, v4
	s_andn2_b64 s[0:1], s[0:1], exec
	s_and_b64 s[34:35], vcc, exec
	s_or_b64 s[0:1], s[0:1], s[34:35]
	v_mov_b32_e32 v3, v4
	s_or_b64 exec, exec, s[30:31]
	s_and_saveexec_b64 s[30:31], s[0:1]
	s_cbranch_execnz .LBB207_570
	s_branch .LBB207_571
.LBB207_590:
	s_mov_b64 s[28:29], -1
                                        ; implicit-def: $vgpr3
.LBB207_591:
	s_mov_b64 s[30:31], 0
.LBB207_592:
	s_and_b64 vcc, exec, s[30:31]
	s_cbranch_vccz .LBB207_596
; %bb.593:
	s_cmp_eq_u32 s36, 11
	s_cbranch_scc0 .LBB207_595
; %bb.594:
	global_load_ubyte v3, v[0:1], off
	v_mov_b32_e32 v4, 0x3c00
	s_mov_b64 s[0:1], -1
	s_mov_b64 s[28:29], 0
	s_waitcnt vmcnt(0)
	v_cmp_ne_u16_e32 vcc, 0, v3
	v_cndmask_b32_e32 v3, 0, v4, vcc
	s_branch .LBB207_596
.LBB207_595:
	s_mov_b64 s[28:29], -1
                                        ; implicit-def: $vgpr3
.LBB207_596:
	s_mov_b64 s[30:31], 0
.LBB207_597:
	s_and_b64 vcc, exec, s[30:31]
	s_cbranch_vccz .LBB207_646
; %bb.598:
	s_cmp_lt_i32 s36, 5
	s_cbranch_scc1 .LBB207_603
; %bb.599:
	s_cmp_lt_i32 s36, 8
	s_cbranch_scc1 .LBB207_604
	;; [unrolled: 3-line block ×3, first 2 shown]
; %bb.601:
	s_cmp_gt_i32 s36, 9
	s_cbranch_scc0 .LBB207_606
; %bb.602:
	global_load_dwordx2 v[3:4], v[0:1], off
	s_movk_i32 s0, 0x1ff
	s_movk_i32 s1, 0xffe
	v_mov_b32_e32 v5, 0x7c00
	v_mov_b32_e32 v6, 0x7e00
	s_movk_i32 s30, 0x40f
	s_mov_b32 s31, 0x8000
	s_waitcnt vmcnt(0)
	v_and_or_b32 v3, v4, s0, v3
	v_cmp_ne_u32_e32 vcc, 0, v3
	v_lshrrev_b32_e32 v7, 8, v4
	v_bfe_u32 v8, v4, 20, 11
	v_cndmask_b32_e64 v3, 0, 1, vcc
	v_sub_u32_e32 v9, 0x3f1, v8
	v_and_or_b32 v3, v7, s1, v3
	v_add_u32_e32 v8, 0xfffffc10, v8
	v_med3_i32 v7, v9, 0, 13
	v_or_b32_e32 v9, 0x1000, v3
	v_cmp_ne_u32_e32 vcc, 0, v3
	v_lshl_or_b32 v10, v8, 12, v3
	v_cndmask_b32_e32 v3, v5, v6, vcc
	v_lshrrev_b32_e32 v6, v7, v9
	v_lshlrev_b32_e32 v7, v7, v6
	v_cmp_ne_u32_e32 vcc, v7, v9
	v_cndmask_b32_e64 v7, 0, 1, vcc
	v_or_b32_e32 v6, v6, v7
	v_cmp_gt_i32_e32 vcc, 1, v8
	v_cndmask_b32_e32 v6, v10, v6, vcc
	v_and_b32_e32 v7, 7, v6
	v_cmp_lt_i32_e32 vcc, 5, v7
	v_cndmask_b32_e64 v9, 0, 1, vcc
	v_cmp_eq_u32_e32 vcc, 3, v7
	v_cndmask_b32_e64 v7, 0, 1, vcc
	v_lshrrev_b32_e32 v6, 2, v6
	v_or_b32_e32 v7, v7, v9
	v_add_u32_e32 v6, v6, v7
	v_cmp_gt_i32_e32 vcc, 31, v8
	v_cndmask_b32_e32 v5, v5, v6, vcc
	v_cmp_eq_u32_e32 vcc, s30, v8
	v_lshrrev_b32_e32 v4, 16, v4
	v_cndmask_b32_e32 v3, v5, v3, vcc
	v_and_or_b32 v3, v4, s31, v3
	s_mov_b64 s[0:1], 0
	s_branch .LBB207_607
.LBB207_603:
	s_mov_b64 s[0:1], -1
                                        ; implicit-def: $vgpr3
	s_branch .LBB207_625
.LBB207_604:
	s_mov_b64 s[0:1], -1
                                        ; implicit-def: $vgpr3
	s_branch .LBB207_613
.LBB207_605:
	s_mov_b64 s[0:1], -1
                                        ; implicit-def: $vgpr3
	s_branch .LBB207_610
.LBB207_606:
	s_mov_b64 s[0:1], -1
                                        ; implicit-def: $vgpr3
.LBB207_607:
	s_andn2_b64 vcc, exec, s[0:1]
	s_cbranch_vccnz .LBB207_609
; %bb.608:
	global_load_dword v3, v[0:1], off
	s_waitcnt vmcnt(0)
	v_cvt_f16_f32_e32 v3, v3
.LBB207_609:
	s_mov_b64 s[0:1], 0
.LBB207_610:
	s_andn2_b64 vcc, exec, s[0:1]
	s_cbranch_vccnz .LBB207_612
; %bb.611:
	global_load_dword v3, v[0:1], off
.LBB207_612:
	s_mov_b64 s[0:1], 0
.LBB207_613:
	s_andn2_b64 vcc, exec, s[0:1]
	s_cbranch_vccnz .LBB207_624
; %bb.614:
	s_cmp_lt_i32 s36, 6
	s_cbranch_scc1 .LBB207_617
; %bb.615:
	s_cmp_gt_i32 s36, 6
	s_cbranch_scc0 .LBB207_618
; %bb.616:
	global_load_dwordx2 v[3:4], v[0:1], off
	s_movk_i32 s0, 0x1ff
	s_movk_i32 s1, 0xffe
	v_mov_b32_e32 v5, 0x7c00
	v_mov_b32_e32 v6, 0x7e00
	s_movk_i32 s30, 0x40f
	s_mov_b32 s31, 0x8000
	s_waitcnt vmcnt(0)
	v_and_or_b32 v3, v4, s0, v3
	v_cmp_ne_u32_e32 vcc, 0, v3
	v_lshrrev_b32_e32 v7, 8, v4
	v_bfe_u32 v8, v4, 20, 11
	v_cndmask_b32_e64 v3, 0, 1, vcc
	v_sub_u32_e32 v9, 0x3f1, v8
	v_and_or_b32 v3, v7, s1, v3
	v_add_u32_e32 v8, 0xfffffc10, v8
	v_med3_i32 v7, v9, 0, 13
	v_or_b32_e32 v9, 0x1000, v3
	v_cmp_ne_u32_e32 vcc, 0, v3
	v_lshl_or_b32 v10, v8, 12, v3
	v_cndmask_b32_e32 v3, v5, v6, vcc
	v_lshrrev_b32_e32 v6, v7, v9
	v_lshlrev_b32_e32 v7, v7, v6
	v_cmp_ne_u32_e32 vcc, v7, v9
	v_cndmask_b32_e64 v7, 0, 1, vcc
	v_or_b32_e32 v6, v6, v7
	v_cmp_gt_i32_e32 vcc, 1, v8
	v_cndmask_b32_e32 v6, v10, v6, vcc
	v_and_b32_e32 v7, 7, v6
	v_cmp_lt_i32_e32 vcc, 5, v7
	v_cndmask_b32_e64 v9, 0, 1, vcc
	v_cmp_eq_u32_e32 vcc, 3, v7
	v_cndmask_b32_e64 v7, 0, 1, vcc
	v_lshrrev_b32_e32 v6, 2, v6
	v_or_b32_e32 v7, v7, v9
	v_add_u32_e32 v6, v6, v7
	v_cmp_gt_i32_e32 vcc, 31, v8
	v_cndmask_b32_e32 v5, v5, v6, vcc
	v_cmp_eq_u32_e32 vcc, s30, v8
	v_lshrrev_b32_e32 v4, 16, v4
	v_cndmask_b32_e32 v3, v5, v3, vcc
	v_and_or_b32 v3, v4, s31, v3
	s_mov_b64 s[0:1], 0
	s_branch .LBB207_619
.LBB207_617:
	s_mov_b64 s[0:1], -1
                                        ; implicit-def: $vgpr3
	s_branch .LBB207_622
.LBB207_618:
	s_mov_b64 s[0:1], -1
                                        ; implicit-def: $vgpr3
.LBB207_619:
	s_andn2_b64 vcc, exec, s[0:1]
	s_cbranch_vccnz .LBB207_621
; %bb.620:
	global_load_dword v3, v[0:1], off
	s_waitcnt vmcnt(0)
	v_cvt_f16_f32_e32 v3, v3
.LBB207_621:
	s_mov_b64 s[0:1], 0
.LBB207_622:
	s_andn2_b64 vcc, exec, s[0:1]
	s_cbranch_vccnz .LBB207_624
; %bb.623:
	global_load_ushort v3, v[0:1], off
.LBB207_624:
	s_mov_b64 s[0:1], 0
.LBB207_625:
	s_andn2_b64 vcc, exec, s[0:1]
	s_cbranch_vccnz .LBB207_645
; %bb.626:
	s_cmp_lt_i32 s36, 2
	s_cbranch_scc1 .LBB207_630
; %bb.627:
	s_cmp_lt_i32 s36, 3
	s_cbranch_scc1 .LBB207_631
; %bb.628:
	s_cmp_gt_i32 s36, 3
	s_cbranch_scc0 .LBB207_632
; %bb.629:
	global_load_dwordx2 v[3:4], v[0:1], off
	s_mov_b64 s[0:1], 0
	s_waitcnt vmcnt(0)
	v_xor_b32_e32 v6, v3, v4
	v_ffbh_i32_e32 v5, v4
	v_ashrrev_i32_e32 v6, 31, v6
	v_add_u32_e32 v5, -1, v5
	v_add_u32_e32 v6, 32, v6
	v_min_u32_e32 v5, v5, v6
	v_lshlrev_b64 v[3:4], v5, v[3:4]
	v_min_u32_e32 v3, 1, v3
	v_or_b32_e32 v3, v4, v3
	v_cvt_f32_i32_e32 v3, v3
	v_sub_u32_e32 v4, 32, v5
	v_ldexp_f32 v3, v3, v4
	v_cvt_f16_f32_e32 v3, v3
	s_branch .LBB207_633
.LBB207_630:
	s_mov_b64 s[0:1], -1
                                        ; implicit-def: $vgpr3
	s_branch .LBB207_639
.LBB207_631:
	s_mov_b64 s[0:1], -1
                                        ; implicit-def: $vgpr3
	s_branch .LBB207_636
.LBB207_632:
	s_mov_b64 s[0:1], -1
                                        ; implicit-def: $vgpr3
.LBB207_633:
	s_andn2_b64 vcc, exec, s[0:1]
	s_cbranch_vccnz .LBB207_635
; %bb.634:
	global_load_dword v3, v[0:1], off
	s_waitcnt vmcnt(0)
	v_cvt_f32_i32_e32 v3, v3
	v_cvt_f16_f32_e32 v3, v3
.LBB207_635:
	s_mov_b64 s[0:1], 0
.LBB207_636:
	s_andn2_b64 vcc, exec, s[0:1]
	s_cbranch_vccnz .LBB207_638
; %bb.637:
	global_load_ushort v3, v[0:1], off
	s_waitcnt vmcnt(0)
	v_cvt_f16_i16_e32 v3, v3
.LBB207_638:
	s_mov_b64 s[0:1], 0
.LBB207_639:
	s_andn2_b64 vcc, exec, s[0:1]
	s_cbranch_vccnz .LBB207_645
; %bb.640:
	s_cmp_gt_i32 s36, 0
	s_cbranch_scc0 .LBB207_642
; %bb.641:
	global_load_sbyte v3, v[0:1], off
	s_mov_b64 s[0:1], 0
	s_waitcnt vmcnt(0)
	v_cvt_f16_i16_e32 v3, v3
	s_branch .LBB207_643
.LBB207_642:
	s_mov_b64 s[0:1], -1
                                        ; implicit-def: $vgpr3
.LBB207_643:
	s_andn2_b64 vcc, exec, s[0:1]
	s_cbranch_vccnz .LBB207_645
; %bb.644:
	global_load_ubyte v0, v[0:1], off
	s_waitcnt vmcnt(0)
	v_cvt_f16_u16_e32 v3, v0
.LBB207_645:
	s_mov_b64 s[0:1], -1
.LBB207_646:
	s_andn2_b64 vcc, exec, s[0:1]
	s_cbranch_vccnz .LBB207_654
; %bb.647:
	v_mul_lo_u32 v1, v2, s12
	v_mov_b32_e32 v0, s15
	v_mov_b32_e32 v4, s33
	s_waitcnt vmcnt(0)
	v_cmp_ge_f16_e32 vcc, s14, v3
	v_cndmask_b32_e32 v3, v0, v4, vcc
	v_ashrrev_i32_e32 v4, 31, v1
	v_mov_b32_e32 v5, s9
	s_and_b32 s38, s44, 0xff
	v_add_co_u32_e32 v0, vcc, s8, v1
	s_cmp_lt_i32 s38, 11
	v_addc_co_u32_e32 v1, vcc, v5, v4, vcc
	s_cbranch_scc1 .LBB207_655
; %bb.648:
	s_and_b32 s39, 0xffff, s38
	s_cmp_gt_i32 s39, 25
	s_cbranch_scc0 .LBB207_656
; %bb.649:
	s_cmp_gt_i32 s39, 28
	s_cbranch_scc0 .LBB207_657
; %bb.650:
	;; [unrolled: 3-line block ×4, first 2 shown]
	s_mov_b64 s[34:35], 0
	s_mov_b64 s[0:1], -1
	s_cmp_eq_u32 s39, 46
	s_mov_b64 s[30:31], 0
	s_cbranch_scc0 .LBB207_660
; %bb.653:
	v_cvt_f32_f16_e32 v4, v3
	s_movk_i32 s0, 0x7fff
	v_cmp_o_f16_e32 vcc, v3, v3
	v_mov_b32_e32 v5, 0x7fc0
	v_bfe_u32 v6, v4, 16, 1
	v_add3_u32 v4, v4, v6, s0
	v_cndmask_b32_sdwa v4, v5, v4, vcc dst_sel:DWORD dst_unused:UNUSED_PAD src0_sel:DWORD src1_sel:WORD_1
	global_store_dword v[0:1], v4, off
	s_mov_b64 s[30:31], -1
	s_mov_b64 s[0:1], 0
	s_branch .LBB207_660
.LBB207_654:
	s_mov_b64 s[34:35], 0
                                        ; implicit-def: $vgpr2
	s_mov_b64 s[0:1], s[22:23]
	s_branch .LBB207_771
.LBB207_655:
	s_mov_b64 s[34:35], -1
	s_mov_b64 s[30:31], 0
	s_mov_b64 s[0:1], s[22:23]
	s_branch .LBB207_729
.LBB207_656:
	s_mov_b64 s[34:35], -1
	s_mov_b64 s[30:31], 0
	s_mov_b64 s[0:1], s[22:23]
	s_branch .LBB207_687
.LBB207_657:
	s_mov_b64 s[34:35], -1
	s_mov_b64 s[30:31], 0
	s_mov_b64 s[0:1], s[22:23]
	s_branch .LBB207_670
.LBB207_658:
	s_mov_b64 s[34:35], -1
	s_mov_b64 s[30:31], 0
	s_mov_b64 s[0:1], s[22:23]
	s_branch .LBB207_666
.LBB207_659:
	s_mov_b64 s[34:35], -1
	s_mov_b64 s[30:31], 0
	s_mov_b64 s[0:1], s[22:23]
.LBB207_660:
	s_and_b64 vcc, exec, s[34:35]
	s_cbranch_vccz .LBB207_665
; %bb.661:
	s_cmp_eq_u32 s39, 44
	s_mov_b64 s[0:1], -1
	s_cbranch_scc0 .LBB207_665
; %bb.662:
	v_cvt_f32_f16_e32 v4, v3
	s_movk_i32 s0, 0xff
	v_mov_b32_e32 v6, 0xff
	v_bfe_u32 v5, v4, 23, 8
	v_cmp_ne_u32_e32 vcc, s0, v5
	s_and_saveexec_b64 s[30:31], vcc
; %bb.663:
	s_mov_b32 s0, 0x3fffff
	v_lshrrev_b32_e32 v6, 23, v4
	v_and_b32_e32 v7, 0x400000, v4
	v_and_or_b32 v4, v4, s0, v5
	v_cmp_ne_u32_e32 vcc, 0, v7
	v_cmp_ne_u32_e64 s[0:1], 0, v4
	s_and_b64 s[0:1], vcc, s[0:1]
	v_cndmask_b32_e64 v4, 0, 1, s[0:1]
	v_add_u32_e32 v6, v6, v4
; %bb.664:
	s_or_b64 exec, exec, s[30:31]
	s_mov_b64 s[30:31], -1
	s_mov_b64 s[0:1], 0
	global_store_byte v[0:1], v6, off
.LBB207_665:
	s_mov_b64 s[34:35], 0
.LBB207_666:
	s_and_b64 vcc, exec, s[34:35]
	s_cbranch_vccz .LBB207_669
; %bb.667:
	s_cmp_eq_u32 s39, 29
	s_mov_b64 s[0:1], -1
	s_cbranch_scc0 .LBB207_669
; %bb.668:
	v_cvt_f32_f16_e32 v4, v3
	v_mov_b32_e32 v5, 0
	s_mov_b64 s[30:31], -1
	s_mov_b64 s[0:1], 0
	v_cvt_u32_f32_e32 v4, v4
	s_mov_b64 s[34:35], 0
	global_store_dwordx2 v[0:1], v[4:5], off
	s_branch .LBB207_670
.LBB207_669:
	s_mov_b64 s[34:35], 0
.LBB207_670:
	s_and_b64 vcc, exec, s[34:35]
	s_cbranch_vccz .LBB207_686
; %bb.671:
	s_cmp_lt_i32 s39, 27
	s_mov_b64 s[30:31], -1
	s_cbranch_scc1 .LBB207_677
; %bb.672:
	s_cmp_gt_i32 s39, 27
	s_cbranch_scc0 .LBB207_674
; %bb.673:
	v_cvt_f32_f16_e32 v4, v3
	s_mov_b64 s[30:31], 0
	v_cvt_u32_f32_e32 v4, v4
	global_store_dword v[0:1], v4, off
.LBB207_674:
	s_andn2_b64 vcc, exec, s[30:31]
	s_cbranch_vccnz .LBB207_676
; %bb.675:
	v_cvt_u16_f16_e32 v4, v3
	global_store_short v[0:1], v4, off
.LBB207_676:
	s_mov_b64 s[30:31], 0
.LBB207_677:
	s_andn2_b64 vcc, exec, s[30:31]
	s_cbranch_vccnz .LBB207_685
; %bb.678:
	v_cvt_f32_f16_e32 v4, v3
	s_mov_b32 s30, 0x43800000
	v_mov_b32_e32 v6, 0x80
	v_and_b32_e32 v5, 0x7fffffff, v4
	v_cmp_gt_u32_e32 vcc, s30, v5
	s_and_saveexec_b64 s[30:31], vcc
	s_cbranch_execz .LBB207_684
; %bb.679:
	s_mov_b32 s34, 0x3bffffff
	v_cmp_lt_u32_e32 vcc, s34, v5
	s_mov_b64 s[34:35], 0
                                        ; implicit-def: $vgpr5
	s_and_saveexec_b64 s[36:37], vcc
	s_xor_b64 s[36:37], exec, s[36:37]
	s_cbranch_execz .LBB207_785
; %bb.680:
	v_bfe_u32 v5, v4, 20, 1
	s_mov_b32 s41, 0x487ffff
	v_add3_u32 v5, v4, v5, s41
	s_mov_b64 s[34:35], exec
	v_lshrrev_b32_e32 v5, 20, v5
	s_andn2_saveexec_b64 s[36:37], s[36:37]
	s_cbranch_execnz .LBB207_786
.LBB207_681:
	s_or_b64 exec, exec, s[36:37]
	v_mov_b32_e32 v6, 0
	s_and_saveexec_b64 s[36:37], s[34:35]
.LBB207_682:
	v_lshrrev_b32_e32 v4, 24, v4
	s_movk_i32 s34, 0x80
	v_and_or_b32 v6, v4, s34, v5
.LBB207_683:
	s_or_b64 exec, exec, s[36:37]
.LBB207_684:
	s_or_b64 exec, exec, s[30:31]
	global_store_byte v[0:1], v6, off
.LBB207_685:
	s_mov_b64 s[30:31], -1
.LBB207_686:
	s_mov_b64 s[34:35], 0
.LBB207_687:
	s_and_b64 vcc, exec, s[34:35]
	s_cbranch_vccz .LBB207_728
; %bb.688:
	s_cmp_gt_i32 s39, 22
	s_mov_b64 s[34:35], -1
	s_cbranch_scc0 .LBB207_720
; %bb.689:
	s_cmp_lt_i32 s39, 24
	s_mov_b64 s[30:31], -1
	s_cbranch_scc1 .LBB207_709
; %bb.690:
	s_cmp_gt_i32 s39, 24
	s_cbranch_scc0 .LBB207_698
; %bb.691:
	v_cvt_f32_f16_e32 v4, v3
	s_mov_b32 s30, 0x47800000
	v_mov_b32_e32 v6, 0x80
	v_and_b32_e32 v5, 0x7fffffff, v4
	v_cmp_gt_u32_e32 vcc, s30, v5
	s_and_saveexec_b64 s[30:31], vcc
	s_cbranch_execz .LBB207_697
; %bb.692:
	s_mov_b32 s34, 0x37ffffff
	v_cmp_lt_u32_e32 vcc, s34, v5
	s_mov_b64 s[34:35], 0
                                        ; implicit-def: $vgpr5
	s_and_saveexec_b64 s[36:37], vcc
	s_xor_b64 s[36:37], exec, s[36:37]
	s_cbranch_execz .LBB207_788
; %bb.693:
	v_bfe_u32 v5, v4, 21, 1
	s_mov_b32 s41, 0x88fffff
	v_add3_u32 v5, v4, v5, s41
	s_mov_b64 s[34:35], exec
	v_lshrrev_b32_e32 v5, 21, v5
	s_andn2_saveexec_b64 s[36:37], s[36:37]
	s_cbranch_execnz .LBB207_789
.LBB207_694:
	s_or_b64 exec, exec, s[36:37]
	v_mov_b32_e32 v6, 0
	s_and_saveexec_b64 s[36:37], s[34:35]
.LBB207_695:
	v_lshrrev_b32_e32 v4, 24, v4
	s_movk_i32 s34, 0x80
	v_and_or_b32 v6, v4, s34, v5
.LBB207_696:
	s_or_b64 exec, exec, s[36:37]
.LBB207_697:
	s_or_b64 exec, exec, s[30:31]
	s_mov_b64 s[30:31], 0
	global_store_byte v[0:1], v6, off
.LBB207_698:
	s_and_b64 vcc, exec, s[30:31]
	s_cbranch_vccz .LBB207_708
; %bb.699:
	v_cvt_f32_f16_e32 v4, v3
	s_mov_b32 s30, 0x43f00000
                                        ; implicit-def: $vgpr5
	v_and_b32_e32 v6, 0x7fffffff, v4
	v_cmp_gt_u32_e32 vcc, s30, v6
	s_and_saveexec_b64 s[30:31], vcc
	s_xor_b64 s[30:31], exec, s[30:31]
	s_cbranch_execz .LBB207_705
; %bb.700:
	s_mov_b32 s34, 0x3c7fffff
	v_cmp_lt_u32_e32 vcc, s34, v6
                                        ; implicit-def: $vgpr5
	s_and_saveexec_b64 s[34:35], vcc
	s_xor_b64 s[34:35], exec, s[34:35]
; %bb.701:
	v_bfe_u32 v5, v4, 20, 1
	s_mov_b32 s36, 0x407ffff
	v_add3_u32 v5, v4, v5, s36
	v_lshrrev_b32_e32 v6, 20, v5
	v_and_b32_e32 v5, 0xff00000, v5
	s_mov_b32 s36, 0x7f00000
	v_mov_b32_e32 v7, 0x7e
	v_cmp_ne_u32_e32 vcc, s36, v5
	v_cndmask_b32_e32 v5, v7, v6, vcc
; %bb.702:
	s_andn2_saveexec_b64 s[34:35], s[34:35]
; %bb.703:
	s_mov_b32 s36, 0x46800000
	v_add_f32_e64 v5, |v4|, s36
; %bb.704:
	s_or_b64 exec, exec, s[34:35]
                                        ; implicit-def: $vgpr6
.LBB207_705:
	s_andn2_saveexec_b64 s[30:31], s[30:31]
; %bb.706:
	s_mov_b32 s34, 0x7f800000
	v_mov_b32_e32 v5, 0x7e
	v_mov_b32_e32 v7, 0x7f
	v_cmp_lt_u32_e32 vcc, s34, v6
	v_cndmask_b32_e32 v5, v5, v7, vcc
; %bb.707:
	s_or_b64 exec, exec, s[30:31]
	v_lshrrev_b32_e32 v4, 24, v4
	s_movk_i32 s30, 0x80
	v_and_or_b32 v4, v4, s30, v5
	global_store_byte v[0:1], v4, off
.LBB207_708:
	s_mov_b64 s[30:31], 0
.LBB207_709:
	s_andn2_b64 vcc, exec, s[30:31]
	s_cbranch_vccnz .LBB207_719
; %bb.710:
	v_cvt_f32_f16_e32 v4, v3
	s_mov_b32 s30, 0x47800000
                                        ; implicit-def: $vgpr5
	v_and_b32_e32 v6, 0x7fffffff, v4
	v_cmp_gt_u32_e32 vcc, s30, v6
	s_and_saveexec_b64 s[30:31], vcc
	s_xor_b64 s[30:31], exec, s[30:31]
	s_cbranch_execz .LBB207_716
; %bb.711:
	s_mov_b32 s34, 0x387fffff
	v_cmp_lt_u32_e32 vcc, s34, v6
                                        ; implicit-def: $vgpr5
	s_and_saveexec_b64 s[34:35], vcc
	s_xor_b64 s[34:35], exec, s[34:35]
; %bb.712:
	v_bfe_u32 v5, v4, 21, 1
	s_mov_b32 s36, 0x80fffff
	v_add3_u32 v5, v4, v5, s36
	v_lshrrev_b32_e32 v5, 21, v5
; %bb.713:
	s_andn2_saveexec_b64 s[34:35], s[34:35]
; %bb.714:
	s_mov_b32 s36, 0x43000000
	v_add_f32_e64 v5, |v4|, s36
; %bb.715:
	s_or_b64 exec, exec, s[34:35]
                                        ; implicit-def: $vgpr6
.LBB207_716:
	s_andn2_saveexec_b64 s[30:31], s[30:31]
; %bb.717:
	s_mov_b32 s34, 0x7f800000
	v_mov_b32_e32 v5, 0x7c
	v_mov_b32_e32 v7, 0x7f
	v_cmp_lt_u32_e32 vcc, s34, v6
	v_cndmask_b32_e32 v5, v5, v7, vcc
; %bb.718:
	s_or_b64 exec, exec, s[30:31]
	v_lshrrev_b32_e32 v4, 24, v4
	s_movk_i32 s30, 0x80
	v_and_or_b32 v4, v4, s30, v5
	global_store_byte v[0:1], v4, off
.LBB207_719:
	s_mov_b64 s[34:35], 0
	s_mov_b64 s[30:31], -1
.LBB207_720:
	s_andn2_b64 vcc, exec, s[34:35]
	s_cbranch_vccnz .LBB207_728
; %bb.721:
	s_cmp_gt_i32 s39, 14
	s_mov_b64 s[34:35], -1
	s_cbranch_scc0 .LBB207_725
; %bb.722:
	s_cmp_eq_u32 s39, 15
	s_mov_b64 s[0:1], -1
	s_cbranch_scc0 .LBB207_724
; %bb.723:
	v_cvt_f32_f16_e32 v4, v3
	s_movk_i32 s0, 0x7fff
	v_cmp_o_f16_e32 vcc, v3, v3
	v_mov_b32_e32 v5, 0x7fc0
	v_bfe_u32 v6, v4, 16, 1
	v_add3_u32 v4, v4, v6, s0
	v_cndmask_b32_sdwa v4, v5, v4, vcc dst_sel:DWORD dst_unused:UNUSED_PAD src0_sel:DWORD src1_sel:WORD_1
	global_store_short v[0:1], v4, off
	s_mov_b64 s[30:31], -1
	s_mov_b64 s[0:1], 0
.LBB207_724:
	s_mov_b64 s[34:35], 0
.LBB207_725:
	s_and_b64 vcc, exec, s[34:35]
	s_cbranch_vccz .LBB207_728
; %bb.726:
	s_cmp_eq_u32 s39, 11
	s_mov_b64 s[0:1], -1
	s_cbranch_scc0 .LBB207_728
; %bb.727:
	v_and_b32_e32 v4, 0x7fff, v3
	v_cmp_ne_u16_e32 vcc, 0, v4
	v_cndmask_b32_e64 v4, 0, 1, vcc
	s_mov_b64 s[30:31], -1
	s_mov_b64 s[0:1], 0
	global_store_byte v[0:1], v4, off
.LBB207_728:
	s_mov_b64 s[34:35], 0
.LBB207_729:
	s_and_b64 vcc, exec, s[34:35]
	s_cbranch_vccz .LBB207_768
; %bb.730:
	s_and_b32 s34, 0xffff, s38
	s_cmp_lt_i32 s34, 5
	s_mov_b64 s[30:31], -1
	s_cbranch_scc1 .LBB207_751
; %bb.731:
	s_cmp_lt_i32 s34, 8
	s_cbranch_scc1 .LBB207_741
; %bb.732:
	s_cmp_lt_i32 s34, 9
	s_cbranch_scc1 .LBB207_738
; %bb.733:
	s_cmp_gt_i32 s34, 9
	s_cbranch_scc0 .LBB207_735
; %bb.734:
	v_cvt_f32_f16_e32 v4, v3
	v_mov_b32_e32 v6, 0
	v_mov_b32_e32 v7, v6
	s_mov_b64 s[30:31], 0
	v_cvt_f64_f32_e32 v[4:5], v4
	global_store_dwordx4 v[0:1], v[4:7], off
.LBB207_735:
	s_andn2_b64 vcc, exec, s[30:31]
	s_cbranch_vccnz .LBB207_737
; %bb.736:
	v_cvt_f32_f16_e32 v4, v3
	v_mov_b32_e32 v5, 0
	global_store_dwordx2 v[0:1], v[4:5], off
.LBB207_737:
	s_mov_b64 s[30:31], 0
.LBB207_738:
	s_andn2_b64 vcc, exec, s[30:31]
	s_cbranch_vccnz .LBB207_740
; %bb.739:
	v_and_b32_e32 v4, 0xffff, v3
	global_store_dword v[0:1], v4, off
.LBB207_740:
	s_mov_b64 s[30:31], 0
.LBB207_741:
	s_andn2_b64 vcc, exec, s[30:31]
	s_cbranch_vccnz .LBB207_750
; %bb.742:
	s_cmp_lt_i32 s34, 6
	s_mov_b64 s[30:31], -1
	s_cbranch_scc1 .LBB207_748
; %bb.743:
	s_cmp_gt_i32 s34, 6
	s_cbranch_scc0 .LBB207_745
; %bb.744:
	v_cvt_f32_f16_e32 v4, v3
	s_mov_b64 s[30:31], 0
	v_cvt_f64_f32_e32 v[4:5], v4
	global_store_dwordx2 v[0:1], v[4:5], off
.LBB207_745:
	s_andn2_b64 vcc, exec, s[30:31]
	s_cbranch_vccnz .LBB207_747
; %bb.746:
	v_cvt_f32_f16_e32 v4, v3
	global_store_dword v[0:1], v4, off
.LBB207_747:
	s_mov_b64 s[30:31], 0
.LBB207_748:
	s_andn2_b64 vcc, exec, s[30:31]
	s_cbranch_vccnz .LBB207_750
; %bb.749:
	global_store_short v[0:1], v3, off
.LBB207_750:
	s_mov_b64 s[30:31], 0
.LBB207_751:
	s_andn2_b64 vcc, exec, s[30:31]
	s_cbranch_vccnz .LBB207_767
; %bb.752:
	s_cmp_lt_i32 s34, 2
	s_mov_b64 s[30:31], -1
	s_cbranch_scc1 .LBB207_762
; %bb.753:
	s_cmp_lt_i32 s34, 3
	s_cbranch_scc1 .LBB207_759
; %bb.754:
	s_cmp_gt_i32 s34, 3
	s_cbranch_scc0 .LBB207_756
; %bb.755:
	v_cvt_f32_f16_e32 v4, v3
	s_mov_b64 s[30:31], 0
	v_cvt_i32_f32_e32 v4, v4
	v_ashrrev_i32_e32 v5, 31, v4
	global_store_dwordx2 v[0:1], v[4:5], off
.LBB207_756:
	s_andn2_b64 vcc, exec, s[30:31]
	s_cbranch_vccnz .LBB207_758
; %bb.757:
	v_cvt_f32_f16_e32 v4, v3
	v_cvt_i32_f32_e32 v4, v4
	global_store_dword v[0:1], v4, off
.LBB207_758:
	s_mov_b64 s[30:31], 0
.LBB207_759:
	s_andn2_b64 vcc, exec, s[30:31]
	s_cbranch_vccnz .LBB207_761
; %bb.760:
	v_cvt_i16_f16_e32 v4, v3
	global_store_short v[0:1], v4, off
.LBB207_761:
	s_mov_b64 s[30:31], 0
.LBB207_762:
	s_andn2_b64 vcc, exec, s[30:31]
	s_cbranch_vccnz .LBB207_767
; %bb.763:
	s_cmp_gt_i32 s34, 0
	s_mov_b64 s[30:31], -1
	s_cbranch_scc0 .LBB207_765
; %bb.764:
	v_cvt_i16_f16_e32 v4, v3
	s_mov_b64 s[30:31], 0
	global_store_byte v[0:1], v4, off
.LBB207_765:
	s_andn2_b64 vcc, exec, s[30:31]
	s_cbranch_vccnz .LBB207_767
; %bb.766:
	v_cvt_f32_f16_e32 v3, v3
	v_cvt_i32_f32_e32 v3, v3
	global_store_byte v[0:1], v3, off
.LBB207_767:
	s_mov_b64 s[30:31], -1
.LBB207_768:
	s_andn2_b64 vcc, exec, s[30:31]
	s_cbranch_vccnz .LBB207_770
; %bb.769:
	v_add_u32_e32 v2, 0x80, v2
	s_mov_b64 s[34:35], -1
	s_branch .LBB207_771
.LBB207_770:
	s_mov_b64 s[34:35], 0
                                        ; implicit-def: $vgpr2
.LBB207_771:
	s_andn2_b64 s[30:31], s[22:23], exec
	s_and_b64 s[0:1], s[0:1], exec
	s_or_b64 s[30:31], s[30:31], s[0:1]
	s_andn2_b64 s[0:1], s[20:21], exec
	s_and_b64 s[28:29], s[28:29], exec
	s_or_b64 s[0:1], s[0:1], s[28:29]
	s_orn2_b64 s[36:37], s[34:35], exec
.LBB207_772:
	s_or_b64 exec, exec, s[26:27]
	s_mov_b64 s[34:35], 0
	s_mov_b64 s[28:29], 0
	;; [unrolled: 1-line block ×3, first 2 shown]
                                        ; implicit-def: $vgpr0_vgpr1
                                        ; implicit-def: $vgpr4
	s_and_saveexec_b64 s[26:27], s[36:37]
	s_cbranch_execz .LBB207_857
; %bb.773:
	v_cmp_gt_i32_e32 vcc, s40, v2
	s_mov_b64 s[36:37], 0
	s_mov_b64 s[40:41], s[0:1]
	;; [unrolled: 1-line block ×3, first 2 shown]
                                        ; implicit-def: $vgpr0_vgpr1
                                        ; implicit-def: $vgpr4
	s_and_saveexec_b64 s[28:29], vcc
	s_cbranch_execz .LBB207_856
; %bb.774:
	v_mul_lo_u32 v0, v2, s13
	v_mov_b32_e32 v1, s11
	s_and_b32 s46, 0xffff, s45
	s_cmp_lt_i32 s46, 11
	s_waitcnt vmcnt(0)
	v_ashrrev_i32_e32 v3, 31, v0
	v_add_co_u32_e32 v0, vcc, s10, v0
	v_addc_co_u32_e32 v1, vcc, v1, v3, vcc
	s_cbranch_scc1 .LBB207_781
; %bb.775:
	s_cmp_gt_i32 s46, 25
	s_cbranch_scc0 .LBB207_782
; %bb.776:
	s_cmp_gt_i32 s46, 28
	s_cbranch_scc0 .LBB207_783
	;; [unrolled: 3-line block ×4, first 2 shown]
; %bb.779:
	s_cmp_eq_u32 s46, 46
	s_mov_b64 s[40:41], 0
	s_cbranch_scc0 .LBB207_790
; %bb.780:
	global_load_dword v3, v[0:1], off
	s_mov_b64 s[38:39], -1
	s_waitcnt vmcnt(0)
	v_lshlrev_b32_e32 v3, 16, v3
	v_cvt_f16_f32_e32 v4, v3
	s_branch .LBB207_792
.LBB207_781:
	s_mov_b64 s[40:41], -1
                                        ; implicit-def: $vgpr4
	s_mov_b64 s[34:35], s[0:1]
	s_branch .LBB207_855
.LBB207_782:
	s_mov_b64 s[40:41], -1
	s_mov_b64 s[34:35], s[0:1]
                                        ; implicit-def: $vgpr4
	s_branch .LBB207_821
.LBB207_783:
	s_mov_b64 s[40:41], -1
	s_mov_b64 s[34:35], s[0:1]
                                        ; implicit-def: $vgpr4
	s_branch .LBB207_802
.LBB207_784:
	s_mov_b64 s[40:41], -1
	s_mov_b64 s[34:35], s[0:1]
                                        ; implicit-def: $vgpr4
	s_branch .LBB207_797
.LBB207_785:
	s_andn2_saveexec_b64 s[36:37], s[36:37]
	s_cbranch_execz .LBB207_681
.LBB207_786:
	s_mov_b32 s41, 0x46000000
	v_add_f32_e64 v5, |v4|, s41
	v_and_b32_e32 v5, 0xff, v5
	v_cmp_ne_u32_e32 vcc, 0, v5
	s_andn2_b64 s[34:35], s[34:35], exec
	s_and_b64 s[42:43], vcc, exec
	s_or_b64 s[34:35], s[34:35], s[42:43]
	s_or_b64 exec, exec, s[36:37]
	v_mov_b32_e32 v6, 0
	s_and_saveexec_b64 s[36:37], s[34:35]
	s_cbranch_execnz .LBB207_682
	s_branch .LBB207_683
.LBB207_787:
	s_mov_b64 s[40:41], -1
	s_mov_b64 s[34:35], s[0:1]
	s_branch .LBB207_791
.LBB207_788:
	s_andn2_saveexec_b64 s[36:37], s[36:37]
	s_cbranch_execz .LBB207_694
.LBB207_789:
	s_mov_b32 s41, 0x42800000
	v_add_f32_e64 v5, |v4|, s41
	v_and_b32_e32 v5, 0xff, v5
	v_cmp_ne_u32_e32 vcc, 0, v5
	s_andn2_b64 s[34:35], s[34:35], exec
	s_and_b64 s[42:43], vcc, exec
	s_or_b64 s[34:35], s[34:35], s[42:43]
	s_or_b64 exec, exec, s[36:37]
	v_mov_b32_e32 v6, 0
	s_and_saveexec_b64 s[36:37], s[34:35]
	s_cbranch_execnz .LBB207_695
	s_branch .LBB207_696
.LBB207_790:
	s_mov_b64 s[34:35], -1
.LBB207_791:
                                        ; implicit-def: $vgpr4
.LBB207_792:
	s_and_b64 vcc, exec, s[40:41]
	s_cbranch_vccz .LBB207_796
; %bb.793:
	s_cmp_eq_u32 s46, 44
	s_cbranch_scc0 .LBB207_795
; %bb.794:
	global_load_ubyte v3, v[0:1], off
	s_movk_i32 s38, 0xff
	v_mov_b32_e32 v5, 0x7e00
	s_mov_b64 s[34:35], 0
	s_waitcnt vmcnt(0)
	v_lshlrev_b32_e32 v4, 23, v3
	v_cvt_f16_f32_e32 v4, v4
	v_cmp_ne_u32_e32 vcc, s38, v3
	s_mov_b64 s[38:39], -1
	v_cndmask_b32_e32 v4, v5, v4, vcc
	v_cmp_ne_u32_e32 vcc, 0, v3
	v_cndmask_b32_e32 v4, 0, v4, vcc
	s_branch .LBB207_796
.LBB207_795:
	s_mov_b64 s[34:35], -1
                                        ; implicit-def: $vgpr4
.LBB207_796:
	s_mov_b64 s[40:41], 0
.LBB207_797:
	s_and_b64 vcc, exec, s[40:41]
	s_cbranch_vccz .LBB207_801
; %bb.798:
	s_cmp_eq_u32 s46, 29
	s_cbranch_scc0 .LBB207_800
; %bb.799:
	global_load_dwordx2 v[3:4], v[0:1], off
	s_mov_b64 s[34:35], 0
	s_mov_b64 s[38:39], -1
	s_mov_b64 s[40:41], 0
	s_waitcnt vmcnt(0)
	v_ffbh_u32_e32 v5, v4
	v_min_u32_e32 v5, 32, v5
	v_lshlrev_b64 v[3:4], v5, v[3:4]
	v_min_u32_e32 v3, 1, v3
	v_or_b32_e32 v3, v4, v3
	v_cvt_f32_u32_e32 v3, v3
	v_sub_u32_e32 v4, 32, v5
	v_ldexp_f32 v3, v3, v4
	v_cvt_f16_f32_e32 v4, v3
	s_branch .LBB207_802
.LBB207_800:
	s_mov_b64 s[34:35], -1
                                        ; implicit-def: $vgpr4
.LBB207_801:
	s_mov_b64 s[40:41], 0
.LBB207_802:
	s_and_b64 vcc, exec, s[40:41]
	s_cbranch_vccz .LBB207_820
; %bb.803:
	s_cmp_lt_i32 s46, 27
	s_cbranch_scc1 .LBB207_806
; %bb.804:
	s_cmp_gt_i32 s46, 27
	s_cbranch_scc0 .LBB207_807
; %bb.805:
	global_load_dword v3, v[0:1], off
	s_mov_b64 s[38:39], 0
	s_waitcnt vmcnt(0)
	v_cvt_f32_u32_e32 v3, v3
	v_cvt_f16_f32_e32 v4, v3
	s_branch .LBB207_808
.LBB207_806:
	s_mov_b64 s[38:39], -1
                                        ; implicit-def: $vgpr4
	s_branch .LBB207_811
.LBB207_807:
	s_mov_b64 s[38:39], -1
                                        ; implicit-def: $vgpr4
.LBB207_808:
	s_andn2_b64 vcc, exec, s[38:39]
	s_cbranch_vccnz .LBB207_810
; %bb.809:
	global_load_ushort v3, v[0:1], off
	s_waitcnt vmcnt(0)
	v_cvt_f16_u16_e32 v4, v3
.LBB207_810:
	s_mov_b64 s[38:39], 0
.LBB207_811:
	s_andn2_b64 vcc, exec, s[38:39]
	s_cbranch_vccnz .LBB207_819
; %bb.812:
	global_load_ubyte v3, v[0:1], off
	s_movk_i32 s38, 0x7f
	s_waitcnt vmcnt(0)
	v_cmp_lt_i16_e32 vcc, s38, v3
	s_mov_b64 s[38:39], 0
	s_and_saveexec_b64 s[40:41], vcc
	s_xor_b64 s[40:41], exec, s[40:41]
	s_cbranch_execz .LBB207_833
; %bb.813:
	s_movk_i32 s38, 0x80
	v_cmp_eq_u16_e32 vcc, s38, v3
	s_mov_b64 s[38:39], -1
	s_and_saveexec_b64 s[42:43], vcc
; %bb.814:
	s_xor_b64 s[38:39], exec, -1
; %bb.815:
	s_or_b64 exec, exec, s[42:43]
	s_and_b64 s[38:39], s[38:39], exec
	s_or_saveexec_b64 s[40:41], s[40:41]
	v_mov_b32_e32 v4, 0x7e00
	s_xor_b64 exec, exec, s[40:41]
	s_cbranch_execnz .LBB207_834
.LBB207_816:
	s_or_b64 exec, exec, s[40:41]
	s_and_saveexec_b64 s[40:41], s[38:39]
	s_cbranch_execz .LBB207_818
.LBB207_817:
	v_lshlrev_b32_e32 v4, 24, v3
	v_and_b32_e32 v3, 0xffff, v3
	v_and_b32_e32 v5, 7, v3
	v_ffbh_u32_e32 v7, v5
	v_min_u32_e32 v7, 32, v7
	v_subrev_u32_e32 v8, 28, v7
	v_bfe_u32 v6, v3, 3, 4
	v_lshlrev_b32_e32 v3, v8, v3
	v_sub_u32_e32 v7, 29, v7
	v_and_b32_e32 v3, 7, v3
	v_cmp_eq_u32_e32 vcc, 0, v6
	v_cndmask_b32_e32 v6, v6, v7, vcc
	v_cndmask_b32_e32 v3, v5, v3, vcc
	v_mov_b32_e32 v5, 0x3b800000
	v_lshlrev_b32_e32 v3, 20, v3
	v_and_b32_e32 v4, 0x80000000, v4
	v_lshl_add_u32 v5, v6, 23, v5
	v_or3_b32 v3, v4, v5, v3
	v_cvt_f16_f32_e32 v4, v3
.LBB207_818:
	s_or_b64 exec, exec, s[40:41]
.LBB207_819:
	s_mov_b64 s[38:39], -1
.LBB207_820:
	s_mov_b64 s[40:41], 0
.LBB207_821:
	s_and_b64 vcc, exec, s[40:41]
	s_cbranch_vccz .LBB207_854
; %bb.822:
	s_cmp_gt_i32 s46, 22
	s_cbranch_scc0 .LBB207_832
; %bb.823:
	s_cmp_lt_i32 s46, 24
	s_cbranch_scc1 .LBB207_835
; %bb.824:
	s_cmp_gt_i32 s46, 24
	s_cbranch_scc0 .LBB207_836
; %bb.825:
	global_load_ubyte v3, v[0:1], off
	s_movk_i32 s36, 0x7f
	s_waitcnt vmcnt(0)
	v_cmp_lt_i16_e32 vcc, s36, v3
	s_mov_b64 s[36:37], 0
	s_and_saveexec_b64 s[38:39], vcc
	s_xor_b64 s[38:39], exec, s[38:39]
	s_cbranch_execz .LBB207_848
; %bb.826:
	s_movk_i32 s36, 0x80
	v_cmp_eq_u16_e32 vcc, s36, v3
	s_mov_b64 s[36:37], -1
	s_and_saveexec_b64 s[40:41], vcc
; %bb.827:
	s_xor_b64 s[36:37], exec, -1
; %bb.828:
	s_or_b64 exec, exec, s[40:41]
	s_and_b64 s[36:37], s[36:37], exec
	s_or_saveexec_b64 s[38:39], s[38:39]
	v_mov_b32_e32 v4, 0x7e00
	s_xor_b64 exec, exec, s[38:39]
	s_cbranch_execnz .LBB207_849
.LBB207_829:
	s_or_b64 exec, exec, s[38:39]
	s_and_saveexec_b64 s[38:39], s[36:37]
	s_cbranch_execz .LBB207_831
.LBB207_830:
	v_lshlrev_b32_e32 v4, 24, v3
	v_and_b32_e32 v3, 0xffff, v3
	v_and_b32_e32 v5, 3, v3
	v_ffbh_u32_e32 v7, v5
	v_min_u32_e32 v7, 32, v7
	v_subrev_u32_e32 v8, 29, v7
	v_bfe_u32 v6, v3, 2, 5
	v_lshlrev_b32_e32 v3, v8, v3
	v_sub_u32_e32 v7, 30, v7
	v_and_b32_e32 v3, 3, v3
	v_cmp_eq_u32_e32 vcc, 0, v6
	v_cndmask_b32_e32 v6, v6, v7, vcc
	v_cndmask_b32_e32 v3, v5, v3, vcc
	v_mov_b32_e32 v5, 0x37800000
	v_lshlrev_b32_e32 v3, 21, v3
	v_and_b32_e32 v4, 0x80000000, v4
	v_lshl_add_u32 v5, v6, 23, v5
	v_or3_b32 v3, v4, v5, v3
	v_cvt_f16_f32_e32 v4, v3
.LBB207_831:
	s_or_b64 exec, exec, s[38:39]
	s_mov_b64 s[36:37], 0
	s_branch .LBB207_837
.LBB207_832:
	s_mov_b64 s[36:37], -1
                                        ; implicit-def: $vgpr4
	s_branch .LBB207_843
.LBB207_833:
	s_or_saveexec_b64 s[40:41], s[40:41]
	v_mov_b32_e32 v4, 0x7e00
	s_xor_b64 exec, exec, s[40:41]
	s_cbranch_execz .LBB207_816
.LBB207_834:
	v_cmp_ne_u16_e32 vcc, 0, v3
	s_andn2_b64 s[38:39], s[38:39], exec
	s_and_b64 s[42:43], vcc, exec
	s_or_b64 s[38:39], s[38:39], s[42:43]
	v_mov_b32_e32 v4, v3
	s_or_b64 exec, exec, s[40:41]
	s_and_saveexec_b64 s[40:41], s[38:39]
	s_cbranch_execnz .LBB207_817
	s_branch .LBB207_818
.LBB207_835:
	s_mov_b64 s[36:37], -1
                                        ; implicit-def: $vgpr4
	s_branch .LBB207_840
.LBB207_836:
	s_mov_b64 s[36:37], -1
                                        ; implicit-def: $vgpr4
.LBB207_837:
	s_and_b64 vcc, exec, s[36:37]
	s_cbranch_vccz .LBB207_839
; %bb.838:
	global_load_ubyte v3, v[0:1], off
	s_mov_b32 s36, 0x7f800000
	s_waitcnt vmcnt(0)
	v_lshlrev_b32_e32 v3, 24, v3
	v_and_b32_e32 v4, 0x7f000000, v3
	v_ffbh_u32_e32 v5, v4
	v_min_u32_e32 v5, 32, v5
	v_sub_u32_e64 v5, v5, 4 clamp
	v_lshlrev_b32_e32 v7, v5, v4
	v_lshlrev_b32_e32 v5, 23, v5
	v_lshrrev_b32_e32 v7, 4, v7
	v_add_u32_e32 v6, 0x1000000, v4
	v_sub_u32_e32 v5, v7, v5
	v_ashrrev_i32_e32 v6, 8, v6
	v_add_u32_e32 v5, 0x3c000000, v5
	v_and_or_b32 v5, v6, s36, v5
	v_cmp_ne_u32_e32 vcc, 0, v4
	v_cndmask_b32_e32 v4, 0, v5, vcc
	s_brev_b32 s36, 1
	v_and_or_b32 v3, v3, s36, v4
	v_cvt_f16_f32_e32 v4, v3
.LBB207_839:
	s_mov_b64 s[36:37], 0
.LBB207_840:
	s_andn2_b64 vcc, exec, s[36:37]
	s_cbranch_vccnz .LBB207_842
; %bb.841:
	global_load_ubyte v3, v[0:1], off
	s_movk_i32 s36, 0x7f00
	s_brev_b32 s37, 16
	s_waitcnt vmcnt(0)
	v_lshlrev_b16_e32 v4, 8, v3
	v_lshlrev_b32_e32 v3, 25, v3
	v_lshrrev_b32_e32 v5, 4, v3
	v_and_or_b32 v6, v4, s36, 0.5
	v_or_b32_e32 v5, 0x70000000, v5
	v_add_f32_e32 v6, -0.5, v6
	v_mul_f32_e32 v5, 0x7800000, v5
	v_cmp_gt_u32_e32 vcc, s37, v3
	v_bfe_i32 v4, v4, 0, 16
	v_cndmask_b32_e32 v3, v5, v6, vcc
	s_brev_b32 s36, 1
	v_and_or_b32 v3, v4, s36, v3
	v_cvt_f16_f32_e32 v4, v3
.LBB207_842:
	s_mov_b64 s[36:37], 0
	s_mov_b64 s[38:39], -1
.LBB207_843:
	s_andn2_b64 vcc, exec, s[36:37]
	s_mov_b64 s[36:37], 0
	s_cbranch_vccnz .LBB207_854
; %bb.844:
	s_cmp_gt_i32 s46, 14
	s_cbranch_scc0 .LBB207_847
; %bb.845:
	s_cmp_eq_u32 s46, 15
	s_cbranch_scc0 .LBB207_850
; %bb.846:
	global_load_ushort v3, v[0:1], off
	s_mov_b64 s[34:35], 0
	s_mov_b64 s[38:39], -1
	s_waitcnt vmcnt(0)
	v_lshlrev_b32_e32 v3, 16, v3
	v_cvt_f16_f32_e32 v4, v3
	s_branch .LBB207_851
.LBB207_847:
	s_mov_b64 s[40:41], -1
                                        ; implicit-def: $vgpr4
	s_branch .LBB207_852
.LBB207_848:
	s_or_saveexec_b64 s[38:39], s[38:39]
	v_mov_b32_e32 v4, 0x7e00
	s_xor_b64 exec, exec, s[38:39]
	s_cbranch_execz .LBB207_829
.LBB207_849:
	v_cmp_ne_u16_e32 vcc, 0, v3
	s_andn2_b64 s[36:37], s[36:37], exec
	s_and_b64 s[40:41], vcc, exec
	s_or_b64 s[36:37], s[36:37], s[40:41]
	v_mov_b32_e32 v4, v3
	s_or_b64 exec, exec, s[38:39]
	s_and_saveexec_b64 s[38:39], s[36:37]
	s_cbranch_execnz .LBB207_830
	s_branch .LBB207_831
.LBB207_850:
	s_mov_b64 s[34:35], -1
                                        ; implicit-def: $vgpr4
.LBB207_851:
	s_mov_b64 s[40:41], 0
.LBB207_852:
	s_and_b64 vcc, exec, s[40:41]
	s_cbranch_vccz .LBB207_854
; %bb.853:
	s_cmp_lg_u32 s46, 11
	s_cselect_b64 s[40:41], -1, 0
	s_andn2_b64 s[34:35], s[34:35], exec
	s_and_b64 s[40:41], s[40:41], exec
	s_mov_b64 s[36:37], -1
	s_or_b64 s[34:35], s[34:35], s[40:41]
.LBB207_854:
	s_mov_b64 s[40:41], 0
.LBB207_855:
	s_and_b64 s[42:43], s[40:41], exec
	s_andn2_b64 s[40:41], s[0:1], exec
	s_and_b64 s[34:35], s[34:35], exec
	s_and_b64 s[38:39], s[38:39], exec
	;; [unrolled: 1-line block ×3, first 2 shown]
	s_or_b64 s[40:41], s[40:41], s[34:35]
.LBB207_856:
	s_or_b64 exec, exec, s[28:29]
	s_and_b64 s[34:35], s[36:37], exec
	s_andn2_b64 s[0:1], s[0:1], exec
	s_and_b64 s[36:37], s[40:41], exec
	s_and_b64 s[38:39], s[38:39], exec
	;; [unrolled: 1-line block ×3, first 2 shown]
	s_or_b64 s[0:1], s[0:1], s[36:37]
.LBB207_857:
	s_or_b64 exec, exec, s[26:27]
	s_andn2_b64 s[22:23], s[22:23], exec
	s_and_b64 s[26:27], s[30:31], exec
	s_andn2_b64 s[20:21], s[20:21], exec
	s_and_b64 s[0:1], s[0:1], exec
	s_or_b64 s[22:23], s[22:23], s[26:27]
	s_and_b64 s[30:31], s[38:39], exec
	s_and_b64 s[28:29], s[28:29], exec
	;; [unrolled: 1-line block ×3, first 2 shown]
	s_or_b64 s[20:21], s[20:21], s[0:1]
.LBB207_858:
	s_or_b64 exec, exec, s[24:25]
	s_andn2_b64 s[0:1], s[6:7], exec
	s_and_b64 s[6:7], s[22:23], exec
	s_andn2_b64 s[16:17], s[16:17], exec
	s_and_b64 s[20:21], s[20:21], exec
	s_or_b64 s[6:7], s[0:1], s[6:7]
	s_and_b64 s[0:1], s[30:31], exec
	s_and_b64 s[24:25], s[28:29], exec
	s_and_b64 s[22:23], s[26:27], exec
	s_or_b64 s[16:17], s[16:17], s[20:21]
	s_or_b64 exec, exec, s[18:19]
	s_mov_b64 s[18:19], 0
	s_and_saveexec_b64 s[20:21], s[16:17]
	s_cbranch_execz .LBB207_262
.LBB207_859:
	s_mov_b64 s[18:19], exec
	s_andn2_b64 s[22:23], s[22:23], exec
	s_trap 2
	s_or_b64 exec, exec, s[20:21]
	s_and_saveexec_b64 s[16:17], s[22:23]
	s_xor_b64 s[16:17], exec, s[16:17]
	s_cbranch_execnz .LBB207_263
.LBB207_860:
	s_or_b64 exec, exec, s[16:17]
	s_and_saveexec_b64 s[16:17], s[24:25]
	s_cbranch_execz .LBB207_906
.LBB207_861:
	s_sext_i32_i16 s20, s45
	s_cmp_lt_i32 s20, 5
	s_cbranch_scc1 .LBB207_866
; %bb.862:
	s_cmp_lt_i32 s20, 8
	s_cbranch_scc1 .LBB207_867
; %bb.863:
	;; [unrolled: 3-line block ×3, first 2 shown]
	s_cmp_gt_i32 s20, 9
	s_cbranch_scc0 .LBB207_869
; %bb.865:
	global_load_dwordx2 v[3:4], v[0:1], off
	s_movk_i32 s20, 0x1ff
	s_movk_i32 s21, 0xffe
	v_mov_b32_e32 v5, 0x7c00
	v_mov_b32_e32 v6, 0x7e00
	s_movk_i32 s22, 0x40f
	s_mov_b32 s23, 0x8000
	s_waitcnt vmcnt(0)
	v_and_or_b32 v3, v4, s20, v3
	v_cmp_ne_u32_e32 vcc, 0, v3
	v_lshrrev_b32_e32 v7, 8, v4
	v_bfe_u32 v8, v4, 20, 11
	v_cndmask_b32_e64 v3, 0, 1, vcc
	v_sub_u32_e32 v9, 0x3f1, v8
	v_and_or_b32 v3, v7, s21, v3
	v_add_u32_e32 v8, 0xfffffc10, v8
	v_med3_i32 v7, v9, 0, 13
	v_or_b32_e32 v9, 0x1000, v3
	v_cmp_ne_u32_e32 vcc, 0, v3
	v_lshl_or_b32 v10, v8, 12, v3
	v_cndmask_b32_e32 v3, v5, v6, vcc
	v_lshrrev_b32_e32 v6, v7, v9
	v_lshlrev_b32_e32 v7, v7, v6
	v_cmp_ne_u32_e32 vcc, v7, v9
	v_cndmask_b32_e64 v7, 0, 1, vcc
	v_or_b32_e32 v6, v6, v7
	v_cmp_gt_i32_e32 vcc, 1, v8
	v_cndmask_b32_e32 v6, v10, v6, vcc
	v_and_b32_e32 v7, 7, v6
	v_cmp_lt_i32_e32 vcc, 5, v7
	v_cndmask_b32_e64 v9, 0, 1, vcc
	v_cmp_eq_u32_e32 vcc, 3, v7
	v_cndmask_b32_e64 v7, 0, 1, vcc
	v_lshrrev_b32_e32 v6, 2, v6
	v_or_b32_e32 v7, v7, v9
	v_add_u32_e32 v6, v6, v7
	v_cmp_gt_i32_e32 vcc, 31, v8
	v_cndmask_b32_e32 v5, v5, v6, vcc
	v_cmp_eq_u32_e32 vcc, s22, v8
	v_lshrrev_b32_e32 v4, 16, v4
	v_cndmask_b32_e32 v3, v5, v3, vcc
	v_and_or_b32 v4, v4, s23, v3
	s_mov_b64 s[20:21], 0
	s_branch .LBB207_870
.LBB207_866:
                                        ; implicit-def: $vgpr4
	s_branch .LBB207_887
.LBB207_867:
                                        ; implicit-def: $vgpr4
	s_branch .LBB207_876
.LBB207_868:
	s_mov_b64 s[20:21], -1
                                        ; implicit-def: $vgpr4
	s_branch .LBB207_873
.LBB207_869:
	s_mov_b64 s[20:21], -1
                                        ; implicit-def: $vgpr4
.LBB207_870:
	s_andn2_b64 vcc, exec, s[20:21]
	s_cbranch_vccnz .LBB207_872
; %bb.871:
	global_load_dword v3, v[0:1], off
	s_waitcnt vmcnt(0)
	v_cvt_f16_f32_e32 v4, v3
.LBB207_872:
	s_mov_b64 s[20:21], 0
.LBB207_873:
	s_andn2_b64 vcc, exec, s[20:21]
	s_cbranch_vccnz .LBB207_875
; %bb.874:
	global_load_dword v4, v[0:1], off
.LBB207_875:
	s_cbranch_execnz .LBB207_886
.LBB207_876:
	s_sext_i32_i16 s20, s45
	s_cmp_lt_i32 s20, 6
	s_cbranch_scc1 .LBB207_879
; %bb.877:
	s_cmp_gt_i32 s20, 6
	s_cbranch_scc0 .LBB207_880
; %bb.878:
	global_load_dwordx2 v[3:4], v[0:1], off
	s_movk_i32 s20, 0x1ff
	s_movk_i32 s21, 0xffe
	v_mov_b32_e32 v5, 0x7c00
	v_mov_b32_e32 v6, 0x7e00
	s_movk_i32 s22, 0x40f
	s_mov_b32 s23, 0x8000
	s_waitcnt vmcnt(0)
	v_and_or_b32 v3, v4, s20, v3
	v_cmp_ne_u32_e32 vcc, 0, v3
	v_lshrrev_b32_e32 v7, 8, v4
	v_bfe_u32 v8, v4, 20, 11
	v_cndmask_b32_e64 v3, 0, 1, vcc
	v_sub_u32_e32 v9, 0x3f1, v8
	v_and_or_b32 v3, v7, s21, v3
	v_add_u32_e32 v8, 0xfffffc10, v8
	v_med3_i32 v7, v9, 0, 13
	v_or_b32_e32 v9, 0x1000, v3
	v_cmp_ne_u32_e32 vcc, 0, v3
	v_lshl_or_b32 v10, v8, 12, v3
	v_cndmask_b32_e32 v3, v5, v6, vcc
	v_lshrrev_b32_e32 v6, v7, v9
	v_lshlrev_b32_e32 v7, v7, v6
	v_cmp_ne_u32_e32 vcc, v7, v9
	v_cndmask_b32_e64 v7, 0, 1, vcc
	v_or_b32_e32 v6, v6, v7
	v_cmp_gt_i32_e32 vcc, 1, v8
	v_cndmask_b32_e32 v6, v10, v6, vcc
	v_and_b32_e32 v7, 7, v6
	v_cmp_lt_i32_e32 vcc, 5, v7
	v_cndmask_b32_e64 v9, 0, 1, vcc
	v_cmp_eq_u32_e32 vcc, 3, v7
	v_cndmask_b32_e64 v7, 0, 1, vcc
	v_lshrrev_b32_e32 v6, 2, v6
	v_or_b32_e32 v7, v7, v9
	v_add_u32_e32 v6, v6, v7
	v_cmp_gt_i32_e32 vcc, 31, v8
	v_cndmask_b32_e32 v5, v5, v6, vcc
	v_cmp_eq_u32_e32 vcc, s22, v8
	v_lshrrev_b32_e32 v4, 16, v4
	v_cndmask_b32_e32 v3, v5, v3, vcc
	v_and_or_b32 v4, v4, s23, v3
	s_mov_b64 s[20:21], 0
	s_branch .LBB207_881
.LBB207_879:
	s_mov_b64 s[20:21], -1
                                        ; implicit-def: $vgpr4
	s_branch .LBB207_884
.LBB207_880:
	s_mov_b64 s[20:21], -1
                                        ; implicit-def: $vgpr4
.LBB207_881:
	s_andn2_b64 vcc, exec, s[20:21]
	s_cbranch_vccnz .LBB207_883
; %bb.882:
	global_load_dword v3, v[0:1], off
	s_waitcnt vmcnt(0)
	v_cvt_f16_f32_e32 v4, v3
.LBB207_883:
	s_mov_b64 s[20:21], 0
.LBB207_884:
	s_andn2_b64 vcc, exec, s[20:21]
	s_cbranch_vccnz .LBB207_886
; %bb.885:
	global_load_ushort v4, v[0:1], off
.LBB207_886:
	s_cbranch_execnz .LBB207_905
.LBB207_887:
	s_sext_i32_i16 s20, s45
	s_cmp_lt_i32 s20, 2
	s_cbranch_scc1 .LBB207_891
; %bb.888:
	s_cmp_lt_i32 s20, 3
	s_cbranch_scc1 .LBB207_892
; %bb.889:
	s_cmp_gt_i32 s20, 3
	s_cbranch_scc0 .LBB207_893
; %bb.890:
	global_load_dwordx2 v[3:4], v[0:1], off
	s_mov_b64 s[20:21], 0
	s_waitcnt vmcnt(0)
	v_xor_b32_e32 v6, v3, v4
	v_ffbh_i32_e32 v5, v4
	v_ashrrev_i32_e32 v6, 31, v6
	v_add_u32_e32 v5, -1, v5
	v_add_u32_e32 v6, 32, v6
	v_min_u32_e32 v5, v5, v6
	v_lshlrev_b64 v[3:4], v5, v[3:4]
	v_min_u32_e32 v3, 1, v3
	v_or_b32_e32 v3, v4, v3
	v_cvt_f32_i32_e32 v3, v3
	v_sub_u32_e32 v4, 32, v5
	v_ldexp_f32 v3, v3, v4
	v_cvt_f16_f32_e32 v4, v3
	s_branch .LBB207_894
.LBB207_891:
                                        ; implicit-def: $vgpr4
	s_branch .LBB207_900
.LBB207_892:
	s_mov_b64 s[20:21], -1
                                        ; implicit-def: $vgpr4
	s_branch .LBB207_897
.LBB207_893:
	s_mov_b64 s[20:21], -1
                                        ; implicit-def: $vgpr4
.LBB207_894:
	s_andn2_b64 vcc, exec, s[20:21]
	s_cbranch_vccnz .LBB207_896
; %bb.895:
	global_load_dword v3, v[0:1], off
	s_waitcnt vmcnt(0)
	v_cvt_f32_i32_e32 v3, v3
	v_cvt_f16_f32_e32 v4, v3
.LBB207_896:
	s_mov_b64 s[20:21], 0
.LBB207_897:
	s_andn2_b64 vcc, exec, s[20:21]
	s_cbranch_vccnz .LBB207_899
; %bb.898:
	global_load_ushort v3, v[0:1], off
	s_waitcnt vmcnt(0)
	v_cvt_f16_i16_e32 v4, v3
.LBB207_899:
	s_cbranch_execnz .LBB207_905
.LBB207_900:
	s_sext_i32_i16 s20, s45
	s_cmp_gt_i32 s20, 0
	s_cbranch_scc0 .LBB207_902
; %bb.901:
	global_load_sbyte v3, v[0:1], off
	s_mov_b64 s[20:21], 0
	s_waitcnt vmcnt(0)
	v_cvt_f16_i16_e32 v4, v3
	s_branch .LBB207_903
.LBB207_902:
	s_mov_b64 s[20:21], -1
                                        ; implicit-def: $vgpr4
.LBB207_903:
	s_andn2_b64 vcc, exec, s[20:21]
	s_cbranch_vccnz .LBB207_905
; %bb.904:
	global_load_ubyte v0, v[0:1], off
	s_waitcnt vmcnt(0)
	v_cvt_f16_u16_e32 v4, v0
.LBB207_905:
	s_or_b64 s[0:1], s[0:1], exec
.LBB207_906:
	s_or_b64 exec, exec, s[16:17]
	s_mov_b64 s[22:23], 0
	s_mov_b64 s[20:21], 0
                                        ; implicit-def: $sgpr28
                                        ; implicit-def: $vgpr0_vgpr1
                                        ; implicit-def: $vgpr3
	s_and_saveexec_b64 s[16:17], s[0:1]
	s_cbranch_execz .LBB207_924
; %bb.907:
	v_mul_lo_u32 v1, v2, s12
	v_mov_b32_e32 v0, s15
	v_mov_b32_e32 v2, s33
	s_waitcnt vmcnt(0)
	v_cmp_ge_f16_e32 vcc, s14, v4
	v_cndmask_b32_e32 v3, v0, v2, vcc
	v_ashrrev_i32_e32 v2, 31, v1
	v_mov_b32_e32 v4, s9
	s_and_b32 s28, s44, 0xff
	v_add_co_u32_e32 v0, vcc, s8, v1
	s_cmp_lt_i32 s28, 11
	v_addc_co_u32_e32 v1, vcc, v4, v2, vcc
	s_cbranch_scc1 .LBB207_927
; %bb.908:
	s_and_b32 s29, 0xffff, s28
	s_mov_b64 s[22:23], -1
	s_cmp_gt_i32 s29, 25
	s_mov_b64 s[0:1], s[6:7]
	s_cbranch_scc0 .LBB207_945
; %bb.909:
	s_mov_b64 s[20:21], -1
	s_cmp_gt_i32 s29, 28
	s_mov_b64 s[0:1], s[6:7]
	s_cbranch_scc0 .LBB207_929
; %bb.910:
	s_cmp_gt_i32 s29, 43
	s_mov_b64 s[0:1], s[6:7]
	s_cbranch_scc0 .LBB207_921
; %bb.911:
	;; [unrolled: 4-line block ×3, first 2 shown]
	s_cmp_eq_u32 s29, 46
	s_mov_b64 s[0:1], -1
	s_cbranch_scc0 .LBB207_914
; %bb.913:
	v_cvt_f32_f16_e32 v2, v3
	s_movk_i32 s0, 0x7fff
	v_cmp_o_f16_e32 vcc, v3, v3
	v_mov_b32_e32 v4, 0x7fc0
	v_bfe_u32 v5, v2, 16, 1
	v_add3_u32 v2, v2, v5, s0
	v_cndmask_b32_sdwa v2, v4, v2, vcc dst_sel:DWORD dst_unused:UNUSED_PAD src0_sel:DWORD src1_sel:WORD_1
	global_store_dword v[0:1], v2, off
	s_mov_b64 s[0:1], 0
.LBB207_914:
	s_mov_b64 s[20:21], 0
.LBB207_915:
	s_and_b64 vcc, exec, s[20:21]
	s_cbranch_vccz .LBB207_920
; %bb.916:
	s_cmp_eq_u32 s29, 44
	s_mov_b64 s[0:1], -1
	s_cbranch_scc0 .LBB207_920
; %bb.917:
	v_cvt_f32_f16_e32 v2, v3
	s_movk_i32 s0, 0xff
	v_mov_b32_e32 v5, 0xff
	v_bfe_u32 v4, v2, 23, 8
	v_cmp_ne_u32_e32 vcc, s0, v4
	s_and_saveexec_b64 s[20:21], vcc
; %bb.918:
	s_mov_b32 s0, 0x3fffff
	v_lshrrev_b32_e32 v5, 23, v2
	v_and_b32_e32 v6, 0x400000, v2
	v_and_or_b32 v2, v2, s0, v4
	v_cmp_ne_u32_e32 vcc, 0, v6
	v_cmp_ne_u32_e64 s[0:1], 0, v2
	s_and_b64 s[0:1], vcc, s[0:1]
	v_cndmask_b32_e64 v2, 0, 1, s[0:1]
	v_add_u32_e32 v5, v5, v2
; %bb.919:
	s_or_b64 exec, exec, s[20:21]
	s_mov_b64 s[0:1], 0
	global_store_byte v[0:1], v5, off
.LBB207_920:
	s_mov_b64 s[20:21], 0
.LBB207_921:
	s_and_b64 vcc, exec, s[20:21]
	s_cbranch_vccz .LBB207_928
; %bb.922:
	s_cmp_eq_u32 s29, 29
	s_mov_b64 s[0:1], -1
	s_cbranch_scc0 .LBB207_928
; %bb.923:
	v_cvt_f32_f16_e32 v2, v3
	v_mov_b32_e32 v5, 0
	s_mov_b64 s[0:1], 0
	s_mov_b64 s[20:21], 0
	v_cvt_u32_f32_e32 v4, v2
	global_store_dwordx2 v[0:1], v[4:5], off
	s_branch .LBB207_929
.LBB207_924:
	s_or_b64 exec, exec, s[16:17]
	s_and_saveexec_b64 s[0:1], s[6:7]
	s_cbranch_execnz .LBB207_987
.LBB207_925:
	s_or_b64 exec, exec, s[0:1]
	s_and_saveexec_b64 s[0:1], s[22:23]
	s_xor_b64 s[0:1], exec, s[0:1]
	s_cbranch_execz .LBB207_988
.LBB207_926:
	s_waitcnt vmcnt(0)
	v_and_b32_e32 v2, 0x7fff, v3
	v_cmp_ne_u16_e32 vcc, 0, v2
	v_cndmask_b32_e64 v2, 0, 1, vcc
	global_store_byte v[0:1], v2, off
	s_or_b64 exec, exec, s[0:1]
	s_and_saveexec_b64 s[0:1], s[20:21]
	s_xor_b64 s[0:1], exec, s[0:1]
	s_cbranch_execz .LBB207_1026
	s_branch .LBB207_989
.LBB207_927:
	s_mov_b64 s[20:21], -1
	s_mov_b64 s[0:1], s[6:7]
	s_branch .LBB207_986
.LBB207_928:
	s_mov_b64 s[20:21], 0
.LBB207_929:
	s_and_b64 vcc, exec, s[20:21]
	s_cbranch_vccz .LBB207_944
; %bb.930:
	s_cmp_lt_i32 s29, 27
	s_mov_b64 s[20:21], -1
	s_cbranch_scc1 .LBB207_936
; %bb.931:
	s_cmp_gt_i32 s29, 27
	s_cbranch_scc0 .LBB207_933
; %bb.932:
	v_cvt_f32_f16_e32 v2, v3
	s_mov_b64 s[20:21], 0
	v_cvt_u32_f32_e32 v2, v2
	global_store_dword v[0:1], v2, off
.LBB207_933:
	s_andn2_b64 vcc, exec, s[20:21]
	s_cbranch_vccnz .LBB207_935
; %bb.934:
	v_cvt_u16_f16_e32 v2, v3
	global_store_short v[0:1], v2, off
.LBB207_935:
	s_mov_b64 s[20:21], 0
.LBB207_936:
	s_andn2_b64 vcc, exec, s[20:21]
	s_cbranch_vccnz .LBB207_944
; %bb.937:
	v_cvt_f32_f16_e32 v2, v3
	s_mov_b32 s20, 0x43800000
	v_mov_b32_e32 v5, 0x80
	v_and_b32_e32 v4, 0x7fffffff, v2
	v_cmp_gt_u32_e32 vcc, s20, v4
	s_and_saveexec_b64 s[20:21], vcc
	s_cbranch_execz .LBB207_943
; %bb.938:
	s_mov_b32 s22, 0x3bffffff
	v_cmp_lt_u32_e32 vcc, s22, v4
	s_mov_b64 s[22:23], 0
                                        ; implicit-def: $vgpr4
	s_and_saveexec_b64 s[24:25], vcc
	s_xor_b64 s[24:25], exec, s[24:25]
	s_cbranch_execz .LBB207_1041
; %bb.939:
	v_bfe_u32 v4, v2, 20, 1
	s_mov_b32 s26, 0x487ffff
	v_add3_u32 v4, v2, v4, s26
	s_mov_b64 s[22:23], exec
	v_lshrrev_b32_e32 v4, 20, v4
	s_andn2_saveexec_b64 s[24:25], s[24:25]
	s_cbranch_execnz .LBB207_1042
.LBB207_940:
	s_or_b64 exec, exec, s[24:25]
	v_mov_b32_e32 v5, 0
	s_and_saveexec_b64 s[24:25], s[22:23]
.LBB207_941:
	v_lshrrev_b32_e32 v2, 24, v2
	s_movk_i32 s22, 0x80
	v_and_or_b32 v5, v2, s22, v4
.LBB207_942:
	s_or_b64 exec, exec, s[24:25]
.LBB207_943:
	s_or_b64 exec, exec, s[20:21]
	global_store_byte v[0:1], v5, off
.LBB207_944:
	s_mov_b64 s[22:23], 0
.LBB207_945:
	s_mov_b64 s[20:21], 0
	s_and_b64 vcc, exec, s[22:23]
	s_cbranch_vccz .LBB207_985
; %bb.946:
	s_cmp_gt_i32 s29, 22
	s_mov_b64 s[22:23], -1
	s_cbranch_scc0 .LBB207_978
; %bb.947:
	s_cmp_lt_i32 s29, 24
	s_cbranch_scc1 .LBB207_967
; %bb.948:
	s_cmp_gt_i32 s29, 24
	s_cbranch_scc0 .LBB207_956
; %bb.949:
	v_cvt_f32_f16_e32 v2, v3
	s_mov_b32 s22, 0x47800000
	v_mov_b32_e32 v5, 0x80
	v_and_b32_e32 v4, 0x7fffffff, v2
	v_cmp_gt_u32_e32 vcc, s22, v4
	s_and_saveexec_b64 s[22:23], vcc
	s_cbranch_execz .LBB207_955
; %bb.950:
	s_mov_b32 s24, 0x37ffffff
	v_cmp_lt_u32_e32 vcc, s24, v4
	s_mov_b64 s[24:25], 0
                                        ; implicit-def: $vgpr4
	s_and_saveexec_b64 s[26:27], vcc
	s_xor_b64 s[26:27], exec, s[26:27]
	s_cbranch_execz .LBB207_1166
; %bb.951:
	v_bfe_u32 v4, v2, 21, 1
	s_mov_b32 s30, 0x88fffff
	v_add3_u32 v4, v2, v4, s30
	s_mov_b64 s[24:25], exec
	v_lshrrev_b32_e32 v4, 21, v4
	s_andn2_saveexec_b64 s[26:27], s[26:27]
	s_cbranch_execnz .LBB207_1167
.LBB207_952:
	s_or_b64 exec, exec, s[26:27]
	v_mov_b32_e32 v5, 0
	s_and_saveexec_b64 s[26:27], s[24:25]
.LBB207_953:
	v_lshrrev_b32_e32 v2, 24, v2
	s_movk_i32 s24, 0x80
	v_and_or_b32 v5, v2, s24, v4
.LBB207_954:
	s_or_b64 exec, exec, s[26:27]
.LBB207_955:
	s_or_b64 exec, exec, s[22:23]
	s_mov_b64 s[22:23], 0
	global_store_byte v[0:1], v5, off
.LBB207_956:
	s_and_b64 vcc, exec, s[22:23]
	s_cbranch_vccz .LBB207_966
; %bb.957:
	v_cvt_f32_f16_e32 v2, v3
	s_mov_b32 s22, 0x43f00000
                                        ; implicit-def: $vgpr4
	v_and_b32_e32 v5, 0x7fffffff, v2
	v_cmp_gt_u32_e32 vcc, s22, v5
	s_and_saveexec_b64 s[22:23], vcc
	s_xor_b64 s[22:23], exec, s[22:23]
	s_cbranch_execz .LBB207_963
; %bb.958:
	s_mov_b32 s24, 0x3c7fffff
	v_cmp_lt_u32_e32 vcc, s24, v5
                                        ; implicit-def: $vgpr4
	s_and_saveexec_b64 s[24:25], vcc
	s_xor_b64 s[24:25], exec, s[24:25]
; %bb.959:
	v_bfe_u32 v4, v2, 20, 1
	s_mov_b32 s26, 0x407ffff
	v_add3_u32 v4, v2, v4, s26
	v_lshrrev_b32_e32 v5, 20, v4
	v_and_b32_e32 v4, 0xff00000, v4
	s_mov_b32 s26, 0x7f00000
	v_mov_b32_e32 v6, 0x7e
	v_cmp_ne_u32_e32 vcc, s26, v4
	v_cndmask_b32_e32 v4, v6, v5, vcc
; %bb.960:
	s_andn2_saveexec_b64 s[24:25], s[24:25]
; %bb.961:
	s_mov_b32 s26, 0x46800000
	v_add_f32_e64 v4, |v2|, s26
; %bb.962:
	s_or_b64 exec, exec, s[24:25]
                                        ; implicit-def: $vgpr5
.LBB207_963:
	s_andn2_saveexec_b64 s[22:23], s[22:23]
; %bb.964:
	s_mov_b32 s24, 0x7f800000
	v_mov_b32_e32 v4, 0x7e
	v_mov_b32_e32 v6, 0x7f
	v_cmp_lt_u32_e32 vcc, s24, v5
	v_cndmask_b32_e32 v4, v4, v6, vcc
; %bb.965:
	s_or_b64 exec, exec, s[22:23]
	v_lshrrev_b32_e32 v2, 24, v2
	s_movk_i32 s22, 0x80
	v_and_or_b32 v2, v2, s22, v4
	global_store_byte v[0:1], v2, off
.LBB207_966:
	s_mov_b64 s[22:23], 0
.LBB207_967:
	s_andn2_b64 vcc, exec, s[22:23]
	s_cbranch_vccnz .LBB207_977
; %bb.968:
	v_cvt_f32_f16_e32 v2, v3
	s_mov_b32 s22, 0x47800000
                                        ; implicit-def: $vgpr4
	v_and_b32_e32 v5, 0x7fffffff, v2
	v_cmp_gt_u32_e32 vcc, s22, v5
	s_and_saveexec_b64 s[22:23], vcc
	s_xor_b64 s[22:23], exec, s[22:23]
	s_cbranch_execz .LBB207_974
; %bb.969:
	s_mov_b32 s24, 0x387fffff
	v_cmp_lt_u32_e32 vcc, s24, v5
                                        ; implicit-def: $vgpr4
	s_and_saveexec_b64 s[24:25], vcc
	s_xor_b64 s[24:25], exec, s[24:25]
; %bb.970:
	v_bfe_u32 v4, v2, 21, 1
	s_mov_b32 s26, 0x80fffff
	v_add3_u32 v4, v2, v4, s26
	v_lshrrev_b32_e32 v4, 21, v4
; %bb.971:
	s_andn2_saveexec_b64 s[24:25], s[24:25]
; %bb.972:
	s_mov_b32 s26, 0x43000000
	v_add_f32_e64 v4, |v2|, s26
; %bb.973:
	s_or_b64 exec, exec, s[24:25]
                                        ; implicit-def: $vgpr5
.LBB207_974:
	s_andn2_saveexec_b64 s[22:23], s[22:23]
; %bb.975:
	s_mov_b32 s24, 0x7f800000
	v_mov_b32_e32 v4, 0x7c
	v_mov_b32_e32 v6, 0x7f
	v_cmp_lt_u32_e32 vcc, s24, v5
	v_cndmask_b32_e32 v4, v4, v6, vcc
; %bb.976:
	s_or_b64 exec, exec, s[22:23]
	v_lshrrev_b32_e32 v2, 24, v2
	s_movk_i32 s22, 0x80
	v_and_or_b32 v2, v2, s22, v4
	global_store_byte v[0:1], v2, off
.LBB207_977:
	s_mov_b64 s[22:23], 0
.LBB207_978:
	s_andn2_b64 vcc, exec, s[22:23]
	s_mov_b64 s[22:23], 0
	s_cbranch_vccnz .LBB207_986
; %bb.979:
	s_cmp_gt_i32 s29, 14
	s_mov_b64 s[24:25], -1
	s_cbranch_scc0 .LBB207_983
; %bb.980:
	s_cmp_eq_u32 s29, 15
	s_mov_b64 s[0:1], -1
	s_cbranch_scc0 .LBB207_982
; %bb.981:
	v_cvt_f32_f16_e32 v2, v3
	s_movk_i32 s0, 0x7fff
	v_cmp_o_f16_e32 vcc, v3, v3
	v_mov_b32_e32 v4, 0x7fc0
	v_bfe_u32 v5, v2, 16, 1
	v_add3_u32 v2, v2, v5, s0
	v_cndmask_b32_sdwa v2, v4, v2, vcc dst_sel:DWORD dst_unused:UNUSED_PAD src0_sel:DWORD src1_sel:WORD_1
	global_store_short v[0:1], v2, off
	s_mov_b64 s[0:1], 0
.LBB207_982:
	s_mov_b64 s[24:25], 0
.LBB207_983:
	s_and_b64 vcc, exec, s[24:25]
	s_cbranch_vccz .LBB207_986
; %bb.984:
	s_cmp_lg_u32 s29, 11
	s_cselect_b64 s[24:25], -1, 0
	s_andn2_b64 s[0:1], s[0:1], exec
	s_and_b64 s[24:25], s[24:25], exec
	s_mov_b64 s[22:23], -1
	s_or_b64 s[0:1], s[0:1], s[24:25]
	s_branch .LBB207_986
.LBB207_985:
	s_mov_b64 s[22:23], 0
.LBB207_986:
	s_andn2_b64 s[6:7], s[6:7], exec
	s_and_b64 s[0:1], s[0:1], exec
	s_and_b64 s[20:21], s[20:21], exec
	;; [unrolled: 1-line block ×3, first 2 shown]
	s_or_b64 s[6:7], s[6:7], s[0:1]
	s_or_b64 exec, exec, s[16:17]
	s_and_saveexec_b64 s[0:1], s[6:7]
	s_cbranch_execz .LBB207_925
.LBB207_987:
	s_or_b64 s[18:19], s[18:19], exec
	s_andn2_b64 s[22:23], s[22:23], exec
	s_trap 2
	s_or_b64 exec, exec, s[0:1]
	s_and_saveexec_b64 s[0:1], s[22:23]
	s_xor_b64 s[0:1], exec, s[0:1]
	s_cbranch_execnz .LBB207_926
.LBB207_988:
	s_or_b64 exec, exec, s[0:1]
	s_and_saveexec_b64 s[0:1], s[20:21]
	s_xor_b64 s[0:1], exec, s[0:1]
	s_cbranch_execz .LBB207_1026
.LBB207_989:
	s_sext_i32_i16 s16, s28
	s_cmp_lt_i32 s16, 5
	s_mov_b64 s[6:7], -1
	s_cbranch_scc1 .LBB207_1010
; %bb.990:
	s_cmp_lt_i32 s16, 8
	s_cbranch_scc1 .LBB207_1000
; %bb.991:
	s_cmp_lt_i32 s16, 9
	s_cbranch_scc1 .LBB207_997
; %bb.992:
	s_cmp_gt_i32 s16, 9
	s_cbranch_scc0 .LBB207_994
; %bb.993:
	s_waitcnt vmcnt(0)
	v_cvt_f32_f16_e32 v2, v3
	v_mov_b32_e32 v6, 0
	v_mov_b32_e32 v7, v6
	s_mov_b64 s[6:7], 0
	v_cvt_f64_f32_e32 v[4:5], v2
	global_store_dwordx4 v[0:1], v[4:7], off
.LBB207_994:
	s_andn2_b64 vcc, exec, s[6:7]
	s_cbranch_vccnz .LBB207_996
; %bb.995:
	s_waitcnt vmcnt(0)
	v_cvt_f32_f16_e32 v4, v3
	v_mov_b32_e32 v5, 0
	global_store_dwordx2 v[0:1], v[4:5], off
.LBB207_996:
	s_mov_b64 s[6:7], 0
.LBB207_997:
	s_andn2_b64 vcc, exec, s[6:7]
	s_cbranch_vccnz .LBB207_999
; %bb.998:
	s_waitcnt vmcnt(0)
	v_and_b32_e32 v2, 0xffff, v3
	global_store_dword v[0:1], v2, off
.LBB207_999:
	s_mov_b64 s[6:7], 0
.LBB207_1000:
	s_andn2_b64 vcc, exec, s[6:7]
	s_cbranch_vccnz .LBB207_1009
; %bb.1001:
	s_sext_i32_i16 s16, s28
	s_cmp_lt_i32 s16, 6
	s_mov_b64 s[6:7], -1
	s_cbranch_scc1 .LBB207_1007
; %bb.1002:
	s_cmp_gt_i32 s16, 6
	s_cbranch_scc0 .LBB207_1004
; %bb.1003:
	s_waitcnt vmcnt(0)
	v_cvt_f32_f16_e32 v2, v3
	s_mov_b64 s[6:7], 0
	v_cvt_f64_f32_e32 v[4:5], v2
	global_store_dwordx2 v[0:1], v[4:5], off
.LBB207_1004:
	s_andn2_b64 vcc, exec, s[6:7]
	s_cbranch_vccnz .LBB207_1006
; %bb.1005:
	s_waitcnt vmcnt(0)
	v_cvt_f32_f16_e32 v2, v3
	global_store_dword v[0:1], v2, off
.LBB207_1006:
	s_mov_b64 s[6:7], 0
.LBB207_1007:
	s_andn2_b64 vcc, exec, s[6:7]
	s_cbranch_vccnz .LBB207_1009
; %bb.1008:
	s_waitcnt vmcnt(0)
	global_store_short v[0:1], v3, off
.LBB207_1009:
	s_mov_b64 s[6:7], 0
.LBB207_1010:
	s_andn2_b64 vcc, exec, s[6:7]
	s_cbranch_vccnz .LBB207_1026
; %bb.1011:
	s_sext_i32_i16 s16, s28
	s_cmp_lt_i32 s16, 2
	s_mov_b64 s[6:7], -1
	s_cbranch_scc1 .LBB207_1021
; %bb.1012:
	s_cmp_lt_i32 s16, 3
	s_cbranch_scc1 .LBB207_1018
; %bb.1013:
	s_cmp_gt_i32 s16, 3
	s_cbranch_scc0 .LBB207_1015
; %bb.1014:
	s_waitcnt vmcnt(0)
	v_cvt_f32_f16_e32 v2, v3
	s_mov_b64 s[6:7], 0
	v_cvt_i32_f32_e32 v4, v2
	v_ashrrev_i32_e32 v5, 31, v4
	global_store_dwordx2 v[0:1], v[4:5], off
.LBB207_1015:
	s_andn2_b64 vcc, exec, s[6:7]
	s_cbranch_vccnz .LBB207_1017
; %bb.1016:
	s_waitcnt vmcnt(0)
	v_cvt_f32_f16_e32 v2, v3
	v_cvt_i32_f32_e32 v2, v2
	global_store_dword v[0:1], v2, off
.LBB207_1017:
	s_mov_b64 s[6:7], 0
.LBB207_1018:
	s_andn2_b64 vcc, exec, s[6:7]
	s_cbranch_vccnz .LBB207_1020
; %bb.1019:
	s_waitcnt vmcnt(0)
	v_cvt_i16_f16_e32 v2, v3
	global_store_short v[0:1], v2, off
.LBB207_1020:
	s_mov_b64 s[6:7], 0
.LBB207_1021:
	s_andn2_b64 vcc, exec, s[6:7]
	s_cbranch_vccnz .LBB207_1026
; %bb.1022:
	s_sext_i32_i16 s6, s28
	s_cmp_gt_i32 s6, 0
	s_mov_b64 s[6:7], -1
	s_cbranch_scc0 .LBB207_1024
; %bb.1023:
	s_waitcnt vmcnt(0)
	v_cvt_i16_f16_e32 v2, v3
	s_mov_b64 s[6:7], 0
	global_store_byte v[0:1], v2, off
.LBB207_1024:
	s_andn2_b64 vcc, exec, s[6:7]
	s_cbranch_vccnz .LBB207_1026
; %bb.1025:
	s_waitcnt vmcnt(0)
	v_cvt_f32_f16_e32 v2, v3
	v_cvt_i32_f32_e32 v2, v2
	global_store_byte v[0:1], v2, off
.LBB207_1026:
	s_or_b64 exec, exec, s[0:1]
	s_and_b64 s[6:7], s[18:19], exec
                                        ; implicit-def: $vgpr2
.LBB207_1027:
	s_or_saveexec_b64 s[4:5], s[4:5]
	s_mov_b64 s[0:1], 0
                                        ; implicit-def: $sgpr22
                                        ; implicit-def: $vgpr0_vgpr1
                                        ; implicit-def: $vgpr3
	s_xor_b64 exec, exec, s[4:5]
	s_cbranch_execz .LBB207_1975
; %bb.1028:
	s_waitcnt vmcnt(0)
	v_mul_lo_u32 v4, s13, v2
	v_mov_b32_e32 v1, s11
	s_and_b32 s24, 0xffff, s45
	s_cmp_lt_i32 s24, 11
	v_ashrrev_i32_e32 v3, 31, v4
	v_add_co_u32_e32 v0, vcc, s10, v4
	v_addc_co_u32_e32 v1, vcc, v1, v3, vcc
	s_cbranch_scc1 .LBB207_1035
; %bb.1029:
	s_cmp_gt_i32 s24, 25
	s_cbranch_scc0 .LBB207_1037
; %bb.1030:
	s_cmp_gt_i32 s24, 28
	s_cbranch_scc0 .LBB207_1038
	;; [unrolled: 3-line block ×4, first 2 shown]
; %bb.1033:
	s_cmp_eq_u32 s24, 46
	s_mov_b64 s[16:17], 0
	s_cbranch_scc0 .LBB207_1043
; %bb.1034:
	global_load_dword v3, v[0:1], off
	s_mov_b64 s[18:19], -1
	s_waitcnt vmcnt(0)
	v_lshlrev_b32_e32 v3, 16, v3
	v_cvt_f16_f32_e32 v3, v3
	s_branch .LBB207_1044
.LBB207_1035:
	s_mov_b64 s[18:19], 0
                                        ; implicit-def: $vgpr3
	s_mov_b64 s[16:17], s[6:7]
	s_cbranch_execnz .LBB207_1107
.LBB207_1036:
	s_andn2_b64 vcc, exec, s[18:19]
	s_cbranch_vccz .LBB207_1152
	s_branch .LBB207_1973
.LBB207_1037:
	s_mov_b64 s[18:19], 0
                                        ; implicit-def: $vgpr3
	s_cbranch_execnz .LBB207_1072
	s_branch .LBB207_1103
.LBB207_1038:
	s_mov_b64 s[16:17], -1
	s_mov_b64 s[18:19], 0
                                        ; implicit-def: $vgpr3
	s_branch .LBB207_1053
.LBB207_1039:
	s_mov_b64 s[18:19], 0
                                        ; implicit-def: $vgpr3
	s_cbranch_execnz .LBB207_1049
	s_branch .LBB207_1052
.LBB207_1040:
	s_mov_b64 s[16:17], -1
	s_mov_b64 s[18:19], 0
                                        ; implicit-def: $vgpr3
	s_branch .LBB207_1044
.LBB207_1041:
	s_andn2_saveexec_b64 s[24:25], s[24:25]
	s_cbranch_execz .LBB207_940
.LBB207_1042:
	s_mov_b32 s26, 0x46000000
	v_add_f32_e64 v4, |v2|, s26
	v_and_b32_e32 v4, 0xff, v4
	v_cmp_ne_u32_e32 vcc, 0, v4
	s_andn2_b64 s[22:23], s[22:23], exec
	s_and_b64 s[26:27], vcc, exec
	s_or_b64 s[22:23], s[22:23], s[26:27]
	s_or_b64 exec, exec, s[24:25]
	v_mov_b32_e32 v5, 0
	s_and_saveexec_b64 s[24:25], s[22:23]
	s_cbranch_execnz .LBB207_941
	s_branch .LBB207_942
.LBB207_1043:
	s_mov_b64 s[0:1], -1
                                        ; implicit-def: $vgpr3
	s_mov_b64 s[18:19], 0
.LBB207_1044:
	s_and_b64 vcc, exec, s[16:17]
	s_cbranch_vccz .LBB207_1047
; %bb.1045:
	s_cmp_eq_u32 s24, 44
	s_cbranch_scc0 .LBB207_1048
; %bb.1046:
	global_load_ubyte v3, v[0:1], off
	s_movk_i32 s16, 0xff
	v_mov_b32_e32 v6, 0x7e00
	s_mov_b64 s[0:1], 0
	s_mov_b64 s[18:19], -1
	s_waitcnt vmcnt(0)
	v_lshlrev_b32_e32 v5, 23, v3
	v_cvt_f16_f32_e32 v5, v5
	v_cmp_ne_u32_e32 vcc, s16, v3
	v_cndmask_b32_e32 v5, v6, v5, vcc
	v_cmp_ne_u32_e32 vcc, 0, v3
	v_cndmask_b32_e32 v3, 0, v5, vcc
.LBB207_1047:
	s_branch .LBB207_1052
.LBB207_1048:
	s_mov_b64 s[0:1], -1
                                        ; implicit-def: $vgpr3
	s_branch .LBB207_1052
.LBB207_1049:
	s_cmp_eq_u32 s24, 29
	s_cbranch_scc0 .LBB207_1051
; %bb.1050:
	global_load_dwordx2 v[5:6], v[0:1], off
	s_mov_b64 s[0:1], 0
	s_mov_b64 s[18:19], -1
	s_mov_b64 s[16:17], 0
	s_waitcnt vmcnt(0)
	v_ffbh_u32_e32 v3, v6
	v_min_u32_e32 v3, 32, v3
	v_lshlrev_b64 v[5:6], v3, v[5:6]
	v_sub_u32_e32 v3, 32, v3
	v_min_u32_e32 v5, 1, v5
	v_or_b32_e32 v5, v6, v5
	v_cvt_f32_u32_e32 v5, v5
	v_ldexp_f32 v3, v5, v3
	v_cvt_f16_f32_e32 v3, v3
	s_branch .LBB207_1053
.LBB207_1051:
	s_mov_b64 s[0:1], -1
                                        ; implicit-def: $vgpr3
.LBB207_1052:
	s_mov_b64 s[16:17], 0
.LBB207_1053:
	s_and_b64 vcc, exec, s[16:17]
	s_cbranch_vccz .LBB207_1071
; %bb.1054:
	s_cmp_lt_i32 s24, 27
	s_cbranch_scc1 .LBB207_1057
; %bb.1055:
	s_cmp_gt_i32 s24, 27
	s_cbranch_scc0 .LBB207_1058
; %bb.1056:
	global_load_dword v3, v[0:1], off
	s_mov_b64 s[16:17], 0
	s_waitcnt vmcnt(0)
	v_cvt_f32_u32_e32 v3, v3
	v_cvt_f16_f32_e32 v3, v3
	s_branch .LBB207_1059
.LBB207_1057:
	s_mov_b64 s[16:17], -1
                                        ; implicit-def: $vgpr3
	s_branch .LBB207_1062
.LBB207_1058:
	s_mov_b64 s[16:17], -1
                                        ; implicit-def: $vgpr3
.LBB207_1059:
	s_andn2_b64 vcc, exec, s[16:17]
	s_cbranch_vccnz .LBB207_1061
; %bb.1060:
	global_load_ushort v3, v[0:1], off
	s_waitcnt vmcnt(0)
	v_cvt_f16_u16_e32 v3, v3
.LBB207_1061:
	s_mov_b64 s[16:17], 0
.LBB207_1062:
	s_andn2_b64 vcc, exec, s[16:17]
	s_cbranch_vccnz .LBB207_1070
; %bb.1063:
	global_load_ubyte v5, v[0:1], off
	s_movk_i32 s16, 0x7f
	s_waitcnt vmcnt(0)
	v_cmp_lt_i16_e32 vcc, s16, v5
	s_mov_b64 s[16:17], 0
	s_and_saveexec_b64 s[18:19], vcc
	s_xor_b64 s[18:19], exec, s[18:19]
	s_cbranch_execz .LBB207_1083
; %bb.1064:
	s_movk_i32 s16, 0x80
	v_cmp_eq_u16_e32 vcc, s16, v5
	s_mov_b64 s[16:17], -1
	s_and_saveexec_b64 s[20:21], vcc
; %bb.1065:
	s_xor_b64 s[16:17], exec, -1
; %bb.1066:
	s_or_b64 exec, exec, s[20:21]
	s_and_b64 s[16:17], s[16:17], exec
	s_or_saveexec_b64 s[18:19], s[18:19]
	v_mov_b32_e32 v3, 0x7e00
	s_xor_b64 exec, exec, s[18:19]
	s_cbranch_execnz .LBB207_1084
.LBB207_1067:
	s_or_b64 exec, exec, s[18:19]
	s_and_saveexec_b64 s[18:19], s[16:17]
	s_cbranch_execz .LBB207_1069
.LBB207_1068:
	v_lshlrev_b32_e32 v3, 24, v5
	v_and_b32_e32 v5, 0xffff, v5
	v_and_b32_e32 v6, 7, v5
	v_ffbh_u32_e32 v8, v6
	v_min_u32_e32 v8, 32, v8
	v_subrev_u32_e32 v9, 28, v8
	v_bfe_u32 v7, v5, 3, 4
	v_lshlrev_b32_e32 v5, v9, v5
	v_sub_u32_e32 v8, 29, v8
	v_and_b32_e32 v5, 7, v5
	v_cmp_eq_u32_e32 vcc, 0, v7
	v_cndmask_b32_e32 v7, v7, v8, vcc
	v_cndmask_b32_e32 v5, v6, v5, vcc
	v_mov_b32_e32 v6, 0x3b800000
	v_lshlrev_b32_e32 v5, 20, v5
	v_and_b32_e32 v3, 0x80000000, v3
	v_lshl_add_u32 v6, v7, 23, v6
	v_or3_b32 v3, v3, v6, v5
	v_cvt_f16_f32_e32 v3, v3
.LBB207_1069:
	s_or_b64 exec, exec, s[18:19]
.LBB207_1070:
	s_mov_b64 s[18:19], -1
.LBB207_1071:
	s_branch .LBB207_1103
.LBB207_1072:
	s_cmp_gt_i32 s24, 22
	s_cbranch_scc0 .LBB207_1082
; %bb.1073:
	s_cmp_lt_i32 s24, 24
	s_cbranch_scc1 .LBB207_1085
; %bb.1074:
	s_cmp_gt_i32 s24, 24
	s_cbranch_scc0 .LBB207_1086
; %bb.1075:
	global_load_ubyte v5, v[0:1], off
	s_movk_i32 s2, 0x7f
	s_waitcnt vmcnt(0)
	v_cmp_lt_i16_e32 vcc, s2, v5
	s_mov_b64 s[2:3], 0
	s_and_saveexec_b64 s[16:17], vcc
	s_xor_b64 s[16:17], exec, s[16:17]
	s_cbranch_execz .LBB207_1097
; %bb.1076:
	s_movk_i32 s2, 0x80
	v_cmp_eq_u16_e32 vcc, s2, v5
	s_mov_b64 s[2:3], -1
	s_and_saveexec_b64 s[18:19], vcc
; %bb.1077:
	s_xor_b64 s[2:3], exec, -1
; %bb.1078:
	s_or_b64 exec, exec, s[18:19]
	s_and_b64 s[2:3], s[2:3], exec
	s_or_saveexec_b64 s[16:17], s[16:17]
	v_mov_b32_e32 v3, 0x7e00
	s_xor_b64 exec, exec, s[16:17]
	s_cbranch_execnz .LBB207_1098
.LBB207_1079:
	s_or_b64 exec, exec, s[16:17]
	s_and_saveexec_b64 s[16:17], s[2:3]
	s_cbranch_execz .LBB207_1081
.LBB207_1080:
	v_lshlrev_b32_e32 v3, 24, v5
	v_and_b32_e32 v5, 0xffff, v5
	v_and_b32_e32 v6, 3, v5
	v_ffbh_u32_e32 v8, v6
	v_min_u32_e32 v8, 32, v8
	v_subrev_u32_e32 v9, 29, v8
	v_bfe_u32 v7, v5, 2, 5
	v_lshlrev_b32_e32 v5, v9, v5
	v_sub_u32_e32 v8, 30, v8
	v_and_b32_e32 v5, 3, v5
	v_cmp_eq_u32_e32 vcc, 0, v7
	v_cndmask_b32_e32 v7, v7, v8, vcc
	v_cndmask_b32_e32 v5, v6, v5, vcc
	v_mov_b32_e32 v6, 0x37800000
	v_lshlrev_b32_e32 v5, 21, v5
	v_and_b32_e32 v3, 0x80000000, v3
	v_lshl_add_u32 v6, v7, 23, v6
	v_or3_b32 v3, v3, v6, v5
	v_cvt_f16_f32_e32 v3, v3
.LBB207_1081:
	s_or_b64 exec, exec, s[16:17]
	s_mov_b64 s[2:3], 0
	s_branch .LBB207_1087
.LBB207_1082:
                                        ; implicit-def: $vgpr3
	s_mov_b64 s[2:3], 0
	s_branch .LBB207_1093
.LBB207_1083:
	s_or_saveexec_b64 s[18:19], s[18:19]
	v_mov_b32_e32 v3, 0x7e00
	s_xor_b64 exec, exec, s[18:19]
	s_cbranch_execz .LBB207_1067
.LBB207_1084:
	v_cmp_ne_u16_e32 vcc, 0, v5
	s_andn2_b64 s[16:17], s[16:17], exec
	s_and_b64 s[20:21], vcc, exec
	s_or_b64 s[16:17], s[16:17], s[20:21]
	v_mov_b32_e32 v3, v5
	s_or_b64 exec, exec, s[18:19]
	s_and_saveexec_b64 s[18:19], s[16:17]
	s_cbranch_execnz .LBB207_1068
	s_branch .LBB207_1069
.LBB207_1085:
	s_mov_b64 s[2:3], -1
                                        ; implicit-def: $vgpr3
	s_branch .LBB207_1090
.LBB207_1086:
	s_mov_b64 s[2:3], -1
                                        ; implicit-def: $vgpr3
.LBB207_1087:
	s_and_b64 vcc, exec, s[2:3]
	s_cbranch_vccz .LBB207_1089
; %bb.1088:
	global_load_ubyte v3, v[0:1], off
	s_mov_b32 s2, 0x7f800000
	s_waitcnt vmcnt(0)
	v_lshlrev_b32_e32 v3, 24, v3
	v_and_b32_e32 v5, 0x7f000000, v3
	v_ffbh_u32_e32 v6, v5
	v_min_u32_e32 v6, 32, v6
	v_sub_u32_e64 v6, v6, 4 clamp
	v_lshlrev_b32_e32 v8, v6, v5
	v_lshlrev_b32_e32 v6, 23, v6
	v_lshrrev_b32_e32 v8, 4, v8
	v_add_u32_e32 v7, 0x1000000, v5
	v_sub_u32_e32 v6, v8, v6
	v_ashrrev_i32_e32 v7, 8, v7
	v_add_u32_e32 v6, 0x3c000000, v6
	v_and_or_b32 v6, v7, s2, v6
	v_cmp_ne_u32_e32 vcc, 0, v5
	v_cndmask_b32_e32 v5, 0, v6, vcc
	s_brev_b32 s2, 1
	v_and_or_b32 v3, v3, s2, v5
	v_cvt_f16_f32_e32 v3, v3
.LBB207_1089:
	s_mov_b64 s[2:3], 0
.LBB207_1090:
	s_andn2_b64 vcc, exec, s[2:3]
	s_cbranch_vccnz .LBB207_1092
; %bb.1091:
	global_load_ubyte v3, v[0:1], off
	s_movk_i32 s2, 0x7f00
	s_brev_b32 s3, 16
	s_waitcnt vmcnt(0)
	v_lshlrev_b16_e32 v5, 8, v3
	v_lshlrev_b32_e32 v3, 25, v3
	v_lshrrev_b32_e32 v6, 4, v3
	v_and_or_b32 v7, v5, s2, 0.5
	v_or_b32_e32 v6, 0x70000000, v6
	v_add_f32_e32 v7, -0.5, v7
	v_mul_f32_e32 v6, 0x7800000, v6
	v_cmp_gt_u32_e32 vcc, s3, v3
	v_bfe_i32 v5, v5, 0, 16
	v_cndmask_b32_e32 v3, v6, v7, vcc
	s_brev_b32 s2, 1
	v_and_or_b32 v3, v5, s2, v3
	v_cvt_f16_f32_e32 v3, v3
.LBB207_1092:
	s_mov_b64 s[18:19], -1
	s_mov_b64 s[2:3], 0
	s_cbranch_execnz .LBB207_1103
.LBB207_1093:
	s_cmp_gt_i32 s24, 14
	s_cbranch_scc0 .LBB207_1096
; %bb.1094:
	s_cmp_eq_u32 s24, 15
	s_cbranch_scc0 .LBB207_1099
; %bb.1095:
	global_load_ushort v3, v[0:1], off
	s_mov_b64 s[0:1], 0
	s_mov_b64 s[18:19], -1
	s_waitcnt vmcnt(0)
	v_lshlrev_b32_e32 v3, 16, v3
	v_cvt_f16_f32_e32 v3, v3
	s_branch .LBB207_1100
.LBB207_1096:
	s_mov_b64 s[16:17], -1
                                        ; implicit-def: $vgpr3
	s_branch .LBB207_1101
.LBB207_1097:
	s_or_saveexec_b64 s[16:17], s[16:17]
	v_mov_b32_e32 v3, 0x7e00
	s_xor_b64 exec, exec, s[16:17]
	s_cbranch_execz .LBB207_1079
.LBB207_1098:
	v_cmp_ne_u16_e32 vcc, 0, v5
	s_andn2_b64 s[2:3], s[2:3], exec
	s_and_b64 s[18:19], vcc, exec
	s_or_b64 s[2:3], s[2:3], s[18:19]
	v_mov_b32_e32 v3, v5
	s_or_b64 exec, exec, s[16:17]
	s_and_saveexec_b64 s[16:17], s[2:3]
	s_cbranch_execnz .LBB207_1080
	s_branch .LBB207_1081
.LBB207_1099:
	s_mov_b64 s[0:1], -1
                                        ; implicit-def: $vgpr3
.LBB207_1100:
	s_mov_b64 s[16:17], 0
.LBB207_1101:
	s_and_b64 vcc, exec, s[16:17]
	s_cbranch_vccz .LBB207_1103
; %bb.1102:
	s_cmp_lg_u32 s24, 11
	s_mov_b64 s[2:3], -1
	s_cselect_b64 s[0:1], -1, 0
.LBB207_1103:
	s_and_b64 vcc, exec, s[0:1]
	s_mov_b64 s[16:17], s[6:7]
	s_cbranch_vccnz .LBB207_1164
; %bb.1104:
	s_andn2_b64 vcc, exec, s[2:3]
	s_cbranch_vccnz .LBB207_1106
.LBB207_1105:
	global_load_ubyte v3, v[0:1], off
	v_mov_b32_e32 v5, 0x3c00
	s_mov_b64 s[18:19], -1
	s_waitcnt vmcnt(0)
	v_cmp_ne_u16_e32 vcc, 0, v3
	v_cndmask_b32_e32 v3, 0, v5, vcc
.LBB207_1106:
	s_branch .LBB207_1036
.LBB207_1107:
	s_cmp_lt_i32 s24, 5
	s_cbranch_scc1 .LBB207_1112
; %bb.1108:
	s_cmp_lt_i32 s24, 8
	s_cbranch_scc1 .LBB207_1113
; %bb.1109:
	;; [unrolled: 3-line block ×3, first 2 shown]
	s_cmp_gt_i32 s24, 9
	s_cbranch_scc0 .LBB207_1115
; %bb.1111:
	global_load_dwordx2 v[5:6], v[0:1], off
	s_movk_i32 s0, 0x1ff
	s_movk_i32 s1, 0xffe
	v_mov_b32_e32 v3, 0x7c00
	v_mov_b32_e32 v7, 0x7e00
	s_movk_i32 s2, 0x40f
	s_mov_b32 s3, 0x8000
	s_waitcnt vmcnt(0)
	v_and_or_b32 v5, v6, s0, v5
	v_cmp_ne_u32_e32 vcc, 0, v5
	v_lshrrev_b32_e32 v8, 8, v6
	v_bfe_u32 v9, v6, 20, 11
	v_cndmask_b32_e64 v5, 0, 1, vcc
	v_sub_u32_e32 v10, 0x3f1, v9
	v_and_or_b32 v5, v8, s1, v5
	v_add_u32_e32 v9, 0xfffffc10, v9
	v_med3_i32 v8, v10, 0, 13
	v_or_b32_e32 v10, 0x1000, v5
	v_cmp_ne_u32_e32 vcc, 0, v5
	v_lshl_or_b32 v11, v9, 12, v5
	v_cndmask_b32_e32 v5, v3, v7, vcc
	v_lshrrev_b32_e32 v7, v8, v10
	v_lshlrev_b32_e32 v8, v8, v7
	v_cmp_ne_u32_e32 vcc, v8, v10
	v_cndmask_b32_e64 v8, 0, 1, vcc
	v_or_b32_e32 v7, v7, v8
	v_cmp_gt_i32_e32 vcc, 1, v9
	v_cndmask_b32_e32 v7, v11, v7, vcc
	v_and_b32_e32 v8, 7, v7
	v_cmp_lt_i32_e32 vcc, 5, v8
	v_cndmask_b32_e64 v10, 0, 1, vcc
	v_cmp_eq_u32_e32 vcc, 3, v8
	v_cndmask_b32_e64 v8, 0, 1, vcc
	v_lshrrev_b32_e32 v7, 2, v7
	v_or_b32_e32 v8, v8, v10
	v_add_u32_e32 v7, v7, v8
	v_cmp_gt_i32_e32 vcc, 31, v9
	v_cndmask_b32_e32 v3, v3, v7, vcc
	v_cmp_eq_u32_e32 vcc, s2, v9
	v_lshrrev_b32_e32 v6, 16, v6
	v_cndmask_b32_e32 v3, v3, v5, vcc
	v_and_or_b32 v3, v6, s3, v3
	s_mov_b64 s[0:1], 0
	s_branch .LBB207_1116
.LBB207_1112:
                                        ; implicit-def: $vgpr3
	s_branch .LBB207_1133
.LBB207_1113:
                                        ; implicit-def: $vgpr3
	s_branch .LBB207_1122
.LBB207_1114:
	s_mov_b64 s[0:1], -1
                                        ; implicit-def: $vgpr3
	s_branch .LBB207_1119
.LBB207_1115:
	s_mov_b64 s[0:1], -1
                                        ; implicit-def: $vgpr3
.LBB207_1116:
	s_andn2_b64 vcc, exec, s[0:1]
	s_cbranch_vccnz .LBB207_1118
; %bb.1117:
	global_load_dword v3, v[0:1], off
	s_waitcnt vmcnt(0)
	v_cvt_f16_f32_e32 v3, v3
.LBB207_1118:
	s_mov_b64 s[0:1], 0
.LBB207_1119:
	s_andn2_b64 vcc, exec, s[0:1]
	s_cbranch_vccnz .LBB207_1121
; %bb.1120:
	global_load_dword v3, v[0:1], off
.LBB207_1121:
	s_cbranch_execnz .LBB207_1132
.LBB207_1122:
	s_cmp_lt_i32 s24, 6
	s_cbranch_scc1 .LBB207_1125
; %bb.1123:
	s_cmp_gt_i32 s24, 6
	s_cbranch_scc0 .LBB207_1126
; %bb.1124:
	global_load_dwordx2 v[5:6], v[0:1], off
	s_movk_i32 s0, 0x1ff
	s_movk_i32 s1, 0xffe
	s_waitcnt vmcnt(1)
	v_mov_b32_e32 v3, 0x7c00
	v_mov_b32_e32 v7, 0x7e00
	s_movk_i32 s2, 0x40f
	s_mov_b32 s3, 0x8000
	s_waitcnt vmcnt(0)
	v_and_or_b32 v5, v6, s0, v5
	v_cmp_ne_u32_e32 vcc, 0, v5
	v_lshrrev_b32_e32 v8, 8, v6
	v_bfe_u32 v9, v6, 20, 11
	v_cndmask_b32_e64 v5, 0, 1, vcc
	v_sub_u32_e32 v10, 0x3f1, v9
	v_and_or_b32 v5, v8, s1, v5
	v_add_u32_e32 v9, 0xfffffc10, v9
	v_med3_i32 v8, v10, 0, 13
	v_or_b32_e32 v10, 0x1000, v5
	v_cmp_ne_u32_e32 vcc, 0, v5
	v_lshl_or_b32 v11, v9, 12, v5
	v_cndmask_b32_e32 v5, v3, v7, vcc
	v_lshrrev_b32_e32 v7, v8, v10
	v_lshlrev_b32_e32 v8, v8, v7
	v_cmp_ne_u32_e32 vcc, v8, v10
	v_cndmask_b32_e64 v8, 0, 1, vcc
	v_or_b32_e32 v7, v7, v8
	v_cmp_gt_i32_e32 vcc, 1, v9
	v_cndmask_b32_e32 v7, v11, v7, vcc
	v_and_b32_e32 v8, 7, v7
	v_cmp_lt_i32_e32 vcc, 5, v8
	v_cndmask_b32_e64 v10, 0, 1, vcc
	v_cmp_eq_u32_e32 vcc, 3, v8
	v_cndmask_b32_e64 v8, 0, 1, vcc
	v_lshrrev_b32_e32 v7, 2, v7
	v_or_b32_e32 v8, v8, v10
	v_add_u32_e32 v7, v7, v8
	v_cmp_gt_i32_e32 vcc, 31, v9
	v_cndmask_b32_e32 v3, v3, v7, vcc
	v_cmp_eq_u32_e32 vcc, s2, v9
	v_lshrrev_b32_e32 v6, 16, v6
	v_cndmask_b32_e32 v3, v3, v5, vcc
	v_and_or_b32 v3, v6, s3, v3
	s_mov_b64 s[0:1], 0
	s_branch .LBB207_1127
.LBB207_1125:
	s_mov_b64 s[0:1], -1
                                        ; implicit-def: $vgpr3
	s_branch .LBB207_1130
.LBB207_1126:
	s_mov_b64 s[0:1], -1
                                        ; implicit-def: $vgpr3
.LBB207_1127:
	s_andn2_b64 vcc, exec, s[0:1]
	s_cbranch_vccnz .LBB207_1129
; %bb.1128:
	global_load_dword v3, v[0:1], off
	s_waitcnt vmcnt(0)
	v_cvt_f16_f32_e32 v3, v3
.LBB207_1129:
	s_mov_b64 s[0:1], 0
.LBB207_1130:
	s_andn2_b64 vcc, exec, s[0:1]
	s_cbranch_vccnz .LBB207_1132
; %bb.1131:
	global_load_ushort v3, v[0:1], off
.LBB207_1132:
	s_cbranch_execnz .LBB207_1151
.LBB207_1133:
	s_cmp_lt_i32 s24, 2
	s_cbranch_scc1 .LBB207_1137
; %bb.1134:
	s_cmp_lt_i32 s24, 3
	s_cbranch_scc1 .LBB207_1138
; %bb.1135:
	s_cmp_gt_i32 s24, 3
	s_cbranch_scc0 .LBB207_1139
; %bb.1136:
	global_load_dwordx2 v[5:6], v[0:1], off
	s_mov_b64 s[0:1], 0
	s_waitcnt vmcnt(0)
	v_xor_b32_e32 v7, v5, v6
	v_ffbh_i32_e32 v3, v6
	v_ashrrev_i32_e32 v7, 31, v7
	v_add_u32_e32 v3, -1, v3
	v_add_u32_e32 v7, 32, v7
	v_min_u32_e32 v3, v3, v7
	v_lshlrev_b64 v[5:6], v3, v[5:6]
	v_sub_u32_e32 v3, 32, v3
	v_min_u32_e32 v5, 1, v5
	v_or_b32_e32 v5, v6, v5
	v_cvt_f32_i32_e32 v5, v5
	v_ldexp_f32 v3, v5, v3
	v_cvt_f16_f32_e32 v3, v3
	s_branch .LBB207_1140
.LBB207_1137:
                                        ; implicit-def: $vgpr3
	s_branch .LBB207_1146
.LBB207_1138:
	s_mov_b64 s[0:1], -1
                                        ; implicit-def: $vgpr3
	s_branch .LBB207_1143
.LBB207_1139:
	s_mov_b64 s[0:1], -1
                                        ; implicit-def: $vgpr3
.LBB207_1140:
	s_andn2_b64 vcc, exec, s[0:1]
	s_cbranch_vccnz .LBB207_1142
; %bb.1141:
	global_load_dword v3, v[0:1], off
	s_waitcnt vmcnt(0)
	v_cvt_f32_i32_e32 v3, v3
	v_cvt_f16_f32_e32 v3, v3
.LBB207_1142:
	s_mov_b64 s[0:1], 0
.LBB207_1143:
	s_andn2_b64 vcc, exec, s[0:1]
	s_cbranch_vccnz .LBB207_1145
; %bb.1144:
	global_load_ushort v3, v[0:1], off
	s_waitcnt vmcnt(0)
	v_cvt_f16_i16_e32 v3, v3
.LBB207_1145:
	s_cbranch_execnz .LBB207_1151
.LBB207_1146:
	s_cmp_gt_i32 s24, 0
	s_cbranch_scc0 .LBB207_1148
; %bb.1147:
	global_load_sbyte v3, v[0:1], off
	s_mov_b64 s[0:1], 0
	s_waitcnt vmcnt(0)
	v_cvt_f16_i16_e32 v3, v3
	s_branch .LBB207_1149
.LBB207_1148:
	s_mov_b64 s[0:1], -1
                                        ; implicit-def: $vgpr3
.LBB207_1149:
	s_andn2_b64 vcc, exec, s[0:1]
	s_cbranch_vccnz .LBB207_1151
; %bb.1150:
	global_load_ubyte v0, v[0:1], off
	s_waitcnt vmcnt(0)
	v_cvt_f16_u16_e32 v3, v0
.LBB207_1151:
.LBB207_1152:
	s_lshl_b32 s13, s13, 7
	v_add_u32_e32 v5, s13, v4
	v_ashrrev_i32_e32 v1, 31, v5
	v_mov_b32_e32 v4, s11
	v_add_co_u32_e32 v0, vcc, s10, v5
	s_cmp_lt_i32 s24, 11
	v_addc_co_u32_e32 v1, vcc, v4, v1, vcc
	s_cbranch_scc1 .LBB207_1159
; %bb.1153:
	s_cmp_gt_i32 s24, 25
	s_mov_b64 s[2:3], 0
	s_cbranch_scc0 .LBB207_1161
; %bb.1154:
	s_cmp_gt_i32 s24, 28
	s_cbranch_scc0 .LBB207_1162
; %bb.1155:
	s_cmp_gt_i32 s24, 43
	;; [unrolled: 3-line block ×3, first 2 shown]
	s_cbranch_scc0 .LBB207_1165
; %bb.1157:
	s_cmp_eq_u32 s24, 46
	s_mov_b64 s[20:21], 0
	s_cbranch_scc0 .LBB207_1168
; %bb.1158:
	global_load_dword v4, v[0:1], off
	s_mov_b64 s[0:1], 0
	s_mov_b64 s[18:19], -1
	s_waitcnt vmcnt(0)
	v_lshlrev_b32_e32 v4, 16, v4
	v_cvt_f16_f32_e32 v4, v4
	s_branch .LBB207_1169
.LBB207_1159:
	s_mov_b64 s[18:19], 0
                                        ; implicit-def: $vgpr4
	s_cbranch_execnz .LBB207_1234
.LBB207_1160:
	s_andn2_b64 vcc, exec, s[18:19]
	s_cbranch_vccnz .LBB207_1973
	s_branch .LBB207_1281
.LBB207_1161:
	s_mov_b64 s[18:19], 0
	s_mov_b64 s[0:1], 0
                                        ; implicit-def: $vgpr4
	s_cbranch_execnz .LBB207_1198
	s_branch .LBB207_1230
.LBB207_1162:
	s_mov_b64 s[20:21], -1
	s_mov_b64 s[18:19], 0
	s_mov_b64 s[0:1], 0
                                        ; implicit-def: $vgpr4
	s_branch .LBB207_1179
.LBB207_1163:
	s_mov_b64 s[20:21], -1
	s_mov_b64 s[18:19], 0
	s_mov_b64 s[0:1], 0
                                        ; implicit-def: $vgpr4
	s_branch .LBB207_1174
.LBB207_1164:
	s_or_b64 s[16:17], s[6:7], exec
	s_trap 2
	s_cbranch_execz .LBB207_1105
	s_branch .LBB207_1106
.LBB207_1165:
	s_mov_b64 s[20:21], -1
	s_mov_b64 s[18:19], 0
	s_mov_b64 s[0:1], 0
                                        ; implicit-def: $vgpr4
	s_branch .LBB207_1169
.LBB207_1166:
	s_andn2_saveexec_b64 s[26:27], s[26:27]
	s_cbranch_execz .LBB207_952
.LBB207_1167:
	s_mov_b32 s30, 0x42800000
	v_add_f32_e64 v4, |v2|, s30
	v_and_b32_e32 v4, 0xff, v4
	v_cmp_ne_u32_e32 vcc, 0, v4
	s_andn2_b64 s[24:25], s[24:25], exec
	s_and_b64 s[30:31], vcc, exec
	s_or_b64 s[24:25], s[24:25], s[30:31]
	s_or_b64 exec, exec, s[26:27]
	v_mov_b32_e32 v5, 0
	s_and_saveexec_b64 s[26:27], s[24:25]
	s_cbranch_execnz .LBB207_953
	s_branch .LBB207_954
.LBB207_1168:
	s_mov_b64 s[0:1], -1
                                        ; implicit-def: $vgpr4
	s_mov_b64 s[18:19], 0
.LBB207_1169:
	s_and_b64 vcc, exec, s[20:21]
	s_cbranch_vccz .LBB207_1173
; %bb.1170:
	s_cmp_eq_u32 s24, 44
	s_cbranch_scc0 .LBB207_1172
; %bb.1171:
	global_load_ubyte v4, v[0:1], off
	s_movk_i32 s18, 0xff
	v_mov_b32_e32 v7, 0x7e00
	s_mov_b64 s[0:1], 0
	s_waitcnt vmcnt(0)
	v_lshlrev_b32_e32 v6, 23, v4
	v_cvt_f16_f32_e32 v6, v6
	v_cmp_ne_u32_e32 vcc, s18, v4
	s_mov_b64 s[18:19], -1
	v_cndmask_b32_e32 v6, v7, v6, vcc
	v_cmp_ne_u32_e32 vcc, 0, v4
	v_cndmask_b32_e32 v4, 0, v6, vcc
	s_branch .LBB207_1173
.LBB207_1172:
	s_mov_b64 s[0:1], -1
                                        ; implicit-def: $vgpr4
.LBB207_1173:
	s_mov_b64 s[20:21], 0
.LBB207_1174:
	s_and_b64 vcc, exec, s[20:21]
	s_cbranch_vccz .LBB207_1178
; %bb.1175:
	s_cmp_eq_u32 s24, 29
	s_cbranch_scc0 .LBB207_1177
; %bb.1176:
	global_load_dwordx2 v[6:7], v[0:1], off
	s_mov_b64 s[0:1], 0
	s_mov_b64 s[18:19], -1
	s_mov_b64 s[20:21], 0
	s_waitcnt vmcnt(0)
	v_ffbh_u32_e32 v4, v7
	v_min_u32_e32 v4, 32, v4
	v_lshlrev_b64 v[6:7], v4, v[6:7]
	v_sub_u32_e32 v4, 32, v4
	v_min_u32_e32 v6, 1, v6
	v_or_b32_e32 v6, v7, v6
	v_cvt_f32_u32_e32 v6, v6
	v_ldexp_f32 v4, v6, v4
	v_cvt_f16_f32_e32 v4, v4
	s_branch .LBB207_1179
.LBB207_1177:
	s_mov_b64 s[0:1], -1
                                        ; implicit-def: $vgpr4
.LBB207_1178:
	s_mov_b64 s[20:21], 0
.LBB207_1179:
	s_and_b64 vcc, exec, s[20:21]
	s_cbranch_vccz .LBB207_1197
; %bb.1180:
	s_cmp_lt_i32 s24, 27
	s_cbranch_scc1 .LBB207_1183
; %bb.1181:
	s_cmp_gt_i32 s24, 27
	s_cbranch_scc0 .LBB207_1184
; %bb.1182:
	global_load_dword v4, v[0:1], off
	s_mov_b64 s[18:19], 0
	s_waitcnt vmcnt(0)
	v_cvt_f32_u32_e32 v4, v4
	v_cvt_f16_f32_e32 v4, v4
	s_branch .LBB207_1185
.LBB207_1183:
	s_mov_b64 s[18:19], -1
                                        ; implicit-def: $vgpr4
	s_branch .LBB207_1188
.LBB207_1184:
	s_mov_b64 s[18:19], -1
                                        ; implicit-def: $vgpr4
.LBB207_1185:
	s_andn2_b64 vcc, exec, s[18:19]
	s_cbranch_vccnz .LBB207_1187
; %bb.1186:
	global_load_ushort v4, v[0:1], off
	s_waitcnt vmcnt(0)
	v_cvt_f16_u16_e32 v4, v4
.LBB207_1187:
	s_mov_b64 s[18:19], 0
.LBB207_1188:
	s_andn2_b64 vcc, exec, s[18:19]
	s_cbranch_vccnz .LBB207_1196
; %bb.1189:
	global_load_ubyte v6, v[0:1], off
	s_movk_i32 s18, 0x7f
	s_waitcnt vmcnt(0)
	v_cmp_lt_i16_e32 vcc, s18, v6
	s_mov_b64 s[18:19], 0
	s_and_saveexec_b64 s[20:21], vcc
	s_xor_b64 s[20:21], exec, s[20:21]
	s_cbranch_execz .LBB207_1209
; %bb.1190:
	s_movk_i32 s18, 0x80
	v_cmp_eq_u16_e32 vcc, s18, v6
	s_mov_b64 s[18:19], -1
	s_and_saveexec_b64 s[22:23], vcc
; %bb.1191:
	s_xor_b64 s[18:19], exec, -1
; %bb.1192:
	s_or_b64 exec, exec, s[22:23]
	s_and_b64 s[18:19], s[18:19], exec
	s_or_saveexec_b64 s[20:21], s[20:21]
	v_mov_b32_e32 v4, 0x7e00
	s_xor_b64 exec, exec, s[20:21]
	s_cbranch_execnz .LBB207_1210
.LBB207_1193:
	s_or_b64 exec, exec, s[20:21]
	s_and_saveexec_b64 s[20:21], s[18:19]
	s_cbranch_execz .LBB207_1195
.LBB207_1194:
	v_lshlrev_b32_e32 v4, 24, v6
	v_and_b32_e32 v6, 0xffff, v6
	v_and_b32_e32 v7, 7, v6
	v_ffbh_u32_e32 v9, v7
	v_min_u32_e32 v9, 32, v9
	v_subrev_u32_e32 v10, 28, v9
	v_bfe_u32 v8, v6, 3, 4
	v_lshlrev_b32_e32 v6, v10, v6
	v_sub_u32_e32 v9, 29, v9
	v_and_b32_e32 v6, 7, v6
	v_cmp_eq_u32_e32 vcc, 0, v8
	v_cndmask_b32_e32 v8, v8, v9, vcc
	v_cndmask_b32_e32 v6, v7, v6, vcc
	v_mov_b32_e32 v7, 0x3b800000
	v_lshlrev_b32_e32 v6, 20, v6
	v_and_b32_e32 v4, 0x80000000, v4
	v_lshl_add_u32 v7, v8, 23, v7
	v_or3_b32 v4, v4, v7, v6
	v_cvt_f16_f32_e32 v4, v4
.LBB207_1195:
	s_or_b64 exec, exec, s[20:21]
.LBB207_1196:
	s_mov_b64 s[18:19], -1
.LBB207_1197:
	s_branch .LBB207_1230
.LBB207_1198:
	s_cmp_gt_i32 s24, 22
	s_cbranch_scc0 .LBB207_1208
; %bb.1199:
	s_cmp_lt_i32 s24, 24
	s_cbranch_scc1 .LBB207_1211
; %bb.1200:
	s_cmp_gt_i32 s24, 24
	s_cbranch_scc0 .LBB207_1212
; %bb.1201:
	global_load_ubyte v6, v[0:1], off
	s_movk_i32 s2, 0x7f
	s_waitcnt vmcnt(0)
	v_cmp_lt_i16_e32 vcc, s2, v6
	s_mov_b64 s[2:3], 0
	s_and_saveexec_b64 s[18:19], vcc
	s_xor_b64 s[18:19], exec, s[18:19]
	s_cbranch_execz .LBB207_1224
; %bb.1202:
	s_movk_i32 s2, 0x80
	v_cmp_eq_u16_e32 vcc, s2, v6
	s_mov_b64 s[2:3], -1
	s_and_saveexec_b64 s[20:21], vcc
; %bb.1203:
	s_xor_b64 s[2:3], exec, -1
; %bb.1204:
	s_or_b64 exec, exec, s[20:21]
	s_and_b64 s[2:3], s[2:3], exec
	s_or_saveexec_b64 s[18:19], s[18:19]
	v_mov_b32_e32 v4, 0x7e00
	s_xor_b64 exec, exec, s[18:19]
	s_cbranch_execnz .LBB207_1225
.LBB207_1205:
	s_or_b64 exec, exec, s[18:19]
	s_and_saveexec_b64 s[18:19], s[2:3]
	s_cbranch_execz .LBB207_1207
.LBB207_1206:
	v_lshlrev_b32_e32 v4, 24, v6
	v_and_b32_e32 v6, 0xffff, v6
	v_and_b32_e32 v7, 3, v6
	v_ffbh_u32_e32 v9, v7
	v_min_u32_e32 v9, 32, v9
	v_subrev_u32_e32 v10, 29, v9
	v_bfe_u32 v8, v6, 2, 5
	v_lshlrev_b32_e32 v6, v10, v6
	v_sub_u32_e32 v9, 30, v9
	v_and_b32_e32 v6, 3, v6
	v_cmp_eq_u32_e32 vcc, 0, v8
	v_cndmask_b32_e32 v8, v8, v9, vcc
	v_cndmask_b32_e32 v6, v7, v6, vcc
	v_mov_b32_e32 v7, 0x37800000
	v_lshlrev_b32_e32 v6, 21, v6
	v_and_b32_e32 v4, 0x80000000, v4
	v_lshl_add_u32 v7, v8, 23, v7
	v_or3_b32 v4, v4, v7, v6
	v_cvt_f16_f32_e32 v4, v4
.LBB207_1207:
	s_or_b64 exec, exec, s[18:19]
	s_mov_b64 s[2:3], 0
	s_branch .LBB207_1213
.LBB207_1208:
	s_mov_b64 s[2:3], -1
                                        ; implicit-def: $vgpr4
	s_branch .LBB207_1219
.LBB207_1209:
	s_or_saveexec_b64 s[20:21], s[20:21]
	v_mov_b32_e32 v4, 0x7e00
	s_xor_b64 exec, exec, s[20:21]
	s_cbranch_execz .LBB207_1193
.LBB207_1210:
	v_cmp_ne_u16_e32 vcc, 0, v6
	s_andn2_b64 s[18:19], s[18:19], exec
	s_and_b64 s[22:23], vcc, exec
	s_or_b64 s[18:19], s[18:19], s[22:23]
	v_mov_b32_e32 v4, v6
	s_or_b64 exec, exec, s[20:21]
	s_and_saveexec_b64 s[20:21], s[18:19]
	s_cbranch_execnz .LBB207_1194
	s_branch .LBB207_1195
.LBB207_1211:
	s_mov_b64 s[2:3], -1
                                        ; implicit-def: $vgpr4
	s_branch .LBB207_1216
.LBB207_1212:
	s_mov_b64 s[2:3], -1
                                        ; implicit-def: $vgpr4
.LBB207_1213:
	s_and_b64 vcc, exec, s[2:3]
	s_cbranch_vccz .LBB207_1215
; %bb.1214:
	global_load_ubyte v4, v[0:1], off
	s_mov_b32 s2, 0x7f800000
	s_waitcnt vmcnt(0)
	v_lshlrev_b32_e32 v4, 24, v4
	v_and_b32_e32 v6, 0x7f000000, v4
	v_ffbh_u32_e32 v7, v6
	v_min_u32_e32 v7, 32, v7
	v_sub_u32_e64 v7, v7, 4 clamp
	v_lshlrev_b32_e32 v9, v7, v6
	v_lshlrev_b32_e32 v7, 23, v7
	v_lshrrev_b32_e32 v9, 4, v9
	v_add_u32_e32 v8, 0x1000000, v6
	v_sub_u32_e32 v7, v9, v7
	v_ashrrev_i32_e32 v8, 8, v8
	v_add_u32_e32 v7, 0x3c000000, v7
	v_and_or_b32 v7, v8, s2, v7
	v_cmp_ne_u32_e32 vcc, 0, v6
	v_cndmask_b32_e32 v6, 0, v7, vcc
	s_brev_b32 s2, 1
	v_and_or_b32 v4, v4, s2, v6
	v_cvt_f16_f32_e32 v4, v4
.LBB207_1215:
	s_mov_b64 s[2:3], 0
.LBB207_1216:
	s_andn2_b64 vcc, exec, s[2:3]
	s_cbranch_vccnz .LBB207_1218
; %bb.1217:
	global_load_ubyte v4, v[0:1], off
	s_movk_i32 s2, 0x7f00
	s_brev_b32 s3, 16
	s_waitcnt vmcnt(0)
	v_lshlrev_b16_e32 v6, 8, v4
	v_lshlrev_b32_e32 v4, 25, v4
	v_lshrrev_b32_e32 v7, 4, v4
	v_and_or_b32 v8, v6, s2, 0.5
	v_or_b32_e32 v7, 0x70000000, v7
	v_add_f32_e32 v8, -0.5, v8
	v_mul_f32_e32 v7, 0x7800000, v7
	v_cmp_gt_u32_e32 vcc, s3, v4
	v_bfe_i32 v6, v6, 0, 16
	v_cndmask_b32_e32 v4, v7, v8, vcc
	s_brev_b32 s2, 1
	v_and_or_b32 v4, v6, s2, v4
	v_cvt_f16_f32_e32 v4, v4
.LBB207_1218:
	s_mov_b64 s[2:3], 0
	s_mov_b64 s[18:19], -1
.LBB207_1219:
	s_andn2_b64 vcc, exec, s[2:3]
	s_mov_b64 s[2:3], 0
	s_cbranch_vccnz .LBB207_1230
; %bb.1220:
	s_cmp_gt_i32 s24, 14
	s_cbranch_scc0 .LBB207_1223
; %bb.1221:
	s_cmp_eq_u32 s24, 15
	s_cbranch_scc0 .LBB207_1226
; %bb.1222:
	global_load_ushort v4, v[0:1], off
	s_mov_b64 s[0:1], 0
	s_mov_b64 s[18:19], -1
	s_waitcnt vmcnt(0)
	v_lshlrev_b32_e32 v4, 16, v4
	v_cvt_f16_f32_e32 v4, v4
	s_branch .LBB207_1227
.LBB207_1223:
	s_mov_b64 s[20:21], -1
                                        ; implicit-def: $vgpr4
	s_branch .LBB207_1228
.LBB207_1224:
	s_or_saveexec_b64 s[18:19], s[18:19]
	v_mov_b32_e32 v4, 0x7e00
	s_xor_b64 exec, exec, s[18:19]
	s_cbranch_execz .LBB207_1205
.LBB207_1225:
	v_cmp_ne_u16_e32 vcc, 0, v6
	s_andn2_b64 s[2:3], s[2:3], exec
	s_and_b64 s[20:21], vcc, exec
	s_or_b64 s[2:3], s[2:3], s[20:21]
	v_mov_b32_e32 v4, v6
	s_or_b64 exec, exec, s[18:19]
	s_and_saveexec_b64 s[18:19], s[2:3]
	s_cbranch_execnz .LBB207_1206
	s_branch .LBB207_1207
.LBB207_1226:
	s_mov_b64 s[0:1], -1
                                        ; implicit-def: $vgpr4
.LBB207_1227:
	s_mov_b64 s[20:21], 0
.LBB207_1228:
	s_and_b64 vcc, exec, s[20:21]
	s_cbranch_vccz .LBB207_1230
; %bb.1229:
	s_cmp_lg_u32 s24, 11
	s_mov_b64 s[2:3], -1
	s_cselect_b64 s[0:1], -1, 0
.LBB207_1230:
	s_and_b64 vcc, exec, s[0:1]
	s_cbranch_vccnz .LBB207_1293
; %bb.1231:
	s_andn2_b64 vcc, exec, s[2:3]
	s_cbranch_vccnz .LBB207_1233
.LBB207_1232:
	global_load_ubyte v4, v[0:1], off
	v_mov_b32_e32 v6, 0x3c00
	s_mov_b64 s[18:19], -1
	s_waitcnt vmcnt(0)
	v_cmp_ne_u16_e32 vcc, 0, v4
	v_cndmask_b32_e32 v4, 0, v6, vcc
.LBB207_1233:
	s_branch .LBB207_1160
.LBB207_1234:
	s_cmp_lt_i32 s24, 5
	s_cbranch_scc1 .LBB207_1239
; %bb.1235:
	s_cmp_lt_i32 s24, 8
	s_cbranch_scc1 .LBB207_1240
; %bb.1236:
	;; [unrolled: 3-line block ×3, first 2 shown]
	s_cmp_gt_i32 s24, 9
	s_cbranch_scc0 .LBB207_1242
; %bb.1238:
	global_load_dwordx2 v[6:7], v[0:1], off
	s_movk_i32 s0, 0x1ff
	s_movk_i32 s1, 0xffe
	v_mov_b32_e32 v4, 0x7c00
	v_mov_b32_e32 v8, 0x7e00
	s_movk_i32 s2, 0x40f
	s_mov_b32 s3, 0x8000
	s_waitcnt vmcnt(0)
	v_and_or_b32 v6, v7, s0, v6
	v_cmp_ne_u32_e32 vcc, 0, v6
	v_lshrrev_b32_e32 v9, 8, v7
	v_bfe_u32 v10, v7, 20, 11
	v_cndmask_b32_e64 v6, 0, 1, vcc
	v_sub_u32_e32 v11, 0x3f1, v10
	v_and_or_b32 v6, v9, s1, v6
	v_add_u32_e32 v10, 0xfffffc10, v10
	v_med3_i32 v9, v11, 0, 13
	v_or_b32_e32 v11, 0x1000, v6
	v_cmp_ne_u32_e32 vcc, 0, v6
	v_lshl_or_b32 v12, v10, 12, v6
	v_cndmask_b32_e32 v6, v4, v8, vcc
	v_lshrrev_b32_e32 v8, v9, v11
	v_lshlrev_b32_e32 v9, v9, v8
	v_cmp_ne_u32_e32 vcc, v9, v11
	v_cndmask_b32_e64 v9, 0, 1, vcc
	v_or_b32_e32 v8, v8, v9
	v_cmp_gt_i32_e32 vcc, 1, v10
	v_cndmask_b32_e32 v8, v12, v8, vcc
	v_and_b32_e32 v9, 7, v8
	v_cmp_lt_i32_e32 vcc, 5, v9
	v_cndmask_b32_e64 v11, 0, 1, vcc
	v_cmp_eq_u32_e32 vcc, 3, v9
	v_cndmask_b32_e64 v9, 0, 1, vcc
	v_lshrrev_b32_e32 v8, 2, v8
	v_or_b32_e32 v9, v9, v11
	v_add_u32_e32 v8, v8, v9
	v_cmp_gt_i32_e32 vcc, 31, v10
	v_cndmask_b32_e32 v4, v4, v8, vcc
	v_cmp_eq_u32_e32 vcc, s2, v10
	v_lshrrev_b32_e32 v7, 16, v7
	v_cndmask_b32_e32 v4, v4, v6, vcc
	v_and_or_b32 v4, v7, s3, v4
	s_mov_b64 s[0:1], 0
	s_branch .LBB207_1243
.LBB207_1239:
                                        ; implicit-def: $vgpr4
	s_branch .LBB207_1261
.LBB207_1240:
	s_mov_b64 s[0:1], -1
                                        ; implicit-def: $vgpr4
	s_branch .LBB207_1249
.LBB207_1241:
	s_mov_b64 s[0:1], -1
                                        ; implicit-def: $vgpr4
	s_branch .LBB207_1246
.LBB207_1242:
	s_mov_b64 s[0:1], -1
                                        ; implicit-def: $vgpr4
.LBB207_1243:
	s_andn2_b64 vcc, exec, s[0:1]
	s_cbranch_vccnz .LBB207_1245
; %bb.1244:
	global_load_dword v4, v[0:1], off
	s_waitcnt vmcnt(0)
	v_cvt_f16_f32_e32 v4, v4
.LBB207_1245:
	s_mov_b64 s[0:1], 0
.LBB207_1246:
	s_andn2_b64 vcc, exec, s[0:1]
	s_cbranch_vccnz .LBB207_1248
; %bb.1247:
	global_load_dword v4, v[0:1], off
.LBB207_1248:
	s_mov_b64 s[0:1], 0
.LBB207_1249:
	s_andn2_b64 vcc, exec, s[0:1]
	s_cbranch_vccnz .LBB207_1260
; %bb.1250:
	s_cmp_lt_i32 s24, 6
	s_cbranch_scc1 .LBB207_1253
; %bb.1251:
	s_cmp_gt_i32 s24, 6
	s_cbranch_scc0 .LBB207_1254
; %bb.1252:
	global_load_dwordx2 v[6:7], v[0:1], off
	s_movk_i32 s0, 0x1ff
	s_movk_i32 s1, 0xffe
	s_waitcnt vmcnt(1)
	v_mov_b32_e32 v4, 0x7c00
	v_mov_b32_e32 v8, 0x7e00
	s_movk_i32 s2, 0x40f
	s_mov_b32 s3, 0x8000
	s_waitcnt vmcnt(0)
	v_and_or_b32 v6, v7, s0, v6
	v_cmp_ne_u32_e32 vcc, 0, v6
	v_lshrrev_b32_e32 v9, 8, v7
	v_bfe_u32 v10, v7, 20, 11
	v_cndmask_b32_e64 v6, 0, 1, vcc
	v_sub_u32_e32 v11, 0x3f1, v10
	v_and_or_b32 v6, v9, s1, v6
	v_add_u32_e32 v10, 0xfffffc10, v10
	v_med3_i32 v9, v11, 0, 13
	v_or_b32_e32 v11, 0x1000, v6
	v_cmp_ne_u32_e32 vcc, 0, v6
	v_lshl_or_b32 v12, v10, 12, v6
	v_cndmask_b32_e32 v6, v4, v8, vcc
	v_lshrrev_b32_e32 v8, v9, v11
	v_lshlrev_b32_e32 v9, v9, v8
	v_cmp_ne_u32_e32 vcc, v9, v11
	v_cndmask_b32_e64 v9, 0, 1, vcc
	v_or_b32_e32 v8, v8, v9
	v_cmp_gt_i32_e32 vcc, 1, v10
	v_cndmask_b32_e32 v8, v12, v8, vcc
	v_and_b32_e32 v9, 7, v8
	v_cmp_lt_i32_e32 vcc, 5, v9
	v_cndmask_b32_e64 v11, 0, 1, vcc
	v_cmp_eq_u32_e32 vcc, 3, v9
	v_cndmask_b32_e64 v9, 0, 1, vcc
	v_lshrrev_b32_e32 v8, 2, v8
	v_or_b32_e32 v9, v9, v11
	v_add_u32_e32 v8, v8, v9
	v_cmp_gt_i32_e32 vcc, 31, v10
	v_cndmask_b32_e32 v4, v4, v8, vcc
	v_cmp_eq_u32_e32 vcc, s2, v10
	v_lshrrev_b32_e32 v7, 16, v7
	v_cndmask_b32_e32 v4, v4, v6, vcc
	v_and_or_b32 v4, v7, s3, v4
	s_mov_b64 s[0:1], 0
	s_branch .LBB207_1255
.LBB207_1253:
	s_mov_b64 s[0:1], -1
                                        ; implicit-def: $vgpr4
	s_branch .LBB207_1258
.LBB207_1254:
	s_mov_b64 s[0:1], -1
                                        ; implicit-def: $vgpr4
.LBB207_1255:
	s_andn2_b64 vcc, exec, s[0:1]
	s_cbranch_vccnz .LBB207_1257
; %bb.1256:
	global_load_dword v4, v[0:1], off
	s_waitcnt vmcnt(0)
	v_cvt_f16_f32_e32 v4, v4
.LBB207_1257:
	s_mov_b64 s[0:1], 0
.LBB207_1258:
	s_andn2_b64 vcc, exec, s[0:1]
	s_cbranch_vccnz .LBB207_1260
; %bb.1259:
	global_load_ushort v4, v[0:1], off
.LBB207_1260:
	s_cbranch_execnz .LBB207_1280
.LBB207_1261:
	s_cmp_lt_i32 s24, 2
	s_cbranch_scc1 .LBB207_1265
; %bb.1262:
	s_cmp_lt_i32 s24, 3
	s_cbranch_scc1 .LBB207_1266
; %bb.1263:
	s_cmp_gt_i32 s24, 3
	s_cbranch_scc0 .LBB207_1267
; %bb.1264:
	global_load_dwordx2 v[6:7], v[0:1], off
	s_mov_b64 s[0:1], 0
	s_waitcnt vmcnt(0)
	v_xor_b32_e32 v8, v6, v7
	v_ffbh_i32_e32 v4, v7
	v_ashrrev_i32_e32 v8, 31, v8
	v_add_u32_e32 v4, -1, v4
	v_add_u32_e32 v8, 32, v8
	v_min_u32_e32 v4, v4, v8
	v_lshlrev_b64 v[6:7], v4, v[6:7]
	v_sub_u32_e32 v4, 32, v4
	v_min_u32_e32 v6, 1, v6
	v_or_b32_e32 v6, v7, v6
	v_cvt_f32_i32_e32 v6, v6
	v_ldexp_f32 v4, v6, v4
	v_cvt_f16_f32_e32 v4, v4
	s_branch .LBB207_1268
.LBB207_1265:
	s_mov_b64 s[0:1], -1
                                        ; implicit-def: $vgpr4
	s_branch .LBB207_1274
.LBB207_1266:
	s_mov_b64 s[0:1], -1
                                        ; implicit-def: $vgpr4
	s_branch .LBB207_1271
.LBB207_1267:
	s_mov_b64 s[0:1], -1
                                        ; implicit-def: $vgpr4
.LBB207_1268:
	s_andn2_b64 vcc, exec, s[0:1]
	s_cbranch_vccnz .LBB207_1270
; %bb.1269:
	global_load_dword v4, v[0:1], off
	s_waitcnt vmcnt(0)
	v_cvt_f32_i32_e32 v4, v4
	v_cvt_f16_f32_e32 v4, v4
.LBB207_1270:
	s_mov_b64 s[0:1], 0
.LBB207_1271:
	s_andn2_b64 vcc, exec, s[0:1]
	s_cbranch_vccnz .LBB207_1273
; %bb.1272:
	global_load_ushort v4, v[0:1], off
	s_waitcnt vmcnt(0)
	v_cvt_f16_i16_e32 v4, v4
.LBB207_1273:
	s_mov_b64 s[0:1], 0
.LBB207_1274:
	s_andn2_b64 vcc, exec, s[0:1]
	s_cbranch_vccnz .LBB207_1280
; %bb.1275:
	s_cmp_gt_i32 s24, 0
	s_cbranch_scc0 .LBB207_1277
; %bb.1276:
	global_load_sbyte v4, v[0:1], off
	s_mov_b64 s[0:1], 0
	s_waitcnt vmcnt(0)
	v_cvt_f16_i16_e32 v4, v4
	s_branch .LBB207_1278
.LBB207_1277:
	s_mov_b64 s[0:1], -1
                                        ; implicit-def: $vgpr4
.LBB207_1278:
	s_andn2_b64 vcc, exec, s[0:1]
	s_cbranch_vccnz .LBB207_1280
; %bb.1279:
	global_load_ubyte v0, v[0:1], off
	s_waitcnt vmcnt(0)
	v_cvt_f16_u16_e32 v4, v0
.LBB207_1280:
.LBB207_1281:
	v_add_u32_e32 v6, s13, v5
	v_ashrrev_i32_e32 v1, 31, v6
	v_mov_b32_e32 v5, s11
	v_add_co_u32_e32 v0, vcc, s10, v6
	s_cmp_lt_i32 s24, 11
	v_addc_co_u32_e32 v1, vcc, v5, v1, vcc
	s_cbranch_scc1 .LBB207_1288
; %bb.1282:
	s_cmp_gt_i32 s24, 25
	s_mov_b64 s[2:3], 0
	s_cbranch_scc0 .LBB207_1290
; %bb.1283:
	s_cmp_gt_i32 s24, 28
	s_cbranch_scc0 .LBB207_1291
; %bb.1284:
	s_cmp_gt_i32 s24, 43
	;; [unrolled: 3-line block ×3, first 2 shown]
	s_cbranch_scc0 .LBB207_1294
; %bb.1286:
	s_cmp_eq_u32 s24, 46
	s_mov_b64 s[20:21], 0
	s_cbranch_scc0 .LBB207_1295
; %bb.1287:
	global_load_dword v5, v[0:1], off
	s_mov_b64 s[0:1], 0
	s_mov_b64 s[18:19], -1
	s_waitcnt vmcnt(0)
	v_lshlrev_b32_e32 v5, 16, v5
	v_cvt_f16_f32_e32 v5, v5
	s_branch .LBB207_1296
.LBB207_1288:
	s_mov_b64 s[18:19], 0
                                        ; implicit-def: $vgpr5
	s_cbranch_execnz .LBB207_1362
.LBB207_1289:
	s_andn2_b64 vcc, exec, s[18:19]
	s_cbranch_vccnz .LBB207_1973
	s_branch .LBB207_1410
.LBB207_1290:
	s_mov_b64 s[20:21], -1
	s_mov_b64 s[18:19], 0
	s_mov_b64 s[0:1], 0
                                        ; implicit-def: $vgpr5
	s_branch .LBB207_1325
.LBB207_1291:
	s_mov_b64 s[20:21], -1
	s_mov_b64 s[18:19], 0
	s_mov_b64 s[0:1], 0
                                        ; implicit-def: $vgpr5
	s_branch .LBB207_1306
.LBB207_1292:
	s_mov_b64 s[20:21], -1
	s_mov_b64 s[18:19], 0
	s_mov_b64 s[0:1], 0
                                        ; implicit-def: $vgpr5
	s_branch .LBB207_1301
.LBB207_1293:
	s_trap 2
	s_or_b64 s[16:17], s[16:17], exec
	s_cbranch_execz .LBB207_1232
	s_branch .LBB207_1233
.LBB207_1294:
	s_mov_b64 s[20:21], -1
	s_mov_b64 s[18:19], 0
	s_mov_b64 s[0:1], 0
                                        ; implicit-def: $vgpr5
	s_branch .LBB207_1296
.LBB207_1295:
	s_mov_b64 s[0:1], -1
                                        ; implicit-def: $vgpr5
	s_mov_b64 s[18:19], 0
.LBB207_1296:
	s_and_b64 vcc, exec, s[20:21]
	s_cbranch_vccz .LBB207_1300
; %bb.1297:
	s_cmp_eq_u32 s24, 44
	s_cbranch_scc0 .LBB207_1299
; %bb.1298:
	global_load_ubyte v5, v[0:1], off
	s_movk_i32 s18, 0xff
	v_mov_b32_e32 v8, 0x7e00
	s_mov_b64 s[0:1], 0
	s_waitcnt vmcnt(0)
	v_lshlrev_b32_e32 v7, 23, v5
	v_cvt_f16_f32_e32 v7, v7
	v_cmp_ne_u32_e32 vcc, s18, v5
	s_mov_b64 s[18:19], -1
	v_cndmask_b32_e32 v7, v8, v7, vcc
	v_cmp_ne_u32_e32 vcc, 0, v5
	v_cndmask_b32_e32 v5, 0, v7, vcc
	s_branch .LBB207_1300
.LBB207_1299:
	s_mov_b64 s[0:1], -1
                                        ; implicit-def: $vgpr5
.LBB207_1300:
	s_mov_b64 s[20:21], 0
.LBB207_1301:
	s_and_b64 vcc, exec, s[20:21]
	s_cbranch_vccz .LBB207_1305
; %bb.1302:
	s_cmp_eq_u32 s24, 29
	s_cbranch_scc0 .LBB207_1304
; %bb.1303:
	global_load_dwordx2 v[7:8], v[0:1], off
	s_mov_b64 s[0:1], 0
	s_mov_b64 s[18:19], -1
	s_mov_b64 s[20:21], 0
	s_waitcnt vmcnt(0)
	v_ffbh_u32_e32 v5, v8
	v_min_u32_e32 v5, 32, v5
	v_lshlrev_b64 v[7:8], v5, v[7:8]
	v_sub_u32_e32 v5, 32, v5
	v_min_u32_e32 v7, 1, v7
	v_or_b32_e32 v7, v8, v7
	v_cvt_f32_u32_e32 v7, v7
	v_ldexp_f32 v5, v7, v5
	v_cvt_f16_f32_e32 v5, v5
	s_branch .LBB207_1306
.LBB207_1304:
	s_mov_b64 s[0:1], -1
                                        ; implicit-def: $vgpr5
.LBB207_1305:
	s_mov_b64 s[20:21], 0
.LBB207_1306:
	s_and_b64 vcc, exec, s[20:21]
	s_cbranch_vccz .LBB207_1324
; %bb.1307:
	s_cmp_lt_i32 s24, 27
	s_cbranch_scc1 .LBB207_1310
; %bb.1308:
	s_cmp_gt_i32 s24, 27
	s_cbranch_scc0 .LBB207_1311
; %bb.1309:
	global_load_dword v5, v[0:1], off
	s_mov_b64 s[18:19], 0
	s_waitcnt vmcnt(0)
	v_cvt_f32_u32_e32 v5, v5
	v_cvt_f16_f32_e32 v5, v5
	s_branch .LBB207_1312
.LBB207_1310:
	s_mov_b64 s[18:19], -1
                                        ; implicit-def: $vgpr5
	s_branch .LBB207_1315
.LBB207_1311:
	s_mov_b64 s[18:19], -1
                                        ; implicit-def: $vgpr5
.LBB207_1312:
	s_andn2_b64 vcc, exec, s[18:19]
	s_cbranch_vccnz .LBB207_1314
; %bb.1313:
	global_load_ushort v5, v[0:1], off
	s_waitcnt vmcnt(0)
	v_cvt_f16_u16_e32 v5, v5
.LBB207_1314:
	s_mov_b64 s[18:19], 0
.LBB207_1315:
	s_andn2_b64 vcc, exec, s[18:19]
	s_cbranch_vccnz .LBB207_1323
; %bb.1316:
	global_load_ubyte v7, v[0:1], off
	s_movk_i32 s18, 0x7f
	s_waitcnt vmcnt(0)
	v_cmp_lt_i16_e32 vcc, s18, v7
	s_mov_b64 s[18:19], 0
	s_and_saveexec_b64 s[20:21], vcc
	s_xor_b64 s[20:21], exec, s[20:21]
	s_cbranch_execz .LBB207_1337
; %bb.1317:
	s_movk_i32 s18, 0x80
	v_cmp_eq_u16_e32 vcc, s18, v7
	s_mov_b64 s[18:19], -1
	s_and_saveexec_b64 s[22:23], vcc
; %bb.1318:
	s_xor_b64 s[18:19], exec, -1
; %bb.1319:
	s_or_b64 exec, exec, s[22:23]
	s_and_b64 s[18:19], s[18:19], exec
	s_or_saveexec_b64 s[20:21], s[20:21]
	v_mov_b32_e32 v5, 0x7e00
	s_xor_b64 exec, exec, s[20:21]
	s_cbranch_execnz .LBB207_1338
.LBB207_1320:
	s_or_b64 exec, exec, s[20:21]
	s_and_saveexec_b64 s[20:21], s[18:19]
	s_cbranch_execz .LBB207_1322
.LBB207_1321:
	v_lshlrev_b32_e32 v5, 24, v7
	v_and_b32_e32 v7, 0xffff, v7
	v_and_b32_e32 v8, 7, v7
	v_ffbh_u32_e32 v10, v8
	v_min_u32_e32 v10, 32, v10
	v_subrev_u32_e32 v11, 28, v10
	v_bfe_u32 v9, v7, 3, 4
	v_lshlrev_b32_e32 v7, v11, v7
	v_sub_u32_e32 v10, 29, v10
	v_and_b32_e32 v7, 7, v7
	v_cmp_eq_u32_e32 vcc, 0, v9
	v_cndmask_b32_e32 v9, v9, v10, vcc
	v_cndmask_b32_e32 v7, v8, v7, vcc
	v_mov_b32_e32 v8, 0x3b800000
	v_lshlrev_b32_e32 v7, 20, v7
	v_and_b32_e32 v5, 0x80000000, v5
	v_lshl_add_u32 v8, v9, 23, v8
	v_or3_b32 v5, v5, v8, v7
	v_cvt_f16_f32_e32 v5, v5
.LBB207_1322:
	s_or_b64 exec, exec, s[20:21]
.LBB207_1323:
	s_mov_b64 s[18:19], -1
.LBB207_1324:
	s_mov_b64 s[20:21], 0
.LBB207_1325:
	s_and_b64 vcc, exec, s[20:21]
	s_cbranch_vccz .LBB207_1358
; %bb.1326:
	s_cmp_gt_i32 s24, 22
	s_cbranch_scc0 .LBB207_1336
; %bb.1327:
	s_cmp_lt_i32 s24, 24
	s_cbranch_scc1 .LBB207_1339
; %bb.1328:
	s_cmp_gt_i32 s24, 24
	s_cbranch_scc0 .LBB207_1340
; %bb.1329:
	global_load_ubyte v7, v[0:1], off
	s_movk_i32 s2, 0x7f
	s_waitcnt vmcnt(0)
	v_cmp_lt_i16_e32 vcc, s2, v7
	s_mov_b64 s[2:3], 0
	s_and_saveexec_b64 s[18:19], vcc
	s_xor_b64 s[18:19], exec, s[18:19]
	s_cbranch_execz .LBB207_1352
; %bb.1330:
	s_movk_i32 s2, 0x80
	v_cmp_eq_u16_e32 vcc, s2, v7
	s_mov_b64 s[2:3], -1
	s_and_saveexec_b64 s[20:21], vcc
; %bb.1331:
	s_xor_b64 s[2:3], exec, -1
; %bb.1332:
	s_or_b64 exec, exec, s[20:21]
	s_and_b64 s[2:3], s[2:3], exec
	s_or_saveexec_b64 s[18:19], s[18:19]
	v_mov_b32_e32 v5, 0x7e00
	s_xor_b64 exec, exec, s[18:19]
	s_cbranch_execnz .LBB207_1353
.LBB207_1333:
	s_or_b64 exec, exec, s[18:19]
	s_and_saveexec_b64 s[18:19], s[2:3]
	s_cbranch_execz .LBB207_1335
.LBB207_1334:
	v_lshlrev_b32_e32 v5, 24, v7
	v_and_b32_e32 v7, 0xffff, v7
	v_and_b32_e32 v8, 3, v7
	v_ffbh_u32_e32 v10, v8
	v_min_u32_e32 v10, 32, v10
	v_subrev_u32_e32 v11, 29, v10
	v_bfe_u32 v9, v7, 2, 5
	v_lshlrev_b32_e32 v7, v11, v7
	v_sub_u32_e32 v10, 30, v10
	v_and_b32_e32 v7, 3, v7
	v_cmp_eq_u32_e32 vcc, 0, v9
	v_cndmask_b32_e32 v9, v9, v10, vcc
	v_cndmask_b32_e32 v7, v8, v7, vcc
	v_mov_b32_e32 v8, 0x37800000
	v_lshlrev_b32_e32 v7, 21, v7
	v_and_b32_e32 v5, 0x80000000, v5
	v_lshl_add_u32 v8, v9, 23, v8
	v_or3_b32 v5, v5, v8, v7
	v_cvt_f16_f32_e32 v5, v5
.LBB207_1335:
	s_or_b64 exec, exec, s[18:19]
	s_mov_b64 s[2:3], 0
	s_branch .LBB207_1341
.LBB207_1336:
	s_mov_b64 s[2:3], -1
                                        ; implicit-def: $vgpr5
	s_branch .LBB207_1347
.LBB207_1337:
	s_or_saveexec_b64 s[20:21], s[20:21]
	v_mov_b32_e32 v5, 0x7e00
	s_xor_b64 exec, exec, s[20:21]
	s_cbranch_execz .LBB207_1320
.LBB207_1338:
	v_cmp_ne_u16_e32 vcc, 0, v7
	s_andn2_b64 s[18:19], s[18:19], exec
	s_and_b64 s[22:23], vcc, exec
	s_or_b64 s[18:19], s[18:19], s[22:23]
	v_mov_b32_e32 v5, v7
	s_or_b64 exec, exec, s[20:21]
	s_and_saveexec_b64 s[20:21], s[18:19]
	s_cbranch_execnz .LBB207_1321
	s_branch .LBB207_1322
.LBB207_1339:
	s_mov_b64 s[2:3], -1
                                        ; implicit-def: $vgpr5
	s_branch .LBB207_1344
.LBB207_1340:
	s_mov_b64 s[2:3], -1
                                        ; implicit-def: $vgpr5
.LBB207_1341:
	s_and_b64 vcc, exec, s[2:3]
	s_cbranch_vccz .LBB207_1343
; %bb.1342:
	global_load_ubyte v5, v[0:1], off
	s_mov_b32 s2, 0x7f800000
	s_waitcnt vmcnt(0)
	v_lshlrev_b32_e32 v5, 24, v5
	v_and_b32_e32 v7, 0x7f000000, v5
	v_ffbh_u32_e32 v8, v7
	v_min_u32_e32 v8, 32, v8
	v_sub_u32_e64 v8, v8, 4 clamp
	v_lshlrev_b32_e32 v10, v8, v7
	v_lshlrev_b32_e32 v8, 23, v8
	v_lshrrev_b32_e32 v10, 4, v10
	v_add_u32_e32 v9, 0x1000000, v7
	v_sub_u32_e32 v8, v10, v8
	v_ashrrev_i32_e32 v9, 8, v9
	v_add_u32_e32 v8, 0x3c000000, v8
	v_and_or_b32 v8, v9, s2, v8
	v_cmp_ne_u32_e32 vcc, 0, v7
	v_cndmask_b32_e32 v7, 0, v8, vcc
	s_brev_b32 s2, 1
	v_and_or_b32 v5, v5, s2, v7
	v_cvt_f16_f32_e32 v5, v5
.LBB207_1343:
	s_mov_b64 s[2:3], 0
.LBB207_1344:
	s_andn2_b64 vcc, exec, s[2:3]
	s_cbranch_vccnz .LBB207_1346
; %bb.1345:
	global_load_ubyte v5, v[0:1], off
	s_movk_i32 s2, 0x7f00
	s_brev_b32 s3, 16
	s_waitcnt vmcnt(0)
	v_lshlrev_b16_e32 v7, 8, v5
	v_lshlrev_b32_e32 v5, 25, v5
	v_lshrrev_b32_e32 v8, 4, v5
	v_and_or_b32 v9, v7, s2, 0.5
	v_or_b32_e32 v8, 0x70000000, v8
	v_add_f32_e32 v9, -0.5, v9
	v_mul_f32_e32 v8, 0x7800000, v8
	v_cmp_gt_u32_e32 vcc, s3, v5
	v_bfe_i32 v7, v7, 0, 16
	v_cndmask_b32_e32 v5, v8, v9, vcc
	s_brev_b32 s2, 1
	v_and_or_b32 v5, v7, s2, v5
	v_cvt_f16_f32_e32 v5, v5
.LBB207_1346:
	s_mov_b64 s[2:3], 0
	s_mov_b64 s[18:19], -1
.LBB207_1347:
	s_andn2_b64 vcc, exec, s[2:3]
	s_mov_b64 s[2:3], 0
	s_cbranch_vccnz .LBB207_1358
; %bb.1348:
	s_cmp_gt_i32 s24, 14
	s_cbranch_scc0 .LBB207_1351
; %bb.1349:
	s_cmp_eq_u32 s24, 15
	s_cbranch_scc0 .LBB207_1354
; %bb.1350:
	global_load_ushort v5, v[0:1], off
	s_mov_b64 s[0:1], 0
	s_mov_b64 s[18:19], -1
	s_waitcnt vmcnt(0)
	v_lshlrev_b32_e32 v5, 16, v5
	v_cvt_f16_f32_e32 v5, v5
	s_branch .LBB207_1355
.LBB207_1351:
	s_mov_b64 s[20:21], -1
                                        ; implicit-def: $vgpr5
	s_branch .LBB207_1356
.LBB207_1352:
	s_or_saveexec_b64 s[18:19], s[18:19]
	v_mov_b32_e32 v5, 0x7e00
	s_xor_b64 exec, exec, s[18:19]
	s_cbranch_execz .LBB207_1333
.LBB207_1353:
	v_cmp_ne_u16_e32 vcc, 0, v7
	s_andn2_b64 s[2:3], s[2:3], exec
	s_and_b64 s[20:21], vcc, exec
	s_or_b64 s[2:3], s[2:3], s[20:21]
	v_mov_b32_e32 v5, v7
	s_or_b64 exec, exec, s[18:19]
	s_and_saveexec_b64 s[18:19], s[2:3]
	s_cbranch_execnz .LBB207_1334
	s_branch .LBB207_1335
.LBB207_1354:
	s_mov_b64 s[0:1], -1
                                        ; implicit-def: $vgpr5
.LBB207_1355:
	s_mov_b64 s[20:21], 0
.LBB207_1356:
	s_and_b64 vcc, exec, s[20:21]
	s_cbranch_vccz .LBB207_1358
; %bb.1357:
	s_cmp_lg_u32 s24, 11
	s_mov_b64 s[2:3], -1
	s_cselect_b64 s[0:1], -1, 0
.LBB207_1358:
	s_and_b64 vcc, exec, s[0:1]
	s_cbranch_vccnz .LBB207_1421
; %bb.1359:
	s_andn2_b64 vcc, exec, s[2:3]
	s_cbranch_vccnz .LBB207_1361
.LBB207_1360:
	global_load_ubyte v5, v[0:1], off
	v_mov_b32_e32 v7, 0x3c00
	s_mov_b64 s[18:19], -1
	s_waitcnt vmcnt(0)
	v_cmp_ne_u16_e32 vcc, 0, v5
	v_cndmask_b32_e32 v5, 0, v7, vcc
.LBB207_1361:
	s_branch .LBB207_1289
.LBB207_1362:
	s_cmp_lt_i32 s24, 5
	s_cbranch_scc1 .LBB207_1367
; %bb.1363:
	s_cmp_lt_i32 s24, 8
	s_cbranch_scc1 .LBB207_1368
; %bb.1364:
	;; [unrolled: 3-line block ×3, first 2 shown]
	s_cmp_gt_i32 s24, 9
	s_cbranch_scc0 .LBB207_1370
; %bb.1366:
	global_load_dwordx2 v[7:8], v[0:1], off
	s_movk_i32 s0, 0x1ff
	s_movk_i32 s1, 0xffe
	v_mov_b32_e32 v5, 0x7c00
	v_mov_b32_e32 v9, 0x7e00
	s_movk_i32 s2, 0x40f
	s_mov_b32 s3, 0x8000
	s_waitcnt vmcnt(0)
	v_and_or_b32 v7, v8, s0, v7
	v_cmp_ne_u32_e32 vcc, 0, v7
	v_lshrrev_b32_e32 v10, 8, v8
	v_bfe_u32 v11, v8, 20, 11
	v_cndmask_b32_e64 v7, 0, 1, vcc
	v_sub_u32_e32 v12, 0x3f1, v11
	v_and_or_b32 v7, v10, s1, v7
	v_add_u32_e32 v11, 0xfffffc10, v11
	v_med3_i32 v10, v12, 0, 13
	v_or_b32_e32 v12, 0x1000, v7
	v_cmp_ne_u32_e32 vcc, 0, v7
	v_lshl_or_b32 v13, v11, 12, v7
	v_cndmask_b32_e32 v7, v5, v9, vcc
	v_lshrrev_b32_e32 v9, v10, v12
	v_lshlrev_b32_e32 v10, v10, v9
	v_cmp_ne_u32_e32 vcc, v10, v12
	v_cndmask_b32_e64 v10, 0, 1, vcc
	v_or_b32_e32 v9, v9, v10
	v_cmp_gt_i32_e32 vcc, 1, v11
	v_cndmask_b32_e32 v9, v13, v9, vcc
	v_and_b32_e32 v10, 7, v9
	v_cmp_lt_i32_e32 vcc, 5, v10
	v_cndmask_b32_e64 v12, 0, 1, vcc
	v_cmp_eq_u32_e32 vcc, 3, v10
	v_cndmask_b32_e64 v10, 0, 1, vcc
	v_lshrrev_b32_e32 v9, 2, v9
	v_or_b32_e32 v10, v10, v12
	v_add_u32_e32 v9, v9, v10
	v_cmp_gt_i32_e32 vcc, 31, v11
	v_cndmask_b32_e32 v5, v5, v9, vcc
	v_cmp_eq_u32_e32 vcc, s2, v11
	v_lshrrev_b32_e32 v8, 16, v8
	v_cndmask_b32_e32 v5, v5, v7, vcc
	v_and_or_b32 v5, v8, s3, v5
	s_mov_b64 s[0:1], 0
	s_branch .LBB207_1371
.LBB207_1367:
	s_mov_b64 s[0:1], -1
                                        ; implicit-def: $vgpr5
	s_branch .LBB207_1389
.LBB207_1368:
	s_mov_b64 s[0:1], -1
                                        ; implicit-def: $vgpr5
	s_branch .LBB207_1377
.LBB207_1369:
	s_mov_b64 s[0:1], -1
                                        ; implicit-def: $vgpr5
	s_branch .LBB207_1374
.LBB207_1370:
	s_mov_b64 s[0:1], -1
                                        ; implicit-def: $vgpr5
.LBB207_1371:
	s_andn2_b64 vcc, exec, s[0:1]
	s_cbranch_vccnz .LBB207_1373
; %bb.1372:
	global_load_dword v5, v[0:1], off
	s_waitcnt vmcnt(0)
	v_cvt_f16_f32_e32 v5, v5
.LBB207_1373:
	s_mov_b64 s[0:1], 0
.LBB207_1374:
	s_andn2_b64 vcc, exec, s[0:1]
	s_cbranch_vccnz .LBB207_1376
; %bb.1375:
	global_load_dword v5, v[0:1], off
.LBB207_1376:
	s_mov_b64 s[0:1], 0
.LBB207_1377:
	s_andn2_b64 vcc, exec, s[0:1]
	s_cbranch_vccnz .LBB207_1388
; %bb.1378:
	s_cmp_lt_i32 s24, 6
	s_cbranch_scc1 .LBB207_1381
; %bb.1379:
	s_cmp_gt_i32 s24, 6
	s_cbranch_scc0 .LBB207_1382
; %bb.1380:
	global_load_dwordx2 v[7:8], v[0:1], off
	s_movk_i32 s0, 0x1ff
	s_movk_i32 s1, 0xffe
	s_waitcnt vmcnt(1)
	v_mov_b32_e32 v5, 0x7c00
	v_mov_b32_e32 v9, 0x7e00
	s_movk_i32 s2, 0x40f
	s_mov_b32 s3, 0x8000
	s_waitcnt vmcnt(0)
	v_and_or_b32 v7, v8, s0, v7
	v_cmp_ne_u32_e32 vcc, 0, v7
	v_lshrrev_b32_e32 v10, 8, v8
	v_bfe_u32 v11, v8, 20, 11
	v_cndmask_b32_e64 v7, 0, 1, vcc
	v_sub_u32_e32 v12, 0x3f1, v11
	v_and_or_b32 v7, v10, s1, v7
	v_add_u32_e32 v11, 0xfffffc10, v11
	v_med3_i32 v10, v12, 0, 13
	v_or_b32_e32 v12, 0x1000, v7
	v_cmp_ne_u32_e32 vcc, 0, v7
	v_lshl_or_b32 v13, v11, 12, v7
	v_cndmask_b32_e32 v7, v5, v9, vcc
	v_lshrrev_b32_e32 v9, v10, v12
	v_lshlrev_b32_e32 v10, v10, v9
	v_cmp_ne_u32_e32 vcc, v10, v12
	v_cndmask_b32_e64 v10, 0, 1, vcc
	v_or_b32_e32 v9, v9, v10
	v_cmp_gt_i32_e32 vcc, 1, v11
	v_cndmask_b32_e32 v9, v13, v9, vcc
	v_and_b32_e32 v10, 7, v9
	v_cmp_lt_i32_e32 vcc, 5, v10
	v_cndmask_b32_e64 v12, 0, 1, vcc
	v_cmp_eq_u32_e32 vcc, 3, v10
	v_cndmask_b32_e64 v10, 0, 1, vcc
	v_lshrrev_b32_e32 v9, 2, v9
	v_or_b32_e32 v10, v10, v12
	v_add_u32_e32 v9, v9, v10
	v_cmp_gt_i32_e32 vcc, 31, v11
	v_cndmask_b32_e32 v5, v5, v9, vcc
	v_cmp_eq_u32_e32 vcc, s2, v11
	v_lshrrev_b32_e32 v8, 16, v8
	v_cndmask_b32_e32 v5, v5, v7, vcc
	v_and_or_b32 v5, v8, s3, v5
	s_mov_b64 s[0:1], 0
	s_branch .LBB207_1383
.LBB207_1381:
	s_mov_b64 s[0:1], -1
                                        ; implicit-def: $vgpr5
	s_branch .LBB207_1386
.LBB207_1382:
	s_mov_b64 s[0:1], -1
                                        ; implicit-def: $vgpr5
.LBB207_1383:
	s_andn2_b64 vcc, exec, s[0:1]
	s_cbranch_vccnz .LBB207_1385
; %bb.1384:
	global_load_dword v5, v[0:1], off
	s_waitcnt vmcnt(0)
	v_cvt_f16_f32_e32 v5, v5
.LBB207_1385:
	s_mov_b64 s[0:1], 0
.LBB207_1386:
	s_andn2_b64 vcc, exec, s[0:1]
	s_cbranch_vccnz .LBB207_1388
; %bb.1387:
	global_load_ushort v5, v[0:1], off
.LBB207_1388:
	s_mov_b64 s[0:1], 0
.LBB207_1389:
	s_andn2_b64 vcc, exec, s[0:1]
	s_cbranch_vccnz .LBB207_1409
; %bb.1390:
	s_cmp_lt_i32 s24, 2
	s_cbranch_scc1 .LBB207_1394
; %bb.1391:
	s_cmp_lt_i32 s24, 3
	s_cbranch_scc1 .LBB207_1395
; %bb.1392:
	s_cmp_gt_i32 s24, 3
	s_cbranch_scc0 .LBB207_1396
; %bb.1393:
	global_load_dwordx2 v[7:8], v[0:1], off
	s_mov_b64 s[0:1], 0
	s_waitcnt vmcnt(0)
	v_xor_b32_e32 v9, v7, v8
	v_ffbh_i32_e32 v5, v8
	v_ashrrev_i32_e32 v9, 31, v9
	v_add_u32_e32 v5, -1, v5
	v_add_u32_e32 v9, 32, v9
	v_min_u32_e32 v5, v5, v9
	v_lshlrev_b64 v[7:8], v5, v[7:8]
	v_sub_u32_e32 v5, 32, v5
	v_min_u32_e32 v7, 1, v7
	v_or_b32_e32 v7, v8, v7
	v_cvt_f32_i32_e32 v7, v7
	v_ldexp_f32 v5, v7, v5
	v_cvt_f16_f32_e32 v5, v5
	s_branch .LBB207_1397
.LBB207_1394:
	s_mov_b64 s[0:1], -1
                                        ; implicit-def: $vgpr5
	s_branch .LBB207_1403
.LBB207_1395:
	s_mov_b64 s[0:1], -1
                                        ; implicit-def: $vgpr5
	s_branch .LBB207_1400
.LBB207_1396:
	s_mov_b64 s[0:1], -1
                                        ; implicit-def: $vgpr5
.LBB207_1397:
	s_andn2_b64 vcc, exec, s[0:1]
	s_cbranch_vccnz .LBB207_1399
; %bb.1398:
	global_load_dword v5, v[0:1], off
	s_waitcnt vmcnt(0)
	v_cvt_f32_i32_e32 v5, v5
	v_cvt_f16_f32_e32 v5, v5
.LBB207_1399:
	s_mov_b64 s[0:1], 0
.LBB207_1400:
	s_andn2_b64 vcc, exec, s[0:1]
	s_cbranch_vccnz .LBB207_1402
; %bb.1401:
	global_load_ushort v5, v[0:1], off
	s_waitcnt vmcnt(0)
	v_cvt_f16_i16_e32 v5, v5
.LBB207_1402:
	s_mov_b64 s[0:1], 0
.LBB207_1403:
	s_andn2_b64 vcc, exec, s[0:1]
	s_cbranch_vccnz .LBB207_1409
; %bb.1404:
	s_cmp_gt_i32 s24, 0
	s_cbranch_scc0 .LBB207_1406
; %bb.1405:
	global_load_sbyte v5, v[0:1], off
	s_mov_b64 s[0:1], 0
	s_waitcnt vmcnt(0)
	v_cvt_f16_i16_e32 v5, v5
	s_branch .LBB207_1407
.LBB207_1406:
	s_mov_b64 s[0:1], -1
                                        ; implicit-def: $vgpr5
.LBB207_1407:
	s_andn2_b64 vcc, exec, s[0:1]
	s_cbranch_vccnz .LBB207_1409
; %bb.1408:
	global_load_ubyte v0, v[0:1], off
	s_waitcnt vmcnt(0)
	v_cvt_f16_u16_e32 v5, v0
.LBB207_1409:
.LBB207_1410:
	v_add_u32_e32 v0, s13, v6
	v_ashrrev_i32_e32 v1, 31, v0
	v_mov_b32_e32 v6, s11
	v_add_co_u32_e32 v0, vcc, s10, v0
	s_cmp_lt_i32 s24, 11
	v_addc_co_u32_e32 v1, vcc, v6, v1, vcc
	s_cbranch_scc1 .LBB207_1417
; %bb.1411:
	s_cmp_gt_i32 s24, 25
	s_mov_b64 s[2:3], 0
	s_cbranch_scc0 .LBB207_1418
; %bb.1412:
	s_cmp_gt_i32 s24, 28
	s_cbranch_scc0 .LBB207_1419
; %bb.1413:
	s_cmp_gt_i32 s24, 43
	;; [unrolled: 3-line block ×3, first 2 shown]
	s_cbranch_scc0 .LBB207_1422
; %bb.1415:
	s_cmp_eq_u32 s24, 46
	s_mov_b64 s[18:19], 0
	s_cbranch_scc0 .LBB207_1423
; %bb.1416:
	global_load_dword v6, v[0:1], off
	s_mov_b64 s[0:1], 0
	s_mov_b64 s[10:11], -1
	s_waitcnt vmcnt(0)
	v_lshlrev_b32_e32 v6, 16, v6
	v_cvt_f16_f32_e32 v6, v6
	s_branch .LBB207_1424
.LBB207_1417:
	s_mov_b64 s[0:1], -1
	s_mov_b64 s[10:11], 0
                                        ; implicit-def: $vgpr6
	s_branch .LBB207_1490
.LBB207_1418:
	s_mov_b64 s[18:19], -1
	s_mov_b64 s[10:11], 0
	s_mov_b64 s[0:1], 0
                                        ; implicit-def: $vgpr6
	s_branch .LBB207_1453
.LBB207_1419:
	s_mov_b64 s[18:19], -1
	s_mov_b64 s[10:11], 0
	s_mov_b64 s[0:1], 0
                                        ; implicit-def: $vgpr6
	s_branch .LBB207_1434
.LBB207_1420:
	s_mov_b64 s[18:19], -1
	s_mov_b64 s[10:11], 0
	s_mov_b64 s[0:1], 0
                                        ; implicit-def: $vgpr6
	s_branch .LBB207_1429
.LBB207_1421:
	s_trap 2
	s_or_b64 s[16:17], s[16:17], exec
	s_cbranch_execz .LBB207_1360
	s_branch .LBB207_1361
.LBB207_1422:
	s_mov_b64 s[18:19], -1
	s_mov_b64 s[10:11], 0
	s_mov_b64 s[0:1], 0
                                        ; implicit-def: $vgpr6
	s_branch .LBB207_1424
.LBB207_1423:
	s_mov_b64 s[0:1], -1
                                        ; implicit-def: $vgpr6
	s_mov_b64 s[10:11], 0
.LBB207_1424:
	s_and_b64 vcc, exec, s[18:19]
	s_cbranch_vccz .LBB207_1428
; %bb.1425:
	s_cmp_eq_u32 s24, 44
	s_cbranch_scc0 .LBB207_1427
; %bb.1426:
	global_load_ubyte v6, v[0:1], off
	s_movk_i32 s10, 0xff
	v_mov_b32_e32 v8, 0x7e00
	s_mov_b64 s[0:1], 0
	s_waitcnt vmcnt(0)
	v_lshlrev_b32_e32 v7, 23, v6
	v_cvt_f16_f32_e32 v7, v7
	v_cmp_ne_u32_e32 vcc, s10, v6
	s_mov_b64 s[10:11], -1
	v_cndmask_b32_e32 v7, v8, v7, vcc
	v_cmp_ne_u32_e32 vcc, 0, v6
	v_cndmask_b32_e32 v6, 0, v7, vcc
	s_branch .LBB207_1428
.LBB207_1427:
	s_mov_b64 s[0:1], -1
                                        ; implicit-def: $vgpr6
.LBB207_1428:
	s_mov_b64 s[18:19], 0
.LBB207_1429:
	s_and_b64 vcc, exec, s[18:19]
	s_cbranch_vccz .LBB207_1433
; %bb.1430:
	s_cmp_eq_u32 s24, 29
	s_cbranch_scc0 .LBB207_1432
; %bb.1431:
	global_load_dwordx2 v[6:7], v[0:1], off
	s_mov_b64 s[0:1], 0
	s_mov_b64 s[10:11], -1
	s_mov_b64 s[18:19], 0
	s_waitcnt vmcnt(0)
	v_ffbh_u32_e32 v8, v7
	v_min_u32_e32 v8, 32, v8
	v_lshlrev_b64 v[6:7], v8, v[6:7]
	v_min_u32_e32 v6, 1, v6
	v_or_b32_e32 v6, v7, v6
	v_cvt_f32_u32_e32 v6, v6
	v_sub_u32_e32 v7, 32, v8
	v_ldexp_f32 v6, v6, v7
	v_cvt_f16_f32_e32 v6, v6
	s_branch .LBB207_1434
.LBB207_1432:
	s_mov_b64 s[0:1], -1
                                        ; implicit-def: $vgpr6
.LBB207_1433:
	s_mov_b64 s[18:19], 0
.LBB207_1434:
	s_and_b64 vcc, exec, s[18:19]
	s_cbranch_vccz .LBB207_1452
; %bb.1435:
	s_cmp_lt_i32 s24, 27
	s_cbranch_scc1 .LBB207_1438
; %bb.1436:
	s_cmp_gt_i32 s24, 27
	s_cbranch_scc0 .LBB207_1439
; %bb.1437:
	global_load_dword v6, v[0:1], off
	s_mov_b64 s[10:11], 0
	s_waitcnt vmcnt(0)
	v_cvt_f32_u32_e32 v6, v6
	v_cvt_f16_f32_e32 v6, v6
	s_branch .LBB207_1440
.LBB207_1438:
	s_mov_b64 s[10:11], -1
                                        ; implicit-def: $vgpr6
	s_branch .LBB207_1443
.LBB207_1439:
	s_mov_b64 s[10:11], -1
                                        ; implicit-def: $vgpr6
.LBB207_1440:
	s_andn2_b64 vcc, exec, s[10:11]
	s_cbranch_vccnz .LBB207_1442
; %bb.1441:
	global_load_ushort v6, v[0:1], off
	s_waitcnt vmcnt(0)
	v_cvt_f16_u16_e32 v6, v6
.LBB207_1442:
	s_mov_b64 s[10:11], 0
.LBB207_1443:
	s_andn2_b64 vcc, exec, s[10:11]
	s_cbranch_vccnz .LBB207_1451
; %bb.1444:
	global_load_ubyte v7, v[0:1], off
	s_movk_i32 s10, 0x7f
	s_waitcnt vmcnt(0)
	v_cmp_lt_i16_e32 vcc, s10, v7
	s_mov_b64 s[10:11], 0
	s_and_saveexec_b64 s[18:19], vcc
	s_xor_b64 s[18:19], exec, s[18:19]
	s_cbranch_execz .LBB207_1465
; %bb.1445:
	s_movk_i32 s10, 0x80
	v_cmp_eq_u16_e32 vcc, s10, v7
	s_mov_b64 s[10:11], -1
	s_and_saveexec_b64 s[20:21], vcc
; %bb.1446:
	s_xor_b64 s[10:11], exec, -1
; %bb.1447:
	s_or_b64 exec, exec, s[20:21]
	s_and_b64 s[10:11], s[10:11], exec
	s_or_saveexec_b64 s[18:19], s[18:19]
	v_mov_b32_e32 v6, 0x7e00
	s_xor_b64 exec, exec, s[18:19]
	s_cbranch_execnz .LBB207_1466
.LBB207_1448:
	s_or_b64 exec, exec, s[18:19]
	s_and_saveexec_b64 s[18:19], s[10:11]
	s_cbranch_execz .LBB207_1450
.LBB207_1449:
	v_lshlrev_b32_e32 v6, 24, v7
	v_and_b32_e32 v7, 0xffff, v7
	v_and_b32_e32 v8, 7, v7
	v_ffbh_u32_e32 v10, v8
	v_min_u32_e32 v10, 32, v10
	v_subrev_u32_e32 v11, 28, v10
	v_bfe_u32 v9, v7, 3, 4
	v_lshlrev_b32_e32 v7, v11, v7
	v_sub_u32_e32 v10, 29, v10
	v_and_b32_e32 v7, 7, v7
	v_cmp_eq_u32_e32 vcc, 0, v9
	v_cndmask_b32_e32 v9, v9, v10, vcc
	v_cndmask_b32_e32 v7, v8, v7, vcc
	v_mov_b32_e32 v8, 0x3b800000
	v_lshlrev_b32_e32 v7, 20, v7
	v_and_b32_e32 v6, 0x80000000, v6
	v_lshl_add_u32 v8, v9, 23, v8
	v_or3_b32 v6, v6, v8, v7
	v_cvt_f16_f32_e32 v6, v6
.LBB207_1450:
	s_or_b64 exec, exec, s[18:19]
.LBB207_1451:
	s_mov_b64 s[10:11], -1
.LBB207_1452:
	s_mov_b64 s[18:19], 0
.LBB207_1453:
	s_and_b64 vcc, exec, s[18:19]
	s_cbranch_vccz .LBB207_1486
; %bb.1454:
	s_cmp_gt_i32 s24, 22
	s_cbranch_scc0 .LBB207_1464
; %bb.1455:
	s_cmp_lt_i32 s24, 24
	s_cbranch_scc1 .LBB207_1467
; %bb.1456:
	s_cmp_gt_i32 s24, 24
	s_cbranch_scc0 .LBB207_1468
; %bb.1457:
	global_load_ubyte v7, v[0:1], off
	s_movk_i32 s2, 0x7f
	s_waitcnt vmcnt(0)
	v_cmp_lt_i16_e32 vcc, s2, v7
	s_mov_b64 s[2:3], 0
	s_and_saveexec_b64 s[10:11], vcc
	s_xor_b64 s[10:11], exec, s[10:11]
	s_cbranch_execz .LBB207_1480
; %bb.1458:
	s_movk_i32 s2, 0x80
	v_cmp_eq_u16_e32 vcc, s2, v7
	s_mov_b64 s[2:3], -1
	s_and_saveexec_b64 s[18:19], vcc
; %bb.1459:
	s_xor_b64 s[2:3], exec, -1
; %bb.1460:
	s_or_b64 exec, exec, s[18:19]
	s_and_b64 s[2:3], s[2:3], exec
	s_or_saveexec_b64 s[10:11], s[10:11]
	v_mov_b32_e32 v6, 0x7e00
	s_xor_b64 exec, exec, s[10:11]
	s_cbranch_execnz .LBB207_1481
.LBB207_1461:
	s_or_b64 exec, exec, s[10:11]
	s_and_saveexec_b64 s[10:11], s[2:3]
	s_cbranch_execz .LBB207_1463
.LBB207_1462:
	v_lshlrev_b32_e32 v6, 24, v7
	v_and_b32_e32 v7, 0xffff, v7
	v_and_b32_e32 v8, 3, v7
	v_ffbh_u32_e32 v10, v8
	v_min_u32_e32 v10, 32, v10
	v_subrev_u32_e32 v11, 29, v10
	v_bfe_u32 v9, v7, 2, 5
	v_lshlrev_b32_e32 v7, v11, v7
	v_sub_u32_e32 v10, 30, v10
	v_and_b32_e32 v7, 3, v7
	v_cmp_eq_u32_e32 vcc, 0, v9
	v_cndmask_b32_e32 v9, v9, v10, vcc
	v_cndmask_b32_e32 v7, v8, v7, vcc
	v_mov_b32_e32 v8, 0x37800000
	v_lshlrev_b32_e32 v7, 21, v7
	v_and_b32_e32 v6, 0x80000000, v6
	v_lshl_add_u32 v8, v9, 23, v8
	v_or3_b32 v6, v6, v8, v7
	v_cvt_f16_f32_e32 v6, v6
.LBB207_1463:
	s_or_b64 exec, exec, s[10:11]
	s_mov_b64 s[2:3], 0
	s_branch .LBB207_1469
.LBB207_1464:
	s_mov_b64 s[2:3], -1
                                        ; implicit-def: $vgpr6
	s_branch .LBB207_1475
.LBB207_1465:
	s_or_saveexec_b64 s[18:19], s[18:19]
	v_mov_b32_e32 v6, 0x7e00
	s_xor_b64 exec, exec, s[18:19]
	s_cbranch_execz .LBB207_1448
.LBB207_1466:
	v_cmp_ne_u16_e32 vcc, 0, v7
	s_andn2_b64 s[10:11], s[10:11], exec
	s_and_b64 s[20:21], vcc, exec
	s_or_b64 s[10:11], s[10:11], s[20:21]
	v_mov_b32_e32 v6, v7
	s_or_b64 exec, exec, s[18:19]
	s_and_saveexec_b64 s[18:19], s[10:11]
	s_cbranch_execnz .LBB207_1449
	s_branch .LBB207_1450
.LBB207_1467:
	s_mov_b64 s[2:3], -1
                                        ; implicit-def: $vgpr6
	s_branch .LBB207_1472
.LBB207_1468:
	s_mov_b64 s[2:3], -1
                                        ; implicit-def: $vgpr6
.LBB207_1469:
	s_and_b64 vcc, exec, s[2:3]
	s_cbranch_vccz .LBB207_1471
; %bb.1470:
	global_load_ubyte v6, v[0:1], off
	s_mov_b32 s2, 0x7f800000
	s_waitcnt vmcnt(0)
	v_lshlrev_b32_e32 v6, 24, v6
	v_and_b32_e32 v7, 0x7f000000, v6
	v_ffbh_u32_e32 v8, v7
	v_min_u32_e32 v8, 32, v8
	v_sub_u32_e64 v8, v8, 4 clamp
	v_lshlrev_b32_e32 v10, v8, v7
	v_lshlrev_b32_e32 v8, 23, v8
	v_lshrrev_b32_e32 v10, 4, v10
	v_add_u32_e32 v9, 0x1000000, v7
	v_sub_u32_e32 v8, v10, v8
	v_ashrrev_i32_e32 v9, 8, v9
	v_add_u32_e32 v8, 0x3c000000, v8
	v_and_or_b32 v8, v9, s2, v8
	v_cmp_ne_u32_e32 vcc, 0, v7
	v_cndmask_b32_e32 v7, 0, v8, vcc
	s_brev_b32 s2, 1
	v_and_or_b32 v6, v6, s2, v7
	v_cvt_f16_f32_e32 v6, v6
.LBB207_1471:
	s_mov_b64 s[2:3], 0
.LBB207_1472:
	s_andn2_b64 vcc, exec, s[2:3]
	s_cbranch_vccnz .LBB207_1474
; %bb.1473:
	global_load_ubyte v6, v[0:1], off
	s_movk_i32 s2, 0x7f00
	s_brev_b32 s3, 16
	s_waitcnt vmcnt(0)
	v_lshlrev_b16_e32 v7, 8, v6
	v_lshlrev_b32_e32 v6, 25, v6
	v_lshrrev_b32_e32 v8, 4, v6
	v_and_or_b32 v9, v7, s2, 0.5
	v_or_b32_e32 v8, 0x70000000, v8
	v_add_f32_e32 v9, -0.5, v9
	v_mul_f32_e32 v8, 0x7800000, v8
	v_cmp_gt_u32_e32 vcc, s3, v6
	v_bfe_i32 v7, v7, 0, 16
	v_cndmask_b32_e32 v6, v8, v9, vcc
	s_brev_b32 s2, 1
	v_and_or_b32 v6, v7, s2, v6
	v_cvt_f16_f32_e32 v6, v6
.LBB207_1474:
	s_mov_b64 s[2:3], 0
	s_mov_b64 s[10:11], -1
.LBB207_1475:
	s_andn2_b64 vcc, exec, s[2:3]
	s_mov_b64 s[2:3], 0
	s_cbranch_vccnz .LBB207_1486
; %bb.1476:
	s_cmp_gt_i32 s24, 14
	s_cbranch_scc0 .LBB207_1479
; %bb.1477:
	s_cmp_eq_u32 s24, 15
	s_cbranch_scc0 .LBB207_1482
; %bb.1478:
	global_load_ushort v6, v[0:1], off
	s_mov_b64 s[0:1], 0
	s_mov_b64 s[10:11], -1
	s_waitcnt vmcnt(0)
	v_lshlrev_b32_e32 v6, 16, v6
	v_cvt_f16_f32_e32 v6, v6
	s_branch .LBB207_1483
.LBB207_1479:
	s_mov_b64 s[18:19], -1
                                        ; implicit-def: $vgpr6
	s_branch .LBB207_1484
.LBB207_1480:
	s_or_saveexec_b64 s[10:11], s[10:11]
	v_mov_b32_e32 v6, 0x7e00
	s_xor_b64 exec, exec, s[10:11]
	s_cbranch_execz .LBB207_1461
.LBB207_1481:
	v_cmp_ne_u16_e32 vcc, 0, v7
	s_andn2_b64 s[2:3], s[2:3], exec
	s_and_b64 s[18:19], vcc, exec
	s_or_b64 s[2:3], s[2:3], s[18:19]
	v_mov_b32_e32 v6, v7
	s_or_b64 exec, exec, s[10:11]
	s_and_saveexec_b64 s[10:11], s[2:3]
	s_cbranch_execnz .LBB207_1462
	s_branch .LBB207_1463
.LBB207_1482:
	s_mov_b64 s[0:1], -1
                                        ; implicit-def: $vgpr6
.LBB207_1483:
	s_mov_b64 s[18:19], 0
.LBB207_1484:
	s_and_b64 vcc, exec, s[18:19]
	s_cbranch_vccz .LBB207_1486
; %bb.1485:
	s_cmp_lg_u32 s24, 11
	s_mov_b64 s[2:3], -1
	s_cselect_b64 s[0:1], -1, 0
.LBB207_1486:
	s_and_b64 vcc, exec, s[0:1]
	s_cbranch_vccnz .LBB207_2019
; %bb.1487:
	s_andn2_b64 vcc, exec, s[2:3]
	s_cbranch_vccnz .LBB207_1489
.LBB207_1488:
	global_load_ubyte v6, v[0:1], off
	v_mov_b32_e32 v7, 0x3c00
	s_mov_b64 s[10:11], -1
	s_waitcnt vmcnt(0)
	v_cmp_ne_u16_e32 vcc, 0, v6
	v_cndmask_b32_e32 v6, 0, v7, vcc
.LBB207_1489:
	s_mov_b64 s[0:1], 0
.LBB207_1490:
	s_and_b64 vcc, exec, s[0:1]
	s_cbranch_vccz .LBB207_1539
; %bb.1491:
	s_cmp_lt_i32 s24, 5
	s_cbranch_scc1 .LBB207_1496
; %bb.1492:
	s_cmp_lt_i32 s24, 8
	s_cbranch_scc1 .LBB207_1497
	;; [unrolled: 3-line block ×3, first 2 shown]
; %bb.1494:
	s_cmp_gt_i32 s24, 9
	s_cbranch_scc0 .LBB207_1499
; %bb.1495:
	global_load_dwordx2 v[6:7], v[0:1], off
	s_movk_i32 s0, 0x1ff
	s_movk_i32 s1, 0xffe
	v_mov_b32_e32 v8, 0x7c00
	v_mov_b32_e32 v9, 0x7e00
	s_movk_i32 s2, 0x40f
	s_mov_b32 s3, 0x8000
	s_waitcnt vmcnt(0)
	v_and_or_b32 v6, v7, s0, v6
	v_cmp_ne_u32_e32 vcc, 0, v6
	v_lshrrev_b32_e32 v10, 8, v7
	v_bfe_u32 v11, v7, 20, 11
	v_cndmask_b32_e64 v6, 0, 1, vcc
	v_sub_u32_e32 v12, 0x3f1, v11
	v_and_or_b32 v6, v10, s1, v6
	v_add_u32_e32 v11, 0xfffffc10, v11
	v_med3_i32 v10, v12, 0, 13
	v_or_b32_e32 v12, 0x1000, v6
	v_cmp_ne_u32_e32 vcc, 0, v6
	v_lshl_or_b32 v13, v11, 12, v6
	v_cndmask_b32_e32 v6, v8, v9, vcc
	v_lshrrev_b32_e32 v9, v10, v12
	v_lshlrev_b32_e32 v10, v10, v9
	v_cmp_ne_u32_e32 vcc, v10, v12
	v_cndmask_b32_e64 v10, 0, 1, vcc
	v_or_b32_e32 v9, v9, v10
	v_cmp_gt_i32_e32 vcc, 1, v11
	v_cndmask_b32_e32 v9, v13, v9, vcc
	v_and_b32_e32 v10, 7, v9
	v_cmp_lt_i32_e32 vcc, 5, v10
	v_cndmask_b32_e64 v12, 0, 1, vcc
	v_cmp_eq_u32_e32 vcc, 3, v10
	v_cndmask_b32_e64 v10, 0, 1, vcc
	v_lshrrev_b32_e32 v9, 2, v9
	v_or_b32_e32 v10, v10, v12
	v_add_u32_e32 v9, v9, v10
	v_cmp_gt_i32_e32 vcc, 31, v11
	v_cndmask_b32_e32 v8, v8, v9, vcc
	v_cmp_eq_u32_e32 vcc, s2, v11
	v_lshrrev_b32_e32 v7, 16, v7
	v_cndmask_b32_e32 v6, v8, v6, vcc
	v_and_or_b32 v6, v7, s3, v6
	s_mov_b64 s[0:1], 0
	s_branch .LBB207_1500
.LBB207_1496:
	s_mov_b64 s[0:1], -1
                                        ; implicit-def: $vgpr6
	s_branch .LBB207_1518
.LBB207_1497:
	s_mov_b64 s[0:1], -1
                                        ; implicit-def: $vgpr6
	s_branch .LBB207_1506
.LBB207_1498:
	s_mov_b64 s[0:1], -1
                                        ; implicit-def: $vgpr6
	s_branch .LBB207_1503
.LBB207_1499:
	s_mov_b64 s[0:1], -1
                                        ; implicit-def: $vgpr6
.LBB207_1500:
	s_andn2_b64 vcc, exec, s[0:1]
	s_cbranch_vccnz .LBB207_1502
; %bb.1501:
	global_load_dword v6, v[0:1], off
	s_waitcnt vmcnt(0)
	v_cvt_f16_f32_e32 v6, v6
.LBB207_1502:
	s_mov_b64 s[0:1], 0
.LBB207_1503:
	s_andn2_b64 vcc, exec, s[0:1]
	s_cbranch_vccnz .LBB207_1505
; %bb.1504:
	global_load_dword v6, v[0:1], off
.LBB207_1505:
	s_mov_b64 s[0:1], 0
.LBB207_1506:
	s_andn2_b64 vcc, exec, s[0:1]
	s_cbranch_vccnz .LBB207_1517
; %bb.1507:
	s_cmp_lt_i32 s24, 6
	s_cbranch_scc1 .LBB207_1510
; %bb.1508:
	s_cmp_gt_i32 s24, 6
	s_cbranch_scc0 .LBB207_1511
; %bb.1509:
	global_load_dwordx2 v[6:7], v[0:1], off
	s_movk_i32 s0, 0x1ff
	s_movk_i32 s1, 0xffe
	v_mov_b32_e32 v8, 0x7c00
	v_mov_b32_e32 v9, 0x7e00
	s_movk_i32 s2, 0x40f
	s_mov_b32 s3, 0x8000
	s_waitcnt vmcnt(0)
	v_and_or_b32 v6, v7, s0, v6
	v_cmp_ne_u32_e32 vcc, 0, v6
	v_lshrrev_b32_e32 v10, 8, v7
	v_bfe_u32 v11, v7, 20, 11
	v_cndmask_b32_e64 v6, 0, 1, vcc
	v_sub_u32_e32 v12, 0x3f1, v11
	v_and_or_b32 v6, v10, s1, v6
	v_add_u32_e32 v11, 0xfffffc10, v11
	v_med3_i32 v10, v12, 0, 13
	v_or_b32_e32 v12, 0x1000, v6
	v_cmp_ne_u32_e32 vcc, 0, v6
	v_lshl_or_b32 v13, v11, 12, v6
	v_cndmask_b32_e32 v6, v8, v9, vcc
	v_lshrrev_b32_e32 v9, v10, v12
	v_lshlrev_b32_e32 v10, v10, v9
	v_cmp_ne_u32_e32 vcc, v10, v12
	v_cndmask_b32_e64 v10, 0, 1, vcc
	v_or_b32_e32 v9, v9, v10
	v_cmp_gt_i32_e32 vcc, 1, v11
	v_cndmask_b32_e32 v9, v13, v9, vcc
	v_and_b32_e32 v10, 7, v9
	v_cmp_lt_i32_e32 vcc, 5, v10
	v_cndmask_b32_e64 v12, 0, 1, vcc
	v_cmp_eq_u32_e32 vcc, 3, v10
	v_cndmask_b32_e64 v10, 0, 1, vcc
	v_lshrrev_b32_e32 v9, 2, v9
	v_or_b32_e32 v10, v10, v12
	v_add_u32_e32 v9, v9, v10
	v_cmp_gt_i32_e32 vcc, 31, v11
	v_cndmask_b32_e32 v8, v8, v9, vcc
	v_cmp_eq_u32_e32 vcc, s2, v11
	v_lshrrev_b32_e32 v7, 16, v7
	v_cndmask_b32_e32 v6, v8, v6, vcc
	v_and_or_b32 v6, v7, s3, v6
	s_mov_b64 s[0:1], 0
	s_branch .LBB207_1512
.LBB207_1510:
	s_mov_b64 s[0:1], -1
                                        ; implicit-def: $vgpr6
	s_branch .LBB207_1515
.LBB207_1511:
	s_mov_b64 s[0:1], -1
                                        ; implicit-def: $vgpr6
.LBB207_1512:
	s_andn2_b64 vcc, exec, s[0:1]
	s_cbranch_vccnz .LBB207_1514
; %bb.1513:
	global_load_dword v6, v[0:1], off
	s_waitcnt vmcnt(0)
	v_cvt_f16_f32_e32 v6, v6
.LBB207_1514:
	s_mov_b64 s[0:1], 0
.LBB207_1515:
	s_andn2_b64 vcc, exec, s[0:1]
	s_cbranch_vccnz .LBB207_1517
; %bb.1516:
	global_load_ushort v6, v[0:1], off
.LBB207_1517:
	s_mov_b64 s[0:1], 0
.LBB207_1518:
	s_andn2_b64 vcc, exec, s[0:1]
	s_cbranch_vccnz .LBB207_1538
; %bb.1519:
	s_cmp_lt_i32 s24, 2
	s_cbranch_scc1 .LBB207_1523
; %bb.1520:
	s_cmp_lt_i32 s24, 3
	s_cbranch_scc1 .LBB207_1524
; %bb.1521:
	s_cmp_gt_i32 s24, 3
	s_cbranch_scc0 .LBB207_1525
; %bb.1522:
	global_load_dwordx2 v[6:7], v[0:1], off
	s_mov_b64 s[0:1], 0
	s_waitcnt vmcnt(0)
	v_xor_b32_e32 v9, v6, v7
	v_ffbh_i32_e32 v8, v7
	v_ashrrev_i32_e32 v9, 31, v9
	v_add_u32_e32 v8, -1, v8
	v_add_u32_e32 v9, 32, v9
	v_min_u32_e32 v8, v8, v9
	v_lshlrev_b64 v[6:7], v8, v[6:7]
	v_min_u32_e32 v6, 1, v6
	v_or_b32_e32 v6, v7, v6
	v_cvt_f32_i32_e32 v6, v6
	v_sub_u32_e32 v7, 32, v8
	v_ldexp_f32 v6, v6, v7
	v_cvt_f16_f32_e32 v6, v6
	s_branch .LBB207_1526
.LBB207_1523:
	s_mov_b64 s[0:1], -1
                                        ; implicit-def: $vgpr6
	s_branch .LBB207_1532
.LBB207_1524:
	s_mov_b64 s[0:1], -1
                                        ; implicit-def: $vgpr6
	s_branch .LBB207_1529
.LBB207_1525:
	s_mov_b64 s[0:1], -1
                                        ; implicit-def: $vgpr6
.LBB207_1526:
	s_andn2_b64 vcc, exec, s[0:1]
	s_cbranch_vccnz .LBB207_1528
; %bb.1527:
	global_load_dword v6, v[0:1], off
	s_waitcnt vmcnt(0)
	v_cvt_f32_i32_e32 v6, v6
	v_cvt_f16_f32_e32 v6, v6
.LBB207_1528:
	s_mov_b64 s[0:1], 0
.LBB207_1529:
	s_andn2_b64 vcc, exec, s[0:1]
	s_cbranch_vccnz .LBB207_1531
; %bb.1530:
	global_load_ushort v6, v[0:1], off
	s_waitcnt vmcnt(0)
	v_cvt_f16_i16_e32 v6, v6
.LBB207_1531:
	s_mov_b64 s[0:1], 0
.LBB207_1532:
	s_andn2_b64 vcc, exec, s[0:1]
	s_cbranch_vccnz .LBB207_1538
; %bb.1533:
	s_cmp_gt_i32 s24, 0
	s_cbranch_scc0 .LBB207_1535
; %bb.1534:
	global_load_sbyte v6, v[0:1], off
	s_mov_b64 s[0:1], 0
	s_waitcnt vmcnt(0)
	v_cvt_f16_i16_e32 v6, v6
	s_branch .LBB207_1536
.LBB207_1535:
	s_mov_b64 s[0:1], -1
                                        ; implicit-def: $vgpr6
.LBB207_1536:
	s_andn2_b64 vcc, exec, s[0:1]
	s_cbranch_vccnz .LBB207_1538
; %bb.1537:
	global_load_ubyte v0, v[0:1], off
	s_waitcnt vmcnt(0)
	v_cvt_f16_u16_e32 v6, v0
.LBB207_1538:
	s_mov_b64 s[10:11], -1
.LBB207_1539:
	s_andn2_b64 vcc, exec, s[10:11]
	s_cbranch_vccnz .LBB207_1973
; %bb.1540:
	v_mul_lo_u32 v2, s12, v2
	v_mov_b32_e32 v0, s15
	v_mov_b32_e32 v1, s33
	s_waitcnt vmcnt(0)
	v_cmp_ge_f16_e32 vcc, s14, v3
	v_cndmask_b32_e32 v3, v0, v1, vcc
	v_ashrrev_i32_e32 v1, 31, v2
	v_mov_b32_e32 v7, s9
	s_and_b32 s22, s44, 0xff
	v_add_co_u32_e32 v0, vcc, s8, v2
	s_cmp_lt_i32 s22, 11
	v_addc_co_u32_e32 v1, vcc, v7, v1, vcc
	s_cbranch_scc1 .LBB207_1618
; %bb.1541:
	s_and_b32 s13, 0xffff, s22
	s_mov_b64 s[18:19], -1
	s_mov_b64 s[2:3], 0
	s_cmp_gt_i32 s13, 25
	s_mov_b64 s[10:11], 0
	s_mov_b64 s[0:1], 0
	s_cbranch_scc0 .LBB207_1574
; %bb.1542:
	s_cmp_gt_i32 s13, 28
	s_cbranch_scc0 .LBB207_1557
; %bb.1543:
	s_cmp_gt_i32 s13, 43
	;; [unrolled: 3-line block ×3, first 2 shown]
	s_cbranch_scc0 .LBB207_1547
; %bb.1545:
	s_mov_b64 s[0:1], -1
	s_mov_b64 s[18:19], 0
	s_cmp_eq_u32 s13, 46
	s_cbranch_scc0 .LBB207_1547
; %bb.1546:
	v_cvt_f32_f16_e32 v7, v3
	s_movk_i32 s0, 0x7fff
	v_cmp_o_f16_e32 vcc, v3, v3
	v_mov_b32_e32 v8, 0x7fc0
	v_bfe_u32 v9, v7, 16, 1
	v_add3_u32 v7, v7, v9, s0
	v_cndmask_b32_sdwa v7, v8, v7, vcc dst_sel:DWORD dst_unused:UNUSED_PAD src0_sel:DWORD src1_sel:WORD_1
	global_store_dword v[0:1], v7, off
	s_mov_b64 s[0:1], 0
	s_mov_b64 s[10:11], -1
.LBB207_1547:
	s_and_b64 vcc, exec, s[18:19]
	s_cbranch_vccz .LBB207_1552
; %bb.1548:
	s_cmp_eq_u32 s13, 44
	s_mov_b64 s[0:1], -1
	s_cbranch_scc0 .LBB207_1552
; %bb.1549:
	v_cvt_f32_f16_e32 v7, v3
	s_movk_i32 s0, 0xff
	v_mov_b32_e32 v9, 0xff
	v_bfe_u32 v8, v7, 23, 8
	v_cmp_ne_u32_e32 vcc, s0, v8
	s_and_saveexec_b64 s[10:11], vcc
; %bb.1550:
	s_mov_b32 s0, 0x3fffff
	v_lshrrev_b32_e32 v9, 23, v7
	v_and_b32_e32 v10, 0x400000, v7
	v_and_or_b32 v7, v7, s0, v8
	v_cmp_ne_u32_e32 vcc, 0, v10
	v_cmp_ne_u32_e64 s[0:1], 0, v7
	s_and_b64 s[0:1], vcc, s[0:1]
	v_cndmask_b32_e64 v7, 0, 1, s[0:1]
	v_add_u32_e32 v9, v9, v7
; %bb.1551:
	s_or_b64 exec, exec, s[10:11]
	s_mov_b64 s[0:1], 0
	s_mov_b64 s[10:11], -1
	global_store_byte v[0:1], v9, off
.LBB207_1552:
	s_mov_b64 s[18:19], 0
.LBB207_1553:
	s_and_b64 vcc, exec, s[18:19]
	s_cbranch_vccz .LBB207_1556
; %bb.1554:
	s_cmp_eq_u32 s13, 29
	s_mov_b64 s[0:1], -1
	s_cbranch_scc0 .LBB207_1556
; %bb.1555:
	v_cvt_f32_f16_e32 v7, v3
	v_mov_b32_e32 v8, 0
	s_mov_b64 s[0:1], 0
	s_mov_b64 s[10:11], -1
	v_cvt_u32_f32_e32 v7, v7
	global_store_dwordx2 v[0:1], v[7:8], off
.LBB207_1556:
	s_mov_b64 s[18:19], 0
.LBB207_1557:
	s_and_b64 vcc, exec, s[18:19]
	s_cbranch_vccz .LBB207_1573
; %bb.1558:
	s_cmp_lt_i32 s13, 27
	s_mov_b64 s[10:11], -1
	s_cbranch_scc1 .LBB207_1564
; %bb.1559:
	s_cmp_gt_i32 s13, 27
	s_cbranch_scc0 .LBB207_1561
; %bb.1560:
	v_cvt_f32_f16_e32 v7, v3
	s_mov_b64 s[10:11], 0
	v_cvt_u32_f32_e32 v7, v7
	global_store_dword v[0:1], v7, off
.LBB207_1561:
	s_andn2_b64 vcc, exec, s[10:11]
	s_cbranch_vccnz .LBB207_1563
; %bb.1562:
	v_cvt_u16_f16_e32 v7, v3
	global_store_short v[0:1], v7, off
.LBB207_1563:
	s_mov_b64 s[10:11], 0
.LBB207_1564:
	s_andn2_b64 vcc, exec, s[10:11]
	s_cbranch_vccnz .LBB207_1572
; %bb.1565:
	v_cvt_f32_f16_e32 v7, v3
	s_mov_b32 s10, 0x43800000
	v_mov_b32_e32 v9, 0x80
	v_and_b32_e32 v8, 0x7fffffff, v7
	v_cmp_gt_u32_e32 vcc, s10, v8
	s_and_saveexec_b64 s[10:11], vcc
	s_cbranch_execz .LBB207_1571
; %bb.1566:
	s_mov_b32 s18, 0x3bffffff
	v_cmp_lt_u32_e32 vcc, s18, v8
	s_mov_b64 s[18:19], 0
                                        ; implicit-def: $vgpr8
	s_and_saveexec_b64 s[20:21], vcc
	s_xor_b64 s[20:21], exec, s[20:21]
	s_cbranch_execz .LBB207_2020
; %bb.1567:
	v_bfe_u32 v8, v7, 20, 1
	s_mov_b32 s23, 0x487ffff
	v_add3_u32 v8, v7, v8, s23
	s_mov_b64 s[18:19], exec
	v_lshrrev_b32_e32 v8, 20, v8
	s_andn2_saveexec_b64 s[20:21], s[20:21]
	s_cbranch_execnz .LBB207_2021
.LBB207_1568:
	s_or_b64 exec, exec, s[20:21]
	v_mov_b32_e32 v9, 0
	s_and_saveexec_b64 s[20:21], s[18:19]
.LBB207_1569:
	v_lshrrev_b32_e32 v7, 24, v7
	s_movk_i32 s18, 0x80
	v_and_or_b32 v9, v7, s18, v8
.LBB207_1570:
	s_or_b64 exec, exec, s[20:21]
.LBB207_1571:
	s_or_b64 exec, exec, s[10:11]
	global_store_byte v[0:1], v9, off
.LBB207_1572:
	s_mov_b64 s[10:11], -1
.LBB207_1573:
	s_mov_b64 s[18:19], 0
.LBB207_1574:
	s_and_b64 vcc, exec, s[18:19]
	s_cbranch_vccz .LBB207_1614
; %bb.1575:
	s_cmp_gt_i32 s13, 22
	s_mov_b64 s[2:3], -1
	s_cbranch_scc0 .LBB207_1607
; %bb.1576:
	s_cmp_lt_i32 s13, 24
	s_cbranch_scc1 .LBB207_1596
; %bb.1577:
	s_cmp_gt_i32 s13, 24
	s_cbranch_scc0 .LBB207_1585
; %bb.1578:
	v_cvt_f32_f16_e32 v7, v3
	s_mov_b32 s2, 0x47800000
	v_mov_b32_e32 v9, 0x80
	v_and_b32_e32 v8, 0x7fffffff, v7
	v_cmp_gt_u32_e32 vcc, s2, v8
	s_and_saveexec_b64 s[2:3], vcc
	s_cbranch_execz .LBB207_1584
; %bb.1579:
	s_mov_b32 s10, 0x37ffffff
	v_cmp_lt_u32_e32 vcc, s10, v8
	s_mov_b64 s[10:11], 0
                                        ; implicit-def: $vgpr8
	s_and_saveexec_b64 s[18:19], vcc
	s_xor_b64 s[18:19], exec, s[18:19]
	s_cbranch_execz .LBB207_2023
; %bb.1580:
	v_bfe_u32 v8, v7, 21, 1
	s_mov_b32 s20, 0x88fffff
	v_add3_u32 v8, v7, v8, s20
	s_mov_b64 s[10:11], exec
	v_lshrrev_b32_e32 v8, 21, v8
	s_andn2_saveexec_b64 s[18:19], s[18:19]
	s_cbranch_execnz .LBB207_2024
.LBB207_1581:
	s_or_b64 exec, exec, s[18:19]
	v_mov_b32_e32 v9, 0
	s_and_saveexec_b64 s[18:19], s[10:11]
.LBB207_1582:
	v_lshrrev_b32_e32 v7, 24, v7
	s_movk_i32 s10, 0x80
	v_and_or_b32 v9, v7, s10, v8
.LBB207_1583:
	s_or_b64 exec, exec, s[18:19]
.LBB207_1584:
	s_or_b64 exec, exec, s[2:3]
	s_mov_b64 s[2:3], 0
	global_store_byte v[0:1], v9, off
.LBB207_1585:
	s_and_b64 vcc, exec, s[2:3]
	s_cbranch_vccz .LBB207_1595
; %bb.1586:
	v_cvt_f32_f16_e32 v7, v3
	s_mov_b32 s2, 0x43f00000
                                        ; implicit-def: $vgpr8
	v_and_b32_e32 v9, 0x7fffffff, v7
	v_cmp_gt_u32_e32 vcc, s2, v9
	s_and_saveexec_b64 s[2:3], vcc
	s_xor_b64 s[2:3], exec, s[2:3]
	s_cbranch_execz .LBB207_1592
; %bb.1587:
	s_mov_b32 s10, 0x3c7fffff
	v_cmp_lt_u32_e32 vcc, s10, v9
                                        ; implicit-def: $vgpr8
	s_and_saveexec_b64 s[10:11], vcc
	s_xor_b64 s[10:11], exec, s[10:11]
; %bb.1588:
	v_bfe_u32 v8, v7, 20, 1
	s_mov_b32 s18, 0x407ffff
	v_add3_u32 v8, v7, v8, s18
	v_lshrrev_b32_e32 v9, 20, v8
	v_and_b32_e32 v8, 0xff00000, v8
	s_mov_b32 s18, 0x7f00000
	v_mov_b32_e32 v10, 0x7e
	v_cmp_ne_u32_e32 vcc, s18, v8
	v_cndmask_b32_e32 v8, v10, v9, vcc
; %bb.1589:
	s_andn2_saveexec_b64 s[10:11], s[10:11]
; %bb.1590:
	s_mov_b32 s18, 0x46800000
	v_add_f32_e64 v8, |v7|, s18
; %bb.1591:
	s_or_b64 exec, exec, s[10:11]
                                        ; implicit-def: $vgpr9
.LBB207_1592:
	s_andn2_saveexec_b64 s[2:3], s[2:3]
; %bb.1593:
	s_mov_b32 s10, 0x7f800000
	v_mov_b32_e32 v8, 0x7e
	v_mov_b32_e32 v10, 0x7f
	v_cmp_lt_u32_e32 vcc, s10, v9
	v_cndmask_b32_e32 v8, v8, v10, vcc
; %bb.1594:
	s_or_b64 exec, exec, s[2:3]
	v_lshrrev_b32_e32 v7, 24, v7
	s_movk_i32 s2, 0x80
	v_and_or_b32 v7, v7, s2, v8
	global_store_byte v[0:1], v7, off
.LBB207_1595:
	s_mov_b64 s[2:3], 0
.LBB207_1596:
	s_andn2_b64 vcc, exec, s[2:3]
	s_cbranch_vccnz .LBB207_1606
; %bb.1597:
	v_cvt_f32_f16_e32 v7, v3
	s_mov_b32 s2, 0x47800000
                                        ; implicit-def: $vgpr8
	v_and_b32_e32 v9, 0x7fffffff, v7
	v_cmp_gt_u32_e32 vcc, s2, v9
	s_and_saveexec_b64 s[2:3], vcc
	s_xor_b64 s[2:3], exec, s[2:3]
	s_cbranch_execz .LBB207_1603
; %bb.1598:
	s_mov_b32 s10, 0x387fffff
	v_cmp_lt_u32_e32 vcc, s10, v9
                                        ; implicit-def: $vgpr8
	s_and_saveexec_b64 s[10:11], vcc
	s_xor_b64 s[10:11], exec, s[10:11]
; %bb.1599:
	v_bfe_u32 v8, v7, 21, 1
	s_mov_b32 s18, 0x80fffff
	v_add3_u32 v8, v7, v8, s18
	v_lshrrev_b32_e32 v8, 21, v8
; %bb.1600:
	s_andn2_saveexec_b64 s[10:11], s[10:11]
; %bb.1601:
	s_mov_b32 s18, 0x43000000
	v_add_f32_e64 v8, |v7|, s18
; %bb.1602:
	s_or_b64 exec, exec, s[10:11]
                                        ; implicit-def: $vgpr9
.LBB207_1603:
	s_andn2_saveexec_b64 s[2:3], s[2:3]
; %bb.1604:
	s_mov_b32 s10, 0x7f800000
	v_mov_b32_e32 v8, 0x7c
	v_mov_b32_e32 v10, 0x7f
	v_cmp_lt_u32_e32 vcc, s10, v9
	v_cndmask_b32_e32 v8, v8, v10, vcc
; %bb.1605:
	s_or_b64 exec, exec, s[2:3]
	v_lshrrev_b32_e32 v7, 24, v7
	s_movk_i32 s2, 0x80
	v_and_or_b32 v7, v7, s2, v8
	global_store_byte v[0:1], v7, off
.LBB207_1606:
	s_mov_b64 s[2:3], 0
	s_mov_b64 s[10:11], -1
.LBB207_1607:
	s_andn2_b64 vcc, exec, s[2:3]
	s_mov_b64 s[2:3], 0
	s_cbranch_vccnz .LBB207_1614
; %bb.1608:
	s_cmp_gt_i32 s13, 14
	s_mov_b64 s[18:19], -1
	s_cbranch_scc0 .LBB207_1612
; %bb.1609:
	s_cmp_eq_u32 s13, 15
	s_mov_b64 s[0:1], -1
	s_cbranch_scc0 .LBB207_1611
; %bb.1610:
	v_cvt_f32_f16_e32 v7, v3
	s_movk_i32 s0, 0x7fff
	v_cmp_o_f16_e32 vcc, v3, v3
	v_mov_b32_e32 v8, 0x7fc0
	v_bfe_u32 v9, v7, 16, 1
	v_add3_u32 v7, v7, v9, s0
	v_cndmask_b32_sdwa v7, v8, v7, vcc dst_sel:DWORD dst_unused:UNUSED_PAD src0_sel:DWORD src1_sel:WORD_1
	global_store_short v[0:1], v7, off
	s_mov_b64 s[0:1], 0
	s_mov_b64 s[10:11], -1
.LBB207_1611:
	s_mov_b64 s[18:19], 0
.LBB207_1612:
	s_and_b64 vcc, exec, s[18:19]
	s_cbranch_vccz .LBB207_1614
; %bb.1613:
	s_cmp_lg_u32 s13, 11
	s_mov_b64 s[2:3], -1
	s_cselect_b64 s[0:1], -1, 0
.LBB207_1614:
	s_and_b64 vcc, exec, s[0:1]
	s_cbranch_vccnz .LBB207_2022
; %bb.1615:
	s_andn2_b64 vcc, exec, s[2:3]
	s_cbranch_vccnz .LBB207_1617
.LBB207_1616:
	v_and_b32_e32 v7, 0x7fff, v3
	v_cmp_ne_u16_e32 vcc, 0, v7
	v_cndmask_b32_e64 v7, 0, 1, vcc
	s_mov_b64 s[10:11], -1
	global_store_byte v[0:1], v7, off
.LBB207_1617:
	s_mov_b64 s[0:1], 0
	s_branch .LBB207_1619
.LBB207_1618:
	s_mov_b64 s[0:1], -1
	s_mov_b64 s[10:11], 0
.LBB207_1619:
	s_and_b64 vcc, exec, s[0:1]
	s_cbranch_vccz .LBB207_1658
; %bb.1620:
	s_and_b32 s2, 0xffff, s22
	s_cmp_lt_i32 s2, 5
	s_mov_b64 s[0:1], -1
	s_cbranch_scc1 .LBB207_1641
; %bb.1621:
	s_cmp_lt_i32 s2, 8
	s_cbranch_scc1 .LBB207_1631
; %bb.1622:
	s_cmp_lt_i32 s2, 9
	s_cbranch_scc1 .LBB207_1628
; %bb.1623:
	s_cmp_gt_i32 s2, 9
	s_cbranch_scc0 .LBB207_1625
; %bb.1624:
	v_cvt_f32_f16_e32 v7, v3
	v_mov_b32_e32 v9, 0
	v_mov_b32_e32 v10, v9
	s_mov_b64 s[0:1], 0
	v_cvt_f64_f32_e32 v[7:8], v7
	global_store_dwordx4 v[0:1], v[7:10], off
.LBB207_1625:
	s_andn2_b64 vcc, exec, s[0:1]
	s_cbranch_vccnz .LBB207_1627
; %bb.1626:
	v_cvt_f32_f16_e32 v7, v3
	v_mov_b32_e32 v8, 0
	global_store_dwordx2 v[0:1], v[7:8], off
.LBB207_1627:
	s_mov_b64 s[0:1], 0
.LBB207_1628:
	s_andn2_b64 vcc, exec, s[0:1]
	s_cbranch_vccnz .LBB207_1630
; %bb.1629:
	v_and_b32_e32 v7, 0xffff, v3
	global_store_dword v[0:1], v7, off
.LBB207_1630:
	s_mov_b64 s[0:1], 0
.LBB207_1631:
	s_andn2_b64 vcc, exec, s[0:1]
	s_cbranch_vccnz .LBB207_1640
; %bb.1632:
	s_cmp_lt_i32 s2, 6
	s_mov_b64 s[0:1], -1
	s_cbranch_scc1 .LBB207_1638
; %bb.1633:
	s_cmp_gt_i32 s2, 6
	s_cbranch_scc0 .LBB207_1635
; %bb.1634:
	v_cvt_f32_f16_e32 v7, v3
	s_mov_b64 s[0:1], 0
	v_cvt_f64_f32_e32 v[7:8], v7
	global_store_dwordx2 v[0:1], v[7:8], off
.LBB207_1635:
	s_andn2_b64 vcc, exec, s[0:1]
	s_cbranch_vccnz .LBB207_1637
; %bb.1636:
	v_cvt_f32_f16_e32 v7, v3
	global_store_dword v[0:1], v7, off
.LBB207_1637:
	s_mov_b64 s[0:1], 0
.LBB207_1638:
	s_andn2_b64 vcc, exec, s[0:1]
	s_cbranch_vccnz .LBB207_1640
; %bb.1639:
	global_store_short v[0:1], v3, off
.LBB207_1640:
	s_mov_b64 s[0:1], 0
.LBB207_1641:
	s_andn2_b64 vcc, exec, s[0:1]
	s_cbranch_vccnz .LBB207_1657
; %bb.1642:
	s_cmp_lt_i32 s2, 2
	s_mov_b64 s[0:1], -1
	s_cbranch_scc1 .LBB207_1652
; %bb.1643:
	s_cmp_lt_i32 s2, 3
	s_cbranch_scc1 .LBB207_1649
; %bb.1644:
	s_cmp_gt_i32 s2, 3
	s_cbranch_scc0 .LBB207_1646
; %bb.1645:
	v_cvt_f32_f16_e32 v7, v3
	s_mov_b64 s[0:1], 0
	v_cvt_i32_f32_e32 v7, v7
	v_ashrrev_i32_e32 v8, 31, v7
	global_store_dwordx2 v[0:1], v[7:8], off
.LBB207_1646:
	s_andn2_b64 vcc, exec, s[0:1]
	s_cbranch_vccnz .LBB207_1648
; %bb.1647:
	v_cvt_f32_f16_e32 v7, v3
	v_cvt_i32_f32_e32 v7, v7
	global_store_dword v[0:1], v7, off
.LBB207_1648:
	s_mov_b64 s[0:1], 0
.LBB207_1649:
	s_andn2_b64 vcc, exec, s[0:1]
	s_cbranch_vccnz .LBB207_1651
; %bb.1650:
	v_cvt_i16_f16_e32 v7, v3
	global_store_short v[0:1], v7, off
.LBB207_1651:
	s_mov_b64 s[0:1], 0
.LBB207_1652:
	s_andn2_b64 vcc, exec, s[0:1]
	s_cbranch_vccnz .LBB207_1657
; %bb.1653:
	s_cmp_gt_i32 s2, 0
	s_mov_b64 s[0:1], -1
	s_cbranch_scc0 .LBB207_1655
; %bb.1654:
	v_cvt_i16_f16_e32 v7, v3
	global_store_byte v[0:1], v7, off
	s_mov_b64 s[0:1], 0
.LBB207_1655:
	s_andn2_b64 vcc, exec, s[0:1]
	s_cbranch_vccnz .LBB207_1657
; %bb.1656:
	v_cvt_f32_f16_e32 v3, v3
	v_cvt_i32_f32_e32 v3, v3
	global_store_byte v[0:1], v3, off
.LBB207_1657:
	s_mov_b64 s[10:11], -1
.LBB207_1658:
	s_andn2_b64 vcc, exec, s[10:11]
	s_cbranch_vccnz .LBB207_1973
; %bb.1659:
	s_lshl_b32 s20, s12, 7
	v_mov_b32_e32 v0, s15
	v_mov_b32_e32 v1, s33
	v_cmp_ge_f16_e32 vcc, s14, v4
	v_add_u32_e32 v2, s20, v2
	v_cndmask_b32_e32 v3, v0, v1, vcc
	v_ashrrev_i32_e32 v1, 31, v2
	v_mov_b32_e32 v4, s9
	v_add_co_u32_e32 v0, vcc, s8, v2
	s_cmp_lt_i32 s22, 11
	v_addc_co_u32_e32 v1, vcc, v4, v1, vcc
	s_cbranch_scc1 .LBB207_1737
; %bb.1660:
	s_and_b32 s21, 0xffff, s22
	s_mov_b64 s[12:13], -1
	s_mov_b64 s[2:3], 0
	s_cmp_gt_i32 s21, 25
	s_mov_b64 s[10:11], 0
	s_mov_b64 s[0:1], 0
	s_cbranch_scc0 .LBB207_1693
; %bb.1661:
	s_cmp_gt_i32 s21, 28
	s_cbranch_scc0 .LBB207_1676
; %bb.1662:
	s_cmp_gt_i32 s21, 43
	;; [unrolled: 3-line block ×3, first 2 shown]
	s_cbranch_scc0 .LBB207_1666
; %bb.1664:
	s_mov_b64 s[0:1], -1
	s_mov_b64 s[12:13], 0
	s_cmp_eq_u32 s21, 46
	s_cbranch_scc0 .LBB207_1666
; %bb.1665:
	v_cvt_f32_f16_e32 v4, v3
	s_movk_i32 s0, 0x7fff
	v_cmp_o_f16_e32 vcc, v3, v3
	v_mov_b32_e32 v7, 0x7fc0
	v_bfe_u32 v8, v4, 16, 1
	v_add3_u32 v4, v4, v8, s0
	v_cndmask_b32_sdwa v4, v7, v4, vcc dst_sel:DWORD dst_unused:UNUSED_PAD src0_sel:DWORD src1_sel:WORD_1
	global_store_dword v[0:1], v4, off
	s_mov_b64 s[0:1], 0
	s_mov_b64 s[10:11], -1
.LBB207_1666:
	s_and_b64 vcc, exec, s[12:13]
	s_cbranch_vccz .LBB207_1671
; %bb.1667:
	s_cmp_eq_u32 s21, 44
	s_mov_b64 s[0:1], -1
	s_cbranch_scc0 .LBB207_1671
; %bb.1668:
	v_cvt_f32_f16_e32 v4, v3
	s_movk_i32 s0, 0xff
	v_mov_b32_e32 v8, 0xff
	v_bfe_u32 v7, v4, 23, 8
	v_cmp_ne_u32_e32 vcc, s0, v7
	s_and_saveexec_b64 s[10:11], vcc
; %bb.1669:
	s_mov_b32 s0, 0x3fffff
	v_lshrrev_b32_e32 v8, 23, v4
	v_and_b32_e32 v9, 0x400000, v4
	v_and_or_b32 v4, v4, s0, v7
	v_cmp_ne_u32_e32 vcc, 0, v9
	v_cmp_ne_u32_e64 s[0:1], 0, v4
	s_and_b64 s[0:1], vcc, s[0:1]
	v_cndmask_b32_e64 v4, 0, 1, s[0:1]
	v_add_u32_e32 v8, v8, v4
; %bb.1670:
	s_or_b64 exec, exec, s[10:11]
	s_mov_b64 s[0:1], 0
	s_mov_b64 s[10:11], -1
	global_store_byte v[0:1], v8, off
.LBB207_1671:
	s_mov_b64 s[12:13], 0
.LBB207_1672:
	s_and_b64 vcc, exec, s[12:13]
	s_cbranch_vccz .LBB207_1675
; %bb.1673:
	s_cmp_eq_u32 s21, 29
	s_mov_b64 s[0:1], -1
	s_cbranch_scc0 .LBB207_1675
; %bb.1674:
	v_cvt_f32_f16_e32 v4, v3
	v_mov_b32_e32 v8, 0
	s_mov_b64 s[0:1], 0
	s_mov_b64 s[10:11], -1
	v_cvt_u32_f32_e32 v7, v4
	global_store_dwordx2 v[0:1], v[7:8], off
.LBB207_1675:
	s_mov_b64 s[12:13], 0
.LBB207_1676:
	s_and_b64 vcc, exec, s[12:13]
	s_cbranch_vccz .LBB207_1692
; %bb.1677:
	s_cmp_lt_i32 s21, 27
	s_mov_b64 s[10:11], -1
	s_cbranch_scc1 .LBB207_1683
; %bb.1678:
	s_cmp_gt_i32 s21, 27
	s_cbranch_scc0 .LBB207_1680
; %bb.1679:
	v_cvt_f32_f16_e32 v4, v3
	s_mov_b64 s[10:11], 0
	v_cvt_u32_f32_e32 v4, v4
	global_store_dword v[0:1], v4, off
.LBB207_1680:
	s_andn2_b64 vcc, exec, s[10:11]
	s_cbranch_vccnz .LBB207_1682
; %bb.1681:
	v_cvt_u16_f16_e32 v4, v3
	global_store_short v[0:1], v4, off
.LBB207_1682:
	s_mov_b64 s[10:11], 0
.LBB207_1683:
	s_andn2_b64 vcc, exec, s[10:11]
	s_cbranch_vccnz .LBB207_1691
; %bb.1684:
	v_cvt_f32_f16_e32 v4, v3
	s_mov_b32 s10, 0x43800000
	v_mov_b32_e32 v8, 0x80
	v_and_b32_e32 v7, 0x7fffffff, v4
	v_cmp_gt_u32_e32 vcc, s10, v7
	s_and_saveexec_b64 s[10:11], vcc
	s_cbranch_execz .LBB207_1690
; %bb.1685:
	s_mov_b32 s12, 0x3bffffff
	v_cmp_lt_u32_e32 vcc, s12, v7
	s_mov_b64 s[12:13], 0
                                        ; implicit-def: $vgpr7
	s_and_saveexec_b64 s[18:19], vcc
	s_xor_b64 s[18:19], exec, s[18:19]
	s_cbranch_execz .LBB207_2025
; %bb.1686:
	v_bfe_u32 v7, v4, 20, 1
	s_mov_b32 s23, 0x487ffff
	v_add3_u32 v7, v4, v7, s23
	s_mov_b64 s[12:13], exec
	v_lshrrev_b32_e32 v7, 20, v7
	s_andn2_saveexec_b64 s[18:19], s[18:19]
	s_cbranch_execnz .LBB207_2026
.LBB207_1687:
	s_or_b64 exec, exec, s[18:19]
	v_mov_b32_e32 v8, 0
	s_and_saveexec_b64 s[18:19], s[12:13]
.LBB207_1688:
	v_lshrrev_b32_e32 v4, 24, v4
	s_movk_i32 s12, 0x80
	v_and_or_b32 v8, v4, s12, v7
.LBB207_1689:
	s_or_b64 exec, exec, s[18:19]
.LBB207_1690:
	s_or_b64 exec, exec, s[10:11]
	global_store_byte v[0:1], v8, off
.LBB207_1691:
	s_mov_b64 s[10:11], -1
.LBB207_1692:
	s_mov_b64 s[12:13], 0
.LBB207_1693:
	s_and_b64 vcc, exec, s[12:13]
	s_cbranch_vccz .LBB207_1733
; %bb.1694:
	s_cmp_gt_i32 s21, 22
	s_mov_b64 s[2:3], -1
	s_cbranch_scc0 .LBB207_1726
; %bb.1695:
	s_cmp_lt_i32 s21, 24
	s_cbranch_scc1 .LBB207_1715
; %bb.1696:
	s_cmp_gt_i32 s21, 24
	s_cbranch_scc0 .LBB207_1704
; %bb.1697:
	v_cvt_f32_f16_e32 v4, v3
	s_mov_b32 s2, 0x47800000
	v_mov_b32_e32 v8, 0x80
	v_and_b32_e32 v7, 0x7fffffff, v4
	v_cmp_gt_u32_e32 vcc, s2, v7
	s_and_saveexec_b64 s[2:3], vcc
	s_cbranch_execz .LBB207_1703
; %bb.1698:
	s_mov_b32 s10, 0x37ffffff
	v_cmp_lt_u32_e32 vcc, s10, v7
	s_mov_b64 s[10:11], 0
                                        ; implicit-def: $vgpr7
	s_and_saveexec_b64 s[12:13], vcc
	s_xor_b64 s[12:13], exec, s[12:13]
	s_cbranch_execz .LBB207_2028
; %bb.1699:
	v_bfe_u32 v7, v4, 21, 1
	s_mov_b32 s18, 0x88fffff
	v_add3_u32 v7, v4, v7, s18
	s_mov_b64 s[10:11], exec
	v_lshrrev_b32_e32 v7, 21, v7
	s_andn2_saveexec_b64 s[12:13], s[12:13]
	s_cbranch_execnz .LBB207_2029
.LBB207_1700:
	s_or_b64 exec, exec, s[12:13]
	v_mov_b32_e32 v8, 0
	s_and_saveexec_b64 s[12:13], s[10:11]
.LBB207_1701:
	v_lshrrev_b32_e32 v4, 24, v4
	s_movk_i32 s10, 0x80
	v_and_or_b32 v8, v4, s10, v7
.LBB207_1702:
	s_or_b64 exec, exec, s[12:13]
.LBB207_1703:
	s_or_b64 exec, exec, s[2:3]
	s_mov_b64 s[2:3], 0
	global_store_byte v[0:1], v8, off
.LBB207_1704:
	s_and_b64 vcc, exec, s[2:3]
	s_cbranch_vccz .LBB207_1714
; %bb.1705:
	v_cvt_f32_f16_e32 v4, v3
	s_mov_b32 s2, 0x43f00000
                                        ; implicit-def: $vgpr7
	v_and_b32_e32 v8, 0x7fffffff, v4
	v_cmp_gt_u32_e32 vcc, s2, v8
	s_and_saveexec_b64 s[2:3], vcc
	s_xor_b64 s[2:3], exec, s[2:3]
	s_cbranch_execz .LBB207_1711
; %bb.1706:
	s_mov_b32 s10, 0x3c7fffff
	v_cmp_lt_u32_e32 vcc, s10, v8
                                        ; implicit-def: $vgpr7
	s_and_saveexec_b64 s[10:11], vcc
	s_xor_b64 s[10:11], exec, s[10:11]
; %bb.1707:
	v_bfe_u32 v7, v4, 20, 1
	s_mov_b32 s12, 0x407ffff
	v_add3_u32 v7, v4, v7, s12
	v_lshrrev_b32_e32 v8, 20, v7
	v_and_b32_e32 v7, 0xff00000, v7
	s_mov_b32 s12, 0x7f00000
	v_mov_b32_e32 v9, 0x7e
	v_cmp_ne_u32_e32 vcc, s12, v7
	v_cndmask_b32_e32 v7, v9, v8, vcc
; %bb.1708:
	s_andn2_saveexec_b64 s[10:11], s[10:11]
; %bb.1709:
	s_mov_b32 s12, 0x46800000
	v_add_f32_e64 v7, |v4|, s12
; %bb.1710:
	s_or_b64 exec, exec, s[10:11]
                                        ; implicit-def: $vgpr8
.LBB207_1711:
	s_andn2_saveexec_b64 s[2:3], s[2:3]
; %bb.1712:
	s_mov_b32 s10, 0x7f800000
	v_mov_b32_e32 v7, 0x7e
	v_mov_b32_e32 v9, 0x7f
	v_cmp_lt_u32_e32 vcc, s10, v8
	v_cndmask_b32_e32 v7, v7, v9, vcc
; %bb.1713:
	s_or_b64 exec, exec, s[2:3]
	v_lshrrev_b32_e32 v4, 24, v4
	s_movk_i32 s2, 0x80
	v_and_or_b32 v4, v4, s2, v7
	global_store_byte v[0:1], v4, off
.LBB207_1714:
	s_mov_b64 s[2:3], 0
.LBB207_1715:
	s_andn2_b64 vcc, exec, s[2:3]
	s_cbranch_vccnz .LBB207_1725
; %bb.1716:
	v_cvt_f32_f16_e32 v4, v3
	s_mov_b32 s2, 0x47800000
                                        ; implicit-def: $vgpr7
	v_and_b32_e32 v8, 0x7fffffff, v4
	v_cmp_gt_u32_e32 vcc, s2, v8
	s_and_saveexec_b64 s[2:3], vcc
	s_xor_b64 s[2:3], exec, s[2:3]
	s_cbranch_execz .LBB207_1722
; %bb.1717:
	s_mov_b32 s10, 0x387fffff
	v_cmp_lt_u32_e32 vcc, s10, v8
                                        ; implicit-def: $vgpr7
	s_and_saveexec_b64 s[10:11], vcc
	s_xor_b64 s[10:11], exec, s[10:11]
; %bb.1718:
	v_bfe_u32 v7, v4, 21, 1
	s_mov_b32 s12, 0x80fffff
	v_add3_u32 v7, v4, v7, s12
	v_lshrrev_b32_e32 v7, 21, v7
; %bb.1719:
	s_andn2_saveexec_b64 s[10:11], s[10:11]
; %bb.1720:
	s_mov_b32 s12, 0x43000000
	v_add_f32_e64 v7, |v4|, s12
; %bb.1721:
	s_or_b64 exec, exec, s[10:11]
                                        ; implicit-def: $vgpr8
.LBB207_1722:
	s_andn2_saveexec_b64 s[2:3], s[2:3]
; %bb.1723:
	s_mov_b32 s10, 0x7f800000
	v_mov_b32_e32 v7, 0x7c
	v_mov_b32_e32 v9, 0x7f
	v_cmp_lt_u32_e32 vcc, s10, v8
	v_cndmask_b32_e32 v7, v7, v9, vcc
; %bb.1724:
	s_or_b64 exec, exec, s[2:3]
	v_lshrrev_b32_e32 v4, 24, v4
	s_movk_i32 s2, 0x80
	v_and_or_b32 v4, v4, s2, v7
	global_store_byte v[0:1], v4, off
.LBB207_1725:
	s_mov_b64 s[2:3], 0
	s_mov_b64 s[10:11], -1
.LBB207_1726:
	s_andn2_b64 vcc, exec, s[2:3]
	s_mov_b64 s[2:3], 0
	s_cbranch_vccnz .LBB207_1733
; %bb.1727:
	s_cmp_gt_i32 s21, 14
	s_mov_b64 s[12:13], -1
	s_cbranch_scc0 .LBB207_1731
; %bb.1728:
	s_cmp_eq_u32 s21, 15
	s_mov_b64 s[0:1], -1
	s_cbranch_scc0 .LBB207_1730
; %bb.1729:
	v_cvt_f32_f16_e32 v4, v3
	s_movk_i32 s0, 0x7fff
	v_cmp_o_f16_e32 vcc, v3, v3
	v_mov_b32_e32 v7, 0x7fc0
	v_bfe_u32 v8, v4, 16, 1
	v_add3_u32 v4, v4, v8, s0
	v_cndmask_b32_sdwa v4, v7, v4, vcc dst_sel:DWORD dst_unused:UNUSED_PAD src0_sel:DWORD src1_sel:WORD_1
	global_store_short v[0:1], v4, off
	s_mov_b64 s[0:1], 0
	s_mov_b64 s[10:11], -1
.LBB207_1730:
	s_mov_b64 s[12:13], 0
.LBB207_1731:
	s_and_b64 vcc, exec, s[12:13]
	s_cbranch_vccz .LBB207_1733
; %bb.1732:
	s_cmp_lg_u32 s21, 11
	s_mov_b64 s[2:3], -1
	s_cselect_b64 s[0:1], -1, 0
.LBB207_1733:
	s_and_b64 vcc, exec, s[0:1]
	s_cbranch_vccnz .LBB207_2027
; %bb.1734:
	s_andn2_b64 vcc, exec, s[2:3]
	s_cbranch_vccnz .LBB207_1736
.LBB207_1735:
	v_and_b32_e32 v4, 0x7fff, v3
	v_cmp_ne_u16_e32 vcc, 0, v4
	v_cndmask_b32_e64 v4, 0, 1, vcc
	s_mov_b64 s[10:11], -1
	global_store_byte v[0:1], v4, off
.LBB207_1736:
	s_mov_b64 s[0:1], 0
	s_branch .LBB207_1738
.LBB207_1737:
	s_mov_b64 s[0:1], -1
	s_mov_b64 s[10:11], 0
.LBB207_1738:
	s_and_b64 vcc, exec, s[0:1]
	s_cbranch_vccz .LBB207_1777
; %bb.1739:
	s_and_b32 s2, 0xffff, s22
	s_cmp_lt_i32 s2, 5
	s_mov_b64 s[0:1], -1
	s_cbranch_scc1 .LBB207_1760
; %bb.1740:
	s_cmp_lt_i32 s2, 8
	s_cbranch_scc1 .LBB207_1750
; %bb.1741:
	s_cmp_lt_i32 s2, 9
	s_cbranch_scc1 .LBB207_1747
; %bb.1742:
	s_cmp_gt_i32 s2, 9
	s_cbranch_scc0 .LBB207_1744
; %bb.1743:
	v_cvt_f32_f16_e32 v4, v3
	v_mov_b32_e32 v9, 0
	v_mov_b32_e32 v10, v9
	s_mov_b64 s[0:1], 0
	v_cvt_f64_f32_e32 v[7:8], v4
	global_store_dwordx4 v[0:1], v[7:10], off
.LBB207_1744:
	s_andn2_b64 vcc, exec, s[0:1]
	s_cbranch_vccnz .LBB207_1746
; %bb.1745:
	v_cvt_f32_f16_e32 v7, v3
	v_mov_b32_e32 v8, 0
	global_store_dwordx2 v[0:1], v[7:8], off
.LBB207_1746:
	s_mov_b64 s[0:1], 0
.LBB207_1747:
	s_andn2_b64 vcc, exec, s[0:1]
	s_cbranch_vccnz .LBB207_1749
; %bb.1748:
	v_and_b32_e32 v4, 0xffff, v3
	global_store_dword v[0:1], v4, off
.LBB207_1749:
	s_mov_b64 s[0:1], 0
.LBB207_1750:
	s_andn2_b64 vcc, exec, s[0:1]
	s_cbranch_vccnz .LBB207_1759
; %bb.1751:
	s_cmp_lt_i32 s2, 6
	s_mov_b64 s[0:1], -1
	s_cbranch_scc1 .LBB207_1757
; %bb.1752:
	s_cmp_gt_i32 s2, 6
	s_cbranch_scc0 .LBB207_1754
; %bb.1753:
	v_cvt_f32_f16_e32 v4, v3
	s_mov_b64 s[0:1], 0
	v_cvt_f64_f32_e32 v[7:8], v4
	global_store_dwordx2 v[0:1], v[7:8], off
.LBB207_1754:
	s_andn2_b64 vcc, exec, s[0:1]
	s_cbranch_vccnz .LBB207_1756
; %bb.1755:
	v_cvt_f32_f16_e32 v4, v3
	global_store_dword v[0:1], v4, off
.LBB207_1756:
	s_mov_b64 s[0:1], 0
.LBB207_1757:
	s_andn2_b64 vcc, exec, s[0:1]
	s_cbranch_vccnz .LBB207_1759
; %bb.1758:
	global_store_short v[0:1], v3, off
.LBB207_1759:
	s_mov_b64 s[0:1], 0
.LBB207_1760:
	s_andn2_b64 vcc, exec, s[0:1]
	s_cbranch_vccnz .LBB207_1776
; %bb.1761:
	s_cmp_lt_i32 s2, 2
	s_mov_b64 s[0:1], -1
	s_cbranch_scc1 .LBB207_1771
; %bb.1762:
	s_cmp_lt_i32 s2, 3
	s_cbranch_scc1 .LBB207_1768
; %bb.1763:
	s_cmp_gt_i32 s2, 3
	s_cbranch_scc0 .LBB207_1765
; %bb.1764:
	v_cvt_f32_f16_e32 v4, v3
	s_mov_b64 s[0:1], 0
	v_cvt_i32_f32_e32 v7, v4
	v_ashrrev_i32_e32 v8, 31, v7
	global_store_dwordx2 v[0:1], v[7:8], off
.LBB207_1765:
	s_andn2_b64 vcc, exec, s[0:1]
	s_cbranch_vccnz .LBB207_1767
; %bb.1766:
	v_cvt_f32_f16_e32 v4, v3
	v_cvt_i32_f32_e32 v4, v4
	global_store_dword v[0:1], v4, off
.LBB207_1767:
	s_mov_b64 s[0:1], 0
.LBB207_1768:
	s_andn2_b64 vcc, exec, s[0:1]
	s_cbranch_vccnz .LBB207_1770
; %bb.1769:
	v_cvt_i16_f16_e32 v4, v3
	global_store_short v[0:1], v4, off
.LBB207_1770:
	s_mov_b64 s[0:1], 0
.LBB207_1771:
	s_andn2_b64 vcc, exec, s[0:1]
	s_cbranch_vccnz .LBB207_1776
; %bb.1772:
	s_cmp_gt_i32 s2, 0
	s_mov_b64 s[0:1], -1
	s_cbranch_scc0 .LBB207_1774
; %bb.1773:
	v_cvt_i16_f16_e32 v4, v3
	global_store_byte v[0:1], v4, off
	s_mov_b64 s[0:1], 0
.LBB207_1774:
	s_andn2_b64 vcc, exec, s[0:1]
	s_cbranch_vccnz .LBB207_1776
; %bb.1775:
	v_cvt_f32_f16_e32 v3, v3
	v_cvt_i32_f32_e32 v3, v3
	global_store_byte v[0:1], v3, off
.LBB207_1776:
	s_mov_b64 s[10:11], -1
.LBB207_1777:
	s_andn2_b64 vcc, exec, s[10:11]
	s_cbranch_vccnz .LBB207_1973
; %bb.1778:
	v_mov_b32_e32 v0, s15
	v_mov_b32_e32 v1, s33
	v_cmp_ge_f16_e32 vcc, s14, v5
	v_add_u32_e32 v2, s20, v2
	v_cndmask_b32_e32 v3, v0, v1, vcc
	v_ashrrev_i32_e32 v1, 31, v2
	v_mov_b32_e32 v4, s9
	v_add_co_u32_e32 v0, vcc, s8, v2
	s_cmp_lt_i32 s22, 11
	v_addc_co_u32_e32 v1, vcc, v4, v1, vcc
	s_cbranch_scc1 .LBB207_1856
; %bb.1779:
	s_and_b32 s21, 0xffff, s22
	s_mov_b64 s[12:13], -1
	s_mov_b64 s[2:3], 0
	s_cmp_gt_i32 s21, 25
	s_mov_b64 s[10:11], 0
	s_mov_b64 s[0:1], 0
	s_cbranch_scc0 .LBB207_1812
; %bb.1780:
	s_cmp_gt_i32 s21, 28
	s_cbranch_scc0 .LBB207_1795
; %bb.1781:
	s_cmp_gt_i32 s21, 43
	;; [unrolled: 3-line block ×3, first 2 shown]
	s_cbranch_scc0 .LBB207_1785
; %bb.1783:
	s_mov_b64 s[0:1], -1
	s_mov_b64 s[12:13], 0
	s_cmp_eq_u32 s21, 46
	s_cbranch_scc0 .LBB207_1785
; %bb.1784:
	v_cvt_f32_f16_e32 v4, v3
	s_movk_i32 s0, 0x7fff
	v_cmp_o_f16_e32 vcc, v3, v3
	v_mov_b32_e32 v5, 0x7fc0
	v_bfe_u32 v7, v4, 16, 1
	v_add3_u32 v4, v4, v7, s0
	v_cndmask_b32_sdwa v4, v5, v4, vcc dst_sel:DWORD dst_unused:UNUSED_PAD src0_sel:DWORD src1_sel:WORD_1
	global_store_dword v[0:1], v4, off
	s_mov_b64 s[0:1], 0
	s_mov_b64 s[10:11], -1
.LBB207_1785:
	s_and_b64 vcc, exec, s[12:13]
	s_cbranch_vccz .LBB207_1790
; %bb.1786:
	s_cmp_eq_u32 s21, 44
	s_mov_b64 s[0:1], -1
	s_cbranch_scc0 .LBB207_1790
; %bb.1787:
	v_cvt_f32_f16_e32 v4, v3
	s_movk_i32 s0, 0xff
	v_mov_b32_e32 v7, 0xff
	v_bfe_u32 v5, v4, 23, 8
	v_cmp_ne_u32_e32 vcc, s0, v5
	s_and_saveexec_b64 s[10:11], vcc
; %bb.1788:
	s_mov_b32 s0, 0x3fffff
	v_lshrrev_b32_e32 v7, 23, v4
	v_and_b32_e32 v8, 0x400000, v4
	v_and_or_b32 v4, v4, s0, v5
	v_cmp_ne_u32_e32 vcc, 0, v8
	v_cmp_ne_u32_e64 s[0:1], 0, v4
	s_and_b64 s[0:1], vcc, s[0:1]
	v_cndmask_b32_e64 v4, 0, 1, s[0:1]
	v_add_u32_e32 v7, v7, v4
; %bb.1789:
	s_or_b64 exec, exec, s[10:11]
	s_mov_b64 s[0:1], 0
	s_mov_b64 s[10:11], -1
	global_store_byte v[0:1], v7, off
.LBB207_1790:
	s_mov_b64 s[12:13], 0
.LBB207_1791:
	s_and_b64 vcc, exec, s[12:13]
	s_cbranch_vccz .LBB207_1794
; %bb.1792:
	s_cmp_eq_u32 s21, 29
	s_mov_b64 s[0:1], -1
	s_cbranch_scc0 .LBB207_1794
; %bb.1793:
	v_cvt_f32_f16_e32 v4, v3
	v_mov_b32_e32 v5, 0
	s_mov_b64 s[0:1], 0
	s_mov_b64 s[10:11], -1
	v_cvt_u32_f32_e32 v4, v4
	global_store_dwordx2 v[0:1], v[4:5], off
.LBB207_1794:
	s_mov_b64 s[12:13], 0
.LBB207_1795:
	s_and_b64 vcc, exec, s[12:13]
	s_cbranch_vccz .LBB207_1811
; %bb.1796:
	s_cmp_lt_i32 s21, 27
	s_mov_b64 s[10:11], -1
	s_cbranch_scc1 .LBB207_1802
; %bb.1797:
	s_cmp_gt_i32 s21, 27
	s_cbranch_scc0 .LBB207_1799
; %bb.1798:
	v_cvt_f32_f16_e32 v4, v3
	s_mov_b64 s[10:11], 0
	v_cvt_u32_f32_e32 v4, v4
	global_store_dword v[0:1], v4, off
.LBB207_1799:
	s_andn2_b64 vcc, exec, s[10:11]
	s_cbranch_vccnz .LBB207_1801
; %bb.1800:
	v_cvt_u16_f16_e32 v4, v3
	global_store_short v[0:1], v4, off
.LBB207_1801:
	s_mov_b64 s[10:11], 0
.LBB207_1802:
	s_andn2_b64 vcc, exec, s[10:11]
	s_cbranch_vccnz .LBB207_1810
; %bb.1803:
	v_cvt_f32_f16_e32 v4, v3
	s_mov_b32 s10, 0x43800000
	v_mov_b32_e32 v7, 0x80
	v_and_b32_e32 v5, 0x7fffffff, v4
	v_cmp_gt_u32_e32 vcc, s10, v5
	s_and_saveexec_b64 s[10:11], vcc
	s_cbranch_execz .LBB207_1809
; %bb.1804:
	s_mov_b32 s12, 0x3bffffff
	v_cmp_lt_u32_e32 vcc, s12, v5
	s_mov_b64 s[12:13], 0
                                        ; implicit-def: $vgpr5
	s_and_saveexec_b64 s[18:19], vcc
	s_xor_b64 s[18:19], exec, s[18:19]
	s_cbranch_execz .LBB207_2030
; %bb.1805:
	v_bfe_u32 v5, v4, 20, 1
	s_mov_b32 s23, 0x487ffff
	v_add3_u32 v5, v4, v5, s23
	s_mov_b64 s[12:13], exec
	v_lshrrev_b32_e32 v5, 20, v5
	s_andn2_saveexec_b64 s[18:19], s[18:19]
	s_cbranch_execnz .LBB207_2031
.LBB207_1806:
	s_or_b64 exec, exec, s[18:19]
	v_mov_b32_e32 v7, 0
	s_and_saveexec_b64 s[18:19], s[12:13]
.LBB207_1807:
	v_lshrrev_b32_e32 v4, 24, v4
	s_movk_i32 s12, 0x80
	v_and_or_b32 v7, v4, s12, v5
.LBB207_1808:
	s_or_b64 exec, exec, s[18:19]
.LBB207_1809:
	s_or_b64 exec, exec, s[10:11]
	global_store_byte v[0:1], v7, off
.LBB207_1810:
	s_mov_b64 s[10:11], -1
.LBB207_1811:
	s_mov_b64 s[12:13], 0
.LBB207_1812:
	s_and_b64 vcc, exec, s[12:13]
	s_cbranch_vccz .LBB207_1852
; %bb.1813:
	s_cmp_gt_i32 s21, 22
	s_mov_b64 s[2:3], -1
	s_cbranch_scc0 .LBB207_1845
; %bb.1814:
	s_cmp_lt_i32 s21, 24
	s_cbranch_scc1 .LBB207_1834
; %bb.1815:
	s_cmp_gt_i32 s21, 24
	s_cbranch_scc0 .LBB207_1823
; %bb.1816:
	v_cvt_f32_f16_e32 v4, v3
	s_mov_b32 s2, 0x47800000
	v_mov_b32_e32 v7, 0x80
	v_and_b32_e32 v5, 0x7fffffff, v4
	v_cmp_gt_u32_e32 vcc, s2, v5
	s_and_saveexec_b64 s[2:3], vcc
	s_cbranch_execz .LBB207_1822
; %bb.1817:
	s_mov_b32 s10, 0x37ffffff
	v_cmp_lt_u32_e32 vcc, s10, v5
	s_mov_b64 s[10:11], 0
                                        ; implicit-def: $vgpr5
	s_and_saveexec_b64 s[12:13], vcc
	s_xor_b64 s[12:13], exec, s[12:13]
	s_cbranch_execz .LBB207_2033
; %bb.1818:
	v_bfe_u32 v5, v4, 21, 1
	s_mov_b32 s18, 0x88fffff
	v_add3_u32 v5, v4, v5, s18
	s_mov_b64 s[10:11], exec
	v_lshrrev_b32_e32 v5, 21, v5
	s_andn2_saveexec_b64 s[12:13], s[12:13]
	s_cbranch_execnz .LBB207_2034
.LBB207_1819:
	s_or_b64 exec, exec, s[12:13]
	v_mov_b32_e32 v7, 0
	s_and_saveexec_b64 s[12:13], s[10:11]
.LBB207_1820:
	v_lshrrev_b32_e32 v4, 24, v4
	s_movk_i32 s10, 0x80
	v_and_or_b32 v7, v4, s10, v5
.LBB207_1821:
	s_or_b64 exec, exec, s[12:13]
.LBB207_1822:
	s_or_b64 exec, exec, s[2:3]
	s_mov_b64 s[2:3], 0
	global_store_byte v[0:1], v7, off
.LBB207_1823:
	s_and_b64 vcc, exec, s[2:3]
	s_cbranch_vccz .LBB207_1833
; %bb.1824:
	v_cvt_f32_f16_e32 v4, v3
	s_mov_b32 s2, 0x43f00000
                                        ; implicit-def: $vgpr5
	v_and_b32_e32 v7, 0x7fffffff, v4
	v_cmp_gt_u32_e32 vcc, s2, v7
	s_and_saveexec_b64 s[2:3], vcc
	s_xor_b64 s[2:3], exec, s[2:3]
	s_cbranch_execz .LBB207_1830
; %bb.1825:
	s_mov_b32 s10, 0x3c7fffff
	v_cmp_lt_u32_e32 vcc, s10, v7
                                        ; implicit-def: $vgpr5
	s_and_saveexec_b64 s[10:11], vcc
	s_xor_b64 s[10:11], exec, s[10:11]
; %bb.1826:
	v_bfe_u32 v5, v4, 20, 1
	s_mov_b32 s12, 0x407ffff
	v_add3_u32 v5, v4, v5, s12
	v_lshrrev_b32_e32 v7, 20, v5
	v_and_b32_e32 v5, 0xff00000, v5
	s_mov_b32 s12, 0x7f00000
	v_mov_b32_e32 v8, 0x7e
	v_cmp_ne_u32_e32 vcc, s12, v5
	v_cndmask_b32_e32 v5, v8, v7, vcc
; %bb.1827:
	s_andn2_saveexec_b64 s[10:11], s[10:11]
; %bb.1828:
	s_mov_b32 s12, 0x46800000
	v_add_f32_e64 v5, |v4|, s12
; %bb.1829:
	s_or_b64 exec, exec, s[10:11]
                                        ; implicit-def: $vgpr7
.LBB207_1830:
	s_andn2_saveexec_b64 s[2:3], s[2:3]
; %bb.1831:
	s_mov_b32 s10, 0x7f800000
	v_mov_b32_e32 v5, 0x7e
	v_mov_b32_e32 v8, 0x7f
	v_cmp_lt_u32_e32 vcc, s10, v7
	v_cndmask_b32_e32 v5, v5, v8, vcc
; %bb.1832:
	s_or_b64 exec, exec, s[2:3]
	v_lshrrev_b32_e32 v4, 24, v4
	s_movk_i32 s2, 0x80
	v_and_or_b32 v4, v4, s2, v5
	global_store_byte v[0:1], v4, off
.LBB207_1833:
	s_mov_b64 s[2:3], 0
.LBB207_1834:
	s_andn2_b64 vcc, exec, s[2:3]
	s_cbranch_vccnz .LBB207_1844
; %bb.1835:
	v_cvt_f32_f16_e32 v4, v3
	s_mov_b32 s2, 0x47800000
                                        ; implicit-def: $vgpr5
	v_and_b32_e32 v7, 0x7fffffff, v4
	v_cmp_gt_u32_e32 vcc, s2, v7
	s_and_saveexec_b64 s[2:3], vcc
	s_xor_b64 s[2:3], exec, s[2:3]
	s_cbranch_execz .LBB207_1841
; %bb.1836:
	s_mov_b32 s10, 0x387fffff
	v_cmp_lt_u32_e32 vcc, s10, v7
                                        ; implicit-def: $vgpr5
	s_and_saveexec_b64 s[10:11], vcc
	s_xor_b64 s[10:11], exec, s[10:11]
; %bb.1837:
	v_bfe_u32 v5, v4, 21, 1
	s_mov_b32 s12, 0x80fffff
	v_add3_u32 v5, v4, v5, s12
	v_lshrrev_b32_e32 v5, 21, v5
; %bb.1838:
	s_andn2_saveexec_b64 s[10:11], s[10:11]
; %bb.1839:
	s_mov_b32 s12, 0x43000000
	v_add_f32_e64 v5, |v4|, s12
; %bb.1840:
	s_or_b64 exec, exec, s[10:11]
                                        ; implicit-def: $vgpr7
.LBB207_1841:
	s_andn2_saveexec_b64 s[2:3], s[2:3]
; %bb.1842:
	s_mov_b32 s10, 0x7f800000
	v_mov_b32_e32 v5, 0x7c
	v_mov_b32_e32 v8, 0x7f
	v_cmp_lt_u32_e32 vcc, s10, v7
	v_cndmask_b32_e32 v5, v5, v8, vcc
; %bb.1843:
	s_or_b64 exec, exec, s[2:3]
	v_lshrrev_b32_e32 v4, 24, v4
	s_movk_i32 s2, 0x80
	v_and_or_b32 v4, v4, s2, v5
	global_store_byte v[0:1], v4, off
.LBB207_1844:
	s_mov_b64 s[2:3], 0
	s_mov_b64 s[10:11], -1
.LBB207_1845:
	s_andn2_b64 vcc, exec, s[2:3]
	s_mov_b64 s[2:3], 0
	s_cbranch_vccnz .LBB207_1852
; %bb.1846:
	s_cmp_gt_i32 s21, 14
	s_mov_b64 s[12:13], -1
	s_cbranch_scc0 .LBB207_1850
; %bb.1847:
	s_cmp_eq_u32 s21, 15
	s_mov_b64 s[0:1], -1
	s_cbranch_scc0 .LBB207_1849
; %bb.1848:
	v_cvt_f32_f16_e32 v4, v3
	s_movk_i32 s0, 0x7fff
	v_cmp_o_f16_e32 vcc, v3, v3
	v_mov_b32_e32 v5, 0x7fc0
	v_bfe_u32 v7, v4, 16, 1
	v_add3_u32 v4, v4, v7, s0
	v_cndmask_b32_sdwa v4, v5, v4, vcc dst_sel:DWORD dst_unused:UNUSED_PAD src0_sel:DWORD src1_sel:WORD_1
	global_store_short v[0:1], v4, off
	s_mov_b64 s[0:1], 0
	s_mov_b64 s[10:11], -1
.LBB207_1849:
	s_mov_b64 s[12:13], 0
.LBB207_1850:
	s_and_b64 vcc, exec, s[12:13]
	s_cbranch_vccz .LBB207_1852
; %bb.1851:
	s_cmp_lg_u32 s21, 11
	s_mov_b64 s[2:3], -1
	s_cselect_b64 s[0:1], -1, 0
.LBB207_1852:
	s_and_b64 vcc, exec, s[0:1]
	s_cbranch_vccnz .LBB207_2032
; %bb.1853:
	s_andn2_b64 vcc, exec, s[2:3]
	s_cbranch_vccnz .LBB207_1855
.LBB207_1854:
	v_and_b32_e32 v4, 0x7fff, v3
	v_cmp_ne_u16_e32 vcc, 0, v4
	v_cndmask_b32_e64 v4, 0, 1, vcc
	s_mov_b64 s[10:11], -1
	global_store_byte v[0:1], v4, off
.LBB207_1855:
	s_mov_b64 s[0:1], 0
	s_branch .LBB207_1857
.LBB207_1856:
	s_mov_b64 s[0:1], -1
	s_mov_b64 s[10:11], 0
.LBB207_1857:
	s_and_b64 vcc, exec, s[0:1]
	s_cbranch_vccz .LBB207_1896
; %bb.1858:
	s_and_b32 s2, 0xffff, s22
	s_cmp_lt_i32 s2, 5
	s_mov_b64 s[0:1], -1
	s_cbranch_scc1 .LBB207_1879
; %bb.1859:
	s_cmp_lt_i32 s2, 8
	s_cbranch_scc1 .LBB207_1869
; %bb.1860:
	s_cmp_lt_i32 s2, 9
	s_cbranch_scc1 .LBB207_1866
; %bb.1861:
	s_cmp_gt_i32 s2, 9
	s_cbranch_scc0 .LBB207_1863
; %bb.1862:
	v_cvt_f32_f16_e32 v4, v3
	v_mov_b32_e32 v9, 0
	v_mov_b32_e32 v10, v9
	s_mov_b64 s[0:1], 0
	v_cvt_f64_f32_e32 v[7:8], v4
	global_store_dwordx4 v[0:1], v[7:10], off
.LBB207_1863:
	s_andn2_b64 vcc, exec, s[0:1]
	s_cbranch_vccnz .LBB207_1865
; %bb.1864:
	v_cvt_f32_f16_e32 v4, v3
	v_mov_b32_e32 v5, 0
	global_store_dwordx2 v[0:1], v[4:5], off
.LBB207_1865:
	s_mov_b64 s[0:1], 0
.LBB207_1866:
	s_andn2_b64 vcc, exec, s[0:1]
	s_cbranch_vccnz .LBB207_1868
; %bb.1867:
	v_and_b32_e32 v4, 0xffff, v3
	global_store_dword v[0:1], v4, off
.LBB207_1868:
	s_mov_b64 s[0:1], 0
.LBB207_1869:
	s_andn2_b64 vcc, exec, s[0:1]
	s_cbranch_vccnz .LBB207_1878
; %bb.1870:
	s_cmp_lt_i32 s2, 6
	s_mov_b64 s[0:1], -1
	s_cbranch_scc1 .LBB207_1876
; %bb.1871:
	s_cmp_gt_i32 s2, 6
	s_cbranch_scc0 .LBB207_1873
; %bb.1872:
	v_cvt_f32_f16_e32 v4, v3
	s_mov_b64 s[0:1], 0
	v_cvt_f64_f32_e32 v[4:5], v4
	global_store_dwordx2 v[0:1], v[4:5], off
.LBB207_1873:
	s_andn2_b64 vcc, exec, s[0:1]
	s_cbranch_vccnz .LBB207_1875
; %bb.1874:
	v_cvt_f32_f16_e32 v4, v3
	global_store_dword v[0:1], v4, off
.LBB207_1875:
	s_mov_b64 s[0:1], 0
.LBB207_1876:
	s_andn2_b64 vcc, exec, s[0:1]
	s_cbranch_vccnz .LBB207_1878
; %bb.1877:
	global_store_short v[0:1], v3, off
.LBB207_1878:
	s_mov_b64 s[0:1], 0
.LBB207_1879:
	s_andn2_b64 vcc, exec, s[0:1]
	s_cbranch_vccnz .LBB207_1895
; %bb.1880:
	s_cmp_lt_i32 s2, 2
	s_mov_b64 s[0:1], -1
	s_cbranch_scc1 .LBB207_1890
; %bb.1881:
	s_cmp_lt_i32 s2, 3
	s_cbranch_scc1 .LBB207_1887
; %bb.1882:
	s_cmp_gt_i32 s2, 3
	s_cbranch_scc0 .LBB207_1884
; %bb.1883:
	v_cvt_f32_f16_e32 v4, v3
	s_mov_b64 s[0:1], 0
	v_cvt_i32_f32_e32 v4, v4
	v_ashrrev_i32_e32 v5, 31, v4
	global_store_dwordx2 v[0:1], v[4:5], off
.LBB207_1884:
	s_andn2_b64 vcc, exec, s[0:1]
	s_cbranch_vccnz .LBB207_1886
; %bb.1885:
	v_cvt_f32_f16_e32 v4, v3
	v_cvt_i32_f32_e32 v4, v4
	global_store_dword v[0:1], v4, off
.LBB207_1886:
	s_mov_b64 s[0:1], 0
.LBB207_1887:
	s_andn2_b64 vcc, exec, s[0:1]
	s_cbranch_vccnz .LBB207_1889
; %bb.1888:
	v_cvt_i16_f16_e32 v4, v3
	global_store_short v[0:1], v4, off
.LBB207_1889:
	s_mov_b64 s[0:1], 0
.LBB207_1890:
	s_andn2_b64 vcc, exec, s[0:1]
	s_cbranch_vccnz .LBB207_1895
; %bb.1891:
	s_cmp_gt_i32 s2, 0
	s_mov_b64 s[0:1], -1
	s_cbranch_scc0 .LBB207_1893
; %bb.1892:
	v_cvt_i16_f16_e32 v4, v3
	global_store_byte v[0:1], v4, off
	s_mov_b64 s[0:1], 0
.LBB207_1893:
	s_andn2_b64 vcc, exec, s[0:1]
	s_cbranch_vccnz .LBB207_1895
; %bb.1894:
	v_cvt_f32_f16_e32 v3, v3
	v_cvt_i32_f32_e32 v3, v3
	global_store_byte v[0:1], v3, off
.LBB207_1895:
	s_mov_b64 s[10:11], -1
.LBB207_1896:
	s_andn2_b64 vcc, exec, s[10:11]
	s_cbranch_vccnz .LBB207_1973
; %bb.1897:
	v_mov_b32_e32 v0, s15
	v_mov_b32_e32 v1, s33
	v_cmp_ge_f16_e32 vcc, s14, v6
	v_cndmask_b32_e32 v3, v0, v1, vcc
	v_add_u32_e32 v0, s20, v2
	v_ashrrev_i32_e32 v1, 31, v0
	v_mov_b32_e32 v2, s9
	v_add_co_u32_e32 v0, vcc, s8, v0
	s_cmp_lt_i32 s22, 11
	v_addc_co_u32_e32 v1, vcc, v2, v1, vcc
	s_cbranch_scc1 .LBB207_2018
; %bb.1898:
	s_and_b32 s14, 0xffff, s22
	s_mov_b64 s[8:9], -1
	s_mov_b64 s[2:3], 0
	s_cmp_gt_i32 s14, 25
	s_mov_b64 s[0:1], 0
	s_cbranch_scc0 .LBB207_1931
; %bb.1899:
	s_cmp_gt_i32 s14, 28
	s_cbranch_scc0 .LBB207_1915
; %bb.1900:
	s_cmp_gt_i32 s14, 43
	;; [unrolled: 3-line block ×3, first 2 shown]
	s_cbranch_scc0 .LBB207_1905
; %bb.1902:
	s_cmp_eq_u32 s14, 46
	s_mov_b64 s[0:1], -1
	s_cbranch_scc0 .LBB207_1904
; %bb.1903:
	v_cvt_f32_f16_e32 v2, v3
	s_movk_i32 s0, 0x7fff
	v_cmp_o_f16_e32 vcc, v3, v3
	v_mov_b32_e32 v4, 0x7fc0
	v_bfe_u32 v5, v2, 16, 1
	v_add3_u32 v2, v2, v5, s0
	v_cndmask_b32_sdwa v2, v4, v2, vcc dst_sel:DWORD dst_unused:UNUSED_PAD src0_sel:DWORD src1_sel:WORD_1
	global_store_dword v[0:1], v2, off
	s_mov_b64 s[0:1], 0
.LBB207_1904:
	s_mov_b64 s[8:9], 0
.LBB207_1905:
	s_and_b64 vcc, exec, s[8:9]
	s_cbranch_vccz .LBB207_1910
; %bb.1906:
	s_cmp_eq_u32 s14, 44
	s_mov_b64 s[0:1], -1
	s_cbranch_scc0 .LBB207_1910
; %bb.1907:
	v_cvt_f32_f16_e32 v2, v3
	s_movk_i32 s0, 0xff
	v_mov_b32_e32 v5, 0xff
	v_bfe_u32 v4, v2, 23, 8
	v_cmp_ne_u32_e32 vcc, s0, v4
	s_and_saveexec_b64 s[8:9], vcc
; %bb.1908:
	s_mov_b32 s0, 0x3fffff
	v_lshrrev_b32_e32 v5, 23, v2
	v_and_b32_e32 v6, 0x400000, v2
	v_and_or_b32 v2, v2, s0, v4
	v_cmp_ne_u32_e32 vcc, 0, v6
	v_cmp_ne_u32_e64 s[0:1], 0, v2
	s_and_b64 s[0:1], vcc, s[0:1]
	v_cndmask_b32_e64 v2, 0, 1, s[0:1]
	v_add_u32_e32 v5, v5, v2
; %bb.1909:
	s_or_b64 exec, exec, s[8:9]
	s_mov_b64 s[0:1], 0
	global_store_byte v[0:1], v5, off
.LBB207_1910:
	s_mov_b64 s[8:9], 0
.LBB207_1911:
	s_and_b64 vcc, exec, s[8:9]
	s_cbranch_vccz .LBB207_1914
; %bb.1912:
	s_cmp_eq_u32 s14, 29
	s_mov_b64 s[0:1], -1
	s_cbranch_scc0 .LBB207_1914
; %bb.1913:
	v_cvt_f32_f16_e32 v2, v3
	v_mov_b32_e32 v5, 0
	s_mov_b64 s[0:1], 0
	v_cvt_u32_f32_e32 v4, v2
	global_store_dwordx2 v[0:1], v[4:5], off
.LBB207_1914:
	s_mov_b64 s[8:9], 0
.LBB207_1915:
	s_and_b64 vcc, exec, s[8:9]
	s_cbranch_vccz .LBB207_1930
; %bb.1916:
	s_cmp_lt_i32 s14, 27
	s_mov_b64 s[8:9], -1
	s_cbranch_scc1 .LBB207_1922
; %bb.1917:
	s_cmp_gt_i32 s14, 27
	s_cbranch_scc0 .LBB207_1919
; %bb.1918:
	v_cvt_f32_f16_e32 v2, v3
	s_mov_b64 s[8:9], 0
	v_cvt_u32_f32_e32 v2, v2
	global_store_dword v[0:1], v2, off
.LBB207_1919:
	s_andn2_b64 vcc, exec, s[8:9]
	s_cbranch_vccnz .LBB207_1921
; %bb.1920:
	v_cvt_u16_f16_e32 v2, v3
	global_store_short v[0:1], v2, off
.LBB207_1921:
	s_mov_b64 s[8:9], 0
.LBB207_1922:
	s_andn2_b64 vcc, exec, s[8:9]
	s_cbranch_vccnz .LBB207_1930
; %bb.1923:
	v_cvt_f32_f16_e32 v2, v3
	s_mov_b32 s8, 0x43800000
	v_mov_b32_e32 v5, 0x80
	v_and_b32_e32 v4, 0x7fffffff, v2
	v_cmp_gt_u32_e32 vcc, s8, v4
	s_and_saveexec_b64 s[8:9], vcc
	s_cbranch_execz .LBB207_1929
; %bb.1924:
	s_mov_b32 s10, 0x3bffffff
	v_cmp_lt_u32_e32 vcc, s10, v4
	s_mov_b64 s[10:11], 0
                                        ; implicit-def: $vgpr4
	s_and_saveexec_b64 s[12:13], vcc
	s_xor_b64 s[12:13], exec, s[12:13]
	s_cbranch_execz .LBB207_2035
; %bb.1925:
	v_bfe_u32 v4, v2, 20, 1
	s_mov_b32 s15, 0x487ffff
	v_add3_u32 v4, v2, v4, s15
	s_mov_b64 s[10:11], exec
	v_lshrrev_b32_e32 v4, 20, v4
	s_andn2_saveexec_b64 s[12:13], s[12:13]
	s_cbranch_execnz .LBB207_2036
.LBB207_1926:
	s_or_b64 exec, exec, s[12:13]
	v_mov_b32_e32 v5, 0
	s_and_saveexec_b64 s[12:13], s[10:11]
.LBB207_1927:
	v_lshrrev_b32_e32 v2, 24, v2
	s_movk_i32 s10, 0x80
	v_and_or_b32 v5, v2, s10, v4
.LBB207_1928:
	s_or_b64 exec, exec, s[12:13]
.LBB207_1929:
	s_or_b64 exec, exec, s[8:9]
	global_store_byte v[0:1], v5, off
.LBB207_1930:
	s_mov_b64 s[8:9], 0
.LBB207_1931:
	s_and_b64 vcc, exec, s[8:9]
	s_cbranch_vccz .LBB207_1971
; %bb.1932:
	s_cmp_gt_i32 s14, 22
	s_mov_b64 s[2:3], -1
	s_cbranch_scc0 .LBB207_1964
; %bb.1933:
	s_cmp_lt_i32 s14, 24
	s_cbranch_scc1 .LBB207_1953
; %bb.1934:
	s_cmp_gt_i32 s14, 24
	s_cbranch_scc0 .LBB207_1942
; %bb.1935:
	v_cvt_f32_f16_e32 v2, v3
	s_mov_b32 s2, 0x47800000
	v_mov_b32_e32 v5, 0x80
	v_and_b32_e32 v4, 0x7fffffff, v2
	v_cmp_gt_u32_e32 vcc, s2, v4
	s_and_saveexec_b64 s[2:3], vcc
	s_cbranch_execz .LBB207_1941
; %bb.1936:
	s_mov_b32 s8, 0x37ffffff
	v_cmp_lt_u32_e32 vcc, s8, v4
	s_mov_b64 s[8:9], 0
                                        ; implicit-def: $vgpr4
	s_and_saveexec_b64 s[10:11], vcc
	s_xor_b64 s[10:11], exec, s[10:11]
	s_cbranch_execz .LBB207_2038
; %bb.1937:
	v_bfe_u32 v4, v2, 21, 1
	s_mov_b32 s12, 0x88fffff
	v_add3_u32 v4, v2, v4, s12
	s_mov_b64 s[8:9], exec
	v_lshrrev_b32_e32 v4, 21, v4
	s_andn2_saveexec_b64 s[10:11], s[10:11]
	s_cbranch_execnz .LBB207_2039
.LBB207_1938:
	s_or_b64 exec, exec, s[10:11]
	v_mov_b32_e32 v5, 0
	s_and_saveexec_b64 s[10:11], s[8:9]
.LBB207_1939:
	v_lshrrev_b32_e32 v2, 24, v2
	s_movk_i32 s8, 0x80
	v_and_or_b32 v5, v2, s8, v4
.LBB207_1940:
	s_or_b64 exec, exec, s[10:11]
.LBB207_1941:
	s_or_b64 exec, exec, s[2:3]
	s_mov_b64 s[2:3], 0
	global_store_byte v[0:1], v5, off
.LBB207_1942:
	s_and_b64 vcc, exec, s[2:3]
	s_cbranch_vccz .LBB207_1952
; %bb.1943:
	v_cvt_f32_f16_e32 v2, v3
	s_mov_b32 s2, 0x43f00000
                                        ; implicit-def: $vgpr4
	v_and_b32_e32 v5, 0x7fffffff, v2
	v_cmp_gt_u32_e32 vcc, s2, v5
	s_and_saveexec_b64 s[2:3], vcc
	s_xor_b64 s[2:3], exec, s[2:3]
	s_cbranch_execz .LBB207_1949
; %bb.1944:
	s_mov_b32 s8, 0x3c7fffff
	v_cmp_lt_u32_e32 vcc, s8, v5
                                        ; implicit-def: $vgpr4
	s_and_saveexec_b64 s[8:9], vcc
	s_xor_b64 s[8:9], exec, s[8:9]
; %bb.1945:
	v_bfe_u32 v4, v2, 20, 1
	s_mov_b32 s10, 0x407ffff
	v_add3_u32 v4, v2, v4, s10
	v_lshrrev_b32_e32 v5, 20, v4
	v_and_b32_e32 v4, 0xff00000, v4
	s_mov_b32 s10, 0x7f00000
	v_mov_b32_e32 v6, 0x7e
	v_cmp_ne_u32_e32 vcc, s10, v4
	v_cndmask_b32_e32 v4, v6, v5, vcc
; %bb.1946:
	s_andn2_saveexec_b64 s[8:9], s[8:9]
; %bb.1947:
	s_mov_b32 s10, 0x46800000
	v_add_f32_e64 v4, |v2|, s10
; %bb.1948:
	s_or_b64 exec, exec, s[8:9]
                                        ; implicit-def: $vgpr5
.LBB207_1949:
	s_andn2_saveexec_b64 s[2:3], s[2:3]
; %bb.1950:
	s_mov_b32 s8, 0x7f800000
	v_mov_b32_e32 v4, 0x7e
	v_mov_b32_e32 v6, 0x7f
	v_cmp_lt_u32_e32 vcc, s8, v5
	v_cndmask_b32_e32 v4, v4, v6, vcc
; %bb.1951:
	s_or_b64 exec, exec, s[2:3]
	v_lshrrev_b32_e32 v2, 24, v2
	s_movk_i32 s2, 0x80
	v_and_or_b32 v2, v2, s2, v4
	global_store_byte v[0:1], v2, off
.LBB207_1952:
	s_mov_b64 s[2:3], 0
.LBB207_1953:
	s_andn2_b64 vcc, exec, s[2:3]
	s_cbranch_vccnz .LBB207_1963
; %bb.1954:
	v_cvt_f32_f16_e32 v2, v3
	s_mov_b32 s2, 0x47800000
                                        ; implicit-def: $vgpr4
	v_and_b32_e32 v5, 0x7fffffff, v2
	v_cmp_gt_u32_e32 vcc, s2, v5
	s_and_saveexec_b64 s[2:3], vcc
	s_xor_b64 s[2:3], exec, s[2:3]
	s_cbranch_execz .LBB207_1960
; %bb.1955:
	s_mov_b32 s8, 0x387fffff
	v_cmp_lt_u32_e32 vcc, s8, v5
                                        ; implicit-def: $vgpr4
	s_and_saveexec_b64 s[8:9], vcc
	s_xor_b64 s[8:9], exec, s[8:9]
; %bb.1956:
	v_bfe_u32 v4, v2, 21, 1
	s_mov_b32 s10, 0x80fffff
	v_add3_u32 v4, v2, v4, s10
	v_lshrrev_b32_e32 v4, 21, v4
; %bb.1957:
	s_andn2_saveexec_b64 s[8:9], s[8:9]
; %bb.1958:
	s_mov_b32 s10, 0x43000000
	v_add_f32_e64 v4, |v2|, s10
; %bb.1959:
	s_or_b64 exec, exec, s[8:9]
                                        ; implicit-def: $vgpr5
.LBB207_1960:
	s_andn2_saveexec_b64 s[2:3], s[2:3]
; %bb.1961:
	s_mov_b32 s8, 0x7f800000
	v_mov_b32_e32 v4, 0x7c
	v_mov_b32_e32 v6, 0x7f
	v_cmp_lt_u32_e32 vcc, s8, v5
	v_cndmask_b32_e32 v4, v4, v6, vcc
; %bb.1962:
	s_or_b64 exec, exec, s[2:3]
	v_lshrrev_b32_e32 v2, 24, v2
	s_movk_i32 s2, 0x80
	v_and_or_b32 v2, v2, s2, v4
	global_store_byte v[0:1], v2, off
.LBB207_1963:
	s_mov_b64 s[2:3], 0
.LBB207_1964:
	s_andn2_b64 vcc, exec, s[2:3]
	s_mov_b64 s[2:3], 0
	s_cbranch_vccnz .LBB207_1971
; %bb.1965:
	s_cmp_gt_i32 s14, 14
	s_mov_b64 s[8:9], -1
	s_cbranch_scc0 .LBB207_1969
; %bb.1966:
	s_cmp_eq_u32 s14, 15
	s_mov_b64 s[0:1], -1
	s_cbranch_scc0 .LBB207_1968
; %bb.1967:
	v_cvt_f32_f16_e32 v2, v3
	s_movk_i32 s0, 0x7fff
	v_cmp_o_f16_e32 vcc, v3, v3
	v_mov_b32_e32 v4, 0x7fc0
	v_bfe_u32 v5, v2, 16, 1
	v_add3_u32 v2, v2, v5, s0
	v_cndmask_b32_sdwa v2, v4, v2, vcc dst_sel:DWORD dst_unused:UNUSED_PAD src0_sel:DWORD src1_sel:WORD_1
	global_store_short v[0:1], v2, off
	s_mov_b64 s[0:1], 0
.LBB207_1968:
	s_mov_b64 s[8:9], 0
.LBB207_1969:
	s_and_b64 vcc, exec, s[8:9]
	s_cbranch_vccz .LBB207_1971
; %bb.1970:
	s_cmp_lg_u32 s14, 11
	s_mov_b64 s[2:3], -1
	s_cselect_b64 s[0:1], -1, 0
.LBB207_1971:
	s_and_b64 vcc, exec, s[0:1]
	s_cbranch_vccnz .LBB207_2037
.LBB207_1972:
	s_mov_b64 s[0:1], 0
	s_branch .LBB207_1974
.LBB207_1973:
	s_mov_b64 s[0:1], 0
	s_mov_b64 s[2:3], 0
                                        ; implicit-def: $sgpr22
                                        ; implicit-def: $vgpr0_vgpr1
                                        ; implicit-def: $vgpr3
.LBB207_1974:
	s_andn2_b64 s[6:7], s[6:7], exec
	s_and_b64 s[8:9], s[16:17], exec
	s_and_b64 s[0:1], s[0:1], exec
	;; [unrolled: 1-line block ×3, first 2 shown]
	s_or_b64 s[6:7], s[6:7], s[8:9]
.LBB207_1975:
	s_or_b64 exec, exec, s[4:5]
	s_and_saveexec_b64 s[4:5], s[6:7]
	s_cbranch_execz .LBB207_1978
; %bb.1976:
	; divergent unreachable
	s_or_b64 exec, exec, s[4:5]
	s_and_saveexec_b64 s[4:5], s[2:3]
	s_xor_b64 s[2:3], exec, s[4:5]
	s_cbranch_execnz .LBB207_1979
.LBB207_1977:
	s_or_b64 exec, exec, s[2:3]
	s_and_saveexec_b64 s[2:3], s[0:1]
	s_cbranch_execnz .LBB207_1980
	s_branch .LBB207_2017
.LBB207_1978:
	s_or_b64 exec, exec, s[4:5]
	s_and_saveexec_b64 s[4:5], s[2:3]
	s_xor_b64 s[2:3], exec, s[4:5]
	s_cbranch_execz .LBB207_1977
.LBB207_1979:
	s_waitcnt vmcnt(0)
	v_and_b32_e32 v2, 0x7fff, v3
	v_cmp_ne_u16_e32 vcc, 0, v2
	v_cndmask_b32_e64 v2, 0, 1, vcc
	global_store_byte v[0:1], v2, off
	s_or_b64 exec, exec, s[2:3]
	s_and_saveexec_b64 s[2:3], s[0:1]
	s_cbranch_execz .LBB207_2017
.LBB207_1980:
	s_sext_i32_i16 s2, s22
	s_cmp_lt_i32 s2, 5
	s_mov_b64 s[0:1], -1
	s_cbranch_scc1 .LBB207_2001
; %bb.1981:
	s_cmp_lt_i32 s2, 8
	s_cbranch_scc1 .LBB207_1991
; %bb.1982:
	s_cmp_lt_i32 s2, 9
	s_cbranch_scc1 .LBB207_1988
; %bb.1983:
	s_cmp_gt_i32 s2, 9
	s_cbranch_scc0 .LBB207_1985
; %bb.1984:
	s_waitcnt vmcnt(0)
	v_cvt_f32_f16_e32 v2, v3
	v_mov_b32_e32 v6, 0
	v_mov_b32_e32 v7, v6
	s_mov_b64 s[0:1], 0
	v_cvt_f64_f32_e32 v[4:5], v2
	global_store_dwordx4 v[0:1], v[4:7], off
.LBB207_1985:
	s_andn2_b64 vcc, exec, s[0:1]
	s_cbranch_vccnz .LBB207_1987
; %bb.1986:
	s_waitcnt vmcnt(0)
	v_cvt_f32_f16_e32 v4, v3
	v_mov_b32_e32 v5, 0
	global_store_dwordx2 v[0:1], v[4:5], off
.LBB207_1987:
	s_mov_b64 s[0:1], 0
.LBB207_1988:
	s_andn2_b64 vcc, exec, s[0:1]
	s_cbranch_vccnz .LBB207_1990
; %bb.1989:
	s_waitcnt vmcnt(0)
	v_and_b32_e32 v2, 0xffff, v3
	global_store_dword v[0:1], v2, off
.LBB207_1990:
	s_mov_b64 s[0:1], 0
.LBB207_1991:
	s_andn2_b64 vcc, exec, s[0:1]
	s_cbranch_vccnz .LBB207_2000
; %bb.1992:
	s_sext_i32_i16 s2, s22
	s_cmp_lt_i32 s2, 6
	s_mov_b64 s[0:1], -1
	s_cbranch_scc1 .LBB207_1998
; %bb.1993:
	s_cmp_gt_i32 s2, 6
	s_cbranch_scc0 .LBB207_1995
; %bb.1994:
	s_waitcnt vmcnt(0)
	v_cvt_f32_f16_e32 v2, v3
	s_mov_b64 s[0:1], 0
	v_cvt_f64_f32_e32 v[4:5], v2
	global_store_dwordx2 v[0:1], v[4:5], off
.LBB207_1995:
	s_andn2_b64 vcc, exec, s[0:1]
	s_cbranch_vccnz .LBB207_1997
; %bb.1996:
	s_waitcnt vmcnt(0)
	v_cvt_f32_f16_e32 v2, v3
	global_store_dword v[0:1], v2, off
.LBB207_1997:
	s_mov_b64 s[0:1], 0
.LBB207_1998:
	s_andn2_b64 vcc, exec, s[0:1]
	s_cbranch_vccnz .LBB207_2000
; %bb.1999:
	s_waitcnt vmcnt(0)
	global_store_short v[0:1], v3, off
.LBB207_2000:
	s_mov_b64 s[0:1], 0
.LBB207_2001:
	s_andn2_b64 vcc, exec, s[0:1]
	s_cbranch_vccnz .LBB207_2017
; %bb.2002:
	s_sext_i32_i16 s2, s22
	s_cmp_lt_i32 s2, 2
	s_mov_b64 s[0:1], -1
	s_cbranch_scc1 .LBB207_2012
; %bb.2003:
	s_cmp_lt_i32 s2, 3
	s_cbranch_scc1 .LBB207_2009
; %bb.2004:
	s_cmp_gt_i32 s2, 3
	s_cbranch_scc0 .LBB207_2006
; %bb.2005:
	s_waitcnt vmcnt(0)
	v_cvt_f32_f16_e32 v2, v3
	s_mov_b64 s[0:1], 0
	v_cvt_i32_f32_e32 v4, v2
	v_ashrrev_i32_e32 v5, 31, v4
	global_store_dwordx2 v[0:1], v[4:5], off
.LBB207_2006:
	s_andn2_b64 vcc, exec, s[0:1]
	s_cbranch_vccnz .LBB207_2008
; %bb.2007:
	s_waitcnt vmcnt(0)
	v_cvt_f32_f16_e32 v2, v3
	v_cvt_i32_f32_e32 v2, v2
	global_store_dword v[0:1], v2, off
.LBB207_2008:
	s_mov_b64 s[0:1], 0
.LBB207_2009:
	s_andn2_b64 vcc, exec, s[0:1]
	s_cbranch_vccnz .LBB207_2011
; %bb.2010:
	s_waitcnt vmcnt(0)
	v_cvt_i16_f16_e32 v2, v3
	global_store_short v[0:1], v2, off
.LBB207_2011:
	s_mov_b64 s[0:1], 0
.LBB207_2012:
	s_andn2_b64 vcc, exec, s[0:1]
	s_cbranch_vccnz .LBB207_2017
; %bb.2013:
	s_sext_i32_i16 s0, s22
	s_cmp_gt_i32 s0, 0
	s_mov_b64 s[0:1], -1
	s_cbranch_scc0 .LBB207_2015
; %bb.2014:
	s_waitcnt vmcnt(0)
	v_cvt_i16_f16_e32 v2, v3
	global_store_byte v[0:1], v2, off
	s_mov_b64 s[0:1], 0
.LBB207_2015:
	s_andn2_b64 vcc, exec, s[0:1]
	s_cbranch_vccnz .LBB207_2017
; %bb.2016:
	s_waitcnt vmcnt(0)
	v_cvt_f32_f16_e32 v2, v3
	v_cvt_i32_f32_e32 v2, v2
	global_store_byte v[0:1], v2, off
	s_endpgm
.LBB207_2017:
	s_endpgm
.LBB207_2018:
	s_mov_b64 s[2:3], 0
	s_mov_b64 s[0:1], -1
	s_branch .LBB207_1974
.LBB207_2019:
	s_trap 2
	s_or_b64 s[16:17], s[16:17], exec
	s_cbranch_execz .LBB207_1488
	s_branch .LBB207_1489
.LBB207_2020:
	s_andn2_saveexec_b64 s[20:21], s[20:21]
	s_cbranch_execz .LBB207_1568
.LBB207_2021:
	s_mov_b32 s23, 0x46000000
	v_add_f32_e64 v8, |v7|, s23
	v_and_b32_e32 v8, 0xff, v8
	v_cmp_ne_u32_e32 vcc, 0, v8
	s_andn2_b64 s[18:19], s[18:19], exec
	s_and_b64 s[24:25], vcc, exec
	s_or_b64 s[18:19], s[18:19], s[24:25]
	s_or_b64 exec, exec, s[20:21]
	v_mov_b32_e32 v9, 0
	s_and_saveexec_b64 s[20:21], s[18:19]
	s_cbranch_execnz .LBB207_1569
	s_branch .LBB207_1570
.LBB207_2022:
	s_trap 2
	s_or_b64 s[16:17], s[16:17], exec
	s_cbranch_execz .LBB207_1616
	s_branch .LBB207_1617
.LBB207_2023:
	s_andn2_saveexec_b64 s[18:19], s[18:19]
	s_cbranch_execz .LBB207_1581
.LBB207_2024:
	s_mov_b32 s20, 0x42800000
	v_add_f32_e64 v8, |v7|, s20
	v_and_b32_e32 v8, 0xff, v8
	v_cmp_ne_u32_e32 vcc, 0, v8
	s_andn2_b64 s[10:11], s[10:11], exec
	s_and_b64 s[20:21], vcc, exec
	s_or_b64 s[10:11], s[10:11], s[20:21]
	s_or_b64 exec, exec, s[18:19]
	v_mov_b32_e32 v9, 0
	s_and_saveexec_b64 s[18:19], s[10:11]
	s_cbranch_execnz .LBB207_1582
	s_branch .LBB207_1583
.LBB207_2025:
	s_andn2_saveexec_b64 s[18:19], s[18:19]
	s_cbranch_execz .LBB207_1687
.LBB207_2026:
	s_mov_b32 s23, 0x46000000
	v_add_f32_e64 v7, |v4|, s23
	v_and_b32_e32 v7, 0xff, v7
	v_cmp_ne_u32_e32 vcc, 0, v7
	s_andn2_b64 s[12:13], s[12:13], exec
	s_and_b64 s[24:25], vcc, exec
	s_or_b64 s[12:13], s[12:13], s[24:25]
	s_or_b64 exec, exec, s[18:19]
	v_mov_b32_e32 v8, 0
	s_and_saveexec_b64 s[18:19], s[12:13]
	s_cbranch_execnz .LBB207_1688
	s_branch .LBB207_1689
.LBB207_2027:
	s_trap 2
	s_or_b64 s[16:17], s[16:17], exec
	s_cbranch_execz .LBB207_1735
	s_branch .LBB207_1736
.LBB207_2028:
	s_andn2_saveexec_b64 s[12:13], s[12:13]
	s_cbranch_execz .LBB207_1700
.LBB207_2029:
	s_mov_b32 s18, 0x42800000
	v_add_f32_e64 v7, |v4|, s18
	v_and_b32_e32 v7, 0xff, v7
	v_cmp_ne_u32_e32 vcc, 0, v7
	s_andn2_b64 s[10:11], s[10:11], exec
	s_and_b64 s[18:19], vcc, exec
	s_or_b64 s[10:11], s[10:11], s[18:19]
	s_or_b64 exec, exec, s[12:13]
	v_mov_b32_e32 v8, 0
	s_and_saveexec_b64 s[12:13], s[10:11]
	s_cbranch_execnz .LBB207_1701
	s_branch .LBB207_1702
.LBB207_2030:
	s_andn2_saveexec_b64 s[18:19], s[18:19]
	s_cbranch_execz .LBB207_1806
.LBB207_2031:
	s_mov_b32 s23, 0x46000000
	v_add_f32_e64 v5, |v4|, s23
	v_and_b32_e32 v5, 0xff, v5
	v_cmp_ne_u32_e32 vcc, 0, v5
	s_andn2_b64 s[12:13], s[12:13], exec
	s_and_b64 s[24:25], vcc, exec
	s_or_b64 s[12:13], s[12:13], s[24:25]
	s_or_b64 exec, exec, s[18:19]
	v_mov_b32_e32 v7, 0
	s_and_saveexec_b64 s[18:19], s[12:13]
	s_cbranch_execnz .LBB207_1807
	s_branch .LBB207_1808
.LBB207_2032:
	s_trap 2
	s_or_b64 s[16:17], s[16:17], exec
	s_cbranch_execz .LBB207_1854
	s_branch .LBB207_1855
.LBB207_2033:
	s_andn2_saveexec_b64 s[12:13], s[12:13]
	s_cbranch_execz .LBB207_1819
.LBB207_2034:
	s_mov_b32 s18, 0x42800000
	v_add_f32_e64 v5, |v4|, s18
	v_and_b32_e32 v5, 0xff, v5
	v_cmp_ne_u32_e32 vcc, 0, v5
	s_andn2_b64 s[10:11], s[10:11], exec
	s_and_b64 s[18:19], vcc, exec
	s_or_b64 s[10:11], s[10:11], s[18:19]
	s_or_b64 exec, exec, s[12:13]
	v_mov_b32_e32 v7, 0
	s_and_saveexec_b64 s[12:13], s[10:11]
	s_cbranch_execnz .LBB207_1820
	s_branch .LBB207_1821
.LBB207_2035:
	s_andn2_saveexec_b64 s[12:13], s[12:13]
	s_cbranch_execz .LBB207_1926
.LBB207_2036:
	s_mov_b32 s15, 0x46000000
	v_add_f32_e64 v4, |v2|, s15
	v_and_b32_e32 v4, 0xff, v4
	v_cmp_ne_u32_e32 vcc, 0, v4
	s_andn2_b64 s[10:11], s[10:11], exec
	s_and_b64 s[18:19], vcc, exec
	s_or_b64 s[10:11], s[10:11], s[18:19]
	s_or_b64 exec, exec, s[12:13]
	v_mov_b32_e32 v5, 0
	s_and_saveexec_b64 s[12:13], s[10:11]
	s_cbranch_execnz .LBB207_1927
	s_branch .LBB207_1928
.LBB207_2037:
	s_mov_b64 s[2:3], 0
	s_or_b64 s[16:17], s[16:17], exec
	s_trap 2
	s_branch .LBB207_1972
.LBB207_2038:
	s_andn2_saveexec_b64 s[10:11], s[10:11]
	s_cbranch_execz .LBB207_1938
.LBB207_2039:
	s_mov_b32 s12, 0x42800000
	v_add_f32_e64 v4, |v2|, s12
	v_and_b32_e32 v4, 0xff, v4
	v_cmp_ne_u32_e32 vcc, 0, v4
	s_andn2_b64 s[8:9], s[8:9], exec
	s_and_b64 s[12:13], vcc, exec
	s_or_b64 s[8:9], s[8:9], s[12:13]
	s_or_b64 exec, exec, s[10:11]
	v_mov_b32_e32 v5, 0
	s_and_saveexec_b64 s[10:11], s[8:9]
	s_cbranch_execnz .LBB207_1939
	s_branch .LBB207_1940
	.section	.rodata,"a",@progbits
	.p2align	6, 0x0
	.amdhsa_kernel _ZN2at6native32elementwise_kernel_manual_unrollILi128ELi4EZNS0_15gpu_kernel_implINS0_13BUnaryFunctorIN3c104HalfES5_S5_ZNS0_12_GLOBAL__N_121threshold_kernel_implIS5_EEvRNS_18TensorIteratorBaseET_SA_EUlS5_S5_E_EEEEvS9_RKSA_EUlibE_EEviT1_
		.amdhsa_group_segment_fixed_size 0
		.amdhsa_private_segment_fixed_size 0
		.amdhsa_kernarg_size 40
		.amdhsa_user_sgpr_count 6
		.amdhsa_user_sgpr_private_segment_buffer 1
		.amdhsa_user_sgpr_dispatch_ptr 0
		.amdhsa_user_sgpr_queue_ptr 0
		.amdhsa_user_sgpr_kernarg_segment_ptr 1
		.amdhsa_user_sgpr_dispatch_id 0
		.amdhsa_user_sgpr_flat_scratch_init 0
		.amdhsa_user_sgpr_private_segment_size 0
		.amdhsa_uses_dynamic_stack 0
		.amdhsa_system_sgpr_private_segment_wavefront_offset 0
		.amdhsa_system_sgpr_workgroup_id_x 1
		.amdhsa_system_sgpr_workgroup_id_y 0
		.amdhsa_system_sgpr_workgroup_id_z 0
		.amdhsa_system_sgpr_workgroup_info 0
		.amdhsa_system_vgpr_workitem_id 0
		.amdhsa_next_free_vgpr 14
		.amdhsa_next_free_sgpr 47
		.amdhsa_reserve_vcc 1
		.amdhsa_reserve_flat_scratch 0
		.amdhsa_float_round_mode_32 0
		.amdhsa_float_round_mode_16_64 0
		.amdhsa_float_denorm_mode_32 3
		.amdhsa_float_denorm_mode_16_64 3
		.amdhsa_dx10_clamp 1
		.amdhsa_ieee_mode 1
		.amdhsa_fp16_overflow 0
		.amdhsa_exception_fp_ieee_invalid_op 0
		.amdhsa_exception_fp_denorm_src 0
		.amdhsa_exception_fp_ieee_div_zero 0
		.amdhsa_exception_fp_ieee_overflow 0
		.amdhsa_exception_fp_ieee_underflow 0
		.amdhsa_exception_fp_ieee_inexact 0
		.amdhsa_exception_int_div_zero 0
	.end_amdhsa_kernel
	.section	.text._ZN2at6native32elementwise_kernel_manual_unrollILi128ELi4EZNS0_15gpu_kernel_implINS0_13BUnaryFunctorIN3c104HalfES5_S5_ZNS0_12_GLOBAL__N_121threshold_kernel_implIS5_EEvRNS_18TensorIteratorBaseET_SA_EUlS5_S5_E_EEEEvS9_RKSA_EUlibE_EEviT1_,"axG",@progbits,_ZN2at6native32elementwise_kernel_manual_unrollILi128ELi4EZNS0_15gpu_kernel_implINS0_13BUnaryFunctorIN3c104HalfES5_S5_ZNS0_12_GLOBAL__N_121threshold_kernel_implIS5_EEvRNS_18TensorIteratorBaseET_SA_EUlS5_S5_E_EEEEvS9_RKSA_EUlibE_EEviT1_,comdat
.Lfunc_end207:
	.size	_ZN2at6native32elementwise_kernel_manual_unrollILi128ELi4EZNS0_15gpu_kernel_implINS0_13BUnaryFunctorIN3c104HalfES5_S5_ZNS0_12_GLOBAL__N_121threshold_kernel_implIS5_EEvRNS_18TensorIteratorBaseET_SA_EUlS5_S5_E_EEEEvS9_RKSA_EUlibE_EEviT1_, .Lfunc_end207-_ZN2at6native32elementwise_kernel_manual_unrollILi128ELi4EZNS0_15gpu_kernel_implINS0_13BUnaryFunctorIN3c104HalfES5_S5_ZNS0_12_GLOBAL__N_121threshold_kernel_implIS5_EEvRNS_18TensorIteratorBaseET_SA_EUlS5_S5_E_EEEEvS9_RKSA_EUlibE_EEviT1_
                                        ; -- End function
	.set _ZN2at6native32elementwise_kernel_manual_unrollILi128ELi4EZNS0_15gpu_kernel_implINS0_13BUnaryFunctorIN3c104HalfES5_S5_ZNS0_12_GLOBAL__N_121threshold_kernel_implIS5_EEvRNS_18TensorIteratorBaseET_SA_EUlS5_S5_E_EEEEvS9_RKSA_EUlibE_EEviT1_.num_vgpr, 14
	.set _ZN2at6native32elementwise_kernel_manual_unrollILi128ELi4EZNS0_15gpu_kernel_implINS0_13BUnaryFunctorIN3c104HalfES5_S5_ZNS0_12_GLOBAL__N_121threshold_kernel_implIS5_EEvRNS_18TensorIteratorBaseET_SA_EUlS5_S5_E_EEEEvS9_RKSA_EUlibE_EEviT1_.num_agpr, 0
	.set _ZN2at6native32elementwise_kernel_manual_unrollILi128ELi4EZNS0_15gpu_kernel_implINS0_13BUnaryFunctorIN3c104HalfES5_S5_ZNS0_12_GLOBAL__N_121threshold_kernel_implIS5_EEvRNS_18TensorIteratorBaseET_SA_EUlS5_S5_E_EEEEvS9_RKSA_EUlibE_EEviT1_.numbered_sgpr, 47
	.set _ZN2at6native32elementwise_kernel_manual_unrollILi128ELi4EZNS0_15gpu_kernel_implINS0_13BUnaryFunctorIN3c104HalfES5_S5_ZNS0_12_GLOBAL__N_121threshold_kernel_implIS5_EEvRNS_18TensorIteratorBaseET_SA_EUlS5_S5_E_EEEEvS9_RKSA_EUlibE_EEviT1_.num_named_barrier, 0
	.set _ZN2at6native32elementwise_kernel_manual_unrollILi128ELi4EZNS0_15gpu_kernel_implINS0_13BUnaryFunctorIN3c104HalfES5_S5_ZNS0_12_GLOBAL__N_121threshold_kernel_implIS5_EEvRNS_18TensorIteratorBaseET_SA_EUlS5_S5_E_EEEEvS9_RKSA_EUlibE_EEviT1_.private_seg_size, 0
	.set _ZN2at6native32elementwise_kernel_manual_unrollILi128ELi4EZNS0_15gpu_kernel_implINS0_13BUnaryFunctorIN3c104HalfES5_S5_ZNS0_12_GLOBAL__N_121threshold_kernel_implIS5_EEvRNS_18TensorIteratorBaseET_SA_EUlS5_S5_E_EEEEvS9_RKSA_EUlibE_EEviT1_.uses_vcc, 1
	.set _ZN2at6native32elementwise_kernel_manual_unrollILi128ELi4EZNS0_15gpu_kernel_implINS0_13BUnaryFunctorIN3c104HalfES5_S5_ZNS0_12_GLOBAL__N_121threshold_kernel_implIS5_EEvRNS_18TensorIteratorBaseET_SA_EUlS5_S5_E_EEEEvS9_RKSA_EUlibE_EEviT1_.uses_flat_scratch, 0
	.set _ZN2at6native32elementwise_kernel_manual_unrollILi128ELi4EZNS0_15gpu_kernel_implINS0_13BUnaryFunctorIN3c104HalfES5_S5_ZNS0_12_GLOBAL__N_121threshold_kernel_implIS5_EEvRNS_18TensorIteratorBaseET_SA_EUlS5_S5_E_EEEEvS9_RKSA_EUlibE_EEviT1_.has_dyn_sized_stack, 0
	.set _ZN2at6native32elementwise_kernel_manual_unrollILi128ELi4EZNS0_15gpu_kernel_implINS0_13BUnaryFunctorIN3c104HalfES5_S5_ZNS0_12_GLOBAL__N_121threshold_kernel_implIS5_EEvRNS_18TensorIteratorBaseET_SA_EUlS5_S5_E_EEEEvS9_RKSA_EUlibE_EEviT1_.has_recursion, 0
	.set _ZN2at6native32elementwise_kernel_manual_unrollILi128ELi4EZNS0_15gpu_kernel_implINS0_13BUnaryFunctorIN3c104HalfES5_S5_ZNS0_12_GLOBAL__N_121threshold_kernel_implIS5_EEvRNS_18TensorIteratorBaseET_SA_EUlS5_S5_E_EEEEvS9_RKSA_EUlibE_EEviT1_.has_indirect_call, 0
	.section	.AMDGPU.csdata,"",@progbits
; Kernel info:
; codeLenInByte = 35668
; TotalNumSgprs: 51
; NumVgprs: 14
; ScratchSize: 0
; MemoryBound: 0
; FloatMode: 240
; IeeeMode: 1
; LDSByteSize: 0 bytes/workgroup (compile time only)
; SGPRBlocks: 6
; VGPRBlocks: 3
; NumSGPRsForWavesPerEU: 51
; NumVGPRsForWavesPerEU: 14
; Occupancy: 10
; WaveLimiterHint : 0
; COMPUTE_PGM_RSRC2:SCRATCH_EN: 0
; COMPUTE_PGM_RSRC2:USER_SGPR: 6
; COMPUTE_PGM_RSRC2:TRAP_HANDLER: 0
; COMPUTE_PGM_RSRC2:TGID_X_EN: 1
; COMPUTE_PGM_RSRC2:TGID_Y_EN: 0
; COMPUTE_PGM_RSRC2:TGID_Z_EN: 0
; COMPUTE_PGM_RSRC2:TIDIG_COMP_CNT: 0
	.section	.text._ZN2at6native32elementwise_kernel_manual_unrollILi128ELi4EZNS0_15gpu_kernel_implINS0_13BUnaryFunctorIN3c104HalfES5_S5_ZNS0_12_GLOBAL__N_121threshold_kernel_implIS5_EEvRNS_18TensorIteratorBaseET_SA_EUlS5_S5_E_EEEEvS9_RKSA_EUlibE0_EEviT1_,"axG",@progbits,_ZN2at6native32elementwise_kernel_manual_unrollILi128ELi4EZNS0_15gpu_kernel_implINS0_13BUnaryFunctorIN3c104HalfES5_S5_ZNS0_12_GLOBAL__N_121threshold_kernel_implIS5_EEvRNS_18TensorIteratorBaseET_SA_EUlS5_S5_E_EEEEvS9_RKSA_EUlibE0_EEviT1_,comdat
	.globl	_ZN2at6native32elementwise_kernel_manual_unrollILi128ELi4EZNS0_15gpu_kernel_implINS0_13BUnaryFunctorIN3c104HalfES5_S5_ZNS0_12_GLOBAL__N_121threshold_kernel_implIS5_EEvRNS_18TensorIteratorBaseET_SA_EUlS5_S5_E_EEEEvS9_RKSA_EUlibE0_EEviT1_ ; -- Begin function _ZN2at6native32elementwise_kernel_manual_unrollILi128ELi4EZNS0_15gpu_kernel_implINS0_13BUnaryFunctorIN3c104HalfES5_S5_ZNS0_12_GLOBAL__N_121threshold_kernel_implIS5_EEvRNS_18TensorIteratorBaseET_SA_EUlS5_S5_E_EEEEvS9_RKSA_EUlibE0_EEviT1_
	.p2align	8
	.type	_ZN2at6native32elementwise_kernel_manual_unrollILi128ELi4EZNS0_15gpu_kernel_implINS0_13BUnaryFunctorIN3c104HalfES5_S5_ZNS0_12_GLOBAL__N_121threshold_kernel_implIS5_EEvRNS_18TensorIteratorBaseET_SA_EUlS5_S5_E_EEEEvS9_RKSA_EUlibE0_EEviT1_,@function
_ZN2at6native32elementwise_kernel_manual_unrollILi128ELi4EZNS0_15gpu_kernel_implINS0_13BUnaryFunctorIN3c104HalfES5_S5_ZNS0_12_GLOBAL__N_121threshold_kernel_implIS5_EEvRNS_18TensorIteratorBaseET_SA_EUlS5_S5_E_EEEEvS9_RKSA_EUlibE0_EEviT1_: ; @_ZN2at6native32elementwise_kernel_manual_unrollILi128ELi4EZNS0_15gpu_kernel_implINS0_13BUnaryFunctorIN3c104HalfES5_S5_ZNS0_12_GLOBAL__N_121threshold_kernel_implIS5_EEvRNS_18TensorIteratorBaseET_SA_EUlS5_S5_E_EEEEvS9_RKSA_EUlibE0_EEviT1_
; %bb.0:
	s_load_dword s72, s[4:5], 0x0
	s_load_dword s33, s[4:5], 0x8
	s_add_u32 s34, s4, 8
	s_addc_u32 s35, s5, 0
	v_lshl_or_b32 v8, s6, 9, v0
	v_or_b32_e32 v15, 0x180, v8
	s_waitcnt lgkmcnt(0)
	s_add_i32 s74, s33, -1
	s_cmp_gt_u32 s74, 1
	v_cmp_le_i32_e32 vcc, s72, v15
	s_cselect_b64 s[40:41], -1, 0
	s_mov_b64 s[6:7], 0
	s_mov_b64 s[28:29], 0
	s_and_saveexec_b64 s[0:1], vcc
	s_xor_b64 s[42:43], exec, s[0:1]
	s_cbranch_execz .LBB208_1086
; %bb.1:
	s_load_dword s0, s[4:5], 0x164
	s_cmp_lg_u32 s33, 0
	s_load_dwordx4 s[28:31], s[34:35], 0x4
	s_load_dwordx2 s[46:47], s[34:35], 0x14
	s_cselect_b64 s[52:53], -1, 0
	s_add_u32 s50, s34, 0xc4
	s_load_dwordx2 s[44:45], s[34:35], 0x158
	s_load_dwordx4 s[36:39], s[34:35], 0xc4
	s_load_dwordx4 s[24:27], s[34:35], 0x148
	s_addc_u32 s51, s35, 0
	s_min_u32 s78, s74, 15
	s_cmp_gt_u32 s33, 1
	s_cselect_b64 s[48:49], -1, 0
	s_waitcnt lgkmcnt(0)
	s_lshr_b32 s75, s0, 16
	s_lshr_b32 s77, s0, 24
	s_lshr_b32 s76, s44, 16
	v_cmp_gt_i32_e32 vcc, s72, v8
	s_mov_b64 s[2:3], -1
	s_mov_b64 s[62:63], 0
	s_mov_b64 s[56:57], 0
	;; [unrolled: 1-line block ×3, first 2 shown]
	s_and_saveexec_b64 s[58:59], vcc
	s_cbranch_execz .LBB208_266
; %bb.2:
	s_andn2_b64 vcc, exec, s[40:41]
	s_cbranch_vccnz .LBB208_7
; %bb.3:
	s_andn2_b64 vcc, exec, s[52:53]
	s_cbranch_vccnz .LBB208_8
; %bb.4:
	s_add_i32 s61, s78, 1
	s_cmp_eq_u32 s74, 2
	s_cbranch_scc1 .LBB208_9
; %bb.5:
	s_and_b32 s60, s61, 28
	v_mov_b32_e32 v2, 0
	s_mov_b32 s64, 0
	s_mov_b64 s[54:55], s[34:35]
	s_mov_b64 s[56:57], s[50:51]
	v_mov_b32_e32 v0, 0
	v_mov_b32_e32 v1, v8
.LBB208_6:                              ; =>This Inner Loop Header: Depth=1
	s_load_dwordx8 s[16:23], s[54:55], 0x4
	s_load_dwordx4 s[0:3], s[54:55], 0x24
	s_load_dwordx8 s[8:15], s[56:57], 0x0
	s_add_u32 s54, s54, 48
	s_addc_u32 s55, s55, 0
	s_waitcnt lgkmcnt(0)
	v_mul_hi_u32 v3, s17, v1
	s_add_i32 s64, s64, 4
	s_add_u32 s56, s56, 32
	s_addc_u32 s57, s57, 0
	v_add_u32_e32 v3, v1, v3
	v_lshrrev_b32_e32 v3, s18, v3
	v_mul_lo_u32 v4, v3, s16
	v_mul_hi_u32 v5, s20, v3
	s_cmp_lg_u32 s60, s64
	v_sub_u32_e32 v1, v1, v4
	v_add_u32_e32 v4, v3, v5
	v_mul_lo_u32 v5, v1, s8
	v_mul_lo_u32 v6, v1, s9
	v_lshrrev_b32_e32 v1, s21, v4
	v_mul_lo_u32 v4, v1, s19
	v_mul_hi_u32 v7, s23, v1
	v_sub_u32_e32 v3, v3, v4
	v_add_u32_e32 v4, v1, v7
	v_lshrrev_b32_e32 v4, s0, v4
	v_mul_hi_u32 v9, s2, v4
	v_mul_lo_u32 v10, v4, s22
	v_mul_lo_u32 v7, v3, s10
	;; [unrolled: 1-line block ×3, first 2 shown]
	v_sub_u32_e32 v10, v1, v10
	v_add_u32_e32 v1, v4, v9
	v_lshrrev_b32_e32 v1, s3, v1
	v_mul_lo_u32 v9, v1, s1
	v_mul_lo_u32 v11, v10, s12
	;; [unrolled: 1-line block ×3, first 2 shown]
	v_add3_u32 v0, v5, v0, v7
	v_sub_u32_e32 v4, v4, v9
	v_mul_lo_u32 v9, v4, s14
	v_mul_lo_u32 v4, v4, s15
	v_add3_u32 v2, v6, v2, v3
	v_add3_u32 v0, v11, v0, v9
	;; [unrolled: 1-line block ×3, first 2 shown]
	s_cbranch_scc1 .LBB208_6
	s_branch .LBB208_10
.LBB208_7:
                                        ; implicit-def: $vgpr0
                                        ; implicit-def: $vgpr2
	s_branch .LBB208_14
.LBB208_8:
	v_mov_b32_e32 v0, 0
	v_mov_b32_e32 v2, 0
	s_branch .LBB208_13
.LBB208_9:
	s_mov_b32 s60, 0
	v_mov_b32_e32 v0, 0
	v_mov_b32_e32 v2, 0
	;; [unrolled: 1-line block ×3, first 2 shown]
.LBB208_10:
	s_and_b32 s8, s61, 3
	s_cmp_eq_u32 s8, 0
	s_cbranch_scc1 .LBB208_13
; %bb.11:
	s_lshl_b32 s0, s60, 3
	s_add_u32 s0, s34, s0
	s_addc_u32 s1, s35, 0
	s_add_u32 s0, s0, 0xc4
	s_addc_u32 s1, s1, 0
	s_mul_i32 s2, s60, 12
	s_add_u32 s2, s34, s2
	s_addc_u32 s3, s35, 0
.LBB208_12:                             ; =>This Inner Loop Header: Depth=1
	s_load_dwordx2 s[10:11], s[2:3], 0x4
	s_load_dword s9, s[2:3], 0xc
	s_load_dwordx2 s[12:13], s[0:1], 0x0
	s_add_u32 s2, s2, 12
	s_addc_u32 s3, s3, 0
	s_waitcnt lgkmcnt(0)
	v_mul_hi_u32 v3, s11, v1
	s_add_u32 s0, s0, 8
	s_addc_u32 s1, s1, 0
	s_add_i32 s8, s8, -1
	v_add_u32_e32 v3, v1, v3
	v_lshrrev_b32_e32 v4, s9, v3
	v_mul_lo_u32 v3, v4, s10
	s_cmp_lg_u32 s8, 0
	v_sub_u32_e32 v3, v1, v3
	v_mad_u64_u32 v[0:1], s[10:11], v3, s12, v[0:1]
	v_mad_u64_u32 v[2:3], s[10:11], v3, s13, v[2:3]
	v_mov_b32_e32 v1, v4
	s_cbranch_scc1 .LBB208_12
.LBB208_13:
	s_cbranch_execnz .LBB208_16
.LBB208_14:
	v_mul_hi_u32 v0, s29, v8
	s_andn2_b64 vcc, exec, s[48:49]
	v_add_u32_e32 v0, v8, v0
	v_lshrrev_b32_e32 v1, s30, v0
	v_mul_lo_u32 v0, v1, s28
	v_sub_u32_e32 v2, v8, v0
	v_mul_lo_u32 v0, v2, s36
	v_mul_lo_u32 v2, v2, s37
	s_cbranch_vccnz .LBB208_16
; %bb.15:
	v_mul_hi_u32 v3, s46, v1
	v_add_u32_e32 v3, v1, v3
	v_lshrrev_b32_e32 v3, s47, v3
	v_mul_lo_u32 v3, v3, s31
	v_sub_u32_e32 v3, v1, v3
	v_mad_u64_u32 v[0:1], s[0:1], v3, s38, v[0:1]
	v_mad_u64_u32 v[2:3], s[0:1], v3, s39, v[2:3]
.LBB208_16:
	v_mov_b32_e32 v3, s27
	s_and_b32 s12, 0xffff, s77
	v_add_co_u32_e32 v1, vcc, s26, v2
	s_cmp_lt_i32 s12, 11
	v_addc_co_u32_e32 v2, vcc, 0, v3, vcc
	s_cbranch_scc1 .LBB208_23
; %bb.17:
	s_cmp_gt_i32 s12, 25
	s_cbranch_scc0 .LBB208_32
; %bb.18:
	s_cmp_gt_i32 s12, 28
	s_cbranch_scc0 .LBB208_35
	;; [unrolled: 3-line block ×4, first 2 shown]
; %bb.21:
	s_cmp_eq_u32 s12, 46
	s_mov_b64 s[8:9], 0
	s_cbranch_scc0 .LBB208_41
; %bb.22:
	global_load_dword v3, v[1:2], off
	s_mov_b64 s[0:1], -1
	s_mov_b64 s[2:3], 0
	s_waitcnt vmcnt(0)
	v_lshlrev_b32_e32 v3, 16, v3
	v_cvt_f16_f32_e32 v3, v3
	s_branch .LBB208_43
.LBB208_23:
	s_mov_b64 s[2:3], 0
                                        ; implicit-def: $vgpr3
	s_mov_b64 s[0:1], 0
	s_cbranch_execnz .LBB208_216
.LBB208_24:
	s_andn2_b64 vcc, exec, s[0:1]
	s_cbranch_vccnz .LBB208_263
.LBB208_25:
	v_mov_b32_e32 v1, s45
	v_mov_b32_e32 v2, s76
	s_waitcnt vmcnt(0)
	v_cmp_ge_f16_e32 vcc, s44, v3
	v_cndmask_b32_e32 v2, v1, v2, vcc
	v_mov_b32_e32 v1, s25
	s_and_b32 s14, s75, 0xff
	v_add_co_u32_e32 v0, vcc, s24, v0
	s_cmp_lt_i32 s14, 11
	v_addc_co_u32_e32 v1, vcc, 0, v1, vcc
	s_cbranch_scc1 .LBB208_33
; %bb.26:
	s_and_b32 s15, 0xffff, s14
	s_cmp_gt_i32 s15, 25
	s_cbranch_scc0 .LBB208_36
; %bb.27:
	s_cmp_gt_i32 s15, 28
	s_cbranch_scc0 .LBB208_38
; %bb.28:
	;; [unrolled: 3-line block ×4, first 2 shown]
	s_mov_b64 s[10:11], 0
	s_mov_b64 s[0:1], -1
	s_cmp_eq_u32 s15, 46
	s_mov_b64 s[8:9], 0
	s_cbranch_scc0 .LBB208_47
; %bb.31:
	v_cvt_f32_f16_e32 v3, v2
	s_movk_i32 s0, 0x7fff
	v_cmp_o_f16_e32 vcc, v2, v2
	v_mov_b32_e32 v4, 0x7fc0
	v_bfe_u32 v5, v3, 16, 1
	v_add3_u32 v3, v3, v5, s0
	v_cndmask_b32_sdwa v3, v4, v3, vcc dst_sel:DWORD dst_unused:UNUSED_PAD src0_sel:DWORD src1_sel:WORD_1
	global_store_dword v[0:1], v3, off
	s_mov_b64 s[8:9], -1
	s_mov_b64 s[0:1], 0
	s_branch .LBB208_47
.LBB208_32:
	s_mov_b64 s[2:3], 0
	s_mov_b64 s[0:1], 0
                                        ; implicit-def: $vgpr3
	s_cbranch_execnz .LBB208_181
	s_branch .LBB208_215
.LBB208_33:
	s_mov_b64 s[0:1], 0
	s_mov_b64 s[8:9], 0
	s_cbranch_execnz .LBB208_116
.LBB208_34:
	s_andn2_b64 vcc, exec, s[8:9]
	s_cbranch_vccnz .LBB208_264
	s_branch .LBB208_154
.LBB208_35:
	s_mov_b64 s[8:9], -1
	s_mov_b64 s[2:3], 0
	s_mov_b64 s[0:1], 0
                                        ; implicit-def: $vgpr3
	s_branch .LBB208_162
.LBB208_36:
	s_mov_b64 s[10:11], -1
	s_mov_b64 s[0:1], 0
	s_mov_b64 s[8:9], 0
	s_branch .LBB208_74
.LBB208_37:
	s_mov_b64 s[8:9], -1
	s_mov_b64 s[2:3], 0
	s_mov_b64 s[0:1], 0
                                        ; implicit-def: $vgpr3
	s_branch .LBB208_157
.LBB208_38:
	s_mov_b64 s[10:11], -1
	s_mov_b64 s[0:1], 0
	s_mov_b64 s[8:9], 0
	s_branch .LBB208_57
.LBB208_39:
	s_mov_b64 s[8:9], -1
	s_mov_b64 s[2:3], 0
	s_branch .LBB208_42
.LBB208_40:
	s_mov_b64 s[10:11], -1
	s_mov_b64 s[0:1], 0
	s_mov_b64 s[8:9], 0
	s_branch .LBB208_53
.LBB208_41:
	s_mov_b64 s[2:3], -1
.LBB208_42:
	s_mov_b64 s[0:1], 0
                                        ; implicit-def: $vgpr3
.LBB208_43:
	s_and_b64 vcc, exec, s[8:9]
	s_cbranch_vccz .LBB208_156
; %bb.44:
	s_cmp_eq_u32 s12, 44
	s_cbranch_scc0 .LBB208_155
; %bb.45:
	global_load_ubyte v3, v[1:2], off
	s_movk_i32 s2, 0xff
	v_mov_b32_e32 v5, 0x7e00
	s_mov_b64 s[0:1], -1
	s_waitcnt vmcnt(0)
	v_lshlrev_b32_e32 v4, 23, v3
	v_cvt_f16_f32_e32 v4, v4
	v_cmp_ne_u32_e32 vcc, s2, v3
	s_mov_b64 s[2:3], 0
	v_cndmask_b32_e32 v4, v5, v4, vcc
	v_cmp_ne_u32_e32 vcc, 0, v3
	v_cndmask_b32_e32 v3, 0, v4, vcc
	s_branch .LBB208_156
.LBB208_46:
	s_mov_b64 s[10:11], -1
	s_mov_b64 s[0:1], 0
	s_mov_b64 s[8:9], 0
.LBB208_47:
	s_and_b64 vcc, exec, s[10:11]
	s_cbranch_vccz .LBB208_52
; %bb.48:
	s_cmp_eq_u32 s15, 44
	s_mov_b64 s[0:1], -1
	s_cbranch_scc0 .LBB208_52
; %bb.49:
	v_cvt_f32_f16_e32 v3, v2
	s_movk_i32 s0, 0xff
	v_mov_b32_e32 v5, 0xff
	v_bfe_u32 v4, v3, 23, 8
	v_cmp_ne_u32_e32 vcc, s0, v4
	s_and_saveexec_b64 s[8:9], vcc
; %bb.50:
	s_mov_b32 s0, 0x3fffff
	v_lshrrev_b32_e32 v5, 23, v3
	v_and_b32_e32 v6, 0x400000, v3
	v_and_or_b32 v3, v3, s0, v4
	v_cmp_ne_u32_e32 vcc, 0, v6
	v_cmp_ne_u32_e64 s[0:1], 0, v3
	s_and_b64 s[0:1], vcc, s[0:1]
	v_cndmask_b32_e64 v3, 0, 1, s[0:1]
	v_add_u32_e32 v5, v5, v3
; %bb.51:
	s_or_b64 exec, exec, s[8:9]
	s_mov_b64 s[8:9], -1
	s_mov_b64 s[0:1], 0
	global_store_byte v[0:1], v5, off
.LBB208_52:
	s_mov_b64 s[10:11], 0
.LBB208_53:
	s_and_b64 vcc, exec, s[10:11]
	s_cbranch_vccz .LBB208_56
; %bb.54:
	s_cmp_eq_u32 s15, 29
	s_mov_b64 s[0:1], -1
	s_cbranch_scc0 .LBB208_56
; %bb.55:
	v_cvt_f32_f16_e32 v3, v2
	v_mov_b32_e32 v4, 0
	s_mov_b64 s[8:9], -1
	s_mov_b64 s[0:1], 0
	v_cvt_u32_f32_e32 v3, v3
	s_mov_b64 s[10:11], 0
	global_store_dwordx2 v[0:1], v[3:4], off
	s_branch .LBB208_57
.LBB208_56:
	s_mov_b64 s[10:11], 0
.LBB208_57:
	s_and_b64 vcc, exec, s[10:11]
	s_cbranch_vccz .LBB208_73
; %bb.58:
	s_cmp_lt_i32 s15, 27
	s_mov_b64 s[8:9], -1
	s_cbranch_scc1 .LBB208_64
; %bb.59:
	s_cmp_gt_i32 s15, 27
	s_cbranch_scc0 .LBB208_61
; %bb.60:
	v_cvt_f32_f16_e32 v3, v2
	s_mov_b64 s[8:9], 0
	v_cvt_u32_f32_e32 v3, v3
	global_store_dword v[0:1], v3, off
.LBB208_61:
	s_andn2_b64 vcc, exec, s[8:9]
	s_cbranch_vccnz .LBB208_63
; %bb.62:
	v_cvt_u16_f16_e32 v3, v2
	global_store_short v[0:1], v3, off
.LBB208_63:
	s_mov_b64 s[8:9], 0
.LBB208_64:
	s_andn2_b64 vcc, exec, s[8:9]
	s_cbranch_vccnz .LBB208_72
; %bb.65:
	v_cvt_f32_f16_e32 v3, v2
	s_mov_b32 s8, 0x43800000
	v_mov_b32_e32 v5, 0x80
	v_and_b32_e32 v4, 0x7fffffff, v3
	v_cmp_gt_u32_e32 vcc, s8, v4
	s_and_saveexec_b64 s[8:9], vcc
	s_cbranch_execz .LBB208_71
; %bb.66:
	s_mov_b32 s10, 0x3bffffff
	v_cmp_lt_u32_e32 vcc, s10, v4
	s_mov_b64 s[10:11], 0
                                        ; implicit-def: $vgpr4
	s_and_saveexec_b64 s[12:13], vcc
	s_xor_b64 s[12:13], exec, s[12:13]
	s_cbranch_execz .LBB208_307
; %bb.67:
	v_bfe_u32 v4, v3, 20, 1
	s_mov_b32 s16, 0x487ffff
	v_add3_u32 v4, v3, v4, s16
	s_mov_b64 s[10:11], exec
	v_lshrrev_b32_e32 v4, 20, v4
	s_andn2_saveexec_b64 s[12:13], s[12:13]
	s_cbranch_execnz .LBB208_308
.LBB208_68:
	s_or_b64 exec, exec, s[12:13]
	v_mov_b32_e32 v5, 0
	s_and_saveexec_b64 s[12:13], s[10:11]
.LBB208_69:
	v_lshrrev_b32_e32 v3, 24, v3
	s_movk_i32 s10, 0x80
	v_and_or_b32 v5, v3, s10, v4
.LBB208_70:
	s_or_b64 exec, exec, s[12:13]
.LBB208_71:
	s_or_b64 exec, exec, s[8:9]
	global_store_byte v[0:1], v5, off
.LBB208_72:
	s_mov_b64 s[8:9], -1
.LBB208_73:
	s_mov_b64 s[10:11], 0
.LBB208_74:
	s_and_b64 vcc, exec, s[10:11]
	s_cbranch_vccz .LBB208_115
; %bb.75:
	s_cmp_gt_i32 s15, 22
	s_mov_b64 s[10:11], -1
	s_cbranch_scc0 .LBB208_107
; %bb.76:
	s_cmp_lt_i32 s15, 24
	s_mov_b64 s[8:9], -1
	s_cbranch_scc1 .LBB208_96
; %bb.77:
	s_cmp_gt_i32 s15, 24
	s_cbranch_scc0 .LBB208_85
; %bb.78:
	v_cvt_f32_f16_e32 v3, v2
	s_mov_b32 s8, 0x47800000
	v_mov_b32_e32 v5, 0x80
	v_and_b32_e32 v4, 0x7fffffff, v3
	v_cmp_gt_u32_e32 vcc, s8, v4
	s_and_saveexec_b64 s[8:9], vcc
	s_cbranch_execz .LBB208_84
; %bb.79:
	s_mov_b32 s10, 0x37ffffff
	v_cmp_lt_u32_e32 vcc, s10, v4
	s_mov_b64 s[10:11], 0
                                        ; implicit-def: $vgpr4
	s_and_saveexec_b64 s[12:13], vcc
	s_xor_b64 s[12:13], exec, s[12:13]
	s_cbranch_execz .LBB208_311
; %bb.80:
	v_bfe_u32 v4, v3, 21, 1
	s_mov_b32 s16, 0x88fffff
	v_add3_u32 v4, v3, v4, s16
	s_mov_b64 s[10:11], exec
	v_lshrrev_b32_e32 v4, 21, v4
	s_andn2_saveexec_b64 s[12:13], s[12:13]
	s_cbranch_execnz .LBB208_312
.LBB208_81:
	s_or_b64 exec, exec, s[12:13]
	v_mov_b32_e32 v5, 0
	s_and_saveexec_b64 s[12:13], s[10:11]
.LBB208_82:
	v_lshrrev_b32_e32 v3, 24, v3
	s_movk_i32 s10, 0x80
	v_and_or_b32 v5, v3, s10, v4
.LBB208_83:
	s_or_b64 exec, exec, s[12:13]
.LBB208_84:
	s_or_b64 exec, exec, s[8:9]
	s_mov_b64 s[8:9], 0
	global_store_byte v[0:1], v5, off
.LBB208_85:
	s_and_b64 vcc, exec, s[8:9]
	s_cbranch_vccz .LBB208_95
; %bb.86:
	v_cvt_f32_f16_e32 v3, v2
	s_mov_b32 s8, 0x43f00000
                                        ; implicit-def: $vgpr4
	v_and_b32_e32 v5, 0x7fffffff, v3
	v_cmp_gt_u32_e32 vcc, s8, v5
	s_and_saveexec_b64 s[8:9], vcc
	s_xor_b64 s[8:9], exec, s[8:9]
	s_cbranch_execz .LBB208_92
; %bb.87:
	s_mov_b32 s10, 0x3c7fffff
	v_cmp_lt_u32_e32 vcc, s10, v5
                                        ; implicit-def: $vgpr4
	s_and_saveexec_b64 s[10:11], vcc
	s_xor_b64 s[10:11], exec, s[10:11]
; %bb.88:
	v_bfe_u32 v4, v3, 20, 1
	s_mov_b32 s12, 0x407ffff
	v_add3_u32 v4, v3, v4, s12
	v_lshrrev_b32_e32 v5, 20, v4
	v_and_b32_e32 v4, 0xff00000, v4
	s_mov_b32 s12, 0x7f00000
	v_mov_b32_e32 v6, 0x7e
	v_cmp_ne_u32_e32 vcc, s12, v4
	v_cndmask_b32_e32 v4, v6, v5, vcc
; %bb.89:
	s_andn2_saveexec_b64 s[10:11], s[10:11]
; %bb.90:
	s_mov_b32 s12, 0x46800000
	v_add_f32_e64 v4, |v3|, s12
; %bb.91:
	s_or_b64 exec, exec, s[10:11]
                                        ; implicit-def: $vgpr5
.LBB208_92:
	s_andn2_saveexec_b64 s[8:9], s[8:9]
; %bb.93:
	s_mov_b32 s10, 0x7f800000
	v_mov_b32_e32 v4, 0x7e
	v_mov_b32_e32 v6, 0x7f
	v_cmp_lt_u32_e32 vcc, s10, v5
	v_cndmask_b32_e32 v4, v4, v6, vcc
; %bb.94:
	s_or_b64 exec, exec, s[8:9]
	v_lshrrev_b32_e32 v3, 24, v3
	s_movk_i32 s8, 0x80
	v_and_or_b32 v3, v3, s8, v4
	global_store_byte v[0:1], v3, off
.LBB208_95:
	s_mov_b64 s[8:9], 0
.LBB208_96:
	s_andn2_b64 vcc, exec, s[8:9]
	s_cbranch_vccnz .LBB208_106
; %bb.97:
	v_cvt_f32_f16_e32 v3, v2
	s_mov_b32 s8, 0x47800000
                                        ; implicit-def: $vgpr4
	v_and_b32_e32 v5, 0x7fffffff, v3
	v_cmp_gt_u32_e32 vcc, s8, v5
	s_and_saveexec_b64 s[8:9], vcc
	s_xor_b64 s[8:9], exec, s[8:9]
	s_cbranch_execz .LBB208_103
; %bb.98:
	s_mov_b32 s10, 0x387fffff
	v_cmp_lt_u32_e32 vcc, s10, v5
                                        ; implicit-def: $vgpr4
	s_and_saveexec_b64 s[10:11], vcc
	s_xor_b64 s[10:11], exec, s[10:11]
; %bb.99:
	v_bfe_u32 v4, v3, 21, 1
	s_mov_b32 s12, 0x80fffff
	v_add3_u32 v4, v3, v4, s12
	v_lshrrev_b32_e32 v4, 21, v4
; %bb.100:
	s_andn2_saveexec_b64 s[10:11], s[10:11]
; %bb.101:
	s_mov_b32 s12, 0x43000000
	v_add_f32_e64 v4, |v3|, s12
; %bb.102:
	s_or_b64 exec, exec, s[10:11]
                                        ; implicit-def: $vgpr5
.LBB208_103:
	s_andn2_saveexec_b64 s[8:9], s[8:9]
; %bb.104:
	s_mov_b32 s10, 0x7f800000
	v_mov_b32_e32 v4, 0x7c
	v_mov_b32_e32 v6, 0x7f
	v_cmp_lt_u32_e32 vcc, s10, v5
	v_cndmask_b32_e32 v4, v4, v6, vcc
; %bb.105:
	s_or_b64 exec, exec, s[8:9]
	v_lshrrev_b32_e32 v3, 24, v3
	s_movk_i32 s8, 0x80
	v_and_or_b32 v3, v3, s8, v4
	global_store_byte v[0:1], v3, off
.LBB208_106:
	s_mov_b64 s[10:11], 0
	s_mov_b64 s[8:9], -1
.LBB208_107:
	s_andn2_b64 vcc, exec, s[10:11]
	s_cbranch_vccnz .LBB208_115
; %bb.108:
	s_cmp_gt_i32 s15, 14
	s_mov_b64 s[10:11], -1
	s_cbranch_scc0 .LBB208_112
; %bb.109:
	s_cmp_eq_u32 s15, 15
	s_mov_b64 s[0:1], -1
	s_cbranch_scc0 .LBB208_111
; %bb.110:
	v_cvt_f32_f16_e32 v3, v2
	s_movk_i32 s0, 0x7fff
	v_cmp_o_f16_e32 vcc, v2, v2
	v_mov_b32_e32 v4, 0x7fc0
	v_bfe_u32 v5, v3, 16, 1
	v_add3_u32 v3, v3, v5, s0
	v_cndmask_b32_sdwa v3, v4, v3, vcc dst_sel:DWORD dst_unused:UNUSED_PAD src0_sel:DWORD src1_sel:WORD_1
	global_store_short v[0:1], v3, off
	s_mov_b64 s[8:9], -1
	s_mov_b64 s[0:1], 0
.LBB208_111:
	s_mov_b64 s[10:11], 0
.LBB208_112:
	s_and_b64 vcc, exec, s[10:11]
	s_cbranch_vccz .LBB208_115
; %bb.113:
	s_cmp_eq_u32 s15, 11
	s_mov_b64 s[0:1], -1
	s_cbranch_scc0 .LBB208_115
; %bb.114:
	v_and_b32_e32 v3, 0x7fff, v2
	v_cmp_ne_u16_e32 vcc, 0, v3
	v_cndmask_b32_e64 v3, 0, 1, vcc
	s_mov_b64 s[8:9], -1
	s_mov_b64 s[0:1], 0
	global_store_byte v[0:1], v3, off
.LBB208_115:
	s_branch .LBB208_34
.LBB208_116:
	s_and_b32 s10, 0xffff, s14
	s_cmp_lt_i32 s10, 5
	s_mov_b64 s[8:9], -1
	s_cbranch_scc1 .LBB208_137
; %bb.117:
	s_cmp_lt_i32 s10, 8
	s_cbranch_scc1 .LBB208_127
; %bb.118:
	s_cmp_lt_i32 s10, 9
	s_cbranch_scc1 .LBB208_124
; %bb.119:
	s_cmp_gt_i32 s10, 9
	s_cbranch_scc0 .LBB208_121
; %bb.120:
	v_cvt_f32_f16_e32 v3, v2
	v_mov_b32_e32 v5, 0
	v_mov_b32_e32 v6, v5
	s_mov_b64 s[8:9], 0
	v_cvt_f64_f32_e32 v[3:4], v3
	global_store_dwordx4 v[0:1], v[3:6], off
.LBB208_121:
	s_andn2_b64 vcc, exec, s[8:9]
	s_cbranch_vccnz .LBB208_123
; %bb.122:
	v_cvt_f32_f16_e32 v3, v2
	v_mov_b32_e32 v4, 0
	global_store_dwordx2 v[0:1], v[3:4], off
.LBB208_123:
	s_mov_b64 s[8:9], 0
.LBB208_124:
	s_andn2_b64 vcc, exec, s[8:9]
	s_cbranch_vccnz .LBB208_126
; %bb.125:
	v_and_b32_e32 v3, 0xffff, v2
	global_store_dword v[0:1], v3, off
.LBB208_126:
	s_mov_b64 s[8:9], 0
.LBB208_127:
	s_andn2_b64 vcc, exec, s[8:9]
	s_cbranch_vccnz .LBB208_136
; %bb.128:
	s_cmp_lt_i32 s10, 6
	s_mov_b64 s[8:9], -1
	s_cbranch_scc1 .LBB208_134
; %bb.129:
	s_cmp_gt_i32 s10, 6
	s_cbranch_scc0 .LBB208_131
; %bb.130:
	v_cvt_f32_f16_e32 v3, v2
	s_mov_b64 s[8:9], 0
	v_cvt_f64_f32_e32 v[3:4], v3
	global_store_dwordx2 v[0:1], v[3:4], off
.LBB208_131:
	s_andn2_b64 vcc, exec, s[8:9]
	s_cbranch_vccnz .LBB208_133
; %bb.132:
	v_cvt_f32_f16_e32 v3, v2
	global_store_dword v[0:1], v3, off
.LBB208_133:
	s_mov_b64 s[8:9], 0
.LBB208_134:
	s_andn2_b64 vcc, exec, s[8:9]
	s_cbranch_vccnz .LBB208_136
; %bb.135:
	global_store_short v[0:1], v2, off
.LBB208_136:
	s_mov_b64 s[8:9], 0
.LBB208_137:
	s_andn2_b64 vcc, exec, s[8:9]
	s_cbranch_vccnz .LBB208_153
; %bb.138:
	s_cmp_lt_i32 s10, 2
	s_mov_b64 s[8:9], -1
	s_cbranch_scc1 .LBB208_148
; %bb.139:
	s_cmp_lt_i32 s10, 3
	s_cbranch_scc1 .LBB208_145
; %bb.140:
	s_cmp_gt_i32 s10, 3
	s_cbranch_scc0 .LBB208_142
; %bb.141:
	v_cvt_f32_f16_e32 v3, v2
	s_mov_b64 s[8:9], 0
	v_cvt_i32_f32_e32 v3, v3
	v_ashrrev_i32_e32 v4, 31, v3
	global_store_dwordx2 v[0:1], v[3:4], off
.LBB208_142:
	s_andn2_b64 vcc, exec, s[8:9]
	s_cbranch_vccnz .LBB208_144
; %bb.143:
	v_cvt_f32_f16_e32 v3, v2
	v_cvt_i32_f32_e32 v3, v3
	global_store_dword v[0:1], v3, off
.LBB208_144:
	s_mov_b64 s[8:9], 0
.LBB208_145:
	s_andn2_b64 vcc, exec, s[8:9]
	s_cbranch_vccnz .LBB208_147
; %bb.146:
	v_cvt_i16_f16_e32 v3, v2
	global_store_short v[0:1], v3, off
.LBB208_147:
	s_mov_b64 s[8:9], 0
.LBB208_148:
	s_andn2_b64 vcc, exec, s[8:9]
	s_cbranch_vccnz .LBB208_153
; %bb.149:
	s_cmp_gt_i32 s10, 0
	s_mov_b64 s[8:9], -1
	s_cbranch_scc0 .LBB208_151
; %bb.150:
	v_cvt_i16_f16_e32 v3, v2
	global_store_byte v[0:1], v3, off
	s_mov_b64 s[8:9], 0
.LBB208_151:
	s_andn2_b64 vcc, exec, s[8:9]
	s_cbranch_vccnz .LBB208_153
; %bb.152:
	v_cvt_f32_f16_e32 v2, v2
	v_cvt_i32_f32_e32 v2, v2
	global_store_byte v[0:1], v2, off
.LBB208_153:
.LBB208_154:
	v_add_u32_e32 v8, 0x80, v8
	s_mov_b64 s[8:9], -1
	s_branch .LBB208_265
.LBB208_155:
	s_mov_b64 s[2:3], -1
                                        ; implicit-def: $vgpr3
.LBB208_156:
	s_mov_b64 s[8:9], 0
.LBB208_157:
	s_and_b64 vcc, exec, s[8:9]
	s_cbranch_vccz .LBB208_161
; %bb.158:
	s_cmp_eq_u32 s12, 29
	s_cbranch_scc0 .LBB208_160
; %bb.159:
	global_load_dwordx2 v[3:4], v[1:2], off
	s_mov_b64 s[0:1], -1
	s_mov_b64 s[2:3], 0
	s_mov_b64 s[8:9], 0
	s_waitcnt vmcnt(0)
	v_ffbh_u32_e32 v5, v4
	v_min_u32_e32 v5, 32, v5
	v_lshlrev_b64 v[3:4], v5, v[3:4]
	v_min_u32_e32 v3, 1, v3
	v_or_b32_e32 v3, v4, v3
	v_cvt_f32_u32_e32 v3, v3
	v_sub_u32_e32 v4, 32, v5
	v_ldexp_f32 v3, v3, v4
	v_cvt_f16_f32_e32 v3, v3
	s_branch .LBB208_162
.LBB208_160:
	s_mov_b64 s[2:3], -1
                                        ; implicit-def: $vgpr3
.LBB208_161:
	s_mov_b64 s[8:9], 0
.LBB208_162:
	s_and_b64 vcc, exec, s[8:9]
	s_cbranch_vccz .LBB208_180
; %bb.163:
	s_cmp_lt_i32 s12, 27
	s_cbranch_scc1 .LBB208_166
; %bb.164:
	s_cmp_gt_i32 s12, 27
	s_cbranch_scc0 .LBB208_167
; %bb.165:
	global_load_dword v3, v[1:2], off
	s_mov_b64 s[0:1], 0
	s_waitcnt vmcnt(0)
	v_cvt_f32_u32_e32 v3, v3
	v_cvt_f16_f32_e32 v3, v3
	s_branch .LBB208_168
.LBB208_166:
	s_mov_b64 s[0:1], -1
                                        ; implicit-def: $vgpr3
	s_branch .LBB208_171
.LBB208_167:
	s_mov_b64 s[0:1], -1
                                        ; implicit-def: $vgpr3
.LBB208_168:
	s_andn2_b64 vcc, exec, s[0:1]
	s_cbranch_vccnz .LBB208_170
; %bb.169:
	global_load_ushort v3, v[1:2], off
	s_waitcnt vmcnt(0)
	v_cvt_f16_u16_e32 v3, v3
.LBB208_170:
	s_mov_b64 s[0:1], 0
.LBB208_171:
	s_andn2_b64 vcc, exec, s[0:1]
	s_cbranch_vccnz .LBB208_179
; %bb.172:
	global_load_ubyte v4, v[1:2], off
	s_movk_i32 s0, 0x7f
	s_waitcnt vmcnt(0)
	v_cmp_lt_i16_e32 vcc, s0, v4
	s_mov_b64 s[0:1], 0
	s_and_saveexec_b64 s[8:9], vcc
	s_xor_b64 s[8:9], exec, s[8:9]
	s_cbranch_execz .LBB208_192
; %bb.173:
	s_movk_i32 s0, 0x80
	v_cmp_eq_u16_e32 vcc, s0, v4
	s_mov_b64 s[0:1], -1
	s_and_saveexec_b64 s[10:11], vcc
; %bb.174:
	s_xor_b64 s[0:1], exec, -1
; %bb.175:
	s_or_b64 exec, exec, s[10:11]
	s_and_b64 s[0:1], s[0:1], exec
	s_or_saveexec_b64 s[8:9], s[8:9]
	v_mov_b32_e32 v3, 0x7e00
	s_xor_b64 exec, exec, s[8:9]
	s_cbranch_execnz .LBB208_193
.LBB208_176:
	s_or_b64 exec, exec, s[8:9]
	s_and_saveexec_b64 s[8:9], s[0:1]
	s_cbranch_execz .LBB208_178
.LBB208_177:
	v_lshlrev_b32_e32 v3, 24, v4
	v_and_b32_e32 v4, 0xffff, v4
	v_and_b32_e32 v5, 7, v4
	v_ffbh_u32_e32 v7, v5
	v_min_u32_e32 v7, 32, v7
	v_subrev_u32_e32 v9, 28, v7
	v_bfe_u32 v6, v4, 3, 4
	v_lshlrev_b32_e32 v4, v9, v4
	v_sub_u32_e32 v7, 29, v7
	v_and_b32_e32 v4, 7, v4
	v_cmp_eq_u32_e32 vcc, 0, v6
	v_cndmask_b32_e32 v6, v6, v7, vcc
	v_cndmask_b32_e32 v4, v5, v4, vcc
	v_mov_b32_e32 v5, 0x3b800000
	v_lshlrev_b32_e32 v4, 20, v4
	v_and_b32_e32 v3, 0x80000000, v3
	v_lshl_add_u32 v5, v6, 23, v5
	v_or3_b32 v3, v3, v5, v4
	v_cvt_f16_f32_e32 v3, v3
.LBB208_178:
	s_or_b64 exec, exec, s[8:9]
.LBB208_179:
	s_mov_b64 s[0:1], -1
.LBB208_180:
	s_branch .LBB208_215
.LBB208_181:
	s_cmp_gt_i32 s12, 22
	s_cbranch_scc0 .LBB208_191
; %bb.182:
	s_cmp_lt_i32 s12, 24
	s_cbranch_scc1 .LBB208_194
; %bb.183:
	s_cmp_gt_i32 s12, 24
	s_cbranch_scc0 .LBB208_195
; %bb.184:
	global_load_ubyte v4, v[1:2], off
	s_movk_i32 s0, 0x7f
	s_waitcnt vmcnt(0)
	v_cmp_lt_i16_e32 vcc, s0, v4
	s_mov_b64 s[0:1], 0
	s_and_saveexec_b64 s[8:9], vcc
	s_xor_b64 s[8:9], exec, s[8:9]
	s_cbranch_execz .LBB208_207
; %bb.185:
	s_movk_i32 s0, 0x80
	v_cmp_eq_u16_e32 vcc, s0, v4
	s_mov_b64 s[0:1], -1
	s_and_saveexec_b64 s[10:11], vcc
; %bb.186:
	s_xor_b64 s[0:1], exec, -1
; %bb.187:
	s_or_b64 exec, exec, s[10:11]
	s_and_b64 s[0:1], s[0:1], exec
	s_or_saveexec_b64 s[8:9], s[8:9]
	v_mov_b32_e32 v3, 0x7e00
	s_xor_b64 exec, exec, s[8:9]
	s_cbranch_execnz .LBB208_208
.LBB208_188:
	s_or_b64 exec, exec, s[8:9]
	s_and_saveexec_b64 s[8:9], s[0:1]
	s_cbranch_execz .LBB208_190
.LBB208_189:
	v_lshlrev_b32_e32 v3, 24, v4
	v_and_b32_e32 v4, 0xffff, v4
	v_and_b32_e32 v5, 3, v4
	v_ffbh_u32_e32 v7, v5
	v_min_u32_e32 v7, 32, v7
	v_subrev_u32_e32 v9, 29, v7
	v_bfe_u32 v6, v4, 2, 5
	v_lshlrev_b32_e32 v4, v9, v4
	v_sub_u32_e32 v7, 30, v7
	v_and_b32_e32 v4, 3, v4
	v_cmp_eq_u32_e32 vcc, 0, v6
	v_cndmask_b32_e32 v6, v6, v7, vcc
	v_cndmask_b32_e32 v4, v5, v4, vcc
	v_mov_b32_e32 v5, 0x37800000
	v_lshlrev_b32_e32 v4, 21, v4
	v_and_b32_e32 v3, 0x80000000, v3
	v_lshl_add_u32 v5, v6, 23, v5
	v_or3_b32 v3, v3, v5, v4
	v_cvt_f16_f32_e32 v3, v3
.LBB208_190:
	s_or_b64 exec, exec, s[8:9]
	s_mov_b64 s[0:1], 0
	s_branch .LBB208_196
.LBB208_191:
	s_mov_b64 s[8:9], -1
                                        ; implicit-def: $vgpr3
	s_branch .LBB208_202
.LBB208_192:
	s_or_saveexec_b64 s[8:9], s[8:9]
	v_mov_b32_e32 v3, 0x7e00
	s_xor_b64 exec, exec, s[8:9]
	s_cbranch_execz .LBB208_176
.LBB208_193:
	v_cmp_ne_u16_e32 vcc, 0, v4
	s_andn2_b64 s[0:1], s[0:1], exec
	s_and_b64 s[10:11], vcc, exec
	s_or_b64 s[0:1], s[0:1], s[10:11]
	v_mov_b32_e32 v3, v4
	s_or_b64 exec, exec, s[8:9]
	s_and_saveexec_b64 s[8:9], s[0:1]
	s_cbranch_execnz .LBB208_177
	s_branch .LBB208_178
.LBB208_194:
	s_mov_b64 s[0:1], -1
                                        ; implicit-def: $vgpr3
	s_branch .LBB208_199
.LBB208_195:
	s_mov_b64 s[0:1], -1
                                        ; implicit-def: $vgpr3
.LBB208_196:
	s_and_b64 vcc, exec, s[0:1]
	s_cbranch_vccz .LBB208_198
; %bb.197:
	global_load_ubyte v3, v[1:2], off
	s_mov_b32 s0, 0x7f800000
	s_waitcnt vmcnt(0)
	v_lshlrev_b32_e32 v3, 24, v3
	v_and_b32_e32 v4, 0x7f000000, v3
	v_ffbh_u32_e32 v5, v4
	v_min_u32_e32 v5, 32, v5
	v_sub_u32_e64 v5, v5, 4 clamp
	v_lshlrev_b32_e32 v7, v5, v4
	v_lshlrev_b32_e32 v5, 23, v5
	v_lshrrev_b32_e32 v7, 4, v7
	v_add_u32_e32 v6, 0x1000000, v4
	v_sub_u32_e32 v5, v7, v5
	v_ashrrev_i32_e32 v6, 8, v6
	v_add_u32_e32 v5, 0x3c000000, v5
	v_and_or_b32 v5, v6, s0, v5
	v_cmp_ne_u32_e32 vcc, 0, v4
	v_cndmask_b32_e32 v4, 0, v5, vcc
	s_brev_b32 s0, 1
	v_and_or_b32 v3, v3, s0, v4
	v_cvt_f16_f32_e32 v3, v3
.LBB208_198:
	s_mov_b64 s[0:1], 0
.LBB208_199:
	s_andn2_b64 vcc, exec, s[0:1]
	s_cbranch_vccnz .LBB208_201
; %bb.200:
	global_load_ubyte v3, v[1:2], off
	s_movk_i32 s0, 0x7f00
	s_brev_b32 s1, 16
	s_waitcnt vmcnt(0)
	v_lshlrev_b16_e32 v4, 8, v3
	v_lshlrev_b32_e32 v3, 25, v3
	v_lshrrev_b32_e32 v5, 4, v3
	v_and_or_b32 v6, v4, s0, 0.5
	v_or_b32_e32 v5, 0x70000000, v5
	v_add_f32_e32 v6, -0.5, v6
	v_mul_f32_e32 v5, 0x7800000, v5
	v_cmp_gt_u32_e32 vcc, s1, v3
	v_bfe_i32 v4, v4, 0, 16
	v_cndmask_b32_e32 v3, v5, v6, vcc
	s_brev_b32 s0, 1
	v_and_or_b32 v3, v4, s0, v3
	v_cvt_f16_f32_e32 v3, v3
.LBB208_201:
	s_mov_b64 s[8:9], 0
	s_mov_b64 s[0:1], -1
.LBB208_202:
	s_andn2_b64 vcc, exec, s[8:9]
	s_cbranch_vccnz .LBB208_215
; %bb.203:
	s_cmp_gt_i32 s12, 14
	s_cbranch_scc0 .LBB208_206
; %bb.204:
	s_cmp_eq_u32 s12, 15
	s_cbranch_scc0 .LBB208_209
; %bb.205:
	global_load_ushort v3, v[1:2], off
	s_mov_b64 s[0:1], -1
	s_mov_b64 s[2:3], 0
	s_waitcnt vmcnt(0)
	v_lshlrev_b32_e32 v3, 16, v3
	v_cvt_f16_f32_e32 v3, v3
	s_branch .LBB208_210
.LBB208_206:
	s_mov_b64 s[8:9], -1
                                        ; implicit-def: $vgpr3
	s_branch .LBB208_211
.LBB208_207:
	s_or_saveexec_b64 s[8:9], s[8:9]
	v_mov_b32_e32 v3, 0x7e00
	s_xor_b64 exec, exec, s[8:9]
	s_cbranch_execz .LBB208_188
.LBB208_208:
	v_cmp_ne_u16_e32 vcc, 0, v4
	s_andn2_b64 s[0:1], s[0:1], exec
	s_and_b64 s[10:11], vcc, exec
	s_or_b64 s[0:1], s[0:1], s[10:11]
	v_mov_b32_e32 v3, v4
	s_or_b64 exec, exec, s[8:9]
	s_and_saveexec_b64 s[8:9], s[0:1]
	s_cbranch_execnz .LBB208_189
	s_branch .LBB208_190
.LBB208_209:
	s_mov_b64 s[2:3], -1
                                        ; implicit-def: $vgpr3
.LBB208_210:
	s_mov_b64 s[8:9], 0
.LBB208_211:
	s_and_b64 vcc, exec, s[8:9]
	s_cbranch_vccz .LBB208_215
; %bb.212:
	s_cmp_eq_u32 s12, 11
	s_cbranch_scc0 .LBB208_214
; %bb.213:
	global_load_ubyte v3, v[1:2], off
	v_mov_b32_e32 v4, 0x3c00
	s_mov_b64 s[0:1], -1
	s_mov_b64 s[2:3], 0
	s_waitcnt vmcnt(0)
	v_cmp_ne_u16_e32 vcc, 0, v3
	v_cndmask_b32_e32 v3, 0, v4, vcc
	s_branch .LBB208_215
.LBB208_214:
	s_mov_b64 s[2:3], -1
                                        ; implicit-def: $vgpr3
.LBB208_215:
	s_branch .LBB208_24
.LBB208_216:
	s_cmp_lt_i32 s12, 5
	s_cbranch_scc1 .LBB208_221
; %bb.217:
	s_cmp_lt_i32 s12, 8
	s_cbranch_scc1 .LBB208_222
; %bb.218:
	s_cmp_lt_i32 s12, 9
	s_cbranch_scc1 .LBB208_223
; %bb.219:
	s_cmp_gt_i32 s12, 9
	s_cbranch_scc0 .LBB208_224
; %bb.220:
	global_load_dwordx2 v[3:4], v[1:2], off
	s_movk_i32 s0, 0x1ff
	s_movk_i32 s1, 0xffe
	v_mov_b32_e32 v5, 0x7c00
	v_mov_b32_e32 v6, 0x7e00
	s_movk_i32 s8, 0x40f
	s_mov_b32 s9, 0x8000
	s_waitcnt vmcnt(0)
	v_and_or_b32 v3, v4, s0, v3
	v_cmp_ne_u32_e32 vcc, 0, v3
	v_lshrrev_b32_e32 v7, 8, v4
	v_bfe_u32 v9, v4, 20, 11
	v_cndmask_b32_e64 v3, 0, 1, vcc
	v_sub_u32_e32 v10, 0x3f1, v9
	v_and_or_b32 v3, v7, s1, v3
	v_add_u32_e32 v9, 0xfffffc10, v9
	v_med3_i32 v7, v10, 0, 13
	v_or_b32_e32 v10, 0x1000, v3
	v_cmp_ne_u32_e32 vcc, 0, v3
	v_lshl_or_b32 v11, v9, 12, v3
	v_cndmask_b32_e32 v3, v5, v6, vcc
	v_lshrrev_b32_e32 v6, v7, v10
	v_lshlrev_b32_e32 v7, v7, v6
	v_cmp_ne_u32_e32 vcc, v7, v10
	v_cndmask_b32_e64 v7, 0, 1, vcc
	v_or_b32_e32 v6, v6, v7
	v_cmp_gt_i32_e32 vcc, 1, v9
	v_cndmask_b32_e32 v6, v11, v6, vcc
	v_and_b32_e32 v7, 7, v6
	v_cmp_lt_i32_e32 vcc, 5, v7
	v_cndmask_b32_e64 v10, 0, 1, vcc
	v_cmp_eq_u32_e32 vcc, 3, v7
	v_cndmask_b32_e64 v7, 0, 1, vcc
	v_lshrrev_b32_e32 v6, 2, v6
	v_or_b32_e32 v7, v7, v10
	v_add_u32_e32 v6, v6, v7
	v_cmp_gt_i32_e32 vcc, 31, v9
	v_cndmask_b32_e32 v5, v5, v6, vcc
	v_cmp_eq_u32_e32 vcc, s8, v9
	v_lshrrev_b32_e32 v4, 16, v4
	v_cndmask_b32_e32 v3, v5, v3, vcc
	v_and_or_b32 v3, v4, s9, v3
	s_mov_b64 s[0:1], 0
	s_branch .LBB208_225
.LBB208_221:
                                        ; implicit-def: $vgpr3
	s_branch .LBB208_243
.LBB208_222:
	s_mov_b64 s[0:1], -1
                                        ; implicit-def: $vgpr3
	s_branch .LBB208_231
.LBB208_223:
	s_mov_b64 s[0:1], -1
                                        ; implicit-def: $vgpr3
	s_branch .LBB208_228
.LBB208_224:
	s_mov_b64 s[0:1], -1
                                        ; implicit-def: $vgpr3
.LBB208_225:
	s_andn2_b64 vcc, exec, s[0:1]
	s_cbranch_vccnz .LBB208_227
; %bb.226:
	global_load_dword v3, v[1:2], off
	s_waitcnt vmcnt(0)
	v_cvt_f16_f32_e32 v3, v3
.LBB208_227:
	s_mov_b64 s[0:1], 0
.LBB208_228:
	s_andn2_b64 vcc, exec, s[0:1]
	s_cbranch_vccnz .LBB208_230
; %bb.229:
	global_load_dword v3, v[1:2], off
.LBB208_230:
	s_mov_b64 s[0:1], 0
.LBB208_231:
	s_andn2_b64 vcc, exec, s[0:1]
	s_cbranch_vccnz .LBB208_242
; %bb.232:
	s_cmp_lt_i32 s12, 6
	s_cbranch_scc1 .LBB208_235
; %bb.233:
	s_cmp_gt_i32 s12, 6
	s_cbranch_scc0 .LBB208_236
; %bb.234:
	global_load_dwordx2 v[3:4], v[1:2], off
	s_movk_i32 s0, 0x1ff
	s_movk_i32 s1, 0xffe
	v_mov_b32_e32 v5, 0x7c00
	v_mov_b32_e32 v6, 0x7e00
	s_movk_i32 s8, 0x40f
	s_mov_b32 s9, 0x8000
	s_waitcnt vmcnt(0)
	v_and_or_b32 v3, v4, s0, v3
	v_cmp_ne_u32_e32 vcc, 0, v3
	v_lshrrev_b32_e32 v7, 8, v4
	v_bfe_u32 v9, v4, 20, 11
	v_cndmask_b32_e64 v3, 0, 1, vcc
	v_sub_u32_e32 v10, 0x3f1, v9
	v_and_or_b32 v3, v7, s1, v3
	v_add_u32_e32 v9, 0xfffffc10, v9
	v_med3_i32 v7, v10, 0, 13
	v_or_b32_e32 v10, 0x1000, v3
	v_cmp_ne_u32_e32 vcc, 0, v3
	v_lshl_or_b32 v11, v9, 12, v3
	v_cndmask_b32_e32 v3, v5, v6, vcc
	v_lshrrev_b32_e32 v6, v7, v10
	v_lshlrev_b32_e32 v7, v7, v6
	v_cmp_ne_u32_e32 vcc, v7, v10
	v_cndmask_b32_e64 v7, 0, 1, vcc
	v_or_b32_e32 v6, v6, v7
	v_cmp_gt_i32_e32 vcc, 1, v9
	v_cndmask_b32_e32 v6, v11, v6, vcc
	v_and_b32_e32 v7, 7, v6
	v_cmp_lt_i32_e32 vcc, 5, v7
	v_cndmask_b32_e64 v10, 0, 1, vcc
	v_cmp_eq_u32_e32 vcc, 3, v7
	v_cndmask_b32_e64 v7, 0, 1, vcc
	v_lshrrev_b32_e32 v6, 2, v6
	v_or_b32_e32 v7, v7, v10
	v_add_u32_e32 v6, v6, v7
	v_cmp_gt_i32_e32 vcc, 31, v9
	v_cndmask_b32_e32 v5, v5, v6, vcc
	v_cmp_eq_u32_e32 vcc, s8, v9
	v_lshrrev_b32_e32 v4, 16, v4
	v_cndmask_b32_e32 v3, v5, v3, vcc
	v_and_or_b32 v3, v4, s9, v3
	s_mov_b64 s[0:1], 0
	s_branch .LBB208_237
.LBB208_235:
	s_mov_b64 s[0:1], -1
                                        ; implicit-def: $vgpr3
	s_branch .LBB208_240
.LBB208_236:
	s_mov_b64 s[0:1], -1
                                        ; implicit-def: $vgpr3
.LBB208_237:
	s_andn2_b64 vcc, exec, s[0:1]
	s_cbranch_vccnz .LBB208_239
; %bb.238:
	global_load_dword v3, v[1:2], off
	s_waitcnt vmcnt(0)
	v_cvt_f16_f32_e32 v3, v3
.LBB208_239:
	s_mov_b64 s[0:1], 0
.LBB208_240:
	s_andn2_b64 vcc, exec, s[0:1]
	s_cbranch_vccnz .LBB208_242
; %bb.241:
	global_load_ushort v3, v[1:2], off
.LBB208_242:
	s_cbranch_execnz .LBB208_262
.LBB208_243:
	s_cmp_lt_i32 s12, 2
	s_cbranch_scc1 .LBB208_247
; %bb.244:
	s_cmp_lt_i32 s12, 3
	s_cbranch_scc1 .LBB208_248
; %bb.245:
	s_cmp_gt_i32 s12, 3
	s_cbranch_scc0 .LBB208_249
; %bb.246:
	global_load_dwordx2 v[3:4], v[1:2], off
	s_mov_b64 s[0:1], 0
	s_waitcnt vmcnt(0)
	v_xor_b32_e32 v6, v3, v4
	v_ffbh_i32_e32 v5, v4
	v_ashrrev_i32_e32 v6, 31, v6
	v_add_u32_e32 v5, -1, v5
	v_add_u32_e32 v6, 32, v6
	v_min_u32_e32 v5, v5, v6
	v_lshlrev_b64 v[3:4], v5, v[3:4]
	v_min_u32_e32 v3, 1, v3
	v_or_b32_e32 v3, v4, v3
	v_cvt_f32_i32_e32 v3, v3
	v_sub_u32_e32 v4, 32, v5
	v_ldexp_f32 v3, v3, v4
	v_cvt_f16_f32_e32 v3, v3
	s_branch .LBB208_250
.LBB208_247:
	s_mov_b64 s[0:1], -1
                                        ; implicit-def: $vgpr3
	s_branch .LBB208_256
.LBB208_248:
	s_mov_b64 s[0:1], -1
                                        ; implicit-def: $vgpr3
	s_branch .LBB208_253
.LBB208_249:
	s_mov_b64 s[0:1], -1
                                        ; implicit-def: $vgpr3
.LBB208_250:
	s_andn2_b64 vcc, exec, s[0:1]
	s_cbranch_vccnz .LBB208_252
; %bb.251:
	global_load_dword v3, v[1:2], off
	s_waitcnt vmcnt(0)
	v_cvt_f32_i32_e32 v3, v3
	v_cvt_f16_f32_e32 v3, v3
.LBB208_252:
	s_mov_b64 s[0:1], 0
.LBB208_253:
	s_andn2_b64 vcc, exec, s[0:1]
	s_cbranch_vccnz .LBB208_255
; %bb.254:
	global_load_ushort v3, v[1:2], off
	s_waitcnt vmcnt(0)
	v_cvt_f16_i16_e32 v3, v3
.LBB208_255:
	s_mov_b64 s[0:1], 0
.LBB208_256:
	s_andn2_b64 vcc, exec, s[0:1]
	s_cbranch_vccnz .LBB208_262
; %bb.257:
	s_cmp_gt_i32 s12, 0
	s_cbranch_scc0 .LBB208_259
; %bb.258:
	global_load_sbyte v3, v[1:2], off
	s_mov_b64 s[0:1], 0
	s_waitcnt vmcnt(0)
	v_cvt_f16_i16_e32 v3, v3
	s_branch .LBB208_260
.LBB208_259:
	s_mov_b64 s[0:1], -1
                                        ; implicit-def: $vgpr3
.LBB208_260:
	s_andn2_b64 vcc, exec, s[0:1]
	s_cbranch_vccnz .LBB208_262
; %bb.261:
	global_load_ubyte v1, v[1:2], off
	s_waitcnt vmcnt(0)
	v_cvt_f16_u16_e32 v3, v1
.LBB208_262:
	s_branch .LBB208_25
.LBB208_263:
	s_mov_b64 s[0:1], 0
.LBB208_264:
	s_mov_b64 s[8:9], 0
                                        ; implicit-def: $vgpr8
.LBB208_265:
	s_and_b64 s[54:55], s[0:1], exec
	s_and_b64 s[56:57], s[2:3], exec
	s_orn2_b64 s[2:3], s[8:9], exec
.LBB208_266:
	s_or_b64 exec, exec, s[58:59]
	s_mov_b64 s[10:11], 0
	s_mov_b64 s[0:1], 0
                                        ; implicit-def: $vgpr1_vgpr2
                                        ; implicit-def: $vgpr0
                                        ; implicit-def: $vgpr4
	s_and_saveexec_b64 s[58:59], s[2:3]
	s_cbranch_execz .LBB208_273
; %bb.267:
	v_cmp_gt_i32_e32 vcc, s72, v8
	s_mov_b64 s[0:1], -1
	s_mov_b64 s[60:61], s[56:57]
	s_mov_b64 s[62:63], s[54:55]
	s_and_saveexec_b64 s[64:65], vcc
	s_cbranch_execz .LBB208_542
; %bb.268:
	s_andn2_b64 vcc, exec, s[40:41]
	s_cbranch_vccnz .LBB208_276
; %bb.269:
	s_andn2_b64 vcc, exec, s[52:53]
	s_cbranch_vccnz .LBB208_277
; %bb.270:
	s_add_i32 s67, s78, 1
	s_cmp_eq_u32 s74, 2
	s_cbranch_scc1 .LBB208_278
; %bb.271:
	s_and_b32 s66, s67, 28
	v_mov_b32_e32 v2, 0
	s_mov_b32 s68, 0
	s_mov_b64 s[60:61], s[34:35]
	s_mov_b64 s[62:63], s[50:51]
	v_mov_b32_e32 v0, 0
	v_mov_b32_e32 v1, v8
.LBB208_272:                            ; =>This Inner Loop Header: Depth=1
	s_load_dwordx8 s[16:23], s[60:61], 0x4
	s_load_dwordx4 s[0:3], s[60:61], 0x24
	s_load_dwordx8 s[8:15], s[62:63], 0x0
	s_add_u32 s60, s60, 48
	s_addc_u32 s61, s61, 0
	s_waitcnt vmcnt(0) lgkmcnt(0)
	v_mul_hi_u32 v3, s17, v1
	s_add_i32 s68, s68, 4
	s_add_u32 s62, s62, 32
	s_addc_u32 s63, s63, 0
	v_add_u32_e32 v3, v1, v3
	v_lshrrev_b32_e32 v3, s18, v3
	v_mul_lo_u32 v4, v3, s16
	v_mul_hi_u32 v5, s20, v3
	s_cmp_eq_u32 s66, s68
	v_sub_u32_e32 v1, v1, v4
	v_add_u32_e32 v4, v3, v5
	v_mul_lo_u32 v5, v1, s8
	v_mul_lo_u32 v6, v1, s9
	v_lshrrev_b32_e32 v1, s21, v4
	v_mul_lo_u32 v4, v1, s19
	v_mul_hi_u32 v7, s23, v1
	v_sub_u32_e32 v3, v3, v4
	v_add_u32_e32 v4, v1, v7
	v_lshrrev_b32_e32 v4, s0, v4
	v_mul_hi_u32 v9, s2, v4
	v_mul_lo_u32 v10, v4, s22
	v_mul_lo_u32 v7, v3, s10
	;; [unrolled: 1-line block ×3, first 2 shown]
	v_sub_u32_e32 v10, v1, v10
	v_add_u32_e32 v1, v4, v9
	v_lshrrev_b32_e32 v1, s3, v1
	v_mul_lo_u32 v9, v1, s1
	v_mul_lo_u32 v11, v10, s12
	;; [unrolled: 1-line block ×3, first 2 shown]
	v_add3_u32 v0, v5, v0, v7
	v_sub_u32_e32 v4, v4, v9
	v_mul_lo_u32 v9, v4, s14
	v_mul_lo_u32 v4, v4, s15
	v_add3_u32 v2, v6, v2, v3
	v_add3_u32 v0, v11, v0, v9
	;; [unrolled: 1-line block ×3, first 2 shown]
	s_cbranch_scc0 .LBB208_272
	s_branch .LBB208_279
.LBB208_273:
	s_or_b64 exec, exec, s[58:59]
	s_mov_b64 s[2:3], 0
	s_and_saveexec_b64 s[8:9], s[56:57]
	s_cbranch_execnz .LBB208_918
.LBB208_274:
	s_or_b64 exec, exec, s[8:9]
	s_and_saveexec_b64 s[8:9], s[62:63]
	s_xor_b64 s[8:9], exec, s[8:9]
	s_cbranch_execz .LBB208_919
.LBB208_275:
	global_load_ubyte v3, v[1:2], off
	v_mov_b32_e32 v4, 0x3c00
	s_or_b64 s[0:1], s[0:1], exec
	s_waitcnt vmcnt(0)
	v_cmp_ne_u16_e32 vcc, 0, v3
	v_cndmask_b32_e32 v4, 0, v4, vcc
	s_or_b64 exec, exec, s[8:9]
	s_and_saveexec_b64 s[8:9], s[10:11]
	s_cbranch_execz .LBB208_965
	s_branch .LBB208_920
.LBB208_276:
                                        ; implicit-def: $vgpr0
                                        ; implicit-def: $vgpr2
	s_andn2_b64 vcc, exec, s[0:1]
	s_cbranch_vccz .LBB208_283
	s_branch .LBB208_285
.LBB208_277:
	v_mov_b32_e32 v0, 0
	v_mov_b32_e32 v2, 0
	s_branch .LBB208_282
.LBB208_278:
	s_mov_b32 s66, 0
	v_mov_b32_e32 v0, 0
	v_mov_b32_e32 v2, 0
	;; [unrolled: 1-line block ×3, first 2 shown]
.LBB208_279:
	s_and_b32 s8, s67, 3
	s_cmp_eq_u32 s8, 0
	s_cbranch_scc1 .LBB208_282
; %bb.280:
	s_lshl_b32 s0, s66, 3
	s_add_u32 s0, s34, s0
	s_addc_u32 s1, s35, 0
	s_add_u32 s0, s0, 0xc4
	s_addc_u32 s1, s1, 0
	s_mul_i32 s2, s66, 12
	s_add_u32 s2, s34, s2
	s_addc_u32 s3, s35, 0
.LBB208_281:                            ; =>This Inner Loop Header: Depth=1
	s_load_dwordx2 s[10:11], s[2:3], 0x4
	s_load_dword s9, s[2:3], 0xc
	s_load_dwordx2 s[12:13], s[0:1], 0x0
	s_add_u32 s2, s2, 12
	s_addc_u32 s3, s3, 0
	s_waitcnt vmcnt(0) lgkmcnt(0)
	v_mul_hi_u32 v3, s11, v1
	s_add_u32 s0, s0, 8
	s_addc_u32 s1, s1, 0
	s_add_i32 s8, s8, -1
	v_add_u32_e32 v3, v1, v3
	v_lshrrev_b32_e32 v4, s9, v3
	v_mul_lo_u32 v3, v4, s10
	s_cmp_lg_u32 s8, 0
	v_sub_u32_e32 v3, v1, v3
	v_mad_u64_u32 v[0:1], s[10:11], v3, s12, v[0:1]
	v_mad_u64_u32 v[2:3], s[10:11], v3, s13, v[2:3]
	v_mov_b32_e32 v1, v4
	s_cbranch_scc1 .LBB208_281
.LBB208_282:
	s_cbranch_execnz .LBB208_285
.LBB208_283:
	v_mul_hi_u32 v0, s29, v8
	s_andn2_b64 vcc, exec, s[48:49]
	v_add_u32_e32 v0, v8, v0
	v_lshrrev_b32_e32 v1, s30, v0
	v_mul_lo_u32 v0, v1, s28
	v_sub_u32_e32 v2, v8, v0
	v_mul_lo_u32 v0, v2, s36
	v_mul_lo_u32 v2, v2, s37
	s_cbranch_vccnz .LBB208_285
; %bb.284:
	s_waitcnt vmcnt(0)
	v_mul_hi_u32 v3, s46, v1
	v_add_u32_e32 v3, v1, v3
	v_lshrrev_b32_e32 v3, s47, v3
	v_mul_lo_u32 v3, v3, s31
	v_sub_u32_e32 v3, v1, v3
	v_mad_u64_u32 v[0:1], s[0:1], v3, s38, v[0:1]
	v_mad_u64_u32 v[2:3], s[0:1], v3, s39, v[2:3]
.LBB208_285:
	s_waitcnt vmcnt(0)
	v_mov_b32_e32 v3, s27
	s_and_b32 s12, 0xffff, s77
	v_add_co_u32_e32 v1, vcc, s26, v2
	s_cmp_lt_i32 s12, 11
	v_addc_co_u32_e32 v2, vcc, 0, v3, vcc
	s_cbranch_scc1 .LBB208_292
; %bb.286:
	s_cmp_gt_i32 s12, 25
	s_cbranch_scc0 .LBB208_301
; %bb.287:
	s_cmp_gt_i32 s12, 28
	s_cbranch_scc0 .LBB208_303
	;; [unrolled: 3-line block ×4, first 2 shown]
; %bb.290:
	s_cmp_eq_u32 s12, 46
	s_mov_b64 s[8:9], 0
	s_cbranch_scc0 .LBB208_313
; %bb.291:
	global_load_dword v3, v[1:2], off
	s_mov_b64 s[0:1], -1
	s_mov_b64 s[2:3], 0
	s_waitcnt vmcnt(0)
	v_lshlrev_b32_e32 v3, 16, v3
	v_cvt_f16_f32_e32 v3, v3
	s_branch .LBB208_314
.LBB208_292:
	s_mov_b64 s[0:1], 0
                                        ; implicit-def: $vgpr3
	s_mov_b64 s[2:3], s[56:57]
	s_cbranch_execnz .LBB208_491
.LBB208_293:
	s_andn2_b64 vcc, exec, s[0:1]
	s_cbranch_vccnz .LBB208_539
.LBB208_294:
	v_mov_b32_e32 v1, s45
	v_mov_b32_e32 v2, s76
	s_waitcnt vmcnt(0)
	v_cmp_ge_f16_e32 vcc, s44, v3
	v_cndmask_b32_e32 v2, v1, v2, vcc
	v_mov_b32_e32 v1, s25
	s_and_b32 s14, s75, 0xff
	v_add_co_u32_e32 v0, vcc, s24, v0
	s_cmp_lt_i32 s14, 11
	v_addc_co_u32_e32 v1, vcc, 0, v1, vcc
	s_cbranch_scc1 .LBB208_302
; %bb.295:
	s_and_b32 s15, 0xffff, s14
	s_cmp_gt_i32 s15, 25
	s_cbranch_scc0 .LBB208_304
; %bb.296:
	s_cmp_gt_i32 s15, 28
	s_cbranch_scc0 .LBB208_306
; %bb.297:
	;; [unrolled: 3-line block ×4, first 2 shown]
	s_mov_b64 s[10:11], 0
	s_mov_b64 s[0:1], -1
	s_cmp_eq_u32 s15, 46
	s_mov_b64 s[8:9], 0
	s_cbranch_scc0 .LBB208_318
; %bb.300:
	v_cvt_f32_f16_e32 v3, v2
	s_movk_i32 s0, 0x7fff
	v_cmp_o_f16_e32 vcc, v2, v2
	v_mov_b32_e32 v4, 0x7fc0
	v_bfe_u32 v5, v3, 16, 1
	v_add3_u32 v3, v3, v5, s0
	v_cndmask_b32_sdwa v3, v4, v3, vcc dst_sel:DWORD dst_unused:UNUSED_PAD src0_sel:DWORD src1_sel:WORD_1
	global_store_dword v[0:1], v3, off
	s_mov_b64 s[8:9], -1
	s_mov_b64 s[0:1], 0
	s_branch .LBB208_318
.LBB208_301:
	s_mov_b64 s[8:9], -1
	s_mov_b64 s[0:1], 0
	s_mov_b64 s[2:3], s[56:57]
                                        ; implicit-def: $vgpr3
	s_branch .LBB208_455
.LBB208_302:
	s_mov_b64 s[10:11], -1
	s_mov_b64 s[8:9], 0
	s_mov_b64 s[0:1], s[54:55]
	s_branch .LBB208_387
.LBB208_303:
	s_mov_b64 s[8:9], -1
	s_mov_b64 s[0:1], 0
	s_mov_b64 s[2:3], s[56:57]
                                        ; implicit-def: $vgpr3
	s_branch .LBB208_436
.LBB208_304:
	s_mov_b64 s[10:11], -1
	s_mov_b64 s[8:9], 0
	s_mov_b64 s[0:1], s[54:55]
	s_branch .LBB208_345
.LBB208_305:
	s_mov_b64 s[8:9], -1
	s_mov_b64 s[0:1], 0
	s_mov_b64 s[2:3], s[56:57]
                                        ; implicit-def: $vgpr3
	s_branch .LBB208_431
.LBB208_306:
	s_mov_b64 s[10:11], -1
	s_mov_b64 s[8:9], 0
	s_mov_b64 s[0:1], s[54:55]
	s_branch .LBB208_328
.LBB208_307:
	s_andn2_saveexec_b64 s[12:13], s[12:13]
	s_cbranch_execz .LBB208_68
.LBB208_308:
	s_mov_b32 s16, 0x46000000
	v_add_f32_e64 v4, |v3|, s16
	v_and_b32_e32 v4, 0xff, v4
	v_cmp_ne_u32_e32 vcc, 0, v4
	s_andn2_b64 s[10:11], s[10:11], exec
	s_and_b64 s[16:17], vcc, exec
	s_or_b64 s[10:11], s[10:11], s[16:17]
	s_or_b64 exec, exec, s[12:13]
	v_mov_b32_e32 v5, 0
	s_and_saveexec_b64 s[12:13], s[10:11]
	s_cbranch_execnz .LBB208_69
	s_branch .LBB208_70
.LBB208_309:
	s_mov_b64 s[8:9], -1
	s_mov_b64 s[0:1], 0
	s_mov_b64 s[2:3], s[56:57]
                                        ; implicit-def: $vgpr3
	s_branch .LBB208_314
.LBB208_310:
	s_mov_b64 s[10:11], -1
	s_mov_b64 s[8:9], 0
	s_mov_b64 s[0:1], s[54:55]
	s_branch .LBB208_324
.LBB208_311:
	s_andn2_saveexec_b64 s[12:13], s[12:13]
	s_cbranch_execz .LBB208_81
.LBB208_312:
	s_mov_b32 s16, 0x42800000
	v_add_f32_e64 v4, |v3|, s16
	v_and_b32_e32 v4, 0xff, v4
	v_cmp_ne_u32_e32 vcc, 0, v4
	s_andn2_b64 s[10:11], s[10:11], exec
	s_and_b64 s[16:17], vcc, exec
	s_or_b64 s[10:11], s[10:11], s[16:17]
	s_or_b64 exec, exec, s[12:13]
	v_mov_b32_e32 v5, 0
	s_and_saveexec_b64 s[12:13], s[10:11]
	s_cbranch_execnz .LBB208_82
	s_branch .LBB208_83
.LBB208_313:
	s_mov_b64 s[2:3], -1
                                        ; implicit-def: $vgpr3
	s_mov_b64 s[0:1], 0
.LBB208_314:
	s_and_b64 vcc, exec, s[8:9]
	s_cbranch_vccz .LBB208_430
; %bb.315:
	s_cmp_eq_u32 s12, 44
	s_cbranch_scc0 .LBB208_429
; %bb.316:
	global_load_ubyte v3, v[1:2], off
	s_movk_i32 s2, 0xff
	v_mov_b32_e32 v5, 0x7e00
	s_mov_b64 s[0:1], -1
	s_waitcnt vmcnt(0)
	v_lshlrev_b32_e32 v4, 23, v3
	v_cvt_f16_f32_e32 v4, v4
	v_cmp_ne_u32_e32 vcc, s2, v3
	s_mov_b64 s[2:3], 0
	v_cndmask_b32_e32 v4, v5, v4, vcc
	v_cmp_ne_u32_e32 vcc, 0, v3
	v_cndmask_b32_e32 v3, 0, v4, vcc
	s_branch .LBB208_430
.LBB208_317:
	s_mov_b64 s[10:11], -1
	s_mov_b64 s[8:9], 0
	s_mov_b64 s[0:1], s[54:55]
.LBB208_318:
	s_and_b64 vcc, exec, s[10:11]
	s_cbranch_vccz .LBB208_323
; %bb.319:
	s_cmp_eq_u32 s15, 44
	s_mov_b64 s[0:1], -1
	s_cbranch_scc0 .LBB208_323
; %bb.320:
	v_cvt_f32_f16_e32 v3, v2
	s_movk_i32 s0, 0xff
	v_mov_b32_e32 v5, 0xff
	v_bfe_u32 v4, v3, 23, 8
	v_cmp_ne_u32_e32 vcc, s0, v4
	s_and_saveexec_b64 s[8:9], vcc
; %bb.321:
	s_mov_b32 s0, 0x3fffff
	v_lshrrev_b32_e32 v5, 23, v3
	v_and_b32_e32 v6, 0x400000, v3
	v_and_or_b32 v3, v3, s0, v4
	v_cmp_ne_u32_e32 vcc, 0, v6
	v_cmp_ne_u32_e64 s[0:1], 0, v3
	s_and_b64 s[0:1], vcc, s[0:1]
	v_cndmask_b32_e64 v3, 0, 1, s[0:1]
	v_add_u32_e32 v5, v5, v3
; %bb.322:
	s_or_b64 exec, exec, s[8:9]
	s_mov_b64 s[8:9], -1
	s_mov_b64 s[0:1], 0
	global_store_byte v[0:1], v5, off
.LBB208_323:
	s_mov_b64 s[10:11], 0
.LBB208_324:
	s_and_b64 vcc, exec, s[10:11]
	s_cbranch_vccz .LBB208_327
; %bb.325:
	s_cmp_eq_u32 s15, 29
	s_mov_b64 s[0:1], -1
	s_cbranch_scc0 .LBB208_327
; %bb.326:
	v_cvt_f32_f16_e32 v3, v2
	v_mov_b32_e32 v4, 0
	s_mov_b64 s[8:9], -1
	s_mov_b64 s[0:1], 0
	v_cvt_u32_f32_e32 v3, v3
	s_mov_b64 s[10:11], 0
	global_store_dwordx2 v[0:1], v[3:4], off
	s_branch .LBB208_328
.LBB208_327:
	s_mov_b64 s[10:11], 0
.LBB208_328:
	s_and_b64 vcc, exec, s[10:11]
	s_cbranch_vccz .LBB208_344
; %bb.329:
	s_cmp_lt_i32 s15, 27
	s_mov_b64 s[8:9], -1
	s_cbranch_scc1 .LBB208_335
; %bb.330:
	s_cmp_gt_i32 s15, 27
	s_cbranch_scc0 .LBB208_332
; %bb.331:
	v_cvt_f32_f16_e32 v3, v2
	s_mov_b64 s[8:9], 0
	v_cvt_u32_f32_e32 v3, v3
	global_store_dword v[0:1], v3, off
.LBB208_332:
	s_andn2_b64 vcc, exec, s[8:9]
	s_cbranch_vccnz .LBB208_334
; %bb.333:
	v_cvt_u16_f16_e32 v3, v2
	global_store_short v[0:1], v3, off
.LBB208_334:
	s_mov_b64 s[8:9], 0
.LBB208_335:
	s_andn2_b64 vcc, exec, s[8:9]
	s_cbranch_vccnz .LBB208_343
; %bb.336:
	v_cvt_f32_f16_e32 v3, v2
	s_mov_b32 s8, 0x43800000
	v_mov_b32_e32 v5, 0x80
	v_and_b32_e32 v4, 0x7fffffff, v3
	v_cmp_gt_u32_e32 vcc, s8, v4
	s_and_saveexec_b64 s[8:9], vcc
	s_cbranch_execz .LBB208_342
; %bb.337:
	s_mov_b32 s10, 0x3bffffff
	v_cmp_lt_u32_e32 vcc, s10, v4
	s_mov_b64 s[10:11], 0
                                        ; implicit-def: $vgpr4
	s_and_saveexec_b64 s[12:13], vcc
	s_xor_b64 s[12:13], exec, s[12:13]
	s_cbranch_execz .LBB208_570
; %bb.338:
	v_bfe_u32 v4, v3, 20, 1
	s_mov_b32 s16, 0x487ffff
	v_add3_u32 v4, v3, v4, s16
	s_mov_b64 s[10:11], exec
	v_lshrrev_b32_e32 v4, 20, v4
	s_andn2_saveexec_b64 s[12:13], s[12:13]
	s_cbranch_execnz .LBB208_571
.LBB208_339:
	s_or_b64 exec, exec, s[12:13]
	v_mov_b32_e32 v5, 0
	s_and_saveexec_b64 s[12:13], s[10:11]
.LBB208_340:
	v_lshrrev_b32_e32 v3, 24, v3
	s_movk_i32 s10, 0x80
	v_and_or_b32 v5, v3, s10, v4
.LBB208_341:
	s_or_b64 exec, exec, s[12:13]
.LBB208_342:
	s_or_b64 exec, exec, s[8:9]
	global_store_byte v[0:1], v5, off
.LBB208_343:
	s_mov_b64 s[8:9], -1
.LBB208_344:
	s_mov_b64 s[10:11], 0
.LBB208_345:
	s_and_b64 vcc, exec, s[10:11]
	s_cbranch_vccz .LBB208_386
; %bb.346:
	s_cmp_gt_i32 s15, 22
	s_mov_b64 s[10:11], -1
	s_cbranch_scc0 .LBB208_378
; %bb.347:
	s_cmp_lt_i32 s15, 24
	s_mov_b64 s[8:9], -1
	s_cbranch_scc1 .LBB208_367
; %bb.348:
	s_cmp_gt_i32 s15, 24
	s_cbranch_scc0 .LBB208_356
; %bb.349:
	v_cvt_f32_f16_e32 v3, v2
	s_mov_b32 s8, 0x47800000
	v_mov_b32_e32 v5, 0x80
	v_and_b32_e32 v4, 0x7fffffff, v3
	v_cmp_gt_u32_e32 vcc, s8, v4
	s_and_saveexec_b64 s[8:9], vcc
	s_cbranch_execz .LBB208_355
; %bb.350:
	s_mov_b32 s10, 0x37ffffff
	v_cmp_lt_u32_e32 vcc, s10, v4
	s_mov_b64 s[10:11], 0
                                        ; implicit-def: $vgpr4
	s_and_saveexec_b64 s[12:13], vcc
	s_xor_b64 s[12:13], exec, s[12:13]
	s_cbranch_execz .LBB208_573
; %bb.351:
	v_bfe_u32 v4, v3, 21, 1
	s_mov_b32 s16, 0x88fffff
	v_add3_u32 v4, v3, v4, s16
	s_mov_b64 s[10:11], exec
	v_lshrrev_b32_e32 v4, 21, v4
	s_andn2_saveexec_b64 s[12:13], s[12:13]
	s_cbranch_execnz .LBB208_574
.LBB208_352:
	s_or_b64 exec, exec, s[12:13]
	v_mov_b32_e32 v5, 0
	s_and_saveexec_b64 s[12:13], s[10:11]
.LBB208_353:
	v_lshrrev_b32_e32 v3, 24, v3
	s_movk_i32 s10, 0x80
	v_and_or_b32 v5, v3, s10, v4
.LBB208_354:
	s_or_b64 exec, exec, s[12:13]
.LBB208_355:
	s_or_b64 exec, exec, s[8:9]
	s_mov_b64 s[8:9], 0
	global_store_byte v[0:1], v5, off
.LBB208_356:
	s_and_b64 vcc, exec, s[8:9]
	s_cbranch_vccz .LBB208_366
; %bb.357:
	v_cvt_f32_f16_e32 v3, v2
	s_mov_b32 s8, 0x43f00000
                                        ; implicit-def: $vgpr4
	v_and_b32_e32 v5, 0x7fffffff, v3
	v_cmp_gt_u32_e32 vcc, s8, v5
	s_and_saveexec_b64 s[8:9], vcc
	s_xor_b64 s[8:9], exec, s[8:9]
	s_cbranch_execz .LBB208_363
; %bb.358:
	s_mov_b32 s10, 0x3c7fffff
	v_cmp_lt_u32_e32 vcc, s10, v5
                                        ; implicit-def: $vgpr4
	s_and_saveexec_b64 s[10:11], vcc
	s_xor_b64 s[10:11], exec, s[10:11]
; %bb.359:
	v_bfe_u32 v4, v3, 20, 1
	s_mov_b32 s12, 0x407ffff
	v_add3_u32 v4, v3, v4, s12
	v_lshrrev_b32_e32 v5, 20, v4
	v_and_b32_e32 v4, 0xff00000, v4
	s_mov_b32 s12, 0x7f00000
	v_mov_b32_e32 v6, 0x7e
	v_cmp_ne_u32_e32 vcc, s12, v4
	v_cndmask_b32_e32 v4, v6, v5, vcc
; %bb.360:
	s_andn2_saveexec_b64 s[10:11], s[10:11]
; %bb.361:
	s_mov_b32 s12, 0x46800000
	v_add_f32_e64 v4, |v3|, s12
; %bb.362:
	s_or_b64 exec, exec, s[10:11]
                                        ; implicit-def: $vgpr5
.LBB208_363:
	s_andn2_saveexec_b64 s[8:9], s[8:9]
; %bb.364:
	s_mov_b32 s10, 0x7f800000
	v_mov_b32_e32 v4, 0x7e
	v_mov_b32_e32 v6, 0x7f
	v_cmp_lt_u32_e32 vcc, s10, v5
	v_cndmask_b32_e32 v4, v4, v6, vcc
; %bb.365:
	s_or_b64 exec, exec, s[8:9]
	v_lshrrev_b32_e32 v3, 24, v3
	s_movk_i32 s8, 0x80
	v_and_or_b32 v3, v3, s8, v4
	global_store_byte v[0:1], v3, off
.LBB208_366:
	s_mov_b64 s[8:9], 0
.LBB208_367:
	s_andn2_b64 vcc, exec, s[8:9]
	s_cbranch_vccnz .LBB208_377
; %bb.368:
	v_cvt_f32_f16_e32 v3, v2
	s_mov_b32 s8, 0x47800000
                                        ; implicit-def: $vgpr4
	v_and_b32_e32 v5, 0x7fffffff, v3
	v_cmp_gt_u32_e32 vcc, s8, v5
	s_and_saveexec_b64 s[8:9], vcc
	s_xor_b64 s[8:9], exec, s[8:9]
	s_cbranch_execz .LBB208_374
; %bb.369:
	s_mov_b32 s10, 0x387fffff
	v_cmp_lt_u32_e32 vcc, s10, v5
                                        ; implicit-def: $vgpr4
	s_and_saveexec_b64 s[10:11], vcc
	s_xor_b64 s[10:11], exec, s[10:11]
; %bb.370:
	v_bfe_u32 v4, v3, 21, 1
	s_mov_b32 s12, 0x80fffff
	v_add3_u32 v4, v3, v4, s12
	v_lshrrev_b32_e32 v4, 21, v4
; %bb.371:
	s_andn2_saveexec_b64 s[10:11], s[10:11]
; %bb.372:
	s_mov_b32 s12, 0x43000000
	v_add_f32_e64 v4, |v3|, s12
; %bb.373:
	s_or_b64 exec, exec, s[10:11]
                                        ; implicit-def: $vgpr5
.LBB208_374:
	s_andn2_saveexec_b64 s[8:9], s[8:9]
; %bb.375:
	s_mov_b32 s10, 0x7f800000
	v_mov_b32_e32 v4, 0x7c
	v_mov_b32_e32 v6, 0x7f
	v_cmp_lt_u32_e32 vcc, s10, v5
	v_cndmask_b32_e32 v4, v4, v6, vcc
; %bb.376:
	s_or_b64 exec, exec, s[8:9]
	v_lshrrev_b32_e32 v3, 24, v3
	s_movk_i32 s8, 0x80
	v_and_or_b32 v3, v3, s8, v4
	global_store_byte v[0:1], v3, off
.LBB208_377:
	s_mov_b64 s[10:11], 0
	s_mov_b64 s[8:9], -1
.LBB208_378:
	s_andn2_b64 vcc, exec, s[10:11]
	s_cbranch_vccnz .LBB208_386
; %bb.379:
	s_cmp_gt_i32 s15, 14
	s_mov_b64 s[10:11], -1
	s_cbranch_scc0 .LBB208_383
; %bb.380:
	s_cmp_eq_u32 s15, 15
	s_mov_b64 s[0:1], -1
	s_cbranch_scc0 .LBB208_382
; %bb.381:
	v_cvt_f32_f16_e32 v3, v2
	s_movk_i32 s0, 0x7fff
	v_cmp_o_f16_e32 vcc, v2, v2
	v_mov_b32_e32 v4, 0x7fc0
	v_bfe_u32 v5, v3, 16, 1
	v_add3_u32 v3, v3, v5, s0
	v_cndmask_b32_sdwa v3, v4, v3, vcc dst_sel:DWORD dst_unused:UNUSED_PAD src0_sel:DWORD src1_sel:WORD_1
	global_store_short v[0:1], v3, off
	s_mov_b64 s[8:9], -1
	s_mov_b64 s[0:1], 0
.LBB208_382:
	s_mov_b64 s[10:11], 0
.LBB208_383:
	s_and_b64 vcc, exec, s[10:11]
	s_cbranch_vccz .LBB208_386
; %bb.384:
	s_cmp_eq_u32 s15, 11
	s_mov_b64 s[0:1], -1
	s_cbranch_scc0 .LBB208_386
; %bb.385:
	v_and_b32_e32 v3, 0x7fff, v2
	v_cmp_ne_u16_e32 vcc, 0, v3
	v_cndmask_b32_e64 v3, 0, 1, vcc
	s_mov_b64 s[8:9], -1
	s_mov_b64 s[0:1], 0
	global_store_byte v[0:1], v3, off
.LBB208_386:
	s_mov_b64 s[10:11], 0
.LBB208_387:
	s_and_b64 vcc, exec, s[10:11]
	s_cbranch_vccz .LBB208_426
; %bb.388:
	s_and_b32 s10, 0xffff, s14
	s_cmp_lt_i32 s10, 5
	s_mov_b64 s[8:9], -1
	s_cbranch_scc1 .LBB208_409
; %bb.389:
	s_cmp_lt_i32 s10, 8
	s_cbranch_scc1 .LBB208_399
; %bb.390:
	s_cmp_lt_i32 s10, 9
	s_cbranch_scc1 .LBB208_396
; %bb.391:
	s_cmp_gt_i32 s10, 9
	s_cbranch_scc0 .LBB208_393
; %bb.392:
	v_cvt_f32_f16_e32 v3, v2
	v_mov_b32_e32 v5, 0
	v_mov_b32_e32 v6, v5
	s_mov_b64 s[8:9], 0
	v_cvt_f64_f32_e32 v[3:4], v3
	global_store_dwordx4 v[0:1], v[3:6], off
.LBB208_393:
	s_andn2_b64 vcc, exec, s[8:9]
	s_cbranch_vccnz .LBB208_395
; %bb.394:
	v_cvt_f32_f16_e32 v3, v2
	v_mov_b32_e32 v4, 0
	global_store_dwordx2 v[0:1], v[3:4], off
.LBB208_395:
	s_mov_b64 s[8:9], 0
.LBB208_396:
	s_andn2_b64 vcc, exec, s[8:9]
	s_cbranch_vccnz .LBB208_398
; %bb.397:
	v_and_b32_e32 v3, 0xffff, v2
	global_store_dword v[0:1], v3, off
.LBB208_398:
	s_mov_b64 s[8:9], 0
.LBB208_399:
	s_andn2_b64 vcc, exec, s[8:9]
	s_cbranch_vccnz .LBB208_408
; %bb.400:
	s_cmp_lt_i32 s10, 6
	s_mov_b64 s[8:9], -1
	s_cbranch_scc1 .LBB208_406
; %bb.401:
	s_cmp_gt_i32 s10, 6
	s_cbranch_scc0 .LBB208_403
; %bb.402:
	v_cvt_f32_f16_e32 v3, v2
	s_mov_b64 s[8:9], 0
	v_cvt_f64_f32_e32 v[3:4], v3
	global_store_dwordx2 v[0:1], v[3:4], off
.LBB208_403:
	s_andn2_b64 vcc, exec, s[8:9]
	s_cbranch_vccnz .LBB208_405
; %bb.404:
	v_cvt_f32_f16_e32 v3, v2
	global_store_dword v[0:1], v3, off
.LBB208_405:
	s_mov_b64 s[8:9], 0
.LBB208_406:
	s_andn2_b64 vcc, exec, s[8:9]
	s_cbranch_vccnz .LBB208_408
; %bb.407:
	global_store_short v[0:1], v2, off
.LBB208_408:
	s_mov_b64 s[8:9], 0
.LBB208_409:
	s_andn2_b64 vcc, exec, s[8:9]
	s_cbranch_vccnz .LBB208_425
; %bb.410:
	s_cmp_lt_i32 s10, 2
	s_mov_b64 s[8:9], -1
	s_cbranch_scc1 .LBB208_420
; %bb.411:
	s_cmp_lt_i32 s10, 3
	s_cbranch_scc1 .LBB208_417
; %bb.412:
	s_cmp_gt_i32 s10, 3
	s_cbranch_scc0 .LBB208_414
; %bb.413:
	v_cvt_f32_f16_e32 v3, v2
	s_mov_b64 s[8:9], 0
	v_cvt_i32_f32_e32 v3, v3
	v_ashrrev_i32_e32 v4, 31, v3
	global_store_dwordx2 v[0:1], v[3:4], off
.LBB208_414:
	s_andn2_b64 vcc, exec, s[8:9]
	s_cbranch_vccnz .LBB208_416
; %bb.415:
	v_cvt_f32_f16_e32 v3, v2
	v_cvt_i32_f32_e32 v3, v3
	global_store_dword v[0:1], v3, off
.LBB208_416:
	s_mov_b64 s[8:9], 0
.LBB208_417:
	s_andn2_b64 vcc, exec, s[8:9]
	s_cbranch_vccnz .LBB208_419
; %bb.418:
	v_cvt_i16_f16_e32 v3, v2
	global_store_short v[0:1], v3, off
.LBB208_419:
	s_mov_b64 s[8:9], 0
.LBB208_420:
	s_andn2_b64 vcc, exec, s[8:9]
	s_cbranch_vccnz .LBB208_425
; %bb.421:
	s_cmp_gt_i32 s10, 0
	s_mov_b64 s[8:9], -1
	s_cbranch_scc0 .LBB208_423
; %bb.422:
	v_cvt_i16_f16_e32 v3, v2
	s_mov_b64 s[8:9], 0
	global_store_byte v[0:1], v3, off
.LBB208_423:
	s_andn2_b64 vcc, exec, s[8:9]
	s_cbranch_vccnz .LBB208_425
; %bb.424:
	v_cvt_f32_f16_e32 v2, v2
	v_cvt_i32_f32_e32 v2, v2
	global_store_byte v[0:1], v2, off
.LBB208_425:
	s_mov_b64 s[8:9], -1
.LBB208_426:
	s_andn2_b64 vcc, exec, s[8:9]
	s_cbranch_vccnz .LBB208_428
; %bb.427:
	v_add_u32_e32 v8, 0x80, v8
	s_mov_b64 s[8:9], -1
	s_branch .LBB208_541
.LBB208_428:
	s_mov_b64 s[8:9], 0
	s_branch .LBB208_540
.LBB208_429:
	s_mov_b64 s[2:3], -1
                                        ; implicit-def: $vgpr3
.LBB208_430:
	s_mov_b64 s[8:9], 0
.LBB208_431:
	s_and_b64 vcc, exec, s[8:9]
	s_cbranch_vccz .LBB208_435
; %bb.432:
	s_cmp_eq_u32 s12, 29
	s_cbranch_scc0 .LBB208_434
; %bb.433:
	global_load_dwordx2 v[3:4], v[1:2], off
	s_mov_b64 s[0:1], -1
	s_mov_b64 s[2:3], 0
	s_mov_b64 s[8:9], 0
	s_waitcnt vmcnt(0)
	v_ffbh_u32_e32 v5, v4
	v_min_u32_e32 v5, 32, v5
	v_lshlrev_b64 v[3:4], v5, v[3:4]
	v_min_u32_e32 v3, 1, v3
	v_or_b32_e32 v3, v4, v3
	v_cvt_f32_u32_e32 v3, v3
	v_sub_u32_e32 v4, 32, v5
	v_ldexp_f32 v3, v3, v4
	v_cvt_f16_f32_e32 v3, v3
	s_branch .LBB208_436
.LBB208_434:
	s_mov_b64 s[2:3], -1
                                        ; implicit-def: $vgpr3
.LBB208_435:
	s_mov_b64 s[8:9], 0
.LBB208_436:
	s_and_b64 vcc, exec, s[8:9]
	s_cbranch_vccz .LBB208_454
; %bb.437:
	s_cmp_lt_i32 s12, 27
	s_cbranch_scc1 .LBB208_440
; %bb.438:
	s_cmp_gt_i32 s12, 27
	s_cbranch_scc0 .LBB208_441
; %bb.439:
	global_load_dword v3, v[1:2], off
	s_mov_b64 s[0:1], 0
	s_waitcnt vmcnt(0)
	v_cvt_f32_u32_e32 v3, v3
	v_cvt_f16_f32_e32 v3, v3
	s_branch .LBB208_442
.LBB208_440:
	s_mov_b64 s[0:1], -1
                                        ; implicit-def: $vgpr3
	s_branch .LBB208_445
.LBB208_441:
	s_mov_b64 s[0:1], -1
                                        ; implicit-def: $vgpr3
.LBB208_442:
	s_andn2_b64 vcc, exec, s[0:1]
	s_cbranch_vccnz .LBB208_444
; %bb.443:
	global_load_ushort v3, v[1:2], off
	s_waitcnt vmcnt(0)
	v_cvt_f16_u16_e32 v3, v3
.LBB208_444:
	s_mov_b64 s[0:1], 0
.LBB208_445:
	s_andn2_b64 vcc, exec, s[0:1]
	s_cbranch_vccnz .LBB208_453
; %bb.446:
	global_load_ubyte v4, v[1:2], off
	s_movk_i32 s0, 0x7f
	s_waitcnt vmcnt(0)
	v_cmp_lt_i16_e32 vcc, s0, v4
	s_mov_b64 s[0:1], 0
	s_and_saveexec_b64 s[8:9], vcc
	s_xor_b64 s[8:9], exec, s[8:9]
	s_cbranch_execz .LBB208_467
; %bb.447:
	s_movk_i32 s0, 0x80
	v_cmp_eq_u16_e32 vcc, s0, v4
	s_mov_b64 s[0:1], -1
	s_and_saveexec_b64 s[10:11], vcc
; %bb.448:
	s_xor_b64 s[0:1], exec, -1
; %bb.449:
	s_or_b64 exec, exec, s[10:11]
	s_and_b64 s[0:1], s[0:1], exec
	s_or_saveexec_b64 s[8:9], s[8:9]
	v_mov_b32_e32 v3, 0x7e00
	s_xor_b64 exec, exec, s[8:9]
	s_cbranch_execnz .LBB208_468
.LBB208_450:
	s_or_b64 exec, exec, s[8:9]
	s_and_saveexec_b64 s[8:9], s[0:1]
	s_cbranch_execz .LBB208_452
.LBB208_451:
	v_lshlrev_b32_e32 v3, 24, v4
	v_and_b32_e32 v4, 0xffff, v4
	v_and_b32_e32 v5, 7, v4
	v_ffbh_u32_e32 v7, v5
	v_min_u32_e32 v7, 32, v7
	v_subrev_u32_e32 v9, 28, v7
	v_bfe_u32 v6, v4, 3, 4
	v_lshlrev_b32_e32 v4, v9, v4
	v_sub_u32_e32 v7, 29, v7
	v_and_b32_e32 v4, 7, v4
	v_cmp_eq_u32_e32 vcc, 0, v6
	v_cndmask_b32_e32 v6, v6, v7, vcc
	v_cndmask_b32_e32 v4, v5, v4, vcc
	v_mov_b32_e32 v5, 0x3b800000
	v_lshlrev_b32_e32 v4, 20, v4
	v_and_b32_e32 v3, 0x80000000, v3
	v_lshl_add_u32 v5, v6, 23, v5
	v_or3_b32 v3, v3, v5, v4
	v_cvt_f16_f32_e32 v3, v3
.LBB208_452:
	s_or_b64 exec, exec, s[8:9]
.LBB208_453:
	s_mov_b64 s[0:1], -1
.LBB208_454:
	s_mov_b64 s[8:9], 0
.LBB208_455:
	s_and_b64 vcc, exec, s[8:9]
	s_cbranch_vccz .LBB208_490
; %bb.456:
	s_cmp_gt_i32 s12, 22
	s_cbranch_scc0 .LBB208_466
; %bb.457:
	s_cmp_lt_i32 s12, 24
	s_cbranch_scc1 .LBB208_469
; %bb.458:
	s_cmp_gt_i32 s12, 24
	s_cbranch_scc0 .LBB208_470
; %bb.459:
	global_load_ubyte v4, v[1:2], off
	s_movk_i32 s0, 0x7f
	s_waitcnt vmcnt(0)
	v_cmp_lt_i16_e32 vcc, s0, v4
	s_mov_b64 s[0:1], 0
	s_and_saveexec_b64 s[8:9], vcc
	s_xor_b64 s[8:9], exec, s[8:9]
	s_cbranch_execz .LBB208_482
; %bb.460:
	s_movk_i32 s0, 0x80
	v_cmp_eq_u16_e32 vcc, s0, v4
	s_mov_b64 s[0:1], -1
	s_and_saveexec_b64 s[10:11], vcc
; %bb.461:
	s_xor_b64 s[0:1], exec, -1
; %bb.462:
	s_or_b64 exec, exec, s[10:11]
	s_and_b64 s[0:1], s[0:1], exec
	s_or_saveexec_b64 s[8:9], s[8:9]
	v_mov_b32_e32 v3, 0x7e00
	s_xor_b64 exec, exec, s[8:9]
	s_cbranch_execnz .LBB208_483
.LBB208_463:
	s_or_b64 exec, exec, s[8:9]
	s_and_saveexec_b64 s[8:9], s[0:1]
	s_cbranch_execz .LBB208_465
.LBB208_464:
	v_lshlrev_b32_e32 v3, 24, v4
	v_and_b32_e32 v4, 0xffff, v4
	v_and_b32_e32 v5, 3, v4
	v_ffbh_u32_e32 v7, v5
	v_min_u32_e32 v7, 32, v7
	v_subrev_u32_e32 v9, 29, v7
	v_bfe_u32 v6, v4, 2, 5
	v_lshlrev_b32_e32 v4, v9, v4
	v_sub_u32_e32 v7, 30, v7
	v_and_b32_e32 v4, 3, v4
	v_cmp_eq_u32_e32 vcc, 0, v6
	v_cndmask_b32_e32 v6, v6, v7, vcc
	v_cndmask_b32_e32 v4, v5, v4, vcc
	v_mov_b32_e32 v5, 0x37800000
	v_lshlrev_b32_e32 v4, 21, v4
	v_and_b32_e32 v3, 0x80000000, v3
	v_lshl_add_u32 v5, v6, 23, v5
	v_or3_b32 v3, v3, v5, v4
	v_cvt_f16_f32_e32 v3, v3
.LBB208_465:
	s_or_b64 exec, exec, s[8:9]
	s_mov_b64 s[0:1], 0
	s_branch .LBB208_471
.LBB208_466:
	s_mov_b64 s[8:9], -1
                                        ; implicit-def: $vgpr3
	s_branch .LBB208_477
.LBB208_467:
	s_or_saveexec_b64 s[8:9], s[8:9]
	v_mov_b32_e32 v3, 0x7e00
	s_xor_b64 exec, exec, s[8:9]
	s_cbranch_execz .LBB208_450
.LBB208_468:
	v_cmp_ne_u16_e32 vcc, 0, v4
	s_andn2_b64 s[0:1], s[0:1], exec
	s_and_b64 s[10:11], vcc, exec
	s_or_b64 s[0:1], s[0:1], s[10:11]
	v_mov_b32_e32 v3, v4
	s_or_b64 exec, exec, s[8:9]
	s_and_saveexec_b64 s[8:9], s[0:1]
	s_cbranch_execnz .LBB208_451
	s_branch .LBB208_452
.LBB208_469:
	s_mov_b64 s[0:1], -1
                                        ; implicit-def: $vgpr3
	s_branch .LBB208_474
.LBB208_470:
	s_mov_b64 s[0:1], -1
                                        ; implicit-def: $vgpr3
.LBB208_471:
	s_and_b64 vcc, exec, s[0:1]
	s_cbranch_vccz .LBB208_473
; %bb.472:
	global_load_ubyte v3, v[1:2], off
	s_mov_b32 s0, 0x7f800000
	s_waitcnt vmcnt(0)
	v_lshlrev_b32_e32 v3, 24, v3
	v_and_b32_e32 v4, 0x7f000000, v3
	v_ffbh_u32_e32 v5, v4
	v_min_u32_e32 v5, 32, v5
	v_sub_u32_e64 v5, v5, 4 clamp
	v_lshlrev_b32_e32 v7, v5, v4
	v_lshlrev_b32_e32 v5, 23, v5
	v_lshrrev_b32_e32 v7, 4, v7
	v_add_u32_e32 v6, 0x1000000, v4
	v_sub_u32_e32 v5, v7, v5
	v_ashrrev_i32_e32 v6, 8, v6
	v_add_u32_e32 v5, 0x3c000000, v5
	v_and_or_b32 v5, v6, s0, v5
	v_cmp_ne_u32_e32 vcc, 0, v4
	v_cndmask_b32_e32 v4, 0, v5, vcc
	s_brev_b32 s0, 1
	v_and_or_b32 v3, v3, s0, v4
	v_cvt_f16_f32_e32 v3, v3
.LBB208_473:
	s_mov_b64 s[0:1], 0
.LBB208_474:
	s_andn2_b64 vcc, exec, s[0:1]
	s_cbranch_vccnz .LBB208_476
; %bb.475:
	global_load_ubyte v3, v[1:2], off
	s_movk_i32 s0, 0x7f00
	s_brev_b32 s1, 16
	s_waitcnt vmcnt(0)
	v_lshlrev_b16_e32 v4, 8, v3
	v_lshlrev_b32_e32 v3, 25, v3
	v_lshrrev_b32_e32 v5, 4, v3
	v_and_or_b32 v6, v4, s0, 0.5
	v_or_b32_e32 v5, 0x70000000, v5
	v_add_f32_e32 v6, -0.5, v6
	v_mul_f32_e32 v5, 0x7800000, v5
	v_cmp_gt_u32_e32 vcc, s1, v3
	v_bfe_i32 v4, v4, 0, 16
	v_cndmask_b32_e32 v3, v5, v6, vcc
	s_brev_b32 s0, 1
	v_and_or_b32 v3, v4, s0, v3
	v_cvt_f16_f32_e32 v3, v3
.LBB208_476:
	s_mov_b64 s[8:9], 0
	s_mov_b64 s[0:1], -1
.LBB208_477:
	s_andn2_b64 vcc, exec, s[8:9]
	s_cbranch_vccnz .LBB208_490
; %bb.478:
	s_cmp_gt_i32 s12, 14
	s_cbranch_scc0 .LBB208_481
; %bb.479:
	s_cmp_eq_u32 s12, 15
	s_cbranch_scc0 .LBB208_484
; %bb.480:
	global_load_ushort v3, v[1:2], off
	s_mov_b64 s[0:1], -1
	s_mov_b64 s[2:3], 0
	s_waitcnt vmcnt(0)
	v_lshlrev_b32_e32 v3, 16, v3
	v_cvt_f16_f32_e32 v3, v3
	s_branch .LBB208_485
.LBB208_481:
	s_mov_b64 s[8:9], -1
                                        ; implicit-def: $vgpr3
	s_branch .LBB208_486
.LBB208_482:
	s_or_saveexec_b64 s[8:9], s[8:9]
	v_mov_b32_e32 v3, 0x7e00
	s_xor_b64 exec, exec, s[8:9]
	s_cbranch_execz .LBB208_463
.LBB208_483:
	v_cmp_ne_u16_e32 vcc, 0, v4
	s_andn2_b64 s[0:1], s[0:1], exec
	s_and_b64 s[10:11], vcc, exec
	s_or_b64 s[0:1], s[0:1], s[10:11]
	v_mov_b32_e32 v3, v4
	s_or_b64 exec, exec, s[8:9]
	s_and_saveexec_b64 s[8:9], s[0:1]
	s_cbranch_execnz .LBB208_464
	s_branch .LBB208_465
.LBB208_484:
	s_mov_b64 s[2:3], -1
                                        ; implicit-def: $vgpr3
.LBB208_485:
	s_mov_b64 s[8:9], 0
.LBB208_486:
	s_and_b64 vcc, exec, s[8:9]
	s_cbranch_vccz .LBB208_490
; %bb.487:
	s_cmp_eq_u32 s12, 11
	s_cbranch_scc0 .LBB208_489
; %bb.488:
	global_load_ubyte v3, v[1:2], off
	v_mov_b32_e32 v4, 0x3c00
	s_mov_b64 s[0:1], -1
	s_mov_b64 s[2:3], 0
	s_waitcnt vmcnt(0)
	v_cmp_ne_u16_e32 vcc, 0, v3
	v_cndmask_b32_e32 v3, 0, v4, vcc
	s_branch .LBB208_490
.LBB208_489:
	s_mov_b64 s[2:3], -1
                                        ; implicit-def: $vgpr3
.LBB208_490:
	s_branch .LBB208_293
.LBB208_491:
	s_cmp_lt_i32 s12, 5
	s_cbranch_scc1 .LBB208_496
; %bb.492:
	s_cmp_lt_i32 s12, 8
	s_cbranch_scc1 .LBB208_497
; %bb.493:
	;; [unrolled: 3-line block ×3, first 2 shown]
	s_cmp_gt_i32 s12, 9
	s_cbranch_scc0 .LBB208_499
; %bb.495:
	global_load_dwordx2 v[3:4], v[1:2], off
	s_movk_i32 s0, 0x1ff
	s_movk_i32 s1, 0xffe
	v_mov_b32_e32 v5, 0x7c00
	v_mov_b32_e32 v6, 0x7e00
	s_movk_i32 s8, 0x40f
	s_mov_b32 s9, 0x8000
	s_waitcnt vmcnt(0)
	v_and_or_b32 v3, v4, s0, v3
	v_cmp_ne_u32_e32 vcc, 0, v3
	v_lshrrev_b32_e32 v7, 8, v4
	v_bfe_u32 v9, v4, 20, 11
	v_cndmask_b32_e64 v3, 0, 1, vcc
	v_sub_u32_e32 v10, 0x3f1, v9
	v_and_or_b32 v3, v7, s1, v3
	v_add_u32_e32 v9, 0xfffffc10, v9
	v_med3_i32 v7, v10, 0, 13
	v_or_b32_e32 v10, 0x1000, v3
	v_cmp_ne_u32_e32 vcc, 0, v3
	v_lshl_or_b32 v11, v9, 12, v3
	v_cndmask_b32_e32 v3, v5, v6, vcc
	v_lshrrev_b32_e32 v6, v7, v10
	v_lshlrev_b32_e32 v7, v7, v6
	v_cmp_ne_u32_e32 vcc, v7, v10
	v_cndmask_b32_e64 v7, 0, 1, vcc
	v_or_b32_e32 v6, v6, v7
	v_cmp_gt_i32_e32 vcc, 1, v9
	v_cndmask_b32_e32 v6, v11, v6, vcc
	v_and_b32_e32 v7, 7, v6
	v_cmp_lt_i32_e32 vcc, 5, v7
	v_cndmask_b32_e64 v10, 0, 1, vcc
	v_cmp_eq_u32_e32 vcc, 3, v7
	v_cndmask_b32_e64 v7, 0, 1, vcc
	v_lshrrev_b32_e32 v6, 2, v6
	v_or_b32_e32 v7, v7, v10
	v_add_u32_e32 v6, v6, v7
	v_cmp_gt_i32_e32 vcc, 31, v9
	v_cndmask_b32_e32 v5, v5, v6, vcc
	v_cmp_eq_u32_e32 vcc, s8, v9
	v_lshrrev_b32_e32 v4, 16, v4
	v_cndmask_b32_e32 v3, v5, v3, vcc
	v_and_or_b32 v3, v4, s9, v3
	s_mov_b64 s[0:1], 0
	s_branch .LBB208_500
.LBB208_496:
	s_mov_b64 s[0:1], -1
                                        ; implicit-def: $vgpr3
	s_branch .LBB208_518
.LBB208_497:
	s_mov_b64 s[0:1], -1
                                        ; implicit-def: $vgpr3
	s_branch .LBB208_506
.LBB208_498:
	s_mov_b64 s[0:1], -1
                                        ; implicit-def: $vgpr3
	s_branch .LBB208_503
.LBB208_499:
	s_mov_b64 s[0:1], -1
                                        ; implicit-def: $vgpr3
.LBB208_500:
	s_andn2_b64 vcc, exec, s[0:1]
	s_cbranch_vccnz .LBB208_502
; %bb.501:
	global_load_dword v3, v[1:2], off
	s_waitcnt vmcnt(0)
	v_cvt_f16_f32_e32 v3, v3
.LBB208_502:
	s_mov_b64 s[0:1], 0
.LBB208_503:
	s_andn2_b64 vcc, exec, s[0:1]
	s_cbranch_vccnz .LBB208_505
; %bb.504:
	global_load_dword v3, v[1:2], off
.LBB208_505:
	s_mov_b64 s[0:1], 0
.LBB208_506:
	s_andn2_b64 vcc, exec, s[0:1]
	s_cbranch_vccnz .LBB208_517
; %bb.507:
	s_cmp_lt_i32 s12, 6
	s_cbranch_scc1 .LBB208_510
; %bb.508:
	s_cmp_gt_i32 s12, 6
	s_cbranch_scc0 .LBB208_511
; %bb.509:
	global_load_dwordx2 v[3:4], v[1:2], off
	s_movk_i32 s0, 0x1ff
	s_movk_i32 s1, 0xffe
	v_mov_b32_e32 v5, 0x7c00
	v_mov_b32_e32 v6, 0x7e00
	s_movk_i32 s8, 0x40f
	s_mov_b32 s9, 0x8000
	s_waitcnt vmcnt(0)
	v_and_or_b32 v3, v4, s0, v3
	v_cmp_ne_u32_e32 vcc, 0, v3
	v_lshrrev_b32_e32 v7, 8, v4
	v_bfe_u32 v9, v4, 20, 11
	v_cndmask_b32_e64 v3, 0, 1, vcc
	v_sub_u32_e32 v10, 0x3f1, v9
	v_and_or_b32 v3, v7, s1, v3
	v_add_u32_e32 v9, 0xfffffc10, v9
	v_med3_i32 v7, v10, 0, 13
	v_or_b32_e32 v10, 0x1000, v3
	v_cmp_ne_u32_e32 vcc, 0, v3
	v_lshl_or_b32 v11, v9, 12, v3
	v_cndmask_b32_e32 v3, v5, v6, vcc
	v_lshrrev_b32_e32 v6, v7, v10
	v_lshlrev_b32_e32 v7, v7, v6
	v_cmp_ne_u32_e32 vcc, v7, v10
	v_cndmask_b32_e64 v7, 0, 1, vcc
	v_or_b32_e32 v6, v6, v7
	v_cmp_gt_i32_e32 vcc, 1, v9
	v_cndmask_b32_e32 v6, v11, v6, vcc
	v_and_b32_e32 v7, 7, v6
	v_cmp_lt_i32_e32 vcc, 5, v7
	v_cndmask_b32_e64 v10, 0, 1, vcc
	v_cmp_eq_u32_e32 vcc, 3, v7
	v_cndmask_b32_e64 v7, 0, 1, vcc
	v_lshrrev_b32_e32 v6, 2, v6
	v_or_b32_e32 v7, v7, v10
	v_add_u32_e32 v6, v6, v7
	v_cmp_gt_i32_e32 vcc, 31, v9
	v_cndmask_b32_e32 v5, v5, v6, vcc
	v_cmp_eq_u32_e32 vcc, s8, v9
	v_lshrrev_b32_e32 v4, 16, v4
	v_cndmask_b32_e32 v3, v5, v3, vcc
	v_and_or_b32 v3, v4, s9, v3
	s_mov_b64 s[0:1], 0
	s_branch .LBB208_512
.LBB208_510:
	s_mov_b64 s[0:1], -1
                                        ; implicit-def: $vgpr3
	s_branch .LBB208_515
.LBB208_511:
	s_mov_b64 s[0:1], -1
                                        ; implicit-def: $vgpr3
.LBB208_512:
	s_andn2_b64 vcc, exec, s[0:1]
	s_cbranch_vccnz .LBB208_514
; %bb.513:
	global_load_dword v3, v[1:2], off
	s_waitcnt vmcnt(0)
	v_cvt_f16_f32_e32 v3, v3
.LBB208_514:
	s_mov_b64 s[0:1], 0
.LBB208_515:
	s_andn2_b64 vcc, exec, s[0:1]
	s_cbranch_vccnz .LBB208_517
; %bb.516:
	global_load_ushort v3, v[1:2], off
.LBB208_517:
	s_mov_b64 s[0:1], 0
.LBB208_518:
	s_andn2_b64 vcc, exec, s[0:1]
	s_cbranch_vccnz .LBB208_538
; %bb.519:
	s_cmp_lt_i32 s12, 2
	s_cbranch_scc1 .LBB208_523
; %bb.520:
	s_cmp_lt_i32 s12, 3
	s_cbranch_scc1 .LBB208_524
; %bb.521:
	s_cmp_gt_i32 s12, 3
	s_cbranch_scc0 .LBB208_525
; %bb.522:
	global_load_dwordx2 v[3:4], v[1:2], off
	s_mov_b64 s[0:1], 0
	s_waitcnt vmcnt(0)
	v_xor_b32_e32 v6, v3, v4
	v_ffbh_i32_e32 v5, v4
	v_ashrrev_i32_e32 v6, 31, v6
	v_add_u32_e32 v5, -1, v5
	v_add_u32_e32 v6, 32, v6
	v_min_u32_e32 v5, v5, v6
	v_lshlrev_b64 v[3:4], v5, v[3:4]
	v_min_u32_e32 v3, 1, v3
	v_or_b32_e32 v3, v4, v3
	v_cvt_f32_i32_e32 v3, v3
	v_sub_u32_e32 v4, 32, v5
	v_ldexp_f32 v3, v3, v4
	v_cvt_f16_f32_e32 v3, v3
	s_branch .LBB208_526
.LBB208_523:
	s_mov_b64 s[0:1], -1
                                        ; implicit-def: $vgpr3
	s_branch .LBB208_532
.LBB208_524:
	s_mov_b64 s[0:1], -1
                                        ; implicit-def: $vgpr3
	s_branch .LBB208_529
.LBB208_525:
	s_mov_b64 s[0:1], -1
                                        ; implicit-def: $vgpr3
.LBB208_526:
	s_andn2_b64 vcc, exec, s[0:1]
	s_cbranch_vccnz .LBB208_528
; %bb.527:
	global_load_dword v3, v[1:2], off
	s_waitcnt vmcnt(0)
	v_cvt_f32_i32_e32 v3, v3
	v_cvt_f16_f32_e32 v3, v3
.LBB208_528:
	s_mov_b64 s[0:1], 0
.LBB208_529:
	s_andn2_b64 vcc, exec, s[0:1]
	s_cbranch_vccnz .LBB208_531
; %bb.530:
	global_load_ushort v3, v[1:2], off
	s_waitcnt vmcnt(0)
	v_cvt_f16_i16_e32 v3, v3
.LBB208_531:
	s_mov_b64 s[0:1], 0
.LBB208_532:
	s_andn2_b64 vcc, exec, s[0:1]
	s_cbranch_vccnz .LBB208_538
; %bb.533:
	s_cmp_gt_i32 s12, 0
	s_cbranch_scc0 .LBB208_535
; %bb.534:
	global_load_sbyte v3, v[1:2], off
	s_mov_b64 s[0:1], 0
	s_waitcnt vmcnt(0)
	v_cvt_f16_i16_e32 v3, v3
	s_branch .LBB208_536
.LBB208_535:
	s_mov_b64 s[0:1], -1
                                        ; implicit-def: $vgpr3
.LBB208_536:
	s_andn2_b64 vcc, exec, s[0:1]
	s_cbranch_vccnz .LBB208_538
; %bb.537:
	global_load_ubyte v1, v[1:2], off
	s_waitcnt vmcnt(0)
	v_cvt_f16_u16_e32 v3, v1
.LBB208_538:
	s_branch .LBB208_294
.LBB208_539:
	s_mov_b64 s[8:9], 0
	s_mov_b64 s[0:1], s[54:55]
.LBB208_540:
                                        ; implicit-def: $vgpr8
.LBB208_541:
	s_andn2_b64 s[10:11], s[54:55], exec
	s_and_b64 s[0:1], s[0:1], exec
	s_or_b64 s[62:63], s[10:11], s[0:1]
	s_andn2_b64 s[0:1], s[56:57], exec
	s_and_b64 s[2:3], s[2:3], exec
	s_or_b64 s[60:61], s[0:1], s[2:3]
	s_orn2_b64 s[0:1], s[8:9], exec
.LBB208_542:
	s_or_b64 exec, exec, s[64:65]
	s_mov_b64 s[2:3], 0
	s_mov_b64 s[8:9], 0
	;; [unrolled: 1-line block ×3, first 2 shown]
                                        ; implicit-def: $vgpr1_vgpr2
                                        ; implicit-def: $vgpr0
                                        ; implicit-def: $vgpr4
	s_and_saveexec_b64 s[64:65], s[0:1]
	s_cbranch_execz .LBB208_917
; %bb.543:
	v_cmp_gt_i32_e32 vcc, s72, v8
	s_mov_b64 s[2:3], -1
	s_mov_b64 s[68:69], s[60:61]
	s_mov_b64 s[70:71], s[62:63]
	s_and_saveexec_b64 s[66:67], vcc
	s_cbranch_execz .LBB208_817
; %bb.544:
	s_andn2_b64 vcc, exec, s[40:41]
	s_cbranch_vccnz .LBB208_549
; %bb.545:
	s_andn2_b64 vcc, exec, s[52:53]
	s_cbranch_vccnz .LBB208_550
; %bb.546:
	s_add_i32 s79, s78, 1
	s_cmp_eq_u32 s74, 2
	s_cbranch_scc1 .LBB208_551
; %bb.547:
	s_and_b32 s73, s79, 28
	v_mov_b32_e32 v2, 0
	s_mov_b32 s80, 0
	s_mov_b64 s[68:69], s[34:35]
	s_mov_b64 s[70:71], s[50:51]
	v_mov_b32_e32 v0, 0
	v_mov_b32_e32 v1, v8
.LBB208_548:                            ; =>This Inner Loop Header: Depth=1
	s_load_dwordx8 s[16:23], s[68:69], 0x4
	s_load_dwordx4 s[0:3], s[68:69], 0x24
	s_load_dwordx8 s[8:15], s[70:71], 0x0
	s_add_u32 s68, s68, 48
	s_addc_u32 s69, s69, 0
	s_waitcnt vmcnt(0) lgkmcnt(0)
	v_mul_hi_u32 v3, s17, v1
	s_add_i32 s80, s80, 4
	s_add_u32 s70, s70, 32
	s_addc_u32 s71, s71, 0
	v_add_u32_e32 v3, v1, v3
	v_lshrrev_b32_e32 v3, s18, v3
	v_mul_lo_u32 v4, v3, s16
	v_mul_hi_u32 v5, s20, v3
	s_cmp_eq_u32 s73, s80
	v_sub_u32_e32 v1, v1, v4
	v_add_u32_e32 v4, v3, v5
	v_mul_lo_u32 v5, v1, s8
	v_mul_lo_u32 v6, v1, s9
	v_lshrrev_b32_e32 v1, s21, v4
	v_mul_lo_u32 v4, v1, s19
	v_mul_hi_u32 v7, s23, v1
	v_sub_u32_e32 v3, v3, v4
	v_add_u32_e32 v4, v1, v7
	v_lshrrev_b32_e32 v4, s0, v4
	v_mul_hi_u32 v9, s2, v4
	v_mul_lo_u32 v10, v4, s22
	v_mul_lo_u32 v7, v3, s10
	;; [unrolled: 1-line block ×3, first 2 shown]
	v_sub_u32_e32 v10, v1, v10
	v_add_u32_e32 v1, v4, v9
	v_lshrrev_b32_e32 v1, s3, v1
	v_mul_lo_u32 v9, v1, s1
	v_mul_lo_u32 v11, v10, s12
	;; [unrolled: 1-line block ×3, first 2 shown]
	v_add3_u32 v0, v5, v0, v7
	v_sub_u32_e32 v4, v4, v9
	v_mul_lo_u32 v9, v4, s14
	v_mul_lo_u32 v4, v4, s15
	v_add3_u32 v2, v6, v2, v3
	v_add3_u32 v0, v11, v0, v9
	;; [unrolled: 1-line block ×3, first 2 shown]
	s_cbranch_scc0 .LBB208_548
	s_branch .LBB208_552
.LBB208_549:
	s_mov_b64 s[0:1], -1
                                        ; implicit-def: $vgpr0
                                        ; implicit-def: $vgpr2
	s_branch .LBB208_556
.LBB208_550:
	v_mov_b32_e32 v0, 0
	v_mov_b32_e32 v2, 0
	s_branch .LBB208_555
.LBB208_551:
	s_mov_b32 s73, 0
	v_mov_b32_e32 v0, 0
	v_mov_b32_e32 v2, 0
	;; [unrolled: 1-line block ×3, first 2 shown]
.LBB208_552:
	s_and_b32 s8, s79, 3
	s_cmp_eq_u32 s8, 0
	s_cbranch_scc1 .LBB208_555
; %bb.553:
	s_lshl_b32 s0, s73, 3
	s_add_u32 s0, s34, s0
	s_addc_u32 s1, s35, 0
	s_add_u32 s0, s0, 0xc4
	s_addc_u32 s1, s1, 0
	s_mul_i32 s2, s73, 12
	s_add_u32 s2, s34, s2
	s_addc_u32 s3, s35, 0
.LBB208_554:                            ; =>This Inner Loop Header: Depth=1
	s_load_dwordx2 s[10:11], s[2:3], 0x4
	s_load_dword s9, s[2:3], 0xc
	s_load_dwordx2 s[12:13], s[0:1], 0x0
	s_add_u32 s2, s2, 12
	s_addc_u32 s3, s3, 0
	s_waitcnt vmcnt(0) lgkmcnt(0)
	v_mul_hi_u32 v3, s11, v1
	s_add_u32 s0, s0, 8
	s_addc_u32 s1, s1, 0
	s_add_i32 s8, s8, -1
	v_add_u32_e32 v3, v1, v3
	v_lshrrev_b32_e32 v4, s9, v3
	v_mul_lo_u32 v3, v4, s10
	s_cmp_lg_u32 s8, 0
	v_sub_u32_e32 v3, v1, v3
	v_mad_u64_u32 v[0:1], s[10:11], v3, s12, v[0:1]
	v_mad_u64_u32 v[2:3], s[10:11], v3, s13, v[2:3]
	v_mov_b32_e32 v1, v4
	s_cbranch_scc1 .LBB208_554
.LBB208_555:
	s_mov_b64 s[0:1], 0
.LBB208_556:
	s_andn2_b64 vcc, exec, s[0:1]
	s_cbranch_vccnz .LBB208_559
; %bb.557:
	v_mul_hi_u32 v0, s29, v8
	s_andn2_b64 vcc, exec, s[48:49]
	v_add_u32_e32 v0, v8, v0
	v_lshrrev_b32_e32 v1, s30, v0
	v_mul_lo_u32 v0, v1, s28
	v_sub_u32_e32 v2, v8, v0
	v_mul_lo_u32 v0, v2, s36
	v_mul_lo_u32 v2, v2, s37
	s_cbranch_vccnz .LBB208_559
; %bb.558:
	s_waitcnt vmcnt(0)
	v_mul_hi_u32 v3, s46, v1
	v_add_u32_e32 v3, v1, v3
	v_lshrrev_b32_e32 v3, s47, v3
	v_mul_lo_u32 v3, v3, s31
	v_sub_u32_e32 v3, v1, v3
	v_mad_u64_u32 v[0:1], s[0:1], v3, s38, v[0:1]
	v_mad_u64_u32 v[2:3], s[0:1], v3, s39, v[2:3]
.LBB208_559:
	s_waitcnt vmcnt(0)
	v_mov_b32_e32 v3, s27
	s_and_b32 s12, 0xffff, s77
	v_add_co_u32_e32 v1, vcc, s26, v2
	s_cmp_lt_i32 s12, 11
	v_addc_co_u32_e32 v2, vcc, 0, v3, vcc
	s_cbranch_scc1 .LBB208_566
; %bb.560:
	s_cmp_gt_i32 s12, 25
	s_cbranch_scc0 .LBB208_567
; %bb.561:
	s_cmp_gt_i32 s12, 28
	s_cbranch_scc0 .LBB208_568
	;; [unrolled: 3-line block ×4, first 2 shown]
; %bb.564:
	s_cmp_eq_u32 s12, 46
	s_mov_b64 s[8:9], 0
	s_cbranch_scc0 .LBB208_575
; %bb.565:
	global_load_dword v3, v[1:2], off
	s_mov_b64 s[0:1], -1
	s_mov_b64 s[2:3], 0
	s_waitcnt vmcnt(0)
	v_lshlrev_b32_e32 v3, 16, v3
	v_cvt_f16_f32_e32 v3, v3
	s_branch .LBB208_576
.LBB208_566:
	s_mov_b64 s[8:9], -1
	s_mov_b64 s[0:1], 0
                                        ; implicit-def: $vgpr3
	s_mov_b64 s[2:3], s[60:61]
	s_branch .LBB208_641
.LBB208_567:
	s_mov_b64 s[8:9], -1
	s_mov_b64 s[0:1], 0
	s_mov_b64 s[2:3], s[60:61]
                                        ; implicit-def: $vgpr3
	s_branch .LBB208_605
.LBB208_568:
	s_mov_b64 s[8:9], -1
	s_mov_b64 s[0:1], 0
	s_mov_b64 s[2:3], s[60:61]
                                        ; implicit-def: $vgpr3
	s_branch .LBB208_586
.LBB208_569:
	s_mov_b64 s[8:9], -1
	s_mov_b64 s[0:1], 0
	s_mov_b64 s[2:3], s[60:61]
                                        ; implicit-def: $vgpr3
	s_branch .LBB208_581
.LBB208_570:
	s_andn2_saveexec_b64 s[12:13], s[12:13]
	s_cbranch_execz .LBB208_339
.LBB208_571:
	s_mov_b32 s16, 0x46000000
	v_add_f32_e64 v4, |v3|, s16
	v_and_b32_e32 v4, 0xff, v4
	v_cmp_ne_u32_e32 vcc, 0, v4
	s_andn2_b64 s[10:11], s[10:11], exec
	s_and_b64 s[16:17], vcc, exec
	s_or_b64 s[10:11], s[10:11], s[16:17]
	s_or_b64 exec, exec, s[12:13]
	v_mov_b32_e32 v5, 0
	s_and_saveexec_b64 s[12:13], s[10:11]
	s_cbranch_execnz .LBB208_340
	s_branch .LBB208_341
.LBB208_572:
	s_mov_b64 s[8:9], -1
	s_mov_b64 s[0:1], 0
	s_mov_b64 s[2:3], s[60:61]
                                        ; implicit-def: $vgpr3
	s_branch .LBB208_576
.LBB208_573:
	s_andn2_saveexec_b64 s[12:13], s[12:13]
	s_cbranch_execz .LBB208_352
.LBB208_574:
	s_mov_b32 s16, 0x42800000
	v_add_f32_e64 v4, |v3|, s16
	v_and_b32_e32 v4, 0xff, v4
	v_cmp_ne_u32_e32 vcc, 0, v4
	s_andn2_b64 s[10:11], s[10:11], exec
	s_and_b64 s[16:17], vcc, exec
	s_or_b64 s[10:11], s[10:11], s[16:17]
	s_or_b64 exec, exec, s[12:13]
	v_mov_b32_e32 v5, 0
	s_and_saveexec_b64 s[12:13], s[10:11]
	s_cbranch_execnz .LBB208_353
	s_branch .LBB208_354
.LBB208_575:
	s_mov_b64 s[2:3], -1
                                        ; implicit-def: $vgpr3
	s_mov_b64 s[0:1], 0
.LBB208_576:
	s_and_b64 vcc, exec, s[8:9]
	s_cbranch_vccz .LBB208_580
; %bb.577:
	s_cmp_eq_u32 s12, 44
	s_cbranch_scc0 .LBB208_579
; %bb.578:
	global_load_ubyte v3, v[1:2], off
	s_movk_i32 s2, 0xff
	v_mov_b32_e32 v5, 0x7e00
	s_mov_b64 s[0:1], -1
	s_waitcnt vmcnt(0)
	v_lshlrev_b32_e32 v4, 23, v3
	v_cvt_f16_f32_e32 v4, v4
	v_cmp_ne_u32_e32 vcc, s2, v3
	s_mov_b64 s[2:3], 0
	v_cndmask_b32_e32 v4, v5, v4, vcc
	v_cmp_ne_u32_e32 vcc, 0, v3
	v_cndmask_b32_e32 v3, 0, v4, vcc
	s_branch .LBB208_580
.LBB208_579:
	s_mov_b64 s[2:3], -1
                                        ; implicit-def: $vgpr3
.LBB208_580:
	s_mov_b64 s[8:9], 0
.LBB208_581:
	s_and_b64 vcc, exec, s[8:9]
	s_cbranch_vccz .LBB208_585
; %bb.582:
	s_cmp_eq_u32 s12, 29
	s_cbranch_scc0 .LBB208_584
; %bb.583:
	global_load_dwordx2 v[3:4], v[1:2], off
	s_mov_b64 s[0:1], -1
	s_mov_b64 s[2:3], 0
	s_mov_b64 s[8:9], 0
	s_waitcnt vmcnt(0)
	v_ffbh_u32_e32 v5, v4
	v_min_u32_e32 v5, 32, v5
	v_lshlrev_b64 v[3:4], v5, v[3:4]
	v_min_u32_e32 v3, 1, v3
	v_or_b32_e32 v3, v4, v3
	v_cvt_f32_u32_e32 v3, v3
	v_sub_u32_e32 v4, 32, v5
	v_ldexp_f32 v3, v3, v4
	v_cvt_f16_f32_e32 v3, v3
	s_branch .LBB208_586
.LBB208_584:
	s_mov_b64 s[2:3], -1
                                        ; implicit-def: $vgpr3
.LBB208_585:
	s_mov_b64 s[8:9], 0
.LBB208_586:
	s_and_b64 vcc, exec, s[8:9]
	s_cbranch_vccz .LBB208_604
; %bb.587:
	s_cmp_lt_i32 s12, 27
	s_cbranch_scc1 .LBB208_590
; %bb.588:
	s_cmp_gt_i32 s12, 27
	s_cbranch_scc0 .LBB208_591
; %bb.589:
	global_load_dword v3, v[1:2], off
	s_mov_b64 s[0:1], 0
	s_waitcnt vmcnt(0)
	v_cvt_f32_u32_e32 v3, v3
	v_cvt_f16_f32_e32 v3, v3
	s_branch .LBB208_592
.LBB208_590:
	s_mov_b64 s[0:1], -1
                                        ; implicit-def: $vgpr3
	s_branch .LBB208_595
.LBB208_591:
	s_mov_b64 s[0:1], -1
                                        ; implicit-def: $vgpr3
.LBB208_592:
	s_andn2_b64 vcc, exec, s[0:1]
	s_cbranch_vccnz .LBB208_594
; %bb.593:
	global_load_ushort v3, v[1:2], off
	s_waitcnt vmcnt(0)
	v_cvt_f16_u16_e32 v3, v3
.LBB208_594:
	s_mov_b64 s[0:1], 0
.LBB208_595:
	s_andn2_b64 vcc, exec, s[0:1]
	s_cbranch_vccnz .LBB208_603
; %bb.596:
	global_load_ubyte v4, v[1:2], off
	s_movk_i32 s0, 0x7f
	s_waitcnt vmcnt(0)
	v_cmp_lt_i16_e32 vcc, s0, v4
	s_mov_b64 s[0:1], 0
	s_and_saveexec_b64 s[8:9], vcc
	s_xor_b64 s[8:9], exec, s[8:9]
	s_cbranch_execz .LBB208_617
; %bb.597:
	s_movk_i32 s0, 0x80
	v_cmp_eq_u16_e32 vcc, s0, v4
	s_mov_b64 s[0:1], -1
	s_and_saveexec_b64 s[10:11], vcc
; %bb.598:
	s_xor_b64 s[0:1], exec, -1
; %bb.599:
	s_or_b64 exec, exec, s[10:11]
	s_and_b64 s[0:1], s[0:1], exec
	s_or_saveexec_b64 s[8:9], s[8:9]
	v_mov_b32_e32 v3, 0x7e00
	s_xor_b64 exec, exec, s[8:9]
	s_cbranch_execnz .LBB208_618
.LBB208_600:
	s_or_b64 exec, exec, s[8:9]
	s_and_saveexec_b64 s[8:9], s[0:1]
	s_cbranch_execz .LBB208_602
.LBB208_601:
	v_lshlrev_b32_e32 v3, 24, v4
	v_and_b32_e32 v4, 0xffff, v4
	v_and_b32_e32 v5, 7, v4
	v_ffbh_u32_e32 v7, v5
	v_min_u32_e32 v7, 32, v7
	v_subrev_u32_e32 v9, 28, v7
	v_bfe_u32 v6, v4, 3, 4
	v_lshlrev_b32_e32 v4, v9, v4
	v_sub_u32_e32 v7, 29, v7
	v_and_b32_e32 v4, 7, v4
	v_cmp_eq_u32_e32 vcc, 0, v6
	v_cndmask_b32_e32 v6, v6, v7, vcc
	v_cndmask_b32_e32 v4, v5, v4, vcc
	v_mov_b32_e32 v5, 0x3b800000
	v_lshlrev_b32_e32 v4, 20, v4
	v_and_b32_e32 v3, 0x80000000, v3
	v_lshl_add_u32 v5, v6, 23, v5
	v_or3_b32 v3, v3, v5, v4
	v_cvt_f16_f32_e32 v3, v3
.LBB208_602:
	s_or_b64 exec, exec, s[8:9]
.LBB208_603:
	s_mov_b64 s[0:1], -1
.LBB208_604:
	s_mov_b64 s[8:9], 0
.LBB208_605:
	s_and_b64 vcc, exec, s[8:9]
	s_cbranch_vccz .LBB208_640
; %bb.606:
	s_cmp_gt_i32 s12, 22
	s_cbranch_scc0 .LBB208_616
; %bb.607:
	s_cmp_lt_i32 s12, 24
	s_cbranch_scc1 .LBB208_619
; %bb.608:
	s_cmp_gt_i32 s12, 24
	s_cbranch_scc0 .LBB208_620
; %bb.609:
	global_load_ubyte v4, v[1:2], off
	s_movk_i32 s0, 0x7f
	s_waitcnt vmcnt(0)
	v_cmp_lt_i16_e32 vcc, s0, v4
	s_mov_b64 s[0:1], 0
	s_and_saveexec_b64 s[8:9], vcc
	s_xor_b64 s[8:9], exec, s[8:9]
	s_cbranch_execz .LBB208_632
; %bb.610:
	s_movk_i32 s0, 0x80
	v_cmp_eq_u16_e32 vcc, s0, v4
	s_mov_b64 s[0:1], -1
	s_and_saveexec_b64 s[10:11], vcc
; %bb.611:
	s_xor_b64 s[0:1], exec, -1
; %bb.612:
	s_or_b64 exec, exec, s[10:11]
	s_and_b64 s[0:1], s[0:1], exec
	s_or_saveexec_b64 s[8:9], s[8:9]
	v_mov_b32_e32 v3, 0x7e00
	s_xor_b64 exec, exec, s[8:9]
	s_cbranch_execnz .LBB208_633
.LBB208_613:
	s_or_b64 exec, exec, s[8:9]
	s_and_saveexec_b64 s[8:9], s[0:1]
	s_cbranch_execz .LBB208_615
.LBB208_614:
	v_lshlrev_b32_e32 v3, 24, v4
	v_and_b32_e32 v4, 0xffff, v4
	v_and_b32_e32 v5, 3, v4
	v_ffbh_u32_e32 v7, v5
	v_min_u32_e32 v7, 32, v7
	v_subrev_u32_e32 v9, 29, v7
	v_bfe_u32 v6, v4, 2, 5
	v_lshlrev_b32_e32 v4, v9, v4
	v_sub_u32_e32 v7, 30, v7
	v_and_b32_e32 v4, 3, v4
	v_cmp_eq_u32_e32 vcc, 0, v6
	v_cndmask_b32_e32 v6, v6, v7, vcc
	v_cndmask_b32_e32 v4, v5, v4, vcc
	v_mov_b32_e32 v5, 0x37800000
	v_lshlrev_b32_e32 v4, 21, v4
	v_and_b32_e32 v3, 0x80000000, v3
	v_lshl_add_u32 v5, v6, 23, v5
	v_or3_b32 v3, v3, v5, v4
	v_cvt_f16_f32_e32 v3, v3
.LBB208_615:
	s_or_b64 exec, exec, s[8:9]
	s_mov_b64 s[0:1], 0
	s_branch .LBB208_621
.LBB208_616:
	s_mov_b64 s[8:9], -1
                                        ; implicit-def: $vgpr3
	s_branch .LBB208_627
.LBB208_617:
	s_or_saveexec_b64 s[8:9], s[8:9]
	v_mov_b32_e32 v3, 0x7e00
	s_xor_b64 exec, exec, s[8:9]
	s_cbranch_execz .LBB208_600
.LBB208_618:
	v_cmp_ne_u16_e32 vcc, 0, v4
	s_andn2_b64 s[0:1], s[0:1], exec
	s_and_b64 s[10:11], vcc, exec
	s_or_b64 s[0:1], s[0:1], s[10:11]
	v_mov_b32_e32 v3, v4
	s_or_b64 exec, exec, s[8:9]
	s_and_saveexec_b64 s[8:9], s[0:1]
	s_cbranch_execnz .LBB208_601
	s_branch .LBB208_602
.LBB208_619:
	s_mov_b64 s[0:1], -1
                                        ; implicit-def: $vgpr3
	s_branch .LBB208_624
.LBB208_620:
	s_mov_b64 s[0:1], -1
                                        ; implicit-def: $vgpr3
.LBB208_621:
	s_and_b64 vcc, exec, s[0:1]
	s_cbranch_vccz .LBB208_623
; %bb.622:
	global_load_ubyte v3, v[1:2], off
	s_mov_b32 s0, 0x7f800000
	s_waitcnt vmcnt(0)
	v_lshlrev_b32_e32 v3, 24, v3
	v_and_b32_e32 v4, 0x7f000000, v3
	v_ffbh_u32_e32 v5, v4
	v_min_u32_e32 v5, 32, v5
	v_sub_u32_e64 v5, v5, 4 clamp
	v_lshlrev_b32_e32 v7, v5, v4
	v_lshlrev_b32_e32 v5, 23, v5
	v_lshrrev_b32_e32 v7, 4, v7
	v_add_u32_e32 v6, 0x1000000, v4
	v_sub_u32_e32 v5, v7, v5
	v_ashrrev_i32_e32 v6, 8, v6
	v_add_u32_e32 v5, 0x3c000000, v5
	v_and_or_b32 v5, v6, s0, v5
	v_cmp_ne_u32_e32 vcc, 0, v4
	v_cndmask_b32_e32 v4, 0, v5, vcc
	s_brev_b32 s0, 1
	v_and_or_b32 v3, v3, s0, v4
	v_cvt_f16_f32_e32 v3, v3
.LBB208_623:
	s_mov_b64 s[0:1], 0
.LBB208_624:
	s_andn2_b64 vcc, exec, s[0:1]
	s_cbranch_vccnz .LBB208_626
; %bb.625:
	global_load_ubyte v3, v[1:2], off
	s_movk_i32 s0, 0x7f00
	s_brev_b32 s1, 16
	s_waitcnt vmcnt(0)
	v_lshlrev_b16_e32 v4, 8, v3
	v_lshlrev_b32_e32 v3, 25, v3
	v_lshrrev_b32_e32 v5, 4, v3
	v_and_or_b32 v6, v4, s0, 0.5
	v_or_b32_e32 v5, 0x70000000, v5
	v_add_f32_e32 v6, -0.5, v6
	v_mul_f32_e32 v5, 0x7800000, v5
	v_cmp_gt_u32_e32 vcc, s1, v3
	v_bfe_i32 v4, v4, 0, 16
	v_cndmask_b32_e32 v3, v5, v6, vcc
	s_brev_b32 s0, 1
	v_and_or_b32 v3, v4, s0, v3
	v_cvt_f16_f32_e32 v3, v3
.LBB208_626:
	s_mov_b64 s[8:9], 0
	s_mov_b64 s[0:1], -1
.LBB208_627:
	s_andn2_b64 vcc, exec, s[8:9]
	s_cbranch_vccnz .LBB208_640
; %bb.628:
	s_cmp_gt_i32 s12, 14
	s_cbranch_scc0 .LBB208_631
; %bb.629:
	s_cmp_eq_u32 s12, 15
	s_cbranch_scc0 .LBB208_634
; %bb.630:
	global_load_ushort v3, v[1:2], off
	s_mov_b64 s[0:1], -1
	s_mov_b64 s[2:3], 0
	s_waitcnt vmcnt(0)
	v_lshlrev_b32_e32 v3, 16, v3
	v_cvt_f16_f32_e32 v3, v3
	s_branch .LBB208_635
.LBB208_631:
	s_mov_b64 s[8:9], -1
                                        ; implicit-def: $vgpr3
	s_branch .LBB208_636
.LBB208_632:
	s_or_saveexec_b64 s[8:9], s[8:9]
	v_mov_b32_e32 v3, 0x7e00
	s_xor_b64 exec, exec, s[8:9]
	s_cbranch_execz .LBB208_613
.LBB208_633:
	v_cmp_ne_u16_e32 vcc, 0, v4
	s_andn2_b64 s[0:1], s[0:1], exec
	s_and_b64 s[10:11], vcc, exec
	s_or_b64 s[0:1], s[0:1], s[10:11]
	v_mov_b32_e32 v3, v4
	s_or_b64 exec, exec, s[8:9]
	s_and_saveexec_b64 s[8:9], s[0:1]
	s_cbranch_execnz .LBB208_614
	s_branch .LBB208_615
.LBB208_634:
	s_mov_b64 s[2:3], -1
                                        ; implicit-def: $vgpr3
.LBB208_635:
	s_mov_b64 s[8:9], 0
.LBB208_636:
	s_and_b64 vcc, exec, s[8:9]
	s_cbranch_vccz .LBB208_640
; %bb.637:
	s_cmp_eq_u32 s12, 11
	s_cbranch_scc0 .LBB208_639
; %bb.638:
	global_load_ubyte v3, v[1:2], off
	v_mov_b32_e32 v4, 0x3c00
	s_mov_b64 s[0:1], -1
	s_mov_b64 s[2:3], 0
	s_waitcnt vmcnt(0)
	v_cmp_ne_u16_e32 vcc, 0, v3
	v_cndmask_b32_e32 v3, 0, v4, vcc
	s_branch .LBB208_640
.LBB208_639:
	s_mov_b64 s[2:3], -1
                                        ; implicit-def: $vgpr3
.LBB208_640:
	s_mov_b64 s[8:9], 0
.LBB208_641:
	s_and_b64 vcc, exec, s[8:9]
	s_cbranch_vccz .LBB208_690
; %bb.642:
	s_cmp_lt_i32 s12, 5
	s_cbranch_scc1 .LBB208_647
; %bb.643:
	s_cmp_lt_i32 s12, 8
	s_cbranch_scc1 .LBB208_648
; %bb.644:
	s_cmp_lt_i32 s12, 9
	s_cbranch_scc1 .LBB208_649
; %bb.645:
	s_cmp_gt_i32 s12, 9
	s_cbranch_scc0 .LBB208_650
; %bb.646:
	global_load_dwordx2 v[3:4], v[1:2], off
	s_movk_i32 s0, 0x1ff
	s_movk_i32 s1, 0xffe
	v_mov_b32_e32 v5, 0x7c00
	v_mov_b32_e32 v6, 0x7e00
	s_movk_i32 s8, 0x40f
	s_mov_b32 s9, 0x8000
	s_waitcnt vmcnt(0)
	v_and_or_b32 v3, v4, s0, v3
	v_cmp_ne_u32_e32 vcc, 0, v3
	v_lshrrev_b32_e32 v7, 8, v4
	v_bfe_u32 v9, v4, 20, 11
	v_cndmask_b32_e64 v3, 0, 1, vcc
	v_sub_u32_e32 v10, 0x3f1, v9
	v_and_or_b32 v3, v7, s1, v3
	v_add_u32_e32 v9, 0xfffffc10, v9
	v_med3_i32 v7, v10, 0, 13
	v_or_b32_e32 v10, 0x1000, v3
	v_cmp_ne_u32_e32 vcc, 0, v3
	v_lshl_or_b32 v11, v9, 12, v3
	v_cndmask_b32_e32 v3, v5, v6, vcc
	v_lshrrev_b32_e32 v6, v7, v10
	v_lshlrev_b32_e32 v7, v7, v6
	v_cmp_ne_u32_e32 vcc, v7, v10
	v_cndmask_b32_e64 v7, 0, 1, vcc
	v_or_b32_e32 v6, v6, v7
	v_cmp_gt_i32_e32 vcc, 1, v9
	v_cndmask_b32_e32 v6, v11, v6, vcc
	v_and_b32_e32 v7, 7, v6
	v_cmp_lt_i32_e32 vcc, 5, v7
	v_cndmask_b32_e64 v10, 0, 1, vcc
	v_cmp_eq_u32_e32 vcc, 3, v7
	v_cndmask_b32_e64 v7, 0, 1, vcc
	v_lshrrev_b32_e32 v6, 2, v6
	v_or_b32_e32 v7, v7, v10
	v_add_u32_e32 v6, v6, v7
	v_cmp_gt_i32_e32 vcc, 31, v9
	v_cndmask_b32_e32 v5, v5, v6, vcc
	v_cmp_eq_u32_e32 vcc, s8, v9
	v_lshrrev_b32_e32 v4, 16, v4
	v_cndmask_b32_e32 v3, v5, v3, vcc
	v_and_or_b32 v3, v4, s9, v3
	s_mov_b64 s[0:1], 0
	s_branch .LBB208_651
.LBB208_647:
	s_mov_b64 s[0:1], -1
                                        ; implicit-def: $vgpr3
	s_branch .LBB208_669
.LBB208_648:
	s_mov_b64 s[0:1], -1
                                        ; implicit-def: $vgpr3
	s_branch .LBB208_657
.LBB208_649:
	s_mov_b64 s[0:1], -1
                                        ; implicit-def: $vgpr3
	s_branch .LBB208_654
.LBB208_650:
	s_mov_b64 s[0:1], -1
                                        ; implicit-def: $vgpr3
.LBB208_651:
	s_andn2_b64 vcc, exec, s[0:1]
	s_cbranch_vccnz .LBB208_653
; %bb.652:
	global_load_dword v3, v[1:2], off
	s_waitcnt vmcnt(0)
	v_cvt_f16_f32_e32 v3, v3
.LBB208_653:
	s_mov_b64 s[0:1], 0
.LBB208_654:
	s_andn2_b64 vcc, exec, s[0:1]
	s_cbranch_vccnz .LBB208_656
; %bb.655:
	global_load_dword v3, v[1:2], off
.LBB208_656:
	s_mov_b64 s[0:1], 0
.LBB208_657:
	s_andn2_b64 vcc, exec, s[0:1]
	s_cbranch_vccnz .LBB208_668
; %bb.658:
	s_cmp_lt_i32 s12, 6
	s_cbranch_scc1 .LBB208_661
; %bb.659:
	s_cmp_gt_i32 s12, 6
	s_cbranch_scc0 .LBB208_662
; %bb.660:
	global_load_dwordx2 v[3:4], v[1:2], off
	s_movk_i32 s0, 0x1ff
	s_movk_i32 s1, 0xffe
	v_mov_b32_e32 v5, 0x7c00
	v_mov_b32_e32 v6, 0x7e00
	s_movk_i32 s8, 0x40f
	s_mov_b32 s9, 0x8000
	s_waitcnt vmcnt(0)
	v_and_or_b32 v3, v4, s0, v3
	v_cmp_ne_u32_e32 vcc, 0, v3
	v_lshrrev_b32_e32 v7, 8, v4
	v_bfe_u32 v9, v4, 20, 11
	v_cndmask_b32_e64 v3, 0, 1, vcc
	v_sub_u32_e32 v10, 0x3f1, v9
	v_and_or_b32 v3, v7, s1, v3
	v_add_u32_e32 v9, 0xfffffc10, v9
	v_med3_i32 v7, v10, 0, 13
	v_or_b32_e32 v10, 0x1000, v3
	v_cmp_ne_u32_e32 vcc, 0, v3
	v_lshl_or_b32 v11, v9, 12, v3
	v_cndmask_b32_e32 v3, v5, v6, vcc
	v_lshrrev_b32_e32 v6, v7, v10
	v_lshlrev_b32_e32 v7, v7, v6
	v_cmp_ne_u32_e32 vcc, v7, v10
	v_cndmask_b32_e64 v7, 0, 1, vcc
	v_or_b32_e32 v6, v6, v7
	v_cmp_gt_i32_e32 vcc, 1, v9
	v_cndmask_b32_e32 v6, v11, v6, vcc
	v_and_b32_e32 v7, 7, v6
	v_cmp_lt_i32_e32 vcc, 5, v7
	v_cndmask_b32_e64 v10, 0, 1, vcc
	v_cmp_eq_u32_e32 vcc, 3, v7
	v_cndmask_b32_e64 v7, 0, 1, vcc
	v_lshrrev_b32_e32 v6, 2, v6
	v_or_b32_e32 v7, v7, v10
	v_add_u32_e32 v6, v6, v7
	v_cmp_gt_i32_e32 vcc, 31, v9
	v_cndmask_b32_e32 v5, v5, v6, vcc
	v_cmp_eq_u32_e32 vcc, s8, v9
	v_lshrrev_b32_e32 v4, 16, v4
	v_cndmask_b32_e32 v3, v5, v3, vcc
	v_and_or_b32 v3, v4, s9, v3
	s_mov_b64 s[0:1], 0
	s_branch .LBB208_663
.LBB208_661:
	s_mov_b64 s[0:1], -1
                                        ; implicit-def: $vgpr3
	s_branch .LBB208_666
.LBB208_662:
	s_mov_b64 s[0:1], -1
                                        ; implicit-def: $vgpr3
.LBB208_663:
	s_andn2_b64 vcc, exec, s[0:1]
	s_cbranch_vccnz .LBB208_665
; %bb.664:
	global_load_dword v3, v[1:2], off
	s_waitcnt vmcnt(0)
	v_cvt_f16_f32_e32 v3, v3
.LBB208_665:
	s_mov_b64 s[0:1], 0
.LBB208_666:
	s_andn2_b64 vcc, exec, s[0:1]
	s_cbranch_vccnz .LBB208_668
; %bb.667:
	global_load_ushort v3, v[1:2], off
.LBB208_668:
	s_mov_b64 s[0:1], 0
.LBB208_669:
	s_andn2_b64 vcc, exec, s[0:1]
	s_cbranch_vccnz .LBB208_689
; %bb.670:
	s_cmp_lt_i32 s12, 2
	s_cbranch_scc1 .LBB208_674
; %bb.671:
	s_cmp_lt_i32 s12, 3
	s_cbranch_scc1 .LBB208_675
; %bb.672:
	s_cmp_gt_i32 s12, 3
	s_cbranch_scc0 .LBB208_676
; %bb.673:
	global_load_dwordx2 v[3:4], v[1:2], off
	s_mov_b64 s[0:1], 0
	s_waitcnt vmcnt(0)
	v_xor_b32_e32 v6, v3, v4
	v_ffbh_i32_e32 v5, v4
	v_ashrrev_i32_e32 v6, 31, v6
	v_add_u32_e32 v5, -1, v5
	v_add_u32_e32 v6, 32, v6
	v_min_u32_e32 v5, v5, v6
	v_lshlrev_b64 v[3:4], v5, v[3:4]
	v_min_u32_e32 v3, 1, v3
	v_or_b32_e32 v3, v4, v3
	v_cvt_f32_i32_e32 v3, v3
	v_sub_u32_e32 v4, 32, v5
	v_ldexp_f32 v3, v3, v4
	v_cvt_f16_f32_e32 v3, v3
	s_branch .LBB208_677
.LBB208_674:
	s_mov_b64 s[0:1], -1
                                        ; implicit-def: $vgpr3
	s_branch .LBB208_683
.LBB208_675:
	s_mov_b64 s[0:1], -1
                                        ; implicit-def: $vgpr3
	s_branch .LBB208_680
.LBB208_676:
	s_mov_b64 s[0:1], -1
                                        ; implicit-def: $vgpr3
.LBB208_677:
	s_andn2_b64 vcc, exec, s[0:1]
	s_cbranch_vccnz .LBB208_679
; %bb.678:
	global_load_dword v3, v[1:2], off
	s_waitcnt vmcnt(0)
	v_cvt_f32_i32_e32 v3, v3
	v_cvt_f16_f32_e32 v3, v3
.LBB208_679:
	s_mov_b64 s[0:1], 0
.LBB208_680:
	s_andn2_b64 vcc, exec, s[0:1]
	s_cbranch_vccnz .LBB208_682
; %bb.681:
	global_load_ushort v3, v[1:2], off
	s_waitcnt vmcnt(0)
	v_cvt_f16_i16_e32 v3, v3
.LBB208_682:
	s_mov_b64 s[0:1], 0
.LBB208_683:
	s_andn2_b64 vcc, exec, s[0:1]
	s_cbranch_vccnz .LBB208_689
; %bb.684:
	s_cmp_gt_i32 s12, 0
	s_cbranch_scc0 .LBB208_686
; %bb.685:
	global_load_sbyte v3, v[1:2], off
	s_mov_b64 s[0:1], 0
	s_waitcnt vmcnt(0)
	v_cvt_f16_i16_e32 v3, v3
	s_branch .LBB208_687
.LBB208_686:
	s_mov_b64 s[0:1], -1
                                        ; implicit-def: $vgpr3
.LBB208_687:
	s_andn2_b64 vcc, exec, s[0:1]
	s_cbranch_vccnz .LBB208_689
; %bb.688:
	global_load_ubyte v1, v[1:2], off
	s_waitcnt vmcnt(0)
	v_cvt_f16_u16_e32 v3, v1
.LBB208_689:
	s_mov_b64 s[0:1], -1
.LBB208_690:
	s_andn2_b64 vcc, exec, s[0:1]
	s_cbranch_vccnz .LBB208_698
; %bb.691:
	v_mov_b32_e32 v1, s45
	v_mov_b32_e32 v2, s76
	s_waitcnt vmcnt(0)
	v_cmp_ge_f16_e32 vcc, s44, v3
	v_cndmask_b32_e32 v2, v1, v2, vcc
	v_mov_b32_e32 v1, s25
	s_and_b32 s14, s75, 0xff
	v_add_co_u32_e32 v0, vcc, s24, v0
	s_cmp_lt_i32 s14, 11
	v_addc_co_u32_e32 v1, vcc, 0, v1, vcc
	s_cbranch_scc1 .LBB208_699
; %bb.692:
	s_and_b32 s15, 0xffff, s14
	s_cmp_gt_i32 s15, 25
	s_cbranch_scc0 .LBB208_700
; %bb.693:
	s_cmp_gt_i32 s15, 28
	s_cbranch_scc0 .LBB208_701
; %bb.694:
	;; [unrolled: 3-line block ×4, first 2 shown]
	s_mov_b64 s[10:11], 0
	s_mov_b64 s[0:1], -1
	s_cmp_eq_u32 s15, 46
	s_mov_b64 s[8:9], 0
	s_cbranch_scc0 .LBB208_704
; %bb.697:
	v_cvt_f32_f16_e32 v3, v2
	s_movk_i32 s0, 0x7fff
	v_cmp_o_f16_e32 vcc, v2, v2
	v_mov_b32_e32 v4, 0x7fc0
	v_bfe_u32 v5, v3, 16, 1
	v_add3_u32 v3, v3, v5, s0
	v_cndmask_b32_sdwa v3, v4, v3, vcc dst_sel:DWORD dst_unused:UNUSED_PAD src0_sel:DWORD src1_sel:WORD_1
	global_store_dword v[0:1], v3, off
	s_mov_b64 s[8:9], -1
	s_mov_b64 s[0:1], 0
	s_branch .LBB208_704
.LBB208_698:
	s_mov_b64 s[8:9], 0
	s_mov_b64 s[0:1], s[62:63]
	s_branch .LBB208_815
.LBB208_699:
	s_mov_b64 s[10:11], -1
	s_mov_b64 s[8:9], 0
	s_mov_b64 s[0:1], s[62:63]
	s_branch .LBB208_773
.LBB208_700:
	s_mov_b64 s[10:11], -1
	s_mov_b64 s[8:9], 0
	s_mov_b64 s[0:1], s[62:63]
	s_branch .LBB208_731
.LBB208_701:
	s_mov_b64 s[10:11], -1
	s_mov_b64 s[8:9], 0
	s_mov_b64 s[0:1], s[62:63]
	s_branch .LBB208_714
.LBB208_702:
	s_mov_b64 s[10:11], -1
	s_mov_b64 s[8:9], 0
	s_mov_b64 s[0:1], s[62:63]
	s_branch .LBB208_710
.LBB208_703:
	s_mov_b64 s[10:11], -1
	s_mov_b64 s[8:9], 0
	s_mov_b64 s[0:1], s[62:63]
.LBB208_704:
	s_and_b64 vcc, exec, s[10:11]
	s_cbranch_vccz .LBB208_709
; %bb.705:
	s_cmp_eq_u32 s15, 44
	s_mov_b64 s[0:1], -1
	s_cbranch_scc0 .LBB208_709
; %bb.706:
	v_cvt_f32_f16_e32 v3, v2
	s_movk_i32 s0, 0xff
	v_mov_b32_e32 v5, 0xff
	v_bfe_u32 v4, v3, 23, 8
	v_cmp_ne_u32_e32 vcc, s0, v4
	s_and_saveexec_b64 s[8:9], vcc
; %bb.707:
	s_mov_b32 s0, 0x3fffff
	v_lshrrev_b32_e32 v5, 23, v3
	v_and_b32_e32 v6, 0x400000, v3
	v_and_or_b32 v3, v3, s0, v4
	v_cmp_ne_u32_e32 vcc, 0, v6
	v_cmp_ne_u32_e64 s[0:1], 0, v3
	s_and_b64 s[0:1], vcc, s[0:1]
	v_cndmask_b32_e64 v3, 0, 1, s[0:1]
	v_add_u32_e32 v5, v5, v3
; %bb.708:
	s_or_b64 exec, exec, s[8:9]
	s_mov_b64 s[8:9], -1
	s_mov_b64 s[0:1], 0
	global_store_byte v[0:1], v5, off
.LBB208_709:
	s_mov_b64 s[10:11], 0
.LBB208_710:
	s_and_b64 vcc, exec, s[10:11]
	s_cbranch_vccz .LBB208_713
; %bb.711:
	s_cmp_eq_u32 s15, 29
	s_mov_b64 s[0:1], -1
	s_cbranch_scc0 .LBB208_713
; %bb.712:
	v_cvt_f32_f16_e32 v3, v2
	v_mov_b32_e32 v4, 0
	s_mov_b64 s[8:9], -1
	s_mov_b64 s[0:1], 0
	v_cvt_u32_f32_e32 v3, v3
	s_mov_b64 s[10:11], 0
	global_store_dwordx2 v[0:1], v[3:4], off
	s_branch .LBB208_714
.LBB208_713:
	s_mov_b64 s[10:11], 0
.LBB208_714:
	s_and_b64 vcc, exec, s[10:11]
	s_cbranch_vccz .LBB208_730
; %bb.715:
	s_cmp_lt_i32 s15, 27
	s_mov_b64 s[8:9], -1
	s_cbranch_scc1 .LBB208_721
; %bb.716:
	s_cmp_gt_i32 s15, 27
	s_cbranch_scc0 .LBB208_718
; %bb.717:
	v_cvt_f32_f16_e32 v3, v2
	s_mov_b64 s[8:9], 0
	v_cvt_u32_f32_e32 v3, v3
	global_store_dword v[0:1], v3, off
.LBB208_718:
	s_andn2_b64 vcc, exec, s[8:9]
	s_cbranch_vccnz .LBB208_720
; %bb.719:
	v_cvt_u16_f16_e32 v3, v2
	global_store_short v[0:1], v3, off
.LBB208_720:
	s_mov_b64 s[8:9], 0
.LBB208_721:
	s_andn2_b64 vcc, exec, s[8:9]
	s_cbranch_vccnz .LBB208_729
; %bb.722:
	v_cvt_f32_f16_e32 v3, v2
	s_mov_b32 s8, 0x43800000
	v_mov_b32_e32 v5, 0x80
	v_and_b32_e32 v4, 0x7fffffff, v3
	v_cmp_gt_u32_e32 vcc, s8, v4
	s_and_saveexec_b64 s[8:9], vcc
	s_cbranch_execz .LBB208_728
; %bb.723:
	s_mov_b32 s10, 0x3bffffff
	v_cmp_lt_u32_e32 vcc, s10, v4
	s_mov_b64 s[10:11], 0
                                        ; implicit-def: $vgpr4
	s_and_saveexec_b64 s[12:13], vcc
	s_xor_b64 s[12:13], exec, s[12:13]
	s_cbranch_execz .LBB208_845
; %bb.724:
	v_bfe_u32 v4, v3, 20, 1
	s_mov_b32 s16, 0x487ffff
	v_add3_u32 v4, v3, v4, s16
	s_mov_b64 s[10:11], exec
	v_lshrrev_b32_e32 v4, 20, v4
	s_andn2_saveexec_b64 s[12:13], s[12:13]
	s_cbranch_execnz .LBB208_846
.LBB208_725:
	s_or_b64 exec, exec, s[12:13]
	v_mov_b32_e32 v5, 0
	s_and_saveexec_b64 s[12:13], s[10:11]
.LBB208_726:
	v_lshrrev_b32_e32 v3, 24, v3
	s_movk_i32 s10, 0x80
	v_and_or_b32 v5, v3, s10, v4
.LBB208_727:
	s_or_b64 exec, exec, s[12:13]
.LBB208_728:
	s_or_b64 exec, exec, s[8:9]
	global_store_byte v[0:1], v5, off
.LBB208_729:
	s_mov_b64 s[8:9], -1
.LBB208_730:
	s_mov_b64 s[10:11], 0
.LBB208_731:
	s_and_b64 vcc, exec, s[10:11]
	s_cbranch_vccz .LBB208_772
; %bb.732:
	s_cmp_gt_i32 s15, 22
	s_mov_b64 s[10:11], -1
	s_cbranch_scc0 .LBB208_764
; %bb.733:
	s_cmp_lt_i32 s15, 24
	s_mov_b64 s[8:9], -1
	s_cbranch_scc1 .LBB208_753
; %bb.734:
	s_cmp_gt_i32 s15, 24
	s_cbranch_scc0 .LBB208_742
; %bb.735:
	v_cvt_f32_f16_e32 v3, v2
	s_mov_b32 s8, 0x47800000
	v_mov_b32_e32 v5, 0x80
	v_and_b32_e32 v4, 0x7fffffff, v3
	v_cmp_gt_u32_e32 vcc, s8, v4
	s_and_saveexec_b64 s[8:9], vcc
	s_cbranch_execz .LBB208_741
; %bb.736:
	s_mov_b32 s10, 0x37ffffff
	v_cmp_lt_u32_e32 vcc, s10, v4
	s_mov_b64 s[10:11], 0
                                        ; implicit-def: $vgpr4
	s_and_saveexec_b64 s[12:13], vcc
	s_xor_b64 s[12:13], exec, s[12:13]
	s_cbranch_execz .LBB208_848
; %bb.737:
	v_bfe_u32 v4, v3, 21, 1
	s_mov_b32 s16, 0x88fffff
	v_add3_u32 v4, v3, v4, s16
	s_mov_b64 s[10:11], exec
	v_lshrrev_b32_e32 v4, 21, v4
	s_andn2_saveexec_b64 s[12:13], s[12:13]
	s_cbranch_execnz .LBB208_849
.LBB208_738:
	s_or_b64 exec, exec, s[12:13]
	v_mov_b32_e32 v5, 0
	s_and_saveexec_b64 s[12:13], s[10:11]
.LBB208_739:
	v_lshrrev_b32_e32 v3, 24, v3
	s_movk_i32 s10, 0x80
	v_and_or_b32 v5, v3, s10, v4
.LBB208_740:
	s_or_b64 exec, exec, s[12:13]
.LBB208_741:
	s_or_b64 exec, exec, s[8:9]
	s_mov_b64 s[8:9], 0
	global_store_byte v[0:1], v5, off
.LBB208_742:
	s_and_b64 vcc, exec, s[8:9]
	s_cbranch_vccz .LBB208_752
; %bb.743:
	v_cvt_f32_f16_e32 v3, v2
	s_mov_b32 s8, 0x43f00000
                                        ; implicit-def: $vgpr4
	v_and_b32_e32 v5, 0x7fffffff, v3
	v_cmp_gt_u32_e32 vcc, s8, v5
	s_and_saveexec_b64 s[8:9], vcc
	s_xor_b64 s[8:9], exec, s[8:9]
	s_cbranch_execz .LBB208_749
; %bb.744:
	s_mov_b32 s10, 0x3c7fffff
	v_cmp_lt_u32_e32 vcc, s10, v5
                                        ; implicit-def: $vgpr4
	s_and_saveexec_b64 s[10:11], vcc
	s_xor_b64 s[10:11], exec, s[10:11]
; %bb.745:
	v_bfe_u32 v4, v3, 20, 1
	s_mov_b32 s12, 0x407ffff
	v_add3_u32 v4, v3, v4, s12
	v_lshrrev_b32_e32 v5, 20, v4
	v_and_b32_e32 v4, 0xff00000, v4
	s_mov_b32 s12, 0x7f00000
	v_mov_b32_e32 v6, 0x7e
	v_cmp_ne_u32_e32 vcc, s12, v4
	v_cndmask_b32_e32 v4, v6, v5, vcc
; %bb.746:
	s_andn2_saveexec_b64 s[10:11], s[10:11]
; %bb.747:
	s_mov_b32 s12, 0x46800000
	v_add_f32_e64 v4, |v3|, s12
; %bb.748:
	s_or_b64 exec, exec, s[10:11]
                                        ; implicit-def: $vgpr5
.LBB208_749:
	s_andn2_saveexec_b64 s[8:9], s[8:9]
; %bb.750:
	s_mov_b32 s10, 0x7f800000
	v_mov_b32_e32 v4, 0x7e
	v_mov_b32_e32 v6, 0x7f
	v_cmp_lt_u32_e32 vcc, s10, v5
	v_cndmask_b32_e32 v4, v4, v6, vcc
; %bb.751:
	s_or_b64 exec, exec, s[8:9]
	v_lshrrev_b32_e32 v3, 24, v3
	s_movk_i32 s8, 0x80
	v_and_or_b32 v3, v3, s8, v4
	global_store_byte v[0:1], v3, off
.LBB208_752:
	s_mov_b64 s[8:9], 0
.LBB208_753:
	s_andn2_b64 vcc, exec, s[8:9]
	s_cbranch_vccnz .LBB208_763
; %bb.754:
	v_cvt_f32_f16_e32 v3, v2
	s_mov_b32 s8, 0x47800000
                                        ; implicit-def: $vgpr4
	v_and_b32_e32 v5, 0x7fffffff, v3
	v_cmp_gt_u32_e32 vcc, s8, v5
	s_and_saveexec_b64 s[8:9], vcc
	s_xor_b64 s[8:9], exec, s[8:9]
	s_cbranch_execz .LBB208_760
; %bb.755:
	s_mov_b32 s10, 0x387fffff
	v_cmp_lt_u32_e32 vcc, s10, v5
                                        ; implicit-def: $vgpr4
	s_and_saveexec_b64 s[10:11], vcc
	s_xor_b64 s[10:11], exec, s[10:11]
; %bb.756:
	v_bfe_u32 v4, v3, 21, 1
	s_mov_b32 s12, 0x80fffff
	v_add3_u32 v4, v3, v4, s12
	v_lshrrev_b32_e32 v4, 21, v4
; %bb.757:
	s_andn2_saveexec_b64 s[10:11], s[10:11]
; %bb.758:
	s_mov_b32 s12, 0x43000000
	v_add_f32_e64 v4, |v3|, s12
; %bb.759:
	s_or_b64 exec, exec, s[10:11]
                                        ; implicit-def: $vgpr5
.LBB208_760:
	s_andn2_saveexec_b64 s[8:9], s[8:9]
; %bb.761:
	s_mov_b32 s10, 0x7f800000
	v_mov_b32_e32 v4, 0x7c
	v_mov_b32_e32 v6, 0x7f
	v_cmp_lt_u32_e32 vcc, s10, v5
	v_cndmask_b32_e32 v4, v4, v6, vcc
; %bb.762:
	s_or_b64 exec, exec, s[8:9]
	v_lshrrev_b32_e32 v3, 24, v3
	s_movk_i32 s8, 0x80
	v_and_or_b32 v3, v3, s8, v4
	global_store_byte v[0:1], v3, off
.LBB208_763:
	s_mov_b64 s[10:11], 0
	s_mov_b64 s[8:9], -1
.LBB208_764:
	s_andn2_b64 vcc, exec, s[10:11]
	s_cbranch_vccnz .LBB208_772
; %bb.765:
	s_cmp_gt_i32 s15, 14
	s_mov_b64 s[10:11], -1
	s_cbranch_scc0 .LBB208_769
; %bb.766:
	s_cmp_eq_u32 s15, 15
	s_mov_b64 s[0:1], -1
	s_cbranch_scc0 .LBB208_768
; %bb.767:
	v_cvt_f32_f16_e32 v3, v2
	s_movk_i32 s0, 0x7fff
	v_cmp_o_f16_e32 vcc, v2, v2
	v_mov_b32_e32 v4, 0x7fc0
	v_bfe_u32 v5, v3, 16, 1
	v_add3_u32 v3, v3, v5, s0
	v_cndmask_b32_sdwa v3, v4, v3, vcc dst_sel:DWORD dst_unused:UNUSED_PAD src0_sel:DWORD src1_sel:WORD_1
	global_store_short v[0:1], v3, off
	s_mov_b64 s[8:9], -1
	s_mov_b64 s[0:1], 0
.LBB208_768:
	s_mov_b64 s[10:11], 0
.LBB208_769:
	s_and_b64 vcc, exec, s[10:11]
	s_cbranch_vccz .LBB208_772
; %bb.770:
	s_cmp_eq_u32 s15, 11
	s_mov_b64 s[0:1], -1
	s_cbranch_scc0 .LBB208_772
; %bb.771:
	v_and_b32_e32 v3, 0x7fff, v2
	v_cmp_ne_u16_e32 vcc, 0, v3
	v_cndmask_b32_e64 v3, 0, 1, vcc
	s_mov_b64 s[8:9], -1
	s_mov_b64 s[0:1], 0
	global_store_byte v[0:1], v3, off
.LBB208_772:
	s_mov_b64 s[10:11], 0
.LBB208_773:
	s_and_b64 vcc, exec, s[10:11]
	s_cbranch_vccz .LBB208_812
; %bb.774:
	s_and_b32 s10, 0xffff, s14
	s_cmp_lt_i32 s10, 5
	s_mov_b64 s[8:9], -1
	s_cbranch_scc1 .LBB208_795
; %bb.775:
	s_cmp_lt_i32 s10, 8
	s_cbranch_scc1 .LBB208_785
; %bb.776:
	s_cmp_lt_i32 s10, 9
	s_cbranch_scc1 .LBB208_782
; %bb.777:
	s_cmp_gt_i32 s10, 9
	s_cbranch_scc0 .LBB208_779
; %bb.778:
	v_cvt_f32_f16_e32 v3, v2
	v_mov_b32_e32 v5, 0
	v_mov_b32_e32 v6, v5
	s_mov_b64 s[8:9], 0
	v_cvt_f64_f32_e32 v[3:4], v3
	global_store_dwordx4 v[0:1], v[3:6], off
.LBB208_779:
	s_andn2_b64 vcc, exec, s[8:9]
	s_cbranch_vccnz .LBB208_781
; %bb.780:
	v_cvt_f32_f16_e32 v3, v2
	v_mov_b32_e32 v4, 0
	global_store_dwordx2 v[0:1], v[3:4], off
.LBB208_781:
	s_mov_b64 s[8:9], 0
.LBB208_782:
	s_andn2_b64 vcc, exec, s[8:9]
	s_cbranch_vccnz .LBB208_784
; %bb.783:
	v_and_b32_e32 v3, 0xffff, v2
	global_store_dword v[0:1], v3, off
.LBB208_784:
	s_mov_b64 s[8:9], 0
.LBB208_785:
	s_andn2_b64 vcc, exec, s[8:9]
	s_cbranch_vccnz .LBB208_794
; %bb.786:
	s_cmp_lt_i32 s10, 6
	s_mov_b64 s[8:9], -1
	s_cbranch_scc1 .LBB208_792
; %bb.787:
	s_cmp_gt_i32 s10, 6
	s_cbranch_scc0 .LBB208_789
; %bb.788:
	v_cvt_f32_f16_e32 v3, v2
	s_mov_b64 s[8:9], 0
	v_cvt_f64_f32_e32 v[3:4], v3
	global_store_dwordx2 v[0:1], v[3:4], off
.LBB208_789:
	s_andn2_b64 vcc, exec, s[8:9]
	s_cbranch_vccnz .LBB208_791
; %bb.790:
	v_cvt_f32_f16_e32 v3, v2
	global_store_dword v[0:1], v3, off
.LBB208_791:
	s_mov_b64 s[8:9], 0
.LBB208_792:
	s_andn2_b64 vcc, exec, s[8:9]
	s_cbranch_vccnz .LBB208_794
; %bb.793:
	global_store_short v[0:1], v2, off
.LBB208_794:
	s_mov_b64 s[8:9], 0
.LBB208_795:
	s_andn2_b64 vcc, exec, s[8:9]
	s_cbranch_vccnz .LBB208_811
; %bb.796:
	s_cmp_lt_i32 s10, 2
	s_mov_b64 s[8:9], -1
	s_cbranch_scc1 .LBB208_806
; %bb.797:
	s_cmp_lt_i32 s10, 3
	s_cbranch_scc1 .LBB208_803
; %bb.798:
	s_cmp_gt_i32 s10, 3
	s_cbranch_scc0 .LBB208_800
; %bb.799:
	v_cvt_f32_f16_e32 v3, v2
	s_mov_b64 s[8:9], 0
	v_cvt_i32_f32_e32 v3, v3
	v_ashrrev_i32_e32 v4, 31, v3
	global_store_dwordx2 v[0:1], v[3:4], off
.LBB208_800:
	s_andn2_b64 vcc, exec, s[8:9]
	s_cbranch_vccnz .LBB208_802
; %bb.801:
	v_cvt_f32_f16_e32 v3, v2
	v_cvt_i32_f32_e32 v3, v3
	global_store_dword v[0:1], v3, off
.LBB208_802:
	s_mov_b64 s[8:9], 0
.LBB208_803:
	s_andn2_b64 vcc, exec, s[8:9]
	s_cbranch_vccnz .LBB208_805
; %bb.804:
	v_cvt_i16_f16_e32 v3, v2
	global_store_short v[0:1], v3, off
.LBB208_805:
	s_mov_b64 s[8:9], 0
.LBB208_806:
	s_andn2_b64 vcc, exec, s[8:9]
	s_cbranch_vccnz .LBB208_811
; %bb.807:
	s_cmp_gt_i32 s10, 0
	s_mov_b64 s[8:9], -1
	s_cbranch_scc0 .LBB208_809
; %bb.808:
	v_cvt_i16_f16_e32 v3, v2
	s_mov_b64 s[8:9], 0
	global_store_byte v[0:1], v3, off
.LBB208_809:
	s_andn2_b64 vcc, exec, s[8:9]
	s_cbranch_vccnz .LBB208_811
; %bb.810:
	v_cvt_f32_f16_e32 v2, v2
	v_cvt_i32_f32_e32 v2, v2
	global_store_byte v[0:1], v2, off
.LBB208_811:
	s_mov_b64 s[8:9], -1
.LBB208_812:
	s_andn2_b64 vcc, exec, s[8:9]
	s_cbranch_vccnz .LBB208_814
; %bb.813:
	v_add_u32_e32 v8, 0x80, v8
	s_mov_b64 s[8:9], -1
	s_branch .LBB208_816
.LBB208_814:
	s_mov_b64 s[8:9], 0
.LBB208_815:
                                        ; implicit-def: $vgpr8
.LBB208_816:
	s_andn2_b64 s[10:11], s[62:63], exec
	s_and_b64 s[0:1], s[0:1], exec
	s_or_b64 s[70:71], s[10:11], s[0:1]
	s_andn2_b64 s[0:1], s[60:61], exec
	s_and_b64 s[2:3], s[2:3], exec
	s_or_b64 s[68:69], s[0:1], s[2:3]
	s_orn2_b64 s[2:3], s[8:9], exec
.LBB208_817:
	s_or_b64 exec, exec, s[66:67]
	s_mov_b64 s[0:1], 0
	s_mov_b64 s[8:9], 0
	s_mov_b64 s[10:11], 0
                                        ; implicit-def: $vgpr1_vgpr2
                                        ; implicit-def: $vgpr0
                                        ; implicit-def: $vgpr4
	s_and_saveexec_b64 s[66:67], s[2:3]
	s_cbranch_execz .LBB208_916
; %bb.818:
	v_cmp_gt_i32_e32 vcc, s72, v8
	s_mov_b64 s[2:3], 0
	s_mov_b64 s[12:13], s[68:69]
                                        ; implicit-def: $vgpr1_vgpr2
                                        ; implicit-def: $vgpr0
                                        ; implicit-def: $vgpr4
	s_and_saveexec_b64 s[72:73], vcc
	s_cbranch_execz .LBB208_915
; %bb.819:
	s_andn2_b64 vcc, exec, s[40:41]
	s_cbranch_vccnz .LBB208_824
; %bb.820:
	s_andn2_b64 vcc, exec, s[52:53]
	s_cbranch_vccnz .LBB208_825
; %bb.821:
	s_add_i32 s79, s78, 1
	s_cmp_eq_u32 s74, 2
	s_cbranch_scc1 .LBB208_826
; %bb.822:
	s_and_b32 s78, s79, 28
	v_mov_b32_e32 v2, 0
	s_mov_b32 s80, 0
	s_mov_b64 s[52:53], s[34:35]
	v_mov_b32_e32 v0, 0
	v_mov_b32_e32 v1, v8
.LBB208_823:                            ; =>This Inner Loop Header: Depth=1
	s_load_dwordx8 s[16:23], s[52:53], 0x4
	s_load_dwordx4 s[0:3], s[52:53], 0x24
	s_load_dwordx8 s[8:15], s[50:51], 0x0
	s_add_u32 s52, s52, 48
	s_addc_u32 s53, s53, 0
	s_waitcnt vmcnt(0) lgkmcnt(0)
	v_mul_hi_u32 v3, s17, v1
	s_add_i32 s80, s80, 4
	s_add_u32 s50, s50, 32
	s_addc_u32 s51, s51, 0
	v_add_u32_e32 v3, v1, v3
	v_lshrrev_b32_e32 v3, s18, v3
	v_mul_lo_u32 v4, v3, s16
	v_mul_hi_u32 v5, s20, v3
	s_cmp_eq_u32 s78, s80
	v_sub_u32_e32 v1, v1, v4
	v_add_u32_e32 v4, v3, v5
	v_mul_lo_u32 v5, v1, s8
	v_mul_lo_u32 v6, v1, s9
	v_lshrrev_b32_e32 v1, s21, v4
	v_mul_lo_u32 v4, v1, s19
	v_mul_hi_u32 v7, s23, v1
	v_sub_u32_e32 v3, v3, v4
	v_add_u32_e32 v4, v1, v7
	v_lshrrev_b32_e32 v4, s0, v4
	v_mul_hi_u32 v9, s2, v4
	v_mul_lo_u32 v10, v4, s22
	v_mul_lo_u32 v7, v3, s10
	;; [unrolled: 1-line block ×3, first 2 shown]
	v_sub_u32_e32 v10, v1, v10
	v_add_u32_e32 v1, v4, v9
	v_lshrrev_b32_e32 v1, s3, v1
	v_mul_lo_u32 v9, v1, s1
	v_mul_lo_u32 v11, v10, s12
	;; [unrolled: 1-line block ×3, first 2 shown]
	v_add3_u32 v0, v5, v0, v7
	v_sub_u32_e32 v4, v4, v9
	v_mul_lo_u32 v9, v4, s14
	v_mul_lo_u32 v4, v4, s15
	v_add3_u32 v2, v6, v2, v3
	v_add3_u32 v0, v11, v0, v9
	;; [unrolled: 1-line block ×3, first 2 shown]
	s_cbranch_scc0 .LBB208_823
	s_branch .LBB208_827
.LBB208_824:
	s_mov_b64 s[0:1], -1
                                        ; implicit-def: $vgpr0
                                        ; implicit-def: $vgpr2
	s_branch .LBB208_831
.LBB208_825:
	v_mov_b32_e32 v0, 0
	v_mov_b32_e32 v2, 0
	s_branch .LBB208_830
.LBB208_826:
	s_mov_b32 s78, 0
	v_mov_b32_e32 v0, 0
	v_mov_b32_e32 v2, 0
	;; [unrolled: 1-line block ×3, first 2 shown]
.LBB208_827:
	s_and_b32 s8, s79, 3
	s_cmp_eq_u32 s8, 0
	s_cbranch_scc1 .LBB208_830
; %bb.828:
	s_lshl_b32 s0, s78, 3
	s_add_u32 s0, s34, s0
	s_addc_u32 s1, s35, 0
	s_add_u32 s0, s0, 0xc4
	s_addc_u32 s1, s1, 0
	s_mul_i32 s2, s78, 12
	s_add_u32 s2, s34, s2
	s_addc_u32 s3, s35, 0
.LBB208_829:                            ; =>This Inner Loop Header: Depth=1
	s_load_dwordx2 s[10:11], s[2:3], 0x4
	s_load_dword s9, s[2:3], 0xc
	s_load_dwordx2 s[12:13], s[0:1], 0x0
	s_add_u32 s2, s2, 12
	s_addc_u32 s3, s3, 0
	s_waitcnt vmcnt(0) lgkmcnt(0)
	v_mul_hi_u32 v3, s11, v1
	s_add_u32 s0, s0, 8
	s_addc_u32 s1, s1, 0
	s_add_i32 s8, s8, -1
	v_add_u32_e32 v3, v1, v3
	v_lshrrev_b32_e32 v4, s9, v3
	v_mul_lo_u32 v3, v4, s10
	s_cmp_lg_u32 s8, 0
	v_sub_u32_e32 v3, v1, v3
	v_mad_u64_u32 v[0:1], s[10:11], v3, s12, v[0:1]
	v_mad_u64_u32 v[2:3], s[10:11], v3, s13, v[2:3]
	v_mov_b32_e32 v1, v4
	s_cbranch_scc1 .LBB208_829
.LBB208_830:
	s_mov_b64 s[0:1], 0
.LBB208_831:
	s_andn2_b64 vcc, exec, s[0:1]
	s_cbranch_vccnz .LBB208_834
; %bb.832:
	v_mul_hi_u32 v0, s29, v8
	s_andn2_b64 vcc, exec, s[48:49]
	v_add_u32_e32 v0, v8, v0
	v_lshrrev_b32_e32 v1, s30, v0
	v_mul_lo_u32 v0, v1, s28
	v_sub_u32_e32 v2, v8, v0
	v_mul_lo_u32 v0, v2, s36
	v_mul_lo_u32 v2, v2, s37
	s_cbranch_vccnz .LBB208_834
; %bb.833:
	s_waitcnt vmcnt(0)
	v_mul_hi_u32 v3, s46, v1
	v_add_u32_e32 v3, v1, v3
	v_lshrrev_b32_e32 v3, s47, v3
	v_mul_lo_u32 v3, v3, s31
	v_sub_u32_e32 v3, v1, v3
	v_mad_u64_u32 v[0:1], s[0:1], v3, s38, v[0:1]
	v_mad_u64_u32 v[2:3], s[0:1], v3, s39, v[2:3]
.LBB208_834:
	s_waitcnt vmcnt(0)
	v_mov_b32_e32 v3, s27
	s_and_b32 s14, 0xffff, s77
	v_add_co_u32_e32 v1, vcc, s26, v2
	s_cmp_lt_i32 s14, 11
	v_addc_co_u32_e32 v2, vcc, 0, v3, vcc
	s_cbranch_scc1 .LBB208_841
; %bb.835:
	s_cmp_gt_i32 s14, 25
	s_mov_b64 s[2:3], 0
	s_cbranch_scc0 .LBB208_842
; %bb.836:
	s_cmp_gt_i32 s14, 28
	s_cbranch_scc0 .LBB208_843
; %bb.837:
	s_cmp_gt_i32 s14, 43
	;; [unrolled: 3-line block ×3, first 2 shown]
	s_cbranch_scc0 .LBB208_847
; %bb.839:
	s_cmp_eq_u32 s14, 46
	s_mov_b64 s[10:11], 0
	s_cbranch_scc0 .LBB208_850
; %bb.840:
	global_load_dword v3, v[1:2], off
	s_mov_b64 s[0:1], 0
	s_mov_b64 s[8:9], -1
	s_waitcnt vmcnt(0)
	v_lshlrev_b32_e32 v3, 16, v3
	v_cvt_f16_f32_e32 v4, v3
	s_branch .LBB208_851
.LBB208_841:
	s_mov_b64 s[12:13], -1
	s_mov_b64 s[8:9], 0
	s_mov_b64 s[2:3], 0
	;; [unrolled: 1-line block ×3, first 2 shown]
                                        ; implicit-def: $vgpr4
	s_branch .LBB208_914
.LBB208_842:
	s_mov_b64 s[10:11], -1
	s_mov_b64 s[8:9], 0
	s_mov_b64 s[0:1], s[68:69]
                                        ; implicit-def: $vgpr4
	s_branch .LBB208_880
.LBB208_843:
	s_mov_b64 s[10:11], -1
	s_mov_b64 s[8:9], 0
	s_mov_b64 s[0:1], s[68:69]
                                        ; implicit-def: $vgpr4
	s_branch .LBB208_861
.LBB208_844:
	s_mov_b64 s[10:11], -1
	s_mov_b64 s[8:9], 0
	s_mov_b64 s[0:1], s[68:69]
                                        ; implicit-def: $vgpr4
	s_branch .LBB208_856
.LBB208_845:
	s_andn2_saveexec_b64 s[12:13], s[12:13]
	s_cbranch_execz .LBB208_725
.LBB208_846:
	s_mov_b32 s16, 0x46000000
	v_add_f32_e64 v4, |v3|, s16
	v_and_b32_e32 v4, 0xff, v4
	v_cmp_ne_u32_e32 vcc, 0, v4
	s_andn2_b64 s[10:11], s[10:11], exec
	s_and_b64 s[16:17], vcc, exec
	s_or_b64 s[10:11], s[10:11], s[16:17]
	s_or_b64 exec, exec, s[12:13]
	v_mov_b32_e32 v5, 0
	s_and_saveexec_b64 s[12:13], s[10:11]
	s_cbranch_execnz .LBB208_726
	s_branch .LBB208_727
.LBB208_847:
	s_mov_b64 s[10:11], -1
	s_mov_b64 s[8:9], 0
	s_mov_b64 s[0:1], s[68:69]
                                        ; implicit-def: $vgpr4
	s_branch .LBB208_851
.LBB208_848:
	s_andn2_saveexec_b64 s[12:13], s[12:13]
	s_cbranch_execz .LBB208_738
.LBB208_849:
	s_mov_b32 s16, 0x42800000
	v_add_f32_e64 v4, |v3|, s16
	v_and_b32_e32 v4, 0xff, v4
	v_cmp_ne_u32_e32 vcc, 0, v4
	s_andn2_b64 s[10:11], s[10:11], exec
	s_and_b64 s[16:17], vcc, exec
	s_or_b64 s[10:11], s[10:11], s[16:17]
	s_or_b64 exec, exec, s[12:13]
	v_mov_b32_e32 v5, 0
	s_and_saveexec_b64 s[12:13], s[10:11]
	s_cbranch_execnz .LBB208_739
	s_branch .LBB208_740
.LBB208_850:
	s_mov_b64 s[0:1], -1
                                        ; implicit-def: $vgpr4
	s_mov_b64 s[8:9], 0
.LBB208_851:
	s_and_b64 vcc, exec, s[10:11]
	s_cbranch_vccz .LBB208_855
; %bb.852:
	s_cmp_eq_u32 s14, 44
	s_cbranch_scc0 .LBB208_854
; %bb.853:
	global_load_ubyte v3, v[1:2], off
	s_movk_i32 s8, 0xff
	v_mov_b32_e32 v5, 0x7e00
	s_mov_b64 s[0:1], 0
	s_waitcnt vmcnt(0)
	v_lshlrev_b32_e32 v4, 23, v3
	v_cvt_f16_f32_e32 v4, v4
	v_cmp_ne_u32_e32 vcc, s8, v3
	s_mov_b64 s[8:9], -1
	v_cndmask_b32_e32 v4, v5, v4, vcc
	v_cmp_ne_u32_e32 vcc, 0, v3
	v_cndmask_b32_e32 v4, 0, v4, vcc
	s_branch .LBB208_855
.LBB208_854:
	s_mov_b64 s[0:1], -1
                                        ; implicit-def: $vgpr4
.LBB208_855:
	s_mov_b64 s[10:11], 0
.LBB208_856:
	s_and_b64 vcc, exec, s[10:11]
	s_cbranch_vccz .LBB208_860
; %bb.857:
	s_cmp_eq_u32 s14, 29
	s_cbranch_scc0 .LBB208_859
; %bb.858:
	global_load_dwordx2 v[3:4], v[1:2], off
	s_mov_b64 s[0:1], 0
	s_mov_b64 s[8:9], -1
	s_mov_b64 s[10:11], 0
	s_waitcnt vmcnt(0)
	v_ffbh_u32_e32 v5, v4
	v_min_u32_e32 v5, 32, v5
	v_lshlrev_b64 v[3:4], v5, v[3:4]
	v_min_u32_e32 v3, 1, v3
	v_or_b32_e32 v3, v4, v3
	v_cvt_f32_u32_e32 v3, v3
	v_sub_u32_e32 v4, 32, v5
	v_ldexp_f32 v3, v3, v4
	v_cvt_f16_f32_e32 v4, v3
	s_branch .LBB208_861
.LBB208_859:
	s_mov_b64 s[0:1], -1
                                        ; implicit-def: $vgpr4
.LBB208_860:
	s_mov_b64 s[10:11], 0
.LBB208_861:
	s_and_b64 vcc, exec, s[10:11]
	s_cbranch_vccz .LBB208_879
; %bb.862:
	s_cmp_lt_i32 s14, 27
	s_cbranch_scc1 .LBB208_865
; %bb.863:
	s_cmp_gt_i32 s14, 27
	s_cbranch_scc0 .LBB208_866
; %bb.864:
	global_load_dword v3, v[1:2], off
	s_mov_b64 s[8:9], 0
	s_waitcnt vmcnt(0)
	v_cvt_f32_u32_e32 v3, v3
	v_cvt_f16_f32_e32 v4, v3
	s_branch .LBB208_867
.LBB208_865:
	s_mov_b64 s[8:9], -1
                                        ; implicit-def: $vgpr4
	s_branch .LBB208_870
.LBB208_866:
	s_mov_b64 s[8:9], -1
                                        ; implicit-def: $vgpr4
.LBB208_867:
	s_andn2_b64 vcc, exec, s[8:9]
	s_cbranch_vccnz .LBB208_869
; %bb.868:
	global_load_ushort v3, v[1:2], off
	s_waitcnt vmcnt(0)
	v_cvt_f16_u16_e32 v4, v3
.LBB208_869:
	s_mov_b64 s[8:9], 0
.LBB208_870:
	s_andn2_b64 vcc, exec, s[8:9]
	s_cbranch_vccnz .LBB208_878
; %bb.871:
	global_load_ubyte v3, v[1:2], off
	s_movk_i32 s8, 0x7f
	s_waitcnt vmcnt(0)
	v_cmp_lt_i16_e32 vcc, s8, v3
	s_mov_b64 s[8:9], 0
	s_and_saveexec_b64 s[10:11], vcc
	s_xor_b64 s[10:11], exec, s[10:11]
	s_cbranch_execz .LBB208_892
; %bb.872:
	s_movk_i32 s8, 0x80
	v_cmp_eq_u16_e32 vcc, s8, v3
	s_mov_b64 s[8:9], -1
	s_and_saveexec_b64 s[12:13], vcc
; %bb.873:
	s_xor_b64 s[8:9], exec, -1
; %bb.874:
	s_or_b64 exec, exec, s[12:13]
	s_and_b64 s[8:9], s[8:9], exec
	s_or_saveexec_b64 s[10:11], s[10:11]
	v_mov_b32_e32 v4, 0x7e00
	s_xor_b64 exec, exec, s[10:11]
	s_cbranch_execnz .LBB208_893
.LBB208_875:
	s_or_b64 exec, exec, s[10:11]
	s_and_saveexec_b64 s[10:11], s[8:9]
	s_cbranch_execz .LBB208_877
.LBB208_876:
	v_lshlrev_b32_e32 v4, 24, v3
	v_and_b32_e32 v3, 0xffff, v3
	v_and_b32_e32 v5, 7, v3
	v_ffbh_u32_e32 v7, v5
	v_min_u32_e32 v7, 32, v7
	v_subrev_u32_e32 v8, 28, v7
	v_bfe_u32 v6, v3, 3, 4
	v_lshlrev_b32_e32 v3, v8, v3
	v_sub_u32_e32 v7, 29, v7
	v_and_b32_e32 v3, 7, v3
	v_cmp_eq_u32_e32 vcc, 0, v6
	v_cndmask_b32_e32 v6, v6, v7, vcc
	v_cndmask_b32_e32 v3, v5, v3, vcc
	v_mov_b32_e32 v5, 0x3b800000
	v_lshlrev_b32_e32 v3, 20, v3
	v_and_b32_e32 v4, 0x80000000, v4
	v_lshl_add_u32 v5, v6, 23, v5
	v_or3_b32 v3, v4, v5, v3
	v_cvt_f16_f32_e32 v4, v3
.LBB208_877:
	s_or_b64 exec, exec, s[10:11]
.LBB208_878:
	s_mov_b64 s[8:9], -1
.LBB208_879:
	s_mov_b64 s[10:11], 0
.LBB208_880:
	s_and_b64 vcc, exec, s[10:11]
	s_cbranch_vccz .LBB208_913
; %bb.881:
	s_cmp_gt_i32 s14, 22
	s_cbranch_scc0 .LBB208_891
; %bb.882:
	s_cmp_lt_i32 s14, 24
	s_cbranch_scc1 .LBB208_894
; %bb.883:
	s_cmp_gt_i32 s14, 24
	s_cbranch_scc0 .LBB208_895
; %bb.884:
	global_load_ubyte v3, v[1:2], off
	s_movk_i32 s2, 0x7f
	s_waitcnt vmcnt(0)
	v_cmp_lt_i16_e32 vcc, s2, v3
	s_mov_b64 s[2:3], 0
	s_and_saveexec_b64 s[8:9], vcc
	s_xor_b64 s[8:9], exec, s[8:9]
	s_cbranch_execz .LBB208_907
; %bb.885:
	s_movk_i32 s2, 0x80
	v_cmp_eq_u16_e32 vcc, s2, v3
	s_mov_b64 s[2:3], -1
	s_and_saveexec_b64 s[10:11], vcc
; %bb.886:
	s_xor_b64 s[2:3], exec, -1
; %bb.887:
	s_or_b64 exec, exec, s[10:11]
	s_and_b64 s[2:3], s[2:3], exec
	s_or_saveexec_b64 s[8:9], s[8:9]
	v_mov_b32_e32 v4, 0x7e00
	s_xor_b64 exec, exec, s[8:9]
	s_cbranch_execnz .LBB208_908
.LBB208_888:
	s_or_b64 exec, exec, s[8:9]
	s_and_saveexec_b64 s[8:9], s[2:3]
	s_cbranch_execz .LBB208_890
.LBB208_889:
	v_lshlrev_b32_e32 v4, 24, v3
	v_and_b32_e32 v3, 0xffff, v3
	v_and_b32_e32 v5, 3, v3
	v_ffbh_u32_e32 v7, v5
	v_min_u32_e32 v7, 32, v7
	v_subrev_u32_e32 v8, 29, v7
	v_bfe_u32 v6, v3, 2, 5
	v_lshlrev_b32_e32 v3, v8, v3
	v_sub_u32_e32 v7, 30, v7
	v_and_b32_e32 v3, 3, v3
	v_cmp_eq_u32_e32 vcc, 0, v6
	v_cndmask_b32_e32 v6, v6, v7, vcc
	v_cndmask_b32_e32 v3, v5, v3, vcc
	v_mov_b32_e32 v5, 0x37800000
	v_lshlrev_b32_e32 v3, 21, v3
	v_and_b32_e32 v4, 0x80000000, v4
	v_lshl_add_u32 v5, v6, 23, v5
	v_or3_b32 v3, v4, v5, v3
	v_cvt_f16_f32_e32 v4, v3
.LBB208_890:
	s_or_b64 exec, exec, s[8:9]
	s_mov_b64 s[2:3], 0
	s_branch .LBB208_896
.LBB208_891:
	s_mov_b64 s[2:3], -1
                                        ; implicit-def: $vgpr4
	s_branch .LBB208_902
.LBB208_892:
	s_or_saveexec_b64 s[10:11], s[10:11]
	v_mov_b32_e32 v4, 0x7e00
	s_xor_b64 exec, exec, s[10:11]
	s_cbranch_execz .LBB208_875
.LBB208_893:
	v_cmp_ne_u16_e32 vcc, 0, v3
	s_andn2_b64 s[8:9], s[8:9], exec
	s_and_b64 s[12:13], vcc, exec
	s_or_b64 s[8:9], s[8:9], s[12:13]
	v_mov_b32_e32 v4, v3
	s_or_b64 exec, exec, s[10:11]
	s_and_saveexec_b64 s[10:11], s[8:9]
	s_cbranch_execnz .LBB208_876
	s_branch .LBB208_877
.LBB208_894:
	s_mov_b64 s[2:3], -1
                                        ; implicit-def: $vgpr4
	s_branch .LBB208_899
.LBB208_895:
	s_mov_b64 s[2:3], -1
                                        ; implicit-def: $vgpr4
.LBB208_896:
	s_and_b64 vcc, exec, s[2:3]
	s_cbranch_vccz .LBB208_898
; %bb.897:
	global_load_ubyte v3, v[1:2], off
	s_mov_b32 s2, 0x7f800000
	s_waitcnt vmcnt(0)
	v_lshlrev_b32_e32 v3, 24, v3
	v_and_b32_e32 v4, 0x7f000000, v3
	v_ffbh_u32_e32 v5, v4
	v_min_u32_e32 v5, 32, v5
	v_sub_u32_e64 v5, v5, 4 clamp
	v_lshlrev_b32_e32 v7, v5, v4
	v_lshlrev_b32_e32 v5, 23, v5
	v_lshrrev_b32_e32 v7, 4, v7
	v_add_u32_e32 v6, 0x1000000, v4
	v_sub_u32_e32 v5, v7, v5
	v_ashrrev_i32_e32 v6, 8, v6
	v_add_u32_e32 v5, 0x3c000000, v5
	v_and_or_b32 v5, v6, s2, v5
	v_cmp_ne_u32_e32 vcc, 0, v4
	v_cndmask_b32_e32 v4, 0, v5, vcc
	s_brev_b32 s2, 1
	v_and_or_b32 v3, v3, s2, v4
	v_cvt_f16_f32_e32 v4, v3
.LBB208_898:
	s_mov_b64 s[2:3], 0
.LBB208_899:
	s_andn2_b64 vcc, exec, s[2:3]
	s_cbranch_vccnz .LBB208_901
; %bb.900:
	global_load_ubyte v3, v[1:2], off
	s_movk_i32 s2, 0x7f00
	s_brev_b32 s3, 16
	s_waitcnt vmcnt(0)
	v_lshlrev_b16_e32 v4, 8, v3
	v_lshlrev_b32_e32 v3, 25, v3
	v_lshrrev_b32_e32 v5, 4, v3
	v_and_or_b32 v6, v4, s2, 0.5
	v_or_b32_e32 v5, 0x70000000, v5
	v_add_f32_e32 v6, -0.5, v6
	v_mul_f32_e32 v5, 0x7800000, v5
	v_cmp_gt_u32_e32 vcc, s3, v3
	v_bfe_i32 v4, v4, 0, 16
	v_cndmask_b32_e32 v3, v5, v6, vcc
	s_brev_b32 s2, 1
	v_and_or_b32 v3, v4, s2, v3
	v_cvt_f16_f32_e32 v4, v3
.LBB208_901:
	s_mov_b64 s[2:3], 0
	s_mov_b64 s[8:9], -1
.LBB208_902:
	s_andn2_b64 vcc, exec, s[2:3]
	s_mov_b64 s[2:3], 0
	s_cbranch_vccnz .LBB208_913
; %bb.903:
	s_cmp_gt_i32 s14, 14
	s_cbranch_scc0 .LBB208_906
; %bb.904:
	s_cmp_eq_u32 s14, 15
	s_cbranch_scc0 .LBB208_909
; %bb.905:
	global_load_ushort v3, v[1:2], off
	s_mov_b64 s[0:1], 0
	s_mov_b64 s[8:9], -1
	s_waitcnt vmcnt(0)
	v_lshlrev_b32_e32 v3, 16, v3
	v_cvt_f16_f32_e32 v4, v3
	s_branch .LBB208_910
.LBB208_906:
	s_mov_b64 s[10:11], -1
                                        ; implicit-def: $vgpr4
	s_branch .LBB208_911
.LBB208_907:
	s_or_saveexec_b64 s[8:9], s[8:9]
	v_mov_b32_e32 v4, 0x7e00
	s_xor_b64 exec, exec, s[8:9]
	s_cbranch_execz .LBB208_888
.LBB208_908:
	v_cmp_ne_u16_e32 vcc, 0, v3
	s_andn2_b64 s[2:3], s[2:3], exec
	s_and_b64 s[10:11], vcc, exec
	s_or_b64 s[2:3], s[2:3], s[10:11]
	v_mov_b32_e32 v4, v3
	s_or_b64 exec, exec, s[8:9]
	s_and_saveexec_b64 s[8:9], s[2:3]
	s_cbranch_execnz .LBB208_889
	s_branch .LBB208_890
.LBB208_909:
	s_mov_b64 s[0:1], -1
                                        ; implicit-def: $vgpr4
.LBB208_910:
	s_mov_b64 s[10:11], 0
.LBB208_911:
	s_and_b64 vcc, exec, s[10:11]
	s_cbranch_vccz .LBB208_913
; %bb.912:
	s_cmp_lg_u32 s14, 11
	s_cselect_b64 s[10:11], -1, 0
	s_andn2_b64 s[0:1], s[0:1], exec
	s_and_b64 s[10:11], s[10:11], exec
	s_mov_b64 s[2:3], -1
	s_or_b64 s[0:1], s[0:1], s[10:11]
.LBB208_913:
	s_mov_b64 s[12:13], 0
.LBB208_914:
	s_and_b64 s[10:11], s[8:9], exec
	s_and_b64 s[8:9], s[12:13], exec
	s_andn2_b64 s[12:13], s[68:69], exec
	s_and_b64 s[0:1], s[0:1], exec
	s_and_b64 s[2:3], s[2:3], exec
	s_or_b64 s[12:13], s[12:13], s[0:1]
.LBB208_915:
	s_or_b64 exec, exec, s[72:73]
	s_and_b64 s[0:1], s[2:3], exec
	s_andn2_b64 s[2:3], s[68:69], exec
	s_and_b64 s[12:13], s[12:13], exec
	s_and_b64 s[10:11], s[10:11], exec
	;; [unrolled: 1-line block ×3, first 2 shown]
	s_or_b64 s[68:69], s[2:3], s[12:13]
.LBB208_916:
	s_or_b64 exec, exec, s[66:67]
	s_andn2_b64 s[2:3], s[62:63], exec
	s_and_b64 s[12:13], s[70:71], exec
	s_or_b64 s[62:63], s[2:3], s[12:13]
	s_and_b64 s[2:3], s[0:1], exec
	s_andn2_b64 s[0:1], s[60:61], exec
	s_and_b64 s[12:13], s[68:69], exec
	s_and_b64 s[10:11], s[10:11], exec
	;; [unrolled: 1-line block ×3, first 2 shown]
	s_or_b64 s[60:61], s[0:1], s[12:13]
.LBB208_917:
	s_or_b64 exec, exec, s[64:65]
	s_andn2_b64 s[0:1], s[54:55], exec
	s_and_b64 s[12:13], s[62:63], exec
	s_or_b64 s[54:55], s[0:1], s[12:13]
	s_and_b64 s[0:1], s[10:11], exec
	s_and_b64 s[10:11], s[8:9], exec
	;; [unrolled: 1-line block ×3, first 2 shown]
	s_andn2_b64 s[2:3], s[56:57], exec
	s_and_b64 s[8:9], s[60:61], exec
	s_or_b64 s[56:57], s[2:3], s[8:9]
	s_or_b64 exec, exec, s[58:59]
	s_mov_b64 s[2:3], 0
	s_and_saveexec_b64 s[8:9], s[56:57]
	s_cbranch_execz .LBB208_274
.LBB208_918:
	s_mov_b64 s[2:3], exec
	s_andn2_b64 s[62:63], s[62:63], exec
	s_trap 2
	s_or_b64 exec, exec, s[8:9]
	s_and_saveexec_b64 s[8:9], s[62:63]
	s_xor_b64 s[8:9], exec, s[8:9]
	s_cbranch_execnz .LBB208_275
.LBB208_919:
	s_or_b64 exec, exec, s[8:9]
	s_and_saveexec_b64 s[8:9], s[10:11]
	s_cbranch_execz .LBB208_965
.LBB208_920:
	s_sext_i32_i16 s10, s77
	s_cmp_lt_i32 s10, 5
	s_cbranch_scc1 .LBB208_925
; %bb.921:
	s_cmp_lt_i32 s10, 8
	s_cbranch_scc1 .LBB208_926
; %bb.922:
	s_cmp_lt_i32 s10, 9
	s_cbranch_scc1 .LBB208_927
; %bb.923:
	s_cmp_gt_i32 s10, 9
	s_cbranch_scc0 .LBB208_928
; %bb.924:
	global_load_dwordx2 v[3:4], v[1:2], off
	s_movk_i32 s10, 0x1ff
	s_movk_i32 s11, 0xffe
	v_mov_b32_e32 v5, 0x7c00
	v_mov_b32_e32 v6, 0x7e00
	s_movk_i32 s12, 0x40f
	s_mov_b32 s13, 0x8000
	s_waitcnt vmcnt(0)
	v_and_or_b32 v3, v4, s10, v3
	v_cmp_ne_u32_e32 vcc, 0, v3
	v_lshrrev_b32_e32 v7, 8, v4
	v_bfe_u32 v8, v4, 20, 11
	v_cndmask_b32_e64 v3, 0, 1, vcc
	v_sub_u32_e32 v9, 0x3f1, v8
	v_and_or_b32 v3, v7, s11, v3
	v_add_u32_e32 v8, 0xfffffc10, v8
	v_med3_i32 v7, v9, 0, 13
	v_or_b32_e32 v9, 0x1000, v3
	v_cmp_ne_u32_e32 vcc, 0, v3
	v_lshl_or_b32 v10, v8, 12, v3
	v_cndmask_b32_e32 v3, v5, v6, vcc
	v_lshrrev_b32_e32 v6, v7, v9
	v_lshlrev_b32_e32 v7, v7, v6
	v_cmp_ne_u32_e32 vcc, v7, v9
	v_cndmask_b32_e64 v7, 0, 1, vcc
	v_or_b32_e32 v6, v6, v7
	v_cmp_gt_i32_e32 vcc, 1, v8
	v_cndmask_b32_e32 v6, v10, v6, vcc
	v_and_b32_e32 v7, 7, v6
	v_cmp_lt_i32_e32 vcc, 5, v7
	v_cndmask_b32_e64 v9, 0, 1, vcc
	v_cmp_eq_u32_e32 vcc, 3, v7
	v_cndmask_b32_e64 v7, 0, 1, vcc
	v_lshrrev_b32_e32 v6, 2, v6
	v_or_b32_e32 v7, v7, v9
	v_add_u32_e32 v6, v6, v7
	v_cmp_gt_i32_e32 vcc, 31, v8
	v_cndmask_b32_e32 v5, v5, v6, vcc
	v_cmp_eq_u32_e32 vcc, s12, v8
	v_lshrrev_b32_e32 v4, 16, v4
	v_cndmask_b32_e32 v3, v5, v3, vcc
	v_and_or_b32 v4, v4, s13, v3
	s_mov_b64 s[10:11], 0
	s_branch .LBB208_929
.LBB208_925:
                                        ; implicit-def: $vgpr4
	s_branch .LBB208_946
.LBB208_926:
                                        ; implicit-def: $vgpr4
	s_branch .LBB208_935
.LBB208_927:
	s_mov_b64 s[10:11], -1
                                        ; implicit-def: $vgpr4
	s_branch .LBB208_932
.LBB208_928:
	s_mov_b64 s[10:11], -1
                                        ; implicit-def: $vgpr4
.LBB208_929:
	s_andn2_b64 vcc, exec, s[10:11]
	s_cbranch_vccnz .LBB208_931
; %bb.930:
	global_load_dword v3, v[1:2], off
	s_waitcnt vmcnt(0)
	v_cvt_f16_f32_e32 v4, v3
.LBB208_931:
	s_mov_b64 s[10:11], 0
.LBB208_932:
	s_andn2_b64 vcc, exec, s[10:11]
	s_cbranch_vccnz .LBB208_934
; %bb.933:
	global_load_dword v4, v[1:2], off
.LBB208_934:
	s_cbranch_execnz .LBB208_945
.LBB208_935:
	s_sext_i32_i16 s10, s77
	s_cmp_lt_i32 s10, 6
	s_cbranch_scc1 .LBB208_938
; %bb.936:
	s_cmp_gt_i32 s10, 6
	s_cbranch_scc0 .LBB208_939
; %bb.937:
	global_load_dwordx2 v[3:4], v[1:2], off
	s_movk_i32 s10, 0x1ff
	s_movk_i32 s11, 0xffe
	v_mov_b32_e32 v5, 0x7c00
	v_mov_b32_e32 v6, 0x7e00
	s_movk_i32 s12, 0x40f
	s_mov_b32 s13, 0x8000
	s_waitcnt vmcnt(0)
	v_and_or_b32 v3, v4, s10, v3
	v_cmp_ne_u32_e32 vcc, 0, v3
	v_lshrrev_b32_e32 v7, 8, v4
	v_bfe_u32 v8, v4, 20, 11
	v_cndmask_b32_e64 v3, 0, 1, vcc
	v_sub_u32_e32 v9, 0x3f1, v8
	v_and_or_b32 v3, v7, s11, v3
	v_add_u32_e32 v8, 0xfffffc10, v8
	v_med3_i32 v7, v9, 0, 13
	v_or_b32_e32 v9, 0x1000, v3
	v_cmp_ne_u32_e32 vcc, 0, v3
	v_lshl_or_b32 v10, v8, 12, v3
	v_cndmask_b32_e32 v3, v5, v6, vcc
	v_lshrrev_b32_e32 v6, v7, v9
	v_lshlrev_b32_e32 v7, v7, v6
	v_cmp_ne_u32_e32 vcc, v7, v9
	v_cndmask_b32_e64 v7, 0, 1, vcc
	v_or_b32_e32 v6, v6, v7
	v_cmp_gt_i32_e32 vcc, 1, v8
	v_cndmask_b32_e32 v6, v10, v6, vcc
	v_and_b32_e32 v7, 7, v6
	v_cmp_lt_i32_e32 vcc, 5, v7
	v_cndmask_b32_e64 v9, 0, 1, vcc
	v_cmp_eq_u32_e32 vcc, 3, v7
	v_cndmask_b32_e64 v7, 0, 1, vcc
	v_lshrrev_b32_e32 v6, 2, v6
	v_or_b32_e32 v7, v7, v9
	v_add_u32_e32 v6, v6, v7
	v_cmp_gt_i32_e32 vcc, 31, v8
	v_cndmask_b32_e32 v5, v5, v6, vcc
	v_cmp_eq_u32_e32 vcc, s12, v8
	v_lshrrev_b32_e32 v4, 16, v4
	v_cndmask_b32_e32 v3, v5, v3, vcc
	v_and_or_b32 v4, v4, s13, v3
	s_mov_b64 s[10:11], 0
	s_branch .LBB208_940
.LBB208_938:
	s_mov_b64 s[10:11], -1
                                        ; implicit-def: $vgpr4
	s_branch .LBB208_943
.LBB208_939:
	s_mov_b64 s[10:11], -1
                                        ; implicit-def: $vgpr4
.LBB208_940:
	s_andn2_b64 vcc, exec, s[10:11]
	s_cbranch_vccnz .LBB208_942
; %bb.941:
	global_load_dword v3, v[1:2], off
	s_waitcnt vmcnt(0)
	v_cvt_f16_f32_e32 v4, v3
.LBB208_942:
	s_mov_b64 s[10:11], 0
.LBB208_943:
	s_andn2_b64 vcc, exec, s[10:11]
	s_cbranch_vccnz .LBB208_945
; %bb.944:
	global_load_ushort v4, v[1:2], off
.LBB208_945:
	s_cbranch_execnz .LBB208_964
.LBB208_946:
	s_sext_i32_i16 s10, s77
	s_cmp_lt_i32 s10, 2
	s_cbranch_scc1 .LBB208_950
; %bb.947:
	s_cmp_lt_i32 s10, 3
	s_cbranch_scc1 .LBB208_951
; %bb.948:
	s_cmp_gt_i32 s10, 3
	s_cbranch_scc0 .LBB208_952
; %bb.949:
	global_load_dwordx2 v[3:4], v[1:2], off
	s_mov_b64 s[10:11], 0
	s_waitcnt vmcnt(0)
	v_xor_b32_e32 v6, v3, v4
	v_ffbh_i32_e32 v5, v4
	v_ashrrev_i32_e32 v6, 31, v6
	v_add_u32_e32 v5, -1, v5
	v_add_u32_e32 v6, 32, v6
	v_min_u32_e32 v5, v5, v6
	v_lshlrev_b64 v[3:4], v5, v[3:4]
	v_min_u32_e32 v3, 1, v3
	v_or_b32_e32 v3, v4, v3
	v_cvt_f32_i32_e32 v3, v3
	v_sub_u32_e32 v4, 32, v5
	v_ldexp_f32 v3, v3, v4
	v_cvt_f16_f32_e32 v4, v3
	s_branch .LBB208_953
.LBB208_950:
                                        ; implicit-def: $vgpr4
	s_branch .LBB208_959
.LBB208_951:
	s_mov_b64 s[10:11], -1
                                        ; implicit-def: $vgpr4
	s_branch .LBB208_956
.LBB208_952:
	s_mov_b64 s[10:11], -1
                                        ; implicit-def: $vgpr4
.LBB208_953:
	s_andn2_b64 vcc, exec, s[10:11]
	s_cbranch_vccnz .LBB208_955
; %bb.954:
	global_load_dword v3, v[1:2], off
	s_waitcnt vmcnt(0)
	v_cvt_f32_i32_e32 v3, v3
	v_cvt_f16_f32_e32 v4, v3
.LBB208_955:
	s_mov_b64 s[10:11], 0
.LBB208_956:
	s_andn2_b64 vcc, exec, s[10:11]
	s_cbranch_vccnz .LBB208_958
; %bb.957:
	global_load_ushort v3, v[1:2], off
	s_waitcnt vmcnt(0)
	v_cvt_f16_i16_e32 v4, v3
.LBB208_958:
	s_cbranch_execnz .LBB208_964
.LBB208_959:
	s_sext_i32_i16 s10, s77
	s_cmp_gt_i32 s10, 0
	s_cbranch_scc0 .LBB208_961
; %bb.960:
	global_load_sbyte v3, v[1:2], off
	s_mov_b64 s[10:11], 0
	s_waitcnt vmcnt(0)
	v_cvt_f16_i16_e32 v4, v3
	s_branch .LBB208_962
.LBB208_961:
	s_mov_b64 s[10:11], -1
                                        ; implicit-def: $vgpr4
.LBB208_962:
	s_andn2_b64 vcc, exec, s[10:11]
	s_cbranch_vccnz .LBB208_964
; %bb.963:
	global_load_ubyte v1, v[1:2], off
	s_waitcnt vmcnt(0)
	v_cvt_f16_u16_e32 v4, v1
.LBB208_964:
	s_or_b64 s[0:1], s[0:1], exec
.LBB208_965:
	s_or_b64 exec, exec, s[8:9]
	s_mov_b64 s[12:13], 0
	s_mov_b64 s[10:11], 0
                                        ; implicit-def: $sgpr18
                                        ; implicit-def: $vgpr1_vgpr2
                                        ; implicit-def: $vgpr3
	s_and_saveexec_b64 s[8:9], s[0:1]
	s_cbranch_execz .LBB208_983
; %bb.966:
	v_mov_b32_e32 v1, s45
	v_mov_b32_e32 v2, s76
	s_waitcnt vmcnt(0)
	v_cmp_ge_f16_e32 vcc, s44, v4
	v_cndmask_b32_e32 v3, v1, v2, vcc
	v_mov_b32_e32 v2, s25
	s_and_b32 s18, s75, 0xff
	v_add_co_u32_e32 v1, vcc, s24, v0
	s_cmp_lt_i32 s18, 11
	v_addc_co_u32_e32 v2, vcc, 0, v2, vcc
	s_cbranch_scc1 .LBB208_986
; %bb.967:
	s_and_b32 s19, 0xffff, s18
	s_mov_b64 s[12:13], -1
	s_cmp_gt_i32 s19, 25
	s_mov_b64 s[0:1], s[54:55]
	s_cbranch_scc0 .LBB208_1004
; %bb.968:
	s_mov_b64 s[10:11], -1
	s_cmp_gt_i32 s19, 28
	s_mov_b64 s[0:1], s[54:55]
	s_cbranch_scc0 .LBB208_988
; %bb.969:
	s_cmp_gt_i32 s19, 43
	s_mov_b64 s[0:1], s[54:55]
	s_cbranch_scc0 .LBB208_980
; %bb.970:
	;; [unrolled: 4-line block ×3, first 2 shown]
	s_cmp_eq_u32 s19, 46
	s_mov_b64 s[0:1], -1
	s_cbranch_scc0 .LBB208_973
; %bb.972:
	v_cvt_f32_f16_e32 v0, v3
	s_movk_i32 s0, 0x7fff
	v_cmp_o_f16_e32 vcc, v3, v3
	v_mov_b32_e32 v4, 0x7fc0
	v_bfe_u32 v5, v0, 16, 1
	v_add3_u32 v0, v0, v5, s0
	v_cndmask_b32_sdwa v0, v4, v0, vcc dst_sel:DWORD dst_unused:UNUSED_PAD src0_sel:DWORD src1_sel:WORD_1
	global_store_dword v[1:2], v0, off
	s_mov_b64 s[0:1], 0
.LBB208_973:
	s_mov_b64 s[10:11], 0
.LBB208_974:
	s_and_b64 vcc, exec, s[10:11]
	s_cbranch_vccz .LBB208_979
; %bb.975:
	s_cmp_eq_u32 s19, 44
	s_mov_b64 s[0:1], -1
	s_cbranch_scc0 .LBB208_979
; %bb.976:
	v_cvt_f32_f16_e32 v0, v3
	s_movk_i32 s0, 0xff
	v_mov_b32_e32 v5, 0xff
	v_bfe_u32 v4, v0, 23, 8
	v_cmp_ne_u32_e32 vcc, s0, v4
	s_and_saveexec_b64 s[10:11], vcc
; %bb.977:
	s_mov_b32 s0, 0x3fffff
	v_lshrrev_b32_e32 v5, 23, v0
	v_and_b32_e32 v6, 0x400000, v0
	v_and_or_b32 v0, v0, s0, v4
	v_cmp_ne_u32_e32 vcc, 0, v6
	v_cmp_ne_u32_e64 s[0:1], 0, v0
	s_and_b64 s[0:1], vcc, s[0:1]
	v_cndmask_b32_e64 v0, 0, 1, s[0:1]
	v_add_u32_e32 v5, v5, v0
; %bb.978:
	s_or_b64 exec, exec, s[10:11]
	s_mov_b64 s[0:1], 0
	global_store_byte v[1:2], v5, off
.LBB208_979:
	s_mov_b64 s[10:11], 0
.LBB208_980:
	s_and_b64 vcc, exec, s[10:11]
	s_cbranch_vccz .LBB208_987
; %bb.981:
	s_cmp_eq_u32 s19, 29
	s_mov_b64 s[0:1], -1
	s_cbranch_scc0 .LBB208_987
; %bb.982:
	v_cvt_f32_f16_e32 v0, v3
	v_mov_b32_e32 v5, 0
	s_mov_b64 s[0:1], 0
	s_mov_b64 s[10:11], 0
	v_cvt_u32_f32_e32 v4, v0
	global_store_dwordx2 v[1:2], v[4:5], off
	s_branch .LBB208_988
.LBB208_983:
	s_or_b64 exec, exec, s[8:9]
	s_and_saveexec_b64 s[0:1], s[54:55]
	s_cbranch_execnz .LBB208_1046
.LBB208_984:
	s_or_b64 exec, exec, s[0:1]
	s_and_saveexec_b64 s[0:1], s[12:13]
	s_xor_b64 s[0:1], exec, s[0:1]
	s_cbranch_execz .LBB208_1047
.LBB208_985:
	s_waitcnt vmcnt(0)
	v_and_b32_e32 v0, 0x7fff, v3
	v_cmp_ne_u16_e32 vcc, 0, v0
	v_cndmask_b32_e64 v0, 0, 1, vcc
	global_store_byte v[1:2], v0, off
	s_or_b64 exec, exec, s[0:1]
	s_and_saveexec_b64 s[0:1], s[10:11]
	s_xor_b64 s[0:1], exec, s[0:1]
	s_cbranch_execz .LBB208_1085
	s_branch .LBB208_1048
.LBB208_986:
	s_mov_b64 s[10:11], -1
	s_mov_b64 s[0:1], s[54:55]
	s_branch .LBB208_1045
.LBB208_987:
	s_mov_b64 s[10:11], 0
.LBB208_988:
	s_and_b64 vcc, exec, s[10:11]
	s_cbranch_vccz .LBB208_1003
; %bb.989:
	s_cmp_lt_i32 s19, 27
	s_mov_b64 s[10:11], -1
	s_cbranch_scc1 .LBB208_995
; %bb.990:
	s_cmp_gt_i32 s19, 27
	s_cbranch_scc0 .LBB208_992
; %bb.991:
	v_cvt_f32_f16_e32 v0, v3
	s_mov_b64 s[10:11], 0
	v_cvt_u32_f32_e32 v0, v0
	global_store_dword v[1:2], v0, off
.LBB208_992:
	s_andn2_b64 vcc, exec, s[10:11]
	s_cbranch_vccnz .LBB208_994
; %bb.993:
	v_cvt_u16_f16_e32 v0, v3
	global_store_short v[1:2], v0, off
.LBB208_994:
	s_mov_b64 s[10:11], 0
.LBB208_995:
	s_andn2_b64 vcc, exec, s[10:11]
	s_cbranch_vccnz .LBB208_1003
; %bb.996:
	v_cvt_f32_f16_e32 v0, v3
	s_mov_b32 s10, 0x43800000
	v_mov_b32_e32 v5, 0x80
	v_and_b32_e32 v4, 0x7fffffff, v0
	v_cmp_gt_u32_e32 vcc, s10, v4
	s_and_saveexec_b64 s[10:11], vcc
	s_cbranch_execz .LBB208_1002
; %bb.997:
	s_mov_b32 s12, 0x3bffffff
	v_cmp_lt_u32_e32 vcc, s12, v4
	s_mov_b64 s[12:13], 0
                                        ; implicit-def: $vgpr4
	s_and_saveexec_b64 s[14:15], vcc
	s_xor_b64 s[14:15], exec, s[14:15]
	s_cbranch_execz .LBB208_1156
; %bb.998:
	v_bfe_u32 v4, v0, 20, 1
	s_mov_b32 s16, 0x487ffff
	v_add3_u32 v4, v0, v4, s16
	s_mov_b64 s[12:13], exec
	v_lshrrev_b32_e32 v4, 20, v4
	s_andn2_saveexec_b64 s[14:15], s[14:15]
	s_cbranch_execnz .LBB208_1157
.LBB208_999:
	s_or_b64 exec, exec, s[14:15]
	v_mov_b32_e32 v5, 0
	s_and_saveexec_b64 s[14:15], s[12:13]
.LBB208_1000:
	v_lshrrev_b32_e32 v0, 24, v0
	s_movk_i32 s12, 0x80
	v_and_or_b32 v5, v0, s12, v4
.LBB208_1001:
	s_or_b64 exec, exec, s[14:15]
.LBB208_1002:
	s_or_b64 exec, exec, s[10:11]
	global_store_byte v[1:2], v5, off
.LBB208_1003:
	s_mov_b64 s[12:13], 0
.LBB208_1004:
	s_mov_b64 s[10:11], 0
	s_and_b64 vcc, exec, s[12:13]
	s_cbranch_vccz .LBB208_1044
; %bb.1005:
	s_cmp_gt_i32 s19, 22
	s_mov_b64 s[12:13], -1
	s_cbranch_scc0 .LBB208_1037
; %bb.1006:
	s_cmp_lt_i32 s19, 24
	s_cbranch_scc1 .LBB208_1026
; %bb.1007:
	s_cmp_gt_i32 s19, 24
	s_cbranch_scc0 .LBB208_1015
; %bb.1008:
	v_cvt_f32_f16_e32 v0, v3
	s_mov_b32 s12, 0x47800000
	v_mov_b32_e32 v5, 0x80
	v_and_b32_e32 v4, 0x7fffffff, v0
	v_cmp_gt_u32_e32 vcc, s12, v4
	s_and_saveexec_b64 s[12:13], vcc
	s_cbranch_execz .LBB208_1014
; %bb.1009:
	s_mov_b32 s14, 0x37ffffff
	v_cmp_lt_u32_e32 vcc, s14, v4
	s_mov_b64 s[14:15], 0
                                        ; implicit-def: $vgpr4
	s_and_saveexec_b64 s[16:17], vcc
	s_xor_b64 s[16:17], exec, s[16:17]
	s_cbranch_execz .LBB208_1281
; %bb.1010:
	v_bfe_u32 v4, v0, 21, 1
	s_mov_b32 s20, 0x88fffff
	v_add3_u32 v4, v0, v4, s20
	s_mov_b64 s[14:15], exec
	v_lshrrev_b32_e32 v4, 21, v4
	s_andn2_saveexec_b64 s[16:17], s[16:17]
	s_cbranch_execnz .LBB208_1282
.LBB208_1011:
	s_or_b64 exec, exec, s[16:17]
	v_mov_b32_e32 v5, 0
	s_and_saveexec_b64 s[16:17], s[14:15]
.LBB208_1012:
	v_lshrrev_b32_e32 v0, 24, v0
	s_movk_i32 s14, 0x80
	v_and_or_b32 v5, v0, s14, v4
.LBB208_1013:
	s_or_b64 exec, exec, s[16:17]
.LBB208_1014:
	s_or_b64 exec, exec, s[12:13]
	s_mov_b64 s[12:13], 0
	global_store_byte v[1:2], v5, off
.LBB208_1015:
	s_and_b64 vcc, exec, s[12:13]
	s_cbranch_vccz .LBB208_1025
; %bb.1016:
	v_cvt_f32_f16_e32 v0, v3
	s_mov_b32 s12, 0x43f00000
                                        ; implicit-def: $vgpr4
	v_and_b32_e32 v5, 0x7fffffff, v0
	v_cmp_gt_u32_e32 vcc, s12, v5
	s_and_saveexec_b64 s[12:13], vcc
	s_xor_b64 s[12:13], exec, s[12:13]
	s_cbranch_execz .LBB208_1022
; %bb.1017:
	s_mov_b32 s14, 0x3c7fffff
	v_cmp_lt_u32_e32 vcc, s14, v5
                                        ; implicit-def: $vgpr4
	s_and_saveexec_b64 s[14:15], vcc
	s_xor_b64 s[14:15], exec, s[14:15]
; %bb.1018:
	v_bfe_u32 v4, v0, 20, 1
	s_mov_b32 s16, 0x407ffff
	v_add3_u32 v4, v0, v4, s16
	v_lshrrev_b32_e32 v5, 20, v4
	v_and_b32_e32 v4, 0xff00000, v4
	s_mov_b32 s16, 0x7f00000
	v_mov_b32_e32 v6, 0x7e
	v_cmp_ne_u32_e32 vcc, s16, v4
	v_cndmask_b32_e32 v4, v6, v5, vcc
; %bb.1019:
	s_andn2_saveexec_b64 s[14:15], s[14:15]
; %bb.1020:
	s_mov_b32 s16, 0x46800000
	v_add_f32_e64 v4, |v0|, s16
; %bb.1021:
	s_or_b64 exec, exec, s[14:15]
                                        ; implicit-def: $vgpr5
.LBB208_1022:
	s_andn2_saveexec_b64 s[12:13], s[12:13]
; %bb.1023:
	s_mov_b32 s14, 0x7f800000
	v_mov_b32_e32 v4, 0x7e
	v_mov_b32_e32 v6, 0x7f
	v_cmp_lt_u32_e32 vcc, s14, v5
	v_cndmask_b32_e32 v4, v4, v6, vcc
; %bb.1024:
	s_or_b64 exec, exec, s[12:13]
	v_lshrrev_b32_e32 v0, 24, v0
	s_movk_i32 s12, 0x80
	v_and_or_b32 v0, v0, s12, v4
	global_store_byte v[1:2], v0, off
.LBB208_1025:
	s_mov_b64 s[12:13], 0
.LBB208_1026:
	s_andn2_b64 vcc, exec, s[12:13]
	s_cbranch_vccnz .LBB208_1036
; %bb.1027:
	v_cvt_f32_f16_e32 v0, v3
	s_mov_b32 s12, 0x47800000
                                        ; implicit-def: $vgpr4
	v_and_b32_e32 v5, 0x7fffffff, v0
	v_cmp_gt_u32_e32 vcc, s12, v5
	s_and_saveexec_b64 s[12:13], vcc
	s_xor_b64 s[12:13], exec, s[12:13]
	s_cbranch_execz .LBB208_1033
; %bb.1028:
	s_mov_b32 s14, 0x387fffff
	v_cmp_lt_u32_e32 vcc, s14, v5
                                        ; implicit-def: $vgpr4
	s_and_saveexec_b64 s[14:15], vcc
	s_xor_b64 s[14:15], exec, s[14:15]
; %bb.1029:
	v_bfe_u32 v4, v0, 21, 1
	s_mov_b32 s16, 0x80fffff
	v_add3_u32 v4, v0, v4, s16
	v_lshrrev_b32_e32 v4, 21, v4
; %bb.1030:
	s_andn2_saveexec_b64 s[14:15], s[14:15]
; %bb.1031:
	s_mov_b32 s16, 0x43000000
	v_add_f32_e64 v4, |v0|, s16
; %bb.1032:
	s_or_b64 exec, exec, s[14:15]
                                        ; implicit-def: $vgpr5
.LBB208_1033:
	s_andn2_saveexec_b64 s[12:13], s[12:13]
; %bb.1034:
	s_mov_b32 s14, 0x7f800000
	v_mov_b32_e32 v4, 0x7c
	v_mov_b32_e32 v6, 0x7f
	v_cmp_lt_u32_e32 vcc, s14, v5
	v_cndmask_b32_e32 v4, v4, v6, vcc
; %bb.1035:
	s_or_b64 exec, exec, s[12:13]
	v_lshrrev_b32_e32 v0, 24, v0
	s_movk_i32 s12, 0x80
	v_and_or_b32 v0, v0, s12, v4
	global_store_byte v[1:2], v0, off
.LBB208_1036:
	s_mov_b64 s[12:13], 0
.LBB208_1037:
	s_andn2_b64 vcc, exec, s[12:13]
	s_mov_b64 s[12:13], 0
	s_cbranch_vccnz .LBB208_1045
; %bb.1038:
	s_cmp_gt_i32 s19, 14
	s_mov_b64 s[14:15], -1
	s_cbranch_scc0 .LBB208_1042
; %bb.1039:
	s_cmp_eq_u32 s19, 15
	s_mov_b64 s[0:1], -1
	s_cbranch_scc0 .LBB208_1041
; %bb.1040:
	v_cvt_f32_f16_e32 v0, v3
	s_movk_i32 s0, 0x7fff
	v_cmp_o_f16_e32 vcc, v3, v3
	v_mov_b32_e32 v4, 0x7fc0
	v_bfe_u32 v5, v0, 16, 1
	v_add3_u32 v0, v0, v5, s0
	v_cndmask_b32_sdwa v0, v4, v0, vcc dst_sel:DWORD dst_unused:UNUSED_PAD src0_sel:DWORD src1_sel:WORD_1
	global_store_short v[1:2], v0, off
	s_mov_b64 s[0:1], 0
.LBB208_1041:
	s_mov_b64 s[14:15], 0
.LBB208_1042:
	s_and_b64 vcc, exec, s[14:15]
	s_cbranch_vccz .LBB208_1045
; %bb.1043:
	s_cmp_lg_u32 s19, 11
	s_cselect_b64 s[14:15], -1, 0
	s_andn2_b64 s[0:1], s[0:1], exec
	s_and_b64 s[14:15], s[14:15], exec
	s_mov_b64 s[12:13], -1
	s_or_b64 s[0:1], s[0:1], s[14:15]
	s_branch .LBB208_1045
.LBB208_1044:
	s_mov_b64 s[12:13], 0
.LBB208_1045:
	s_andn2_b64 s[14:15], s[54:55], exec
	s_and_b64 s[0:1], s[0:1], exec
	s_and_b64 s[10:11], s[10:11], exec
	;; [unrolled: 1-line block ×3, first 2 shown]
	s_or_b64 s[54:55], s[14:15], s[0:1]
	s_or_b64 exec, exec, s[8:9]
	s_and_saveexec_b64 s[0:1], s[54:55]
	s_cbranch_execz .LBB208_984
.LBB208_1046:
	s_or_b64 s[2:3], s[2:3], exec
	s_andn2_b64 s[12:13], s[12:13], exec
	s_trap 2
	s_or_b64 exec, exec, s[0:1]
	s_and_saveexec_b64 s[0:1], s[12:13]
	s_xor_b64 s[0:1], exec, s[0:1]
	s_cbranch_execnz .LBB208_985
.LBB208_1047:
	s_or_b64 exec, exec, s[0:1]
	s_and_saveexec_b64 s[0:1], s[10:11]
	s_xor_b64 s[0:1], exec, s[0:1]
	s_cbranch_execz .LBB208_1085
.LBB208_1048:
	s_sext_i32_i16 s10, s18
	s_cmp_lt_i32 s10, 5
	s_mov_b64 s[8:9], -1
	s_cbranch_scc1 .LBB208_1069
; %bb.1049:
	s_cmp_lt_i32 s10, 8
	s_cbranch_scc1 .LBB208_1059
; %bb.1050:
	s_cmp_lt_i32 s10, 9
	s_cbranch_scc1 .LBB208_1056
; %bb.1051:
	s_cmp_gt_i32 s10, 9
	s_cbranch_scc0 .LBB208_1053
; %bb.1052:
	s_waitcnt vmcnt(0)
	v_cvt_f32_f16_e32 v0, v3
	v_mov_b32_e32 v6, 0
	v_mov_b32_e32 v7, v6
	s_mov_b64 s[8:9], 0
	v_cvt_f64_f32_e32 v[4:5], v0
	global_store_dwordx4 v[1:2], v[4:7], off
.LBB208_1053:
	s_andn2_b64 vcc, exec, s[8:9]
	s_cbranch_vccnz .LBB208_1055
; %bb.1054:
	s_waitcnt vmcnt(0)
	v_cvt_f32_f16_e32 v4, v3
	v_mov_b32_e32 v5, 0
	global_store_dwordx2 v[1:2], v[4:5], off
.LBB208_1055:
	s_mov_b64 s[8:9], 0
.LBB208_1056:
	s_andn2_b64 vcc, exec, s[8:9]
	s_cbranch_vccnz .LBB208_1058
; %bb.1057:
	s_waitcnt vmcnt(0)
	v_and_b32_e32 v0, 0xffff, v3
	global_store_dword v[1:2], v0, off
.LBB208_1058:
	s_mov_b64 s[8:9], 0
.LBB208_1059:
	s_andn2_b64 vcc, exec, s[8:9]
	s_cbranch_vccnz .LBB208_1068
; %bb.1060:
	s_sext_i32_i16 s10, s18
	s_cmp_lt_i32 s10, 6
	s_mov_b64 s[8:9], -1
	s_cbranch_scc1 .LBB208_1066
; %bb.1061:
	s_cmp_gt_i32 s10, 6
	s_cbranch_scc0 .LBB208_1063
; %bb.1062:
	s_waitcnt vmcnt(0)
	v_cvt_f32_f16_e32 v0, v3
	s_mov_b64 s[8:9], 0
	v_cvt_f64_f32_e32 v[4:5], v0
	global_store_dwordx2 v[1:2], v[4:5], off
.LBB208_1063:
	s_andn2_b64 vcc, exec, s[8:9]
	s_cbranch_vccnz .LBB208_1065
; %bb.1064:
	s_waitcnt vmcnt(0)
	v_cvt_f32_f16_e32 v0, v3
	global_store_dword v[1:2], v0, off
.LBB208_1065:
	s_mov_b64 s[8:9], 0
.LBB208_1066:
	s_andn2_b64 vcc, exec, s[8:9]
	s_cbranch_vccnz .LBB208_1068
; %bb.1067:
	s_waitcnt vmcnt(0)
	global_store_short v[1:2], v3, off
.LBB208_1068:
	s_mov_b64 s[8:9], 0
.LBB208_1069:
	s_andn2_b64 vcc, exec, s[8:9]
	s_cbranch_vccnz .LBB208_1085
; %bb.1070:
	s_sext_i32_i16 s10, s18
	s_cmp_lt_i32 s10, 2
	s_mov_b64 s[8:9], -1
	s_cbranch_scc1 .LBB208_1080
; %bb.1071:
	s_cmp_lt_i32 s10, 3
	s_cbranch_scc1 .LBB208_1077
; %bb.1072:
	s_cmp_gt_i32 s10, 3
	s_cbranch_scc0 .LBB208_1074
; %bb.1073:
	s_waitcnt vmcnt(0)
	v_cvt_f32_f16_e32 v0, v3
	s_mov_b64 s[8:9], 0
	v_cvt_i32_f32_e32 v4, v0
	v_ashrrev_i32_e32 v5, 31, v4
	global_store_dwordx2 v[1:2], v[4:5], off
.LBB208_1074:
	s_andn2_b64 vcc, exec, s[8:9]
	s_cbranch_vccnz .LBB208_1076
; %bb.1075:
	s_waitcnt vmcnt(0)
	v_cvt_f32_f16_e32 v0, v3
	v_cvt_i32_f32_e32 v0, v0
	global_store_dword v[1:2], v0, off
.LBB208_1076:
	s_mov_b64 s[8:9], 0
.LBB208_1077:
	s_andn2_b64 vcc, exec, s[8:9]
	s_cbranch_vccnz .LBB208_1079
; %bb.1078:
	s_waitcnt vmcnt(0)
	v_cvt_i16_f16_e32 v0, v3
	global_store_short v[1:2], v0, off
.LBB208_1079:
	s_mov_b64 s[8:9], 0
.LBB208_1080:
	s_andn2_b64 vcc, exec, s[8:9]
	s_cbranch_vccnz .LBB208_1085
; %bb.1081:
	s_sext_i32_i16 s8, s18
	s_cmp_gt_i32 s8, 0
	s_mov_b64 s[8:9], -1
	s_cbranch_scc0 .LBB208_1083
; %bb.1082:
	s_waitcnt vmcnt(0)
	v_cvt_i16_f16_e32 v0, v3
	s_mov_b64 s[8:9], 0
	global_store_byte v[1:2], v0, off
.LBB208_1083:
	s_andn2_b64 vcc, exec, s[8:9]
	s_cbranch_vccnz .LBB208_1085
; %bb.1084:
	s_waitcnt vmcnt(0)
	v_cvt_f32_f16_e32 v0, v3
	v_cvt_i32_f32_e32 v0, v0
	global_store_byte v[1:2], v0, off
.LBB208_1085:
	s_or_b64 exec, exec, s[0:1]
	s_and_b64 s[28:29], s[2:3], exec
                                        ; implicit-def: $vgpr15
                                        ; implicit-def: $vgpr8
.LBB208_1086:
	s_or_saveexec_b64 s[30:31], s[42:43]
	s_mov_b64 s[0:1], 0
                                        ; implicit-def: $vgpr0_vgpr1
                                        ; implicit-def: $sgpr16
                                        ; implicit-def: $vgpr2
	s_xor_b64 exec, exec, s[30:31]
	s_cbranch_execz .LBB208_2090
; %bb.1087:
	v_cndmask_b32_e64 v0, 0, 1, s[40:41]
	v_cmp_ne_u32_e64 s[0:1], 1, v0
	s_andn2_b64 vcc, exec, s[40:41]
	s_cbranch_vccnz .LBB208_1093
; %bb.1088:
	s_cmp_lg_u32 s33, 0
	s_mov_b32 s36, 0
	s_cbranch_scc0 .LBB208_1094
; %bb.1089:
	s_min_u32 s37, s74, 15
	s_add_i32 s37, s37, 1
	s_cmp_eq_u32 s74, 2
	s_cbranch_scc1 .LBB208_1095
; %bb.1090:
	s_and_b32 s36, s37, 28
	s_add_u32 s2, s34, 0xc4
	s_addc_u32 s3, s35, 0
	v_mov_b32_e32 v13, 0
	s_mov_b32 s38, 0
	s_mov_b64 s[6:7], s[34:35]
	v_mov_b32_e32 v6, 0
	v_mov_b32_e32 v0, v8
.LBB208_1091:                           ; =>This Inner Loop Header: Depth=1
	s_load_dwordx8 s[16:23], s[6:7], 0x4
	s_load_dwordx4 s[24:27], s[6:7], 0x24
	s_load_dwordx8 s[8:15], s[2:3], 0x0
	s_add_u32 s6, s6, 48
	s_addc_u32 s7, s7, 0
	s_waitcnt lgkmcnt(0)
	v_mul_hi_u32 v1, s17, v0
	s_add_i32 s38, s38, 4
	s_add_u32 s2, s2, 32
	s_addc_u32 s3, s3, 0
	v_add_u32_e32 v1, v0, v1
	v_lshrrev_b32_e32 v1, s18, v1
	v_mul_lo_u32 v2, v1, s16
	s_waitcnt vmcnt(0)
	v_mul_hi_u32 v3, s20, v1
	s_cmp_lg_u32 s36, s38
	v_sub_u32_e32 v0, v0, v2
	v_add_u32_e32 v2, v1, v3
	v_mul_lo_u32 v3, v0, s8
	v_mul_lo_u32 v4, v0, s9
	v_lshrrev_b32_e32 v0, s21, v2
	v_mul_lo_u32 v2, v0, s19
	v_mul_hi_u32 v5, s23, v0
	v_sub_u32_e32 v1, v1, v2
	v_add_u32_e32 v2, v0, v5
	v_lshrrev_b32_e32 v2, s24, v2
	v_mul_hi_u32 v7, s26, v2
	v_mul_lo_u32 v9, v2, s22
	v_mul_lo_u32 v5, v1, s10
	;; [unrolled: 1-line block ×3, first 2 shown]
	v_sub_u32_e32 v9, v0, v9
	v_add_u32_e32 v0, v2, v7
	v_lshrrev_b32_e32 v0, s27, v0
	v_mul_lo_u32 v7, v0, s25
	v_mul_lo_u32 v10, v9, s12
	;; [unrolled: 1-line block ×3, first 2 shown]
	v_add3_u32 v3, v3, v6, v5
	v_sub_u32_e32 v2, v2, v7
	v_mul_lo_u32 v7, v2, s14
	v_mul_lo_u32 v2, v2, s15
	v_add3_u32 v1, v4, v13, v1
	v_add3_u32 v6, v10, v3, v7
	;; [unrolled: 1-line block ×3, first 2 shown]
	s_cbranch_scc1 .LBB208_1091
; %bb.1092:
	s_and_b32 s8, s37, 3
	s_cmp_eq_u32 s8, 0
	s_cbranch_scc0 .LBB208_1096
	s_branch .LBB208_1098
.LBB208_1093:
                                        ; implicit-def: $vgpr6
                                        ; implicit-def: $vgpr13
	s_branch .LBB208_1099
.LBB208_1094:
	v_mov_b32_e32 v6, 0
	v_mov_b32_e32 v13, 0
	s_branch .LBB208_1098
.LBB208_1095:
	v_mov_b32_e32 v6, 0
	v_mov_b32_e32 v13, 0
	;; [unrolled: 1-line block ×3, first 2 shown]
	s_and_b32 s8, s37, 3
	s_cmp_eq_u32 s8, 0
	s_cbranch_scc1 .LBB208_1098
.LBB208_1096:
	s_lshl_b32 s2, s36, 3
	s_add_u32 s2, s34, s2
	s_addc_u32 s3, s35, 0
	s_add_u32 s2, s2, 0xc4
	s_addc_u32 s3, s3, 0
	s_mul_i32 s6, s36, 12
	s_add_u32 s6, s34, s6
	s_addc_u32 s7, s35, 0
.LBB208_1097:                           ; =>This Inner Loop Header: Depth=1
	s_load_dwordx2 s[10:11], s[6:7], 0x4
	s_load_dword s9, s[6:7], 0xc
	s_load_dwordx2 s[12:13], s[2:3], 0x0
	s_add_u32 s6, s6, 12
	s_addc_u32 s7, s7, 0
	s_waitcnt lgkmcnt(0)
	v_mul_hi_u32 v1, s11, v0
	s_add_u32 s2, s2, 8
	s_addc_u32 s3, s3, 0
	s_add_i32 s8, s8, -1
	v_add_u32_e32 v1, v0, v1
	v_lshrrev_b32_e32 v1, s9, v1
	v_mul_lo_u32 v2, v1, s10
	s_cmp_lg_u32 s8, 0
	v_sub_u32_e32 v0, v0, v2
	v_mad_u64_u32 v[6:7], s[10:11], v0, s12, v[6:7]
	v_mad_u64_u32 v[13:14], s[10:11], v0, s13, v[13:14]
	v_mov_b32_e32 v0, v1
	s_cbranch_scc1 .LBB208_1097
.LBB208_1098:
	s_cbranch_execnz .LBB208_1101
.LBB208_1099:
	s_load_dwordx4 s[8:11], s[34:35], 0x4
	s_load_dwordx2 s[2:3], s[34:35], 0xc4
	s_cmp_lt_u32 s33, 2
	s_waitcnt lgkmcnt(0)
	v_mul_hi_u32 v0, s9, v8
	v_add_u32_e32 v0, v8, v0
	v_lshrrev_b32_e32 v0, s10, v0
	v_mul_lo_u32 v1, v0, s8
	v_sub_u32_e32 v1, v8, v1
	v_mul_lo_u32 v6, v1, s2
	v_mul_lo_u32 v13, v1, s3
	s_cbranch_scc1 .LBB208_1101
; %bb.1100:
	s_load_dwordx4 s[8:11], s[34:35], 0x10
	s_load_dwordx2 s[2:3], s[34:35], 0xcc
	s_waitcnt lgkmcnt(0)
	v_mul_hi_u32 v1, s9, v0
	v_add_u32_e32 v1, v0, v1
	v_lshrrev_b32_e32 v1, s10, v1
	v_mul_lo_u32 v1, v1, s8
	v_sub_u32_e32 v0, v0, v1
	v_mad_u64_u32 v[6:7], s[6:7], v0, s2, v[6:7]
	v_mad_u64_u32 v[13:14], s[2:3], v0, s3, v[13:14]
.LBB208_1101:
	s_and_b64 vcc, exec, s[0:1]
	v_add_u32_e32 v0, 0x80, v8
	s_cbranch_vccnz .LBB208_1107
; %bb.1102:
	s_cmp_lg_u32 s33, 0
	s_mov_b32 s36, 0
	s_cbranch_scc0 .LBB208_1108
; %bb.1103:
	s_min_u32 s37, s74, 15
	s_add_i32 s37, s37, 1
	s_cmp_eq_u32 s74, 2
	s_cbranch_scc1 .LBB208_1109
; %bb.1104:
	s_and_b32 s36, s37, 28
	s_add_u32 s2, s34, 0xc4
	s_addc_u32 s3, s35, 0
	v_mov_b32_e32 v11, 0
	s_mov_b32 s38, 0
	s_mov_b64 s[6:7], s[34:35]
	s_waitcnt vmcnt(0)
	v_mov_b32_e32 v4, 0
	v_mov_b32_e32 v1, v0
.LBB208_1105:                           ; =>This Inner Loop Header: Depth=1
	s_load_dwordx8 s[16:23], s[6:7], 0x4
	s_load_dwordx4 s[24:27], s[6:7], 0x24
	s_load_dwordx8 s[8:15], s[2:3], 0x0
	s_add_u32 s6, s6, 48
	s_addc_u32 s7, s7, 0
	s_waitcnt lgkmcnt(0)
	v_mul_hi_u32 v2, s17, v1
	s_add_i32 s38, s38, 4
	s_add_u32 s2, s2, 32
	s_addc_u32 s3, s3, 0
	v_add_u32_e32 v2, v1, v2
	v_lshrrev_b32_e32 v2, s18, v2
	v_mul_lo_u32 v3, v2, s16
	v_mul_hi_u32 v5, s20, v2
	s_cmp_lg_u32 s36, s38
	v_sub_u32_e32 v1, v1, v3
	v_add_u32_e32 v3, v2, v5
	v_mul_lo_u32 v5, v1, s8
	v_mul_lo_u32 v7, v1, s9
	v_lshrrev_b32_e32 v1, s21, v3
	v_mul_lo_u32 v3, v1, s19
	v_mul_hi_u32 v9, s23, v1
	v_sub_u32_e32 v2, v2, v3
	v_add_u32_e32 v3, v1, v9
	v_lshrrev_b32_e32 v3, s24, v3
	v_mul_hi_u32 v10, s26, v3
	v_mul_lo_u32 v12, v3, s22
	v_mul_lo_u32 v9, v2, s10
	;; [unrolled: 1-line block ×3, first 2 shown]
	v_sub_u32_e32 v12, v1, v12
	v_add_u32_e32 v1, v3, v10
	v_lshrrev_b32_e32 v1, s27, v1
	v_mul_lo_u32 v10, v1, s25
	v_mul_lo_u32 v14, v12, s12
	;; [unrolled: 1-line block ×3, first 2 shown]
	v_add3_u32 v4, v5, v4, v9
	v_sub_u32_e32 v3, v3, v10
	v_mul_lo_u32 v10, v3, s14
	v_mul_lo_u32 v3, v3, s15
	v_add3_u32 v2, v7, v11, v2
	v_add3_u32 v4, v14, v4, v10
	;; [unrolled: 1-line block ×3, first 2 shown]
	s_cbranch_scc1 .LBB208_1105
; %bb.1106:
	s_and_b32 s8, s37, 3
	s_cmp_eq_u32 s8, 0
	s_cbranch_scc0 .LBB208_1110
	s_branch .LBB208_1112
.LBB208_1107:
                                        ; implicit-def: $vgpr4
                                        ; implicit-def: $vgpr11
	s_branch .LBB208_1113
.LBB208_1108:
	s_waitcnt vmcnt(0)
	v_mov_b32_e32 v4, 0
	v_mov_b32_e32 v11, 0
	s_branch .LBB208_1112
.LBB208_1109:
	s_waitcnt vmcnt(0)
	v_mov_b32_e32 v4, 0
	v_mov_b32_e32 v11, 0
	;; [unrolled: 1-line block ×3, first 2 shown]
	s_and_b32 s8, s37, 3
	s_cmp_eq_u32 s8, 0
	s_cbranch_scc1 .LBB208_1112
.LBB208_1110:
	s_lshl_b32 s2, s36, 3
	s_add_u32 s2, s34, s2
	s_addc_u32 s3, s35, 0
	s_add_u32 s2, s2, 0xc4
	s_addc_u32 s3, s3, 0
	s_mul_i32 s6, s36, 12
	s_add_u32 s6, s34, s6
	s_addc_u32 s7, s35, 0
.LBB208_1111:                           ; =>This Inner Loop Header: Depth=1
	s_load_dwordx2 s[10:11], s[6:7], 0x4
	s_load_dword s9, s[6:7], 0xc
	s_load_dwordx2 s[12:13], s[2:3], 0x0
	s_add_u32 s6, s6, 12
	s_addc_u32 s7, s7, 0
	s_waitcnt lgkmcnt(0)
	v_mul_hi_u32 v2, s11, v1
	s_add_u32 s2, s2, 8
	s_addc_u32 s3, s3, 0
	s_add_i32 s8, s8, -1
	v_add_u32_e32 v2, v1, v2
	v_lshrrev_b32_e32 v2, s9, v2
	v_mul_lo_u32 v3, v2, s10
	s_cmp_lg_u32 s8, 0
	v_sub_u32_e32 v1, v1, v3
	v_mad_u64_u32 v[4:5], s[10:11], v1, s12, v[4:5]
	v_mad_u64_u32 v[11:12], s[10:11], v1, s13, v[11:12]
	v_mov_b32_e32 v1, v2
	s_cbranch_scc1 .LBB208_1111
.LBB208_1112:
	s_cbranch_execnz .LBB208_1115
.LBB208_1113:
	s_load_dwordx4 s[8:11], s[34:35], 0x4
	s_load_dwordx2 s[2:3], s[34:35], 0xc4
	s_cmp_lt_u32 s33, 2
	s_waitcnt lgkmcnt(0)
	v_mul_hi_u32 v1, s9, v0
	v_add_u32_e32 v1, v0, v1
	v_lshrrev_b32_e32 v1, s10, v1
	v_mul_lo_u32 v2, v1, s8
	v_sub_u32_e32 v0, v0, v2
	s_waitcnt vmcnt(0)
	v_mul_lo_u32 v4, v0, s2
	v_mul_lo_u32 v11, v0, s3
	s_cbranch_scc1 .LBB208_1115
; %bb.1114:
	s_load_dwordx4 s[8:11], s[34:35], 0x10
	s_load_dwordx2 s[2:3], s[34:35], 0xcc
	s_waitcnt lgkmcnt(0)
	v_mul_hi_u32 v0, s9, v1
	v_add_u32_e32 v0, v1, v0
	v_lshrrev_b32_e32 v0, s10, v0
	v_mul_lo_u32 v0, v0, s8
	v_sub_u32_e32 v0, v1, v0
	v_mad_u64_u32 v[4:5], s[6:7], v0, s2, v[4:5]
	v_mad_u64_u32 v[11:12], s[2:3], v0, s3, v[11:12]
.LBB208_1115:
	s_and_b64 vcc, exec, s[0:1]
	v_add_u32_e32 v0, 0x100, v8
	s_cbranch_vccnz .LBB208_1121
; %bb.1116:
	s_cmp_lg_u32 s33, 0
	s_mov_b32 s36, 0
	s_cbranch_scc0 .LBB208_1122
; %bb.1117:
	s_min_u32 s37, s74, 15
	s_add_i32 s37, s37, 1
	s_cmp_eq_u32 s74, 2
	s_cbranch_scc1 .LBB208_1123
; %bb.1118:
	s_and_b32 s36, s37, 28
	s_add_u32 s2, s34, 0xc4
	s_addc_u32 s3, s35, 0
	v_mov_b32_e32 v9, 0
	s_mov_b32 s38, 0
	s_mov_b64 s[6:7], s[34:35]
	v_mov_b32_e32 v2, 0
	v_mov_b32_e32 v1, v0
.LBB208_1119:                           ; =>This Inner Loop Header: Depth=1
	s_load_dwordx8 s[16:23], s[6:7], 0x4
	s_load_dwordx4 s[24:27], s[6:7], 0x24
	s_load_dwordx8 s[8:15], s[2:3], 0x0
	s_add_u32 s6, s6, 48
	s_addc_u32 s7, s7, 0
	s_waitcnt vmcnt(0) lgkmcnt(0)
	v_mul_hi_u32 v3, s17, v1
	s_add_i32 s38, s38, 4
	s_add_u32 s2, s2, 32
	s_addc_u32 s3, s3, 0
	v_add_u32_e32 v3, v1, v3
	v_lshrrev_b32_e32 v3, s18, v3
	v_mul_lo_u32 v5, v3, s16
	v_mul_hi_u32 v7, s20, v3
	s_cmp_lg_u32 s36, s38
	v_sub_u32_e32 v1, v1, v5
	v_add_u32_e32 v5, v3, v7
	v_mul_lo_u32 v7, v1, s8
	v_mul_lo_u32 v8, v1, s9
	v_lshrrev_b32_e32 v1, s21, v5
	v_mul_lo_u32 v5, v1, s19
	v_mul_hi_u32 v10, s23, v1
	v_sub_u32_e32 v3, v3, v5
	v_add_u32_e32 v5, v1, v10
	v_lshrrev_b32_e32 v5, s24, v5
	v_mul_hi_u32 v12, s26, v5
	v_mul_lo_u32 v14, v5, s22
	v_mul_lo_u32 v10, v3, s10
	v_mul_lo_u32 v3, v3, s11
	v_sub_u32_e32 v14, v1, v14
	v_add_u32_e32 v1, v5, v12
	v_lshrrev_b32_e32 v1, s27, v1
	v_mul_lo_u32 v12, v1, s25
	v_mul_lo_u32 v16, v14, s12
	;; [unrolled: 1-line block ×3, first 2 shown]
	v_add3_u32 v2, v7, v2, v10
	v_sub_u32_e32 v5, v5, v12
	v_mul_lo_u32 v12, v5, s14
	v_mul_lo_u32 v5, v5, s15
	v_add3_u32 v3, v8, v9, v3
	v_add3_u32 v2, v16, v2, v12
	;; [unrolled: 1-line block ×3, first 2 shown]
	s_cbranch_scc1 .LBB208_1119
; %bb.1120:
	s_and_b32 s8, s37, 3
	s_cmp_eq_u32 s8, 0
	s_cbranch_scc0 .LBB208_1124
	s_branch .LBB208_1126
.LBB208_1121:
                                        ; implicit-def: $vgpr2
                                        ; implicit-def: $vgpr9
	s_branch .LBB208_1127
.LBB208_1122:
	v_mov_b32_e32 v2, 0
	v_mov_b32_e32 v9, 0
	s_branch .LBB208_1126
.LBB208_1123:
	v_mov_b32_e32 v2, 0
	v_mov_b32_e32 v9, 0
	v_mov_b32_e32 v1, v0
	s_and_b32 s8, s37, 3
	s_cmp_eq_u32 s8, 0
	s_cbranch_scc1 .LBB208_1126
.LBB208_1124:
	s_lshl_b32 s2, s36, 3
	s_add_u32 s2, s34, s2
	s_addc_u32 s3, s35, 0
	s_add_u32 s2, s2, 0xc4
	s_addc_u32 s3, s3, 0
	s_mul_i32 s6, s36, 12
	s_add_u32 s6, s34, s6
	s_addc_u32 s7, s35, 0
.LBB208_1125:                           ; =>This Inner Loop Header: Depth=1
	s_load_dwordx2 s[10:11], s[6:7], 0x4
	s_load_dword s9, s[6:7], 0xc
	s_load_dwordx2 s[12:13], s[2:3], 0x0
	s_add_u32 s6, s6, 12
	s_addc_u32 s7, s7, 0
	s_waitcnt vmcnt(0) lgkmcnt(0)
	v_mul_hi_u32 v3, s11, v1
	s_add_u32 s2, s2, 8
	s_addc_u32 s3, s3, 0
	s_add_i32 s8, s8, -1
	v_add_u32_e32 v3, v1, v3
	v_lshrrev_b32_e32 v5, s9, v3
	v_mul_lo_u32 v3, v5, s10
	s_cmp_lg_u32 s8, 0
	v_sub_u32_e32 v1, v1, v3
	v_mad_u64_u32 v[2:3], s[10:11], v1, s12, v[2:3]
	v_mad_u64_u32 v[9:10], s[10:11], v1, s13, v[9:10]
	v_mov_b32_e32 v1, v5
	s_cbranch_scc1 .LBB208_1125
.LBB208_1126:
	s_cbranch_execnz .LBB208_1129
.LBB208_1127:
	s_load_dwordx4 s[8:11], s[34:35], 0x4
	s_load_dwordx2 s[2:3], s[34:35], 0xc4
	s_cmp_lt_u32 s33, 2
	s_waitcnt lgkmcnt(0)
	v_mul_hi_u32 v1, s9, v0
	v_add_u32_e32 v1, v0, v1
	v_lshrrev_b32_e32 v1, s10, v1
	v_mul_lo_u32 v2, v1, s8
	v_sub_u32_e32 v0, v0, v2
	v_mul_lo_u32 v2, v0, s2
	v_mul_lo_u32 v9, v0, s3
	s_cbranch_scc1 .LBB208_1129
; %bb.1128:
	s_load_dwordx4 s[8:11], s[34:35], 0x10
	s_load_dwordx2 s[2:3], s[34:35], 0xcc
	s_waitcnt lgkmcnt(0)
	v_mul_hi_u32 v0, s9, v1
	v_add_u32_e32 v0, v1, v0
	v_lshrrev_b32_e32 v0, s10, v0
	v_mul_lo_u32 v0, v0, s8
	v_sub_u32_e32 v0, v1, v0
	s_waitcnt vmcnt(0)
	v_mad_u64_u32 v[2:3], s[6:7], v0, s2, v[2:3]
	v_mad_u64_u32 v[9:10], s[2:3], v0, s3, v[9:10]
.LBB208_1129:
	s_and_b64 vcc, exec, s[0:1]
	s_cbranch_vccnz .LBB208_1135
; %bb.1130:
	s_cmp_lg_u32 s33, 0
	s_mov_b32 s26, 0
	s_cbranch_scc0 .LBB208_1136
; %bb.1131:
	s_min_u32 s27, s74, 15
	s_add_i32 s27, s27, 1
	s_cmp_eq_u32 s74, 2
	s_cbranch_scc1 .LBB208_1137
; %bb.1132:
	s_and_b32 s26, s27, 28
	s_add_u32 s6, s34, 0xc4
	s_addc_u32 s7, s35, 0
	v_mov_b32_e32 v7, 0
	s_mov_b32 s36, 0
	s_mov_b64 s[24:25], s[34:35]
	v_mov_b32_e32 v0, 0
	v_mov_b32_e32 v1, v15
.LBB208_1133:                           ; =>This Inner Loop Header: Depth=1
	s_load_dwordx8 s[16:23], s[24:25], 0x4
	s_load_dwordx4 s[0:3], s[24:25], 0x24
	s_load_dwordx8 s[8:15], s[6:7], 0x0
	s_add_u32 s24, s24, 48
	s_addc_u32 s25, s25, 0
	s_waitcnt vmcnt(0) lgkmcnt(0)
	v_mul_hi_u32 v3, s17, v1
	s_add_i32 s36, s36, 4
	s_add_u32 s6, s6, 32
	s_addc_u32 s7, s7, 0
	v_add_u32_e32 v3, v1, v3
	v_lshrrev_b32_e32 v3, s18, v3
	v_mul_lo_u32 v5, v3, s16
	v_mul_hi_u32 v8, s20, v3
	s_cmp_lg_u32 s26, s36
	v_sub_u32_e32 v1, v1, v5
	v_add_u32_e32 v5, v3, v8
	v_mul_lo_u32 v8, v1, s8
	v_mul_lo_u32 v10, v1, s9
	v_lshrrev_b32_e32 v1, s21, v5
	v_mul_lo_u32 v5, v1, s19
	v_mul_hi_u32 v12, s23, v1
	v_sub_u32_e32 v3, v3, v5
	v_add_u32_e32 v5, v1, v12
	v_lshrrev_b32_e32 v5, s0, v5
	v_mul_hi_u32 v14, s2, v5
	v_mul_lo_u32 v16, v5, s22
	v_mul_lo_u32 v12, v3, s10
	v_mul_lo_u32 v3, v3, s11
	v_sub_u32_e32 v16, v1, v16
	v_add_u32_e32 v1, v5, v14
	v_lshrrev_b32_e32 v1, s3, v1
	v_mul_lo_u32 v14, v1, s1
	v_mul_lo_u32 v17, v16, s12
	;; [unrolled: 1-line block ×3, first 2 shown]
	v_add3_u32 v0, v8, v0, v12
	v_sub_u32_e32 v5, v5, v14
	v_mul_lo_u32 v14, v5, s14
	v_mul_lo_u32 v5, v5, s15
	v_add3_u32 v3, v10, v7, v3
	v_add3_u32 v0, v17, v0, v14
	;; [unrolled: 1-line block ×3, first 2 shown]
	s_cbranch_scc1 .LBB208_1133
; %bb.1134:
	s_and_b32 s6, s27, 3
	s_cmp_eq_u32 s6, 0
	s_cbranch_scc0 .LBB208_1138
	s_branch .LBB208_1140
.LBB208_1135:
                                        ; implicit-def: $vgpr0
                                        ; implicit-def: $vgpr7
	s_branch .LBB208_1141
.LBB208_1136:
	v_mov_b32_e32 v0, 0
	v_mov_b32_e32 v7, 0
	s_branch .LBB208_1140
.LBB208_1137:
	v_mov_b32_e32 v0, 0
	v_mov_b32_e32 v7, 0
	;; [unrolled: 1-line block ×3, first 2 shown]
	s_and_b32 s6, s27, 3
	s_cmp_eq_u32 s6, 0
	s_cbranch_scc1 .LBB208_1140
.LBB208_1138:
	s_lshl_b32 s0, s26, 3
	s_add_u32 s0, s34, s0
	s_addc_u32 s1, s35, 0
	s_add_u32 s0, s0, 0xc4
	s_addc_u32 s1, s1, 0
	s_mul_i32 s2, s26, 12
	s_add_u32 s2, s34, s2
	s_addc_u32 s3, s35, 0
.LBB208_1139:                           ; =>This Inner Loop Header: Depth=1
	s_load_dwordx2 s[8:9], s[2:3], 0x4
	s_load_dword s7, s[2:3], 0xc
	s_load_dwordx2 s[10:11], s[0:1], 0x0
	s_add_u32 s2, s2, 12
	s_addc_u32 s3, s3, 0
	s_waitcnt vmcnt(0) lgkmcnt(0)
	v_mul_hi_u32 v3, s9, v1
	s_add_u32 s0, s0, 8
	s_addc_u32 s1, s1, 0
	s_add_i32 s6, s6, -1
	v_add_u32_e32 v3, v1, v3
	v_lshrrev_b32_e32 v3, s7, v3
	v_mul_lo_u32 v5, v3, s8
	s_cmp_lg_u32 s6, 0
	v_sub_u32_e32 v5, v1, v5
	v_mad_u64_u32 v[0:1], s[8:9], v5, s10, v[0:1]
	v_mad_u64_u32 v[7:8], s[8:9], v5, s11, v[7:8]
	v_mov_b32_e32 v1, v3
	s_cbranch_scc1 .LBB208_1139
.LBB208_1140:
	s_cbranch_execnz .LBB208_1143
.LBB208_1141:
	s_load_dwordx4 s[0:3], s[34:35], 0x4
	s_load_dwordx2 s[6:7], s[34:35], 0xc4
	s_cmp_lt_u32 s33, 2
	s_waitcnt lgkmcnt(0)
	v_mul_hi_u32 v0, s1, v15
	v_add_u32_e32 v0, v15, v0
	v_lshrrev_b32_e32 v1, s2, v0
	v_mul_lo_u32 v0, v1, s0
	s_waitcnt vmcnt(0)
	v_sub_u32_e32 v3, v15, v0
	v_mul_lo_u32 v0, v3, s6
	v_mul_lo_u32 v7, v3, s7
	s_cbranch_scc1 .LBB208_1143
; %bb.1142:
	s_load_dwordx4 s[0:3], s[34:35], 0x10
	s_load_dwordx2 s[6:7], s[34:35], 0xcc
	s_waitcnt lgkmcnt(0)
	v_mul_hi_u32 v3, s1, v1
	v_add_u32_e32 v3, v1, v3
	v_lshrrev_b32_e32 v3, s2, v3
	v_mul_lo_u32 v3, v3, s0
	v_sub_u32_e32 v3, v1, v3
	v_mad_u64_u32 v[0:1], s[0:1], v3, s6, v[0:1]
	v_mad_u64_u32 v[7:8], s[0:1], v3, s7, v[7:8]
.LBB208_1143:
	s_load_dword s16, s[4:5], 0x164
	s_load_dwordx4 s[8:11], s[34:35], 0x148
	s_waitcnt lgkmcnt(0)
	s_lshr_b32 s14, s16, 24
	v_mov_b32_e32 v1, s11
	v_add_co_u32_e32 v12, vcc, s10, v13
	s_cmp_lt_i32 s14, 11
	v_addc_co_u32_e32 v13, vcc, 0, v1, vcc
	s_cbranch_scc1 .LBB208_1150
; %bb.1144:
	s_and_b32 s15, 0xffff, s14
	s_cmp_gt_i32 s15, 25
	s_mov_b64 s[4:5], 0
	s_cbranch_scc0 .LBB208_1152
; %bb.1145:
	s_cmp_gt_i32 s15, 28
	s_cbranch_scc0 .LBB208_1153
; %bb.1146:
	s_cmp_gt_i32 s15, 43
	s_cbranch_scc0 .LBB208_1154
; %bb.1147:
	s_cmp_gt_i32 s15, 45
	s_cbranch_scc0 .LBB208_1155
; %bb.1148:
	s_cmp_eq_u32 s15, 46
	s_mov_b64 s[2:3], 0
	s_cbranch_scc0 .LBB208_1158
; %bb.1149:
	global_load_dword v1, v[12:13], off
	s_mov_b64 s[0:1], 0
	s_mov_b64 s[6:7], -1
	s_waitcnt vmcnt(0)
	v_lshlrev_b32_e32 v1, 16, v1
	v_cvt_f16_f32_e32 v1, v1
	s_branch .LBB208_1159
.LBB208_1150:
	s_mov_b64 s[6:7], 0
                                        ; implicit-def: $vgpr1
	s_mov_b64 s[2:3], s[28:29]
	s_cbranch_execnz .LBB208_1222
.LBB208_1151:
	s_andn2_b64 vcc, exec, s[6:7]
	s_cbranch_vccz .LBB208_1267
	s_branch .LBB208_2088
.LBB208_1152:
	s_mov_b64 s[6:7], 0
	s_mov_b64 s[0:1], 0
                                        ; implicit-def: $vgpr1
	s_cbranch_execnz .LBB208_1187
	s_branch .LBB208_1218
.LBB208_1153:
	s_mov_b64 s[2:3], -1
	s_mov_b64 s[6:7], 0
	s_mov_b64 s[0:1], 0
                                        ; implicit-def: $vgpr1
	s_branch .LBB208_1168
.LBB208_1154:
	s_mov_b64 s[6:7], 0
	s_mov_b64 s[0:1], 0
                                        ; implicit-def: $vgpr1
	s_cbranch_execnz .LBB208_1164
	s_branch .LBB208_1167
.LBB208_1155:
	s_mov_b64 s[2:3], -1
	s_mov_b64 s[6:7], 0
	s_mov_b64 s[0:1], 0
                                        ; implicit-def: $vgpr1
	s_branch .LBB208_1159
.LBB208_1156:
	s_andn2_saveexec_b64 s[14:15], s[14:15]
	s_cbranch_execz .LBB208_999
.LBB208_1157:
	s_mov_b32 s16, 0x46000000
	v_add_f32_e64 v4, |v0|, s16
	v_and_b32_e32 v4, 0xff, v4
	v_cmp_ne_u32_e32 vcc, 0, v4
	s_andn2_b64 s[12:13], s[12:13], exec
	s_and_b64 s[16:17], vcc, exec
	s_or_b64 s[12:13], s[12:13], s[16:17]
	s_or_b64 exec, exec, s[14:15]
	v_mov_b32_e32 v5, 0
	s_and_saveexec_b64 s[14:15], s[12:13]
	s_cbranch_execnz .LBB208_1000
	s_branch .LBB208_1001
.LBB208_1158:
	s_mov_b64 s[0:1], -1
                                        ; implicit-def: $vgpr1
	s_mov_b64 s[6:7], 0
.LBB208_1159:
	s_and_b64 vcc, exec, s[2:3]
	s_cbranch_vccz .LBB208_1162
; %bb.1160:
	s_cmp_eq_u32 s15, 44
	s_cbranch_scc0 .LBB208_1163
; %bb.1161:
	global_load_ubyte v1, v[12:13], off
	s_movk_i32 s2, 0xff
	v_mov_b32_e32 v5, 0x7e00
	s_mov_b64 s[0:1], 0
	s_mov_b64 s[6:7], -1
	s_waitcnt vmcnt(0)
	v_lshlrev_b32_e32 v3, 23, v1
	v_cvt_f16_f32_e32 v3, v3
	v_cmp_ne_u32_e32 vcc, s2, v1
	v_cndmask_b32_e32 v3, v5, v3, vcc
	v_cmp_ne_u32_e32 vcc, 0, v1
	v_cndmask_b32_e32 v1, 0, v3, vcc
.LBB208_1162:
	s_branch .LBB208_1167
.LBB208_1163:
	s_mov_b64 s[0:1], -1
                                        ; implicit-def: $vgpr1
	s_branch .LBB208_1167
.LBB208_1164:
	s_cmp_eq_u32 s15, 29
	s_cbranch_scc0 .LBB208_1166
; %bb.1165:
	global_load_dwordx2 v[14:15], v[12:13], off
	s_mov_b64 s[0:1], 0
	s_mov_b64 s[6:7], -1
	s_mov_b64 s[2:3], 0
	s_waitcnt vmcnt(0)
	v_ffbh_u32_e32 v1, v15
	v_min_u32_e32 v1, 32, v1
	v_lshlrev_b64 v[14:15], v1, v[14:15]
	v_sub_u32_e32 v1, 32, v1
	v_min_u32_e32 v3, 1, v14
	v_or_b32_e32 v3, v15, v3
	v_cvt_f32_u32_e32 v3, v3
	v_ldexp_f32 v1, v3, v1
	v_cvt_f16_f32_e32 v1, v1
	s_branch .LBB208_1168
.LBB208_1166:
	s_mov_b64 s[0:1], -1
                                        ; implicit-def: $vgpr1
.LBB208_1167:
	s_mov_b64 s[2:3], 0
.LBB208_1168:
	s_and_b64 vcc, exec, s[2:3]
	s_cbranch_vccz .LBB208_1186
; %bb.1169:
	s_cmp_lt_i32 s15, 27
	s_cbranch_scc1 .LBB208_1172
; %bb.1170:
	s_cmp_gt_i32 s15, 27
	s_cbranch_scc0 .LBB208_1173
; %bb.1171:
	global_load_dword v1, v[12:13], off
	s_mov_b64 s[2:3], 0
	s_waitcnt vmcnt(0)
	v_cvt_f32_u32_e32 v1, v1
	v_cvt_f16_f32_e32 v1, v1
	s_branch .LBB208_1174
.LBB208_1172:
	s_mov_b64 s[2:3], -1
                                        ; implicit-def: $vgpr1
	s_branch .LBB208_1177
.LBB208_1173:
	s_mov_b64 s[2:3], -1
                                        ; implicit-def: $vgpr1
.LBB208_1174:
	s_andn2_b64 vcc, exec, s[2:3]
	s_cbranch_vccnz .LBB208_1176
; %bb.1175:
	global_load_ushort v1, v[12:13], off
	s_waitcnt vmcnt(0)
	v_cvt_f16_u16_e32 v1, v1
.LBB208_1176:
	s_mov_b64 s[2:3], 0
.LBB208_1177:
	s_andn2_b64 vcc, exec, s[2:3]
	s_cbranch_vccnz .LBB208_1185
; %bb.1178:
	global_load_ubyte v3, v[12:13], off
	s_movk_i32 s2, 0x7f
	s_waitcnt vmcnt(0)
	v_cmp_lt_i16_e32 vcc, s2, v3
	s_mov_b64 s[2:3], 0
	s_and_saveexec_b64 s[6:7], vcc
	s_xor_b64 s[6:7], exec, s[6:7]
	s_cbranch_execz .LBB208_1198
; %bb.1179:
	s_movk_i32 s2, 0x80
	v_cmp_eq_u16_e32 vcc, s2, v3
	s_mov_b64 s[2:3], -1
	s_and_saveexec_b64 s[12:13], vcc
; %bb.1180:
	s_xor_b64 s[2:3], exec, -1
; %bb.1181:
	s_or_b64 exec, exec, s[12:13]
	s_and_b64 s[2:3], s[2:3], exec
	s_or_saveexec_b64 s[6:7], s[6:7]
	v_mov_b32_e32 v1, 0x7e00
	s_xor_b64 exec, exec, s[6:7]
	s_cbranch_execnz .LBB208_1199
.LBB208_1182:
	s_or_b64 exec, exec, s[6:7]
	s_and_saveexec_b64 s[6:7], s[2:3]
	s_cbranch_execz .LBB208_1184
.LBB208_1183:
	v_lshlrev_b32_e32 v1, 24, v3
	v_and_b32_e32 v3, 0xffff, v3
	v_and_b32_e32 v5, 7, v3
	v_ffbh_u32_e32 v10, v5
	v_min_u32_e32 v10, 32, v10
	v_subrev_u32_e32 v14, 28, v10
	v_bfe_u32 v8, v3, 3, 4
	v_lshlrev_b32_e32 v3, v14, v3
	v_sub_u32_e32 v10, 29, v10
	v_and_b32_e32 v3, 7, v3
	v_cmp_eq_u32_e32 vcc, 0, v8
	v_cndmask_b32_e32 v8, v8, v10, vcc
	v_cndmask_b32_e32 v3, v5, v3, vcc
	v_mov_b32_e32 v5, 0x3b800000
	v_lshlrev_b32_e32 v3, 20, v3
	v_and_b32_e32 v1, 0x80000000, v1
	v_lshl_add_u32 v5, v8, 23, v5
	v_or3_b32 v1, v1, v5, v3
	v_cvt_f16_f32_e32 v1, v1
.LBB208_1184:
	s_or_b64 exec, exec, s[6:7]
.LBB208_1185:
	s_mov_b64 s[6:7], -1
.LBB208_1186:
	s_branch .LBB208_1218
.LBB208_1187:
	s_cmp_gt_i32 s15, 22
	s_cbranch_scc0 .LBB208_1197
; %bb.1188:
	s_cmp_lt_i32 s15, 24
	s_cbranch_scc1 .LBB208_1200
; %bb.1189:
	s_cmp_gt_i32 s15, 24
	s_cbranch_scc0 .LBB208_1201
; %bb.1190:
	global_load_ubyte v3, v[12:13], off
	s_movk_i32 s2, 0x7f
	s_waitcnt vmcnt(0)
	v_cmp_lt_i16_e32 vcc, s2, v3
	s_mov_b64 s[2:3], 0
	s_and_saveexec_b64 s[4:5], vcc
	s_xor_b64 s[4:5], exec, s[4:5]
	s_cbranch_execz .LBB208_1212
; %bb.1191:
	s_movk_i32 s2, 0x80
	v_cmp_eq_u16_e32 vcc, s2, v3
	s_mov_b64 s[2:3], -1
	s_and_saveexec_b64 s[6:7], vcc
; %bb.1192:
	s_xor_b64 s[2:3], exec, -1
; %bb.1193:
	s_or_b64 exec, exec, s[6:7]
	s_and_b64 s[2:3], s[2:3], exec
	s_or_saveexec_b64 s[4:5], s[4:5]
	v_mov_b32_e32 v1, 0x7e00
	s_xor_b64 exec, exec, s[4:5]
	s_cbranch_execnz .LBB208_1213
.LBB208_1194:
	s_or_b64 exec, exec, s[4:5]
	s_and_saveexec_b64 s[4:5], s[2:3]
	s_cbranch_execz .LBB208_1196
.LBB208_1195:
	v_lshlrev_b32_e32 v1, 24, v3
	v_and_b32_e32 v3, 0xffff, v3
	v_and_b32_e32 v5, 3, v3
	v_ffbh_u32_e32 v10, v5
	v_min_u32_e32 v10, 32, v10
	v_subrev_u32_e32 v14, 29, v10
	v_bfe_u32 v8, v3, 2, 5
	v_lshlrev_b32_e32 v3, v14, v3
	v_sub_u32_e32 v10, 30, v10
	v_and_b32_e32 v3, 3, v3
	v_cmp_eq_u32_e32 vcc, 0, v8
	v_cndmask_b32_e32 v8, v8, v10, vcc
	v_cndmask_b32_e32 v3, v5, v3, vcc
	v_mov_b32_e32 v5, 0x37800000
	v_lshlrev_b32_e32 v3, 21, v3
	v_and_b32_e32 v1, 0x80000000, v1
	v_lshl_add_u32 v5, v8, 23, v5
	v_or3_b32 v1, v1, v5, v3
	v_cvt_f16_f32_e32 v1, v1
.LBB208_1196:
	s_or_b64 exec, exec, s[4:5]
	s_mov_b64 s[2:3], 0
	s_branch .LBB208_1202
.LBB208_1197:
                                        ; implicit-def: $vgpr1
	s_mov_b64 s[4:5], 0
	s_branch .LBB208_1208
.LBB208_1198:
	s_or_saveexec_b64 s[6:7], s[6:7]
	v_mov_b32_e32 v1, 0x7e00
	s_xor_b64 exec, exec, s[6:7]
	s_cbranch_execz .LBB208_1182
.LBB208_1199:
	v_cmp_ne_u16_e32 vcc, 0, v3
	s_andn2_b64 s[2:3], s[2:3], exec
	s_and_b64 s[12:13], vcc, exec
	s_or_b64 s[2:3], s[2:3], s[12:13]
	v_mov_b32_e32 v1, v3
	s_or_b64 exec, exec, s[6:7]
	s_and_saveexec_b64 s[6:7], s[2:3]
	s_cbranch_execnz .LBB208_1183
	s_branch .LBB208_1184
.LBB208_1200:
	s_mov_b64 s[2:3], -1
                                        ; implicit-def: $vgpr1
	s_branch .LBB208_1205
.LBB208_1201:
	s_mov_b64 s[2:3], -1
                                        ; implicit-def: $vgpr1
.LBB208_1202:
	s_and_b64 vcc, exec, s[2:3]
	s_cbranch_vccz .LBB208_1204
; %bb.1203:
	global_load_ubyte v1, v[12:13], off
	s_mov_b32 s2, 0x7f800000
	s_waitcnt vmcnt(0)
	v_lshlrev_b32_e32 v1, 24, v1
	v_and_b32_e32 v3, 0x7f000000, v1
	v_ffbh_u32_e32 v5, v3
	v_min_u32_e32 v5, 32, v5
	v_sub_u32_e64 v5, v5, 4 clamp
	v_lshlrev_b32_e32 v10, v5, v3
	v_lshlrev_b32_e32 v5, 23, v5
	v_lshrrev_b32_e32 v10, 4, v10
	v_add_u32_e32 v8, 0x1000000, v3
	v_sub_u32_e32 v5, v10, v5
	v_ashrrev_i32_e32 v8, 8, v8
	v_add_u32_e32 v5, 0x3c000000, v5
	v_and_or_b32 v5, v8, s2, v5
	v_cmp_ne_u32_e32 vcc, 0, v3
	v_cndmask_b32_e32 v3, 0, v5, vcc
	s_brev_b32 s2, 1
	v_and_or_b32 v1, v1, s2, v3
	v_cvt_f16_f32_e32 v1, v1
.LBB208_1204:
	s_mov_b64 s[2:3], 0
.LBB208_1205:
	s_andn2_b64 vcc, exec, s[2:3]
	s_cbranch_vccnz .LBB208_1207
; %bb.1206:
	global_load_ubyte v1, v[12:13], off
	s_movk_i32 s2, 0x7f00
	s_brev_b32 s3, 16
	s_waitcnt vmcnt(0)
	v_lshlrev_b16_e32 v3, 8, v1
	v_lshlrev_b32_e32 v1, 25, v1
	v_lshrrev_b32_e32 v5, 4, v1
	v_and_or_b32 v8, v3, s2, 0.5
	v_or_b32_e32 v5, 0x70000000, v5
	v_add_f32_e32 v8, -0.5, v8
	v_mul_f32_e32 v5, 0x7800000, v5
	v_cmp_gt_u32_e32 vcc, s3, v1
	v_bfe_i32 v3, v3, 0, 16
	v_cndmask_b32_e32 v1, v5, v8, vcc
	s_brev_b32 s2, 1
	v_and_or_b32 v1, v3, s2, v1
	v_cvt_f16_f32_e32 v1, v1
.LBB208_1207:
	s_mov_b64 s[6:7], -1
	s_mov_b64 s[4:5], 0
	s_cbranch_execnz .LBB208_1218
.LBB208_1208:
	s_cmp_gt_i32 s15, 14
	s_cbranch_scc0 .LBB208_1211
; %bb.1209:
	s_cmp_eq_u32 s15, 15
	s_cbranch_scc0 .LBB208_1214
; %bb.1210:
	global_load_ushort v1, v[12:13], off
	s_mov_b64 s[0:1], 0
	s_mov_b64 s[6:7], -1
	s_waitcnt vmcnt(0)
	v_lshlrev_b32_e32 v1, 16, v1
	v_cvt_f16_f32_e32 v1, v1
	s_branch .LBB208_1215
.LBB208_1211:
	s_mov_b64 s[2:3], -1
                                        ; implicit-def: $vgpr1
	s_branch .LBB208_1216
.LBB208_1212:
	s_or_saveexec_b64 s[4:5], s[4:5]
	v_mov_b32_e32 v1, 0x7e00
	s_xor_b64 exec, exec, s[4:5]
	s_cbranch_execz .LBB208_1194
.LBB208_1213:
	v_cmp_ne_u16_e32 vcc, 0, v3
	s_andn2_b64 s[2:3], s[2:3], exec
	s_and_b64 s[6:7], vcc, exec
	s_or_b64 s[2:3], s[2:3], s[6:7]
	v_mov_b32_e32 v1, v3
	s_or_b64 exec, exec, s[4:5]
	s_and_saveexec_b64 s[4:5], s[2:3]
	s_cbranch_execnz .LBB208_1195
	s_branch .LBB208_1196
.LBB208_1214:
	s_mov_b64 s[0:1], -1
                                        ; implicit-def: $vgpr1
.LBB208_1215:
	s_mov_b64 s[2:3], 0
.LBB208_1216:
	s_and_b64 vcc, exec, s[2:3]
	s_cbranch_vccz .LBB208_1218
; %bb.1217:
	s_cmp_lg_u32 s15, 11
	s_mov_b64 s[4:5], -1
	s_cselect_b64 s[0:1], -1, 0
.LBB208_1218:
	s_and_b64 vcc, exec, s[0:1]
	s_mov_b64 s[2:3], s[28:29]
	s_cbranch_vccnz .LBB208_1279
; %bb.1219:
	s_andn2_b64 vcc, exec, s[4:5]
	s_cbranch_vccnz .LBB208_1221
.LBB208_1220:
	global_load_ubyte v1, v[12:13], off
	s_waitcnt vmcnt(1)
	v_mov_b32_e32 v3, 0x3c00
	s_mov_b64 s[6:7], -1
	s_waitcnt vmcnt(0)
	v_cmp_ne_u16_e32 vcc, 0, v1
	v_cndmask_b32_e32 v1, 0, v3, vcc
.LBB208_1221:
	s_branch .LBB208_1151
.LBB208_1222:
	s_and_b32 s4, 0xffff, s14
	s_cmp_lt_i32 s4, 5
	s_cbranch_scc1 .LBB208_1227
; %bb.1223:
	s_cmp_lt_i32 s4, 8
	s_cbranch_scc1 .LBB208_1228
; %bb.1224:
	;; [unrolled: 3-line block ×3, first 2 shown]
	s_cmp_gt_i32 s4, 9
	s_cbranch_scc0 .LBB208_1230
; %bb.1226:
	global_load_dwordx2 v[14:15], v[12:13], off
	s_movk_i32 s0, 0x1ff
	s_movk_i32 s1, 0xffe
	v_mov_b32_e32 v1, 0x7c00
	s_waitcnt vmcnt(1)
	v_mov_b32_e32 v3, 0x7e00
	s_movk_i32 s5, 0x40f
	s_mov_b32 s6, 0x8000
	s_waitcnt vmcnt(0)
	v_and_or_b32 v5, v15, s0, v14
	v_cmp_ne_u32_e32 vcc, 0, v5
	v_lshrrev_b32_e32 v8, 8, v15
	v_bfe_u32 v10, v15, 20, 11
	v_cndmask_b32_e64 v5, 0, 1, vcc
	v_lshrrev_b32_e32 v14, 16, v15
	v_sub_u32_e32 v15, 0x3f1, v10
	v_and_or_b32 v5, v8, s1, v5
	v_add_u32_e32 v10, 0xfffffc10, v10
	v_med3_i32 v8, v15, 0, 13
	v_or_b32_e32 v15, 0x1000, v5
	v_lshl_or_b32 v16, v10, 12, v5
	v_cmp_ne_u32_e32 vcc, 0, v5
	v_lshrrev_b32_e32 v5, v8, v15
	v_lshlrev_b32_e32 v8, v8, v5
	v_cndmask_b32_e32 v3, v1, v3, vcc
	v_cmp_ne_u32_e32 vcc, v8, v15
	v_cndmask_b32_e64 v8, 0, 1, vcc
	v_or_b32_e32 v5, v5, v8
	v_cmp_gt_i32_e32 vcc, 1, v10
	v_cndmask_b32_e32 v5, v16, v5, vcc
	v_and_b32_e32 v8, 7, v5
	v_cmp_lt_i32_e32 vcc, 5, v8
	v_cndmask_b32_e64 v15, 0, 1, vcc
	v_cmp_eq_u32_e32 vcc, 3, v8
	v_cndmask_b32_e64 v8, 0, 1, vcc
	v_lshrrev_b32_e32 v5, 2, v5
	v_or_b32_e32 v8, v8, v15
	v_add_u32_e32 v5, v5, v8
	v_cmp_gt_i32_e32 vcc, 31, v10
	v_cndmask_b32_e32 v1, v1, v5, vcc
	v_cmp_eq_u32_e32 vcc, s5, v10
	v_cndmask_b32_e32 v1, v1, v3, vcc
	v_and_or_b32 v1, v14, s6, v1
	s_mov_b64 s[0:1], 0
	s_branch .LBB208_1231
.LBB208_1227:
                                        ; implicit-def: $vgpr1
	s_branch .LBB208_1248
.LBB208_1228:
                                        ; implicit-def: $vgpr1
	s_branch .LBB208_1237
.LBB208_1229:
	s_mov_b64 s[0:1], -1
                                        ; implicit-def: $vgpr1
	s_branch .LBB208_1234
.LBB208_1230:
	s_mov_b64 s[0:1], -1
                                        ; implicit-def: $vgpr1
.LBB208_1231:
	s_andn2_b64 vcc, exec, s[0:1]
	s_cbranch_vccnz .LBB208_1233
; %bb.1232:
	global_load_dword v1, v[12:13], off
	s_waitcnt vmcnt(0)
	v_cvt_f16_f32_e32 v1, v1
.LBB208_1233:
	s_mov_b64 s[0:1], 0
.LBB208_1234:
	s_andn2_b64 vcc, exec, s[0:1]
	s_cbranch_vccnz .LBB208_1236
; %bb.1235:
	global_load_dword v1, v[12:13], off
.LBB208_1236:
	s_cbranch_execnz .LBB208_1247
.LBB208_1237:
	s_cmp_lt_i32 s4, 6
	s_cbranch_scc1 .LBB208_1240
; %bb.1238:
	s_cmp_gt_i32 s4, 6
	s_cbranch_scc0 .LBB208_1241
; %bb.1239:
	global_load_dwordx2 v[14:15], v[12:13], off
	s_movk_i32 s0, 0x1ff
	s_movk_i32 s1, 0xffe
	s_waitcnt vmcnt(1)
	v_mov_b32_e32 v1, 0x7c00
	v_mov_b32_e32 v3, 0x7e00
	s_movk_i32 s5, 0x40f
	s_mov_b32 s6, 0x8000
	s_waitcnt vmcnt(0)
	v_and_or_b32 v5, v15, s0, v14
	v_cmp_ne_u32_e32 vcc, 0, v5
	v_lshrrev_b32_e32 v8, 8, v15
	v_bfe_u32 v10, v15, 20, 11
	v_cndmask_b32_e64 v5, 0, 1, vcc
	v_lshrrev_b32_e32 v14, 16, v15
	v_sub_u32_e32 v15, 0x3f1, v10
	v_and_or_b32 v5, v8, s1, v5
	v_add_u32_e32 v10, 0xfffffc10, v10
	v_med3_i32 v8, v15, 0, 13
	v_or_b32_e32 v15, 0x1000, v5
	v_lshl_or_b32 v16, v10, 12, v5
	v_cmp_ne_u32_e32 vcc, 0, v5
	v_lshrrev_b32_e32 v5, v8, v15
	v_lshlrev_b32_e32 v8, v8, v5
	v_cndmask_b32_e32 v3, v1, v3, vcc
	v_cmp_ne_u32_e32 vcc, v8, v15
	v_cndmask_b32_e64 v8, 0, 1, vcc
	v_or_b32_e32 v5, v5, v8
	v_cmp_gt_i32_e32 vcc, 1, v10
	v_cndmask_b32_e32 v5, v16, v5, vcc
	v_and_b32_e32 v8, 7, v5
	v_cmp_lt_i32_e32 vcc, 5, v8
	v_cndmask_b32_e64 v15, 0, 1, vcc
	v_cmp_eq_u32_e32 vcc, 3, v8
	v_cndmask_b32_e64 v8, 0, 1, vcc
	v_lshrrev_b32_e32 v5, 2, v5
	v_or_b32_e32 v8, v8, v15
	v_add_u32_e32 v5, v5, v8
	v_cmp_gt_i32_e32 vcc, 31, v10
	v_cndmask_b32_e32 v1, v1, v5, vcc
	v_cmp_eq_u32_e32 vcc, s5, v10
	v_cndmask_b32_e32 v1, v1, v3, vcc
	v_and_or_b32 v1, v14, s6, v1
	s_mov_b64 s[0:1], 0
	s_branch .LBB208_1242
.LBB208_1240:
	s_mov_b64 s[0:1], -1
                                        ; implicit-def: $vgpr1
	s_branch .LBB208_1245
.LBB208_1241:
	s_mov_b64 s[0:1], -1
                                        ; implicit-def: $vgpr1
.LBB208_1242:
	s_andn2_b64 vcc, exec, s[0:1]
	s_cbranch_vccnz .LBB208_1244
; %bb.1243:
	global_load_dword v1, v[12:13], off
	s_waitcnt vmcnt(0)
	v_cvt_f16_f32_e32 v1, v1
.LBB208_1244:
	s_mov_b64 s[0:1], 0
.LBB208_1245:
	s_andn2_b64 vcc, exec, s[0:1]
	s_cbranch_vccnz .LBB208_1247
; %bb.1246:
	global_load_ushort v1, v[12:13], off
.LBB208_1247:
	s_cbranch_execnz .LBB208_1266
.LBB208_1248:
	s_cmp_lt_i32 s4, 2
	s_cbranch_scc1 .LBB208_1252
; %bb.1249:
	s_cmp_lt_i32 s4, 3
	s_cbranch_scc1 .LBB208_1253
; %bb.1250:
	s_cmp_gt_i32 s4, 3
	s_cbranch_scc0 .LBB208_1254
; %bb.1251:
	global_load_dwordx2 v[14:15], v[12:13], off
	s_mov_b64 s[0:1], 0
	s_waitcnt vmcnt(0)
	v_xor_b32_e32 v3, v14, v15
	v_ffbh_i32_e32 v1, v15
	v_ashrrev_i32_e32 v3, 31, v3
	v_add_u32_e32 v1, -1, v1
	v_add_u32_e32 v3, 32, v3
	v_min_u32_e32 v1, v1, v3
	v_lshlrev_b64 v[14:15], v1, v[14:15]
	v_sub_u32_e32 v1, 32, v1
	v_min_u32_e32 v3, 1, v14
	v_or_b32_e32 v3, v15, v3
	v_cvt_f32_i32_e32 v3, v3
	v_ldexp_f32 v1, v3, v1
	v_cvt_f16_f32_e32 v1, v1
	s_branch .LBB208_1255
.LBB208_1252:
                                        ; implicit-def: $vgpr1
	s_branch .LBB208_1261
.LBB208_1253:
	s_mov_b64 s[0:1], -1
                                        ; implicit-def: $vgpr1
	s_branch .LBB208_1258
.LBB208_1254:
	s_mov_b64 s[0:1], -1
                                        ; implicit-def: $vgpr1
.LBB208_1255:
	s_andn2_b64 vcc, exec, s[0:1]
	s_cbranch_vccnz .LBB208_1257
; %bb.1256:
	global_load_dword v1, v[12:13], off
	s_waitcnt vmcnt(0)
	v_cvt_f32_i32_e32 v1, v1
	v_cvt_f16_f32_e32 v1, v1
.LBB208_1257:
	s_mov_b64 s[0:1], 0
.LBB208_1258:
	s_andn2_b64 vcc, exec, s[0:1]
	s_cbranch_vccnz .LBB208_1260
; %bb.1259:
	global_load_ushort v1, v[12:13], off
	s_waitcnt vmcnt(0)
	v_cvt_f16_i16_e32 v1, v1
.LBB208_1260:
	s_cbranch_execnz .LBB208_1266
.LBB208_1261:
	s_cmp_gt_i32 s4, 0
	s_cbranch_scc0 .LBB208_1263
; %bb.1262:
	global_load_sbyte v1, v[12:13], off
	s_mov_b64 s[0:1], 0
	s_waitcnt vmcnt(0)
	v_cvt_f16_i16_e32 v1, v1
	s_branch .LBB208_1264
.LBB208_1263:
	s_mov_b64 s[0:1], -1
                                        ; implicit-def: $vgpr1
.LBB208_1264:
	s_andn2_b64 vcc, exec, s[0:1]
	s_cbranch_vccnz .LBB208_1266
; %bb.1265:
	global_load_ubyte v1, v[12:13], off
	s_waitcnt vmcnt(0)
	v_cvt_f16_u16_e32 v1, v1
.LBB208_1266:
.LBB208_1267:
	s_waitcnt vmcnt(0)
	v_mov_b32_e32 v3, s11
	s_and_b32 s17, 0xffff, s14
	v_add_co_u32_e32 v10, vcc, s10, v11
	s_cmp_lt_i32 s17, 11
	v_addc_co_u32_e32 v11, vcc, 0, v3, vcc
	s_cbranch_scc1 .LBB208_1274
; %bb.1268:
	s_cmp_gt_i32 s17, 25
	s_mov_b64 s[4:5], 0
	s_cbranch_scc0 .LBB208_1276
; %bb.1269:
	s_cmp_gt_i32 s17, 28
	s_cbranch_scc0 .LBB208_1277
; %bb.1270:
	s_cmp_gt_i32 s17, 43
	;; [unrolled: 3-line block ×3, first 2 shown]
	s_cbranch_scc0 .LBB208_1280
; %bb.1272:
	s_cmp_eq_u32 s17, 46
	s_mov_b64 s[12:13], 0
	s_cbranch_scc0 .LBB208_1283
; %bb.1273:
	global_load_dword v3, v[10:11], off
	s_mov_b64 s[0:1], 0
	s_mov_b64 s[6:7], -1
	s_waitcnt vmcnt(0)
	v_lshlrev_b32_e32 v3, 16, v3
	v_cvt_f16_f32_e32 v3, v3
	s_branch .LBB208_1284
.LBB208_1274:
	s_mov_b64 s[6:7], 0
                                        ; implicit-def: $vgpr3
	s_cbranch_execnz .LBB208_1349
.LBB208_1275:
	s_andn2_b64 vcc, exec, s[6:7]
	s_cbranch_vccnz .LBB208_2088
	s_branch .LBB208_1396
.LBB208_1276:
	s_mov_b64 s[6:7], 0
	s_mov_b64 s[0:1], 0
                                        ; implicit-def: $vgpr3
	s_cbranch_execnz .LBB208_1313
	s_branch .LBB208_1345
.LBB208_1277:
	s_mov_b64 s[12:13], -1
	s_mov_b64 s[6:7], 0
	s_mov_b64 s[0:1], 0
                                        ; implicit-def: $vgpr3
	s_branch .LBB208_1294
.LBB208_1278:
	s_mov_b64 s[12:13], -1
	s_mov_b64 s[6:7], 0
	s_mov_b64 s[0:1], 0
                                        ; implicit-def: $vgpr3
	s_branch .LBB208_1289
.LBB208_1279:
	s_or_b64 s[2:3], s[28:29], exec
	s_trap 2
	s_cbranch_execz .LBB208_1220
	s_branch .LBB208_1221
.LBB208_1280:
	s_mov_b64 s[12:13], -1
	s_mov_b64 s[6:7], 0
	s_mov_b64 s[0:1], 0
                                        ; implicit-def: $vgpr3
	s_branch .LBB208_1284
.LBB208_1281:
	s_andn2_saveexec_b64 s[16:17], s[16:17]
	s_cbranch_execz .LBB208_1011
.LBB208_1282:
	s_mov_b32 s20, 0x42800000
	v_add_f32_e64 v4, |v0|, s20
	v_and_b32_e32 v4, 0xff, v4
	v_cmp_ne_u32_e32 vcc, 0, v4
	s_andn2_b64 s[14:15], s[14:15], exec
	s_and_b64 s[20:21], vcc, exec
	s_or_b64 s[14:15], s[14:15], s[20:21]
	s_or_b64 exec, exec, s[16:17]
	v_mov_b32_e32 v5, 0
	s_and_saveexec_b64 s[16:17], s[14:15]
	s_cbranch_execnz .LBB208_1012
	s_branch .LBB208_1013
.LBB208_1283:
	s_mov_b64 s[0:1], -1
                                        ; implicit-def: $vgpr3
	s_mov_b64 s[6:7], 0
.LBB208_1284:
	s_and_b64 vcc, exec, s[12:13]
	s_cbranch_vccz .LBB208_1288
; %bb.1285:
	s_cmp_eq_u32 s17, 44
	s_cbranch_scc0 .LBB208_1287
; %bb.1286:
	global_load_ubyte v3, v[10:11], off
	s_movk_i32 s6, 0xff
	v_mov_b32_e32 v8, 0x7e00
	s_mov_b64 s[0:1], 0
	s_waitcnt vmcnt(0)
	v_lshlrev_b32_e32 v5, 23, v3
	v_cvt_f16_f32_e32 v5, v5
	v_cmp_ne_u32_e32 vcc, s6, v3
	s_mov_b64 s[6:7], -1
	v_cndmask_b32_e32 v5, v8, v5, vcc
	v_cmp_ne_u32_e32 vcc, 0, v3
	v_cndmask_b32_e32 v3, 0, v5, vcc
	s_branch .LBB208_1288
.LBB208_1287:
	s_mov_b64 s[0:1], -1
                                        ; implicit-def: $vgpr3
.LBB208_1288:
	s_mov_b64 s[12:13], 0
.LBB208_1289:
	s_and_b64 vcc, exec, s[12:13]
	s_cbranch_vccz .LBB208_1293
; %bb.1290:
	s_cmp_eq_u32 s17, 29
	s_cbranch_scc0 .LBB208_1292
; %bb.1291:
	global_load_dwordx2 v[12:13], v[10:11], off
	s_mov_b64 s[0:1], 0
	s_mov_b64 s[6:7], -1
	s_mov_b64 s[12:13], 0
	s_waitcnt vmcnt(0)
	v_ffbh_u32_e32 v3, v13
	v_min_u32_e32 v3, 32, v3
	v_lshlrev_b64 v[12:13], v3, v[12:13]
	v_sub_u32_e32 v3, 32, v3
	v_min_u32_e32 v5, 1, v12
	v_or_b32_e32 v5, v13, v5
	v_cvt_f32_u32_e32 v5, v5
	v_ldexp_f32 v3, v5, v3
	v_cvt_f16_f32_e32 v3, v3
	s_branch .LBB208_1294
.LBB208_1292:
	s_mov_b64 s[0:1], -1
                                        ; implicit-def: $vgpr3
.LBB208_1293:
	s_mov_b64 s[12:13], 0
.LBB208_1294:
	s_and_b64 vcc, exec, s[12:13]
	s_cbranch_vccz .LBB208_1312
; %bb.1295:
	s_cmp_lt_i32 s17, 27
	s_cbranch_scc1 .LBB208_1298
; %bb.1296:
	s_cmp_gt_i32 s17, 27
	s_cbranch_scc0 .LBB208_1299
; %bb.1297:
	global_load_dword v3, v[10:11], off
	s_mov_b64 s[6:7], 0
	s_waitcnt vmcnt(0)
	v_cvt_f32_u32_e32 v3, v3
	v_cvt_f16_f32_e32 v3, v3
	s_branch .LBB208_1300
.LBB208_1298:
	s_mov_b64 s[6:7], -1
                                        ; implicit-def: $vgpr3
	s_branch .LBB208_1303
.LBB208_1299:
	s_mov_b64 s[6:7], -1
                                        ; implicit-def: $vgpr3
.LBB208_1300:
	s_andn2_b64 vcc, exec, s[6:7]
	s_cbranch_vccnz .LBB208_1302
; %bb.1301:
	global_load_ushort v3, v[10:11], off
	s_waitcnt vmcnt(0)
	v_cvt_f16_u16_e32 v3, v3
.LBB208_1302:
	s_mov_b64 s[6:7], 0
.LBB208_1303:
	s_andn2_b64 vcc, exec, s[6:7]
	s_cbranch_vccnz .LBB208_1311
; %bb.1304:
	global_load_ubyte v5, v[10:11], off
	s_movk_i32 s6, 0x7f
	s_waitcnt vmcnt(0)
	v_cmp_lt_i16_e32 vcc, s6, v5
	s_mov_b64 s[6:7], 0
	s_and_saveexec_b64 s[12:13], vcc
	s_xor_b64 s[12:13], exec, s[12:13]
	s_cbranch_execz .LBB208_1324
; %bb.1305:
	s_movk_i32 s6, 0x80
	v_cmp_eq_u16_e32 vcc, s6, v5
	s_mov_b64 s[6:7], -1
	s_and_saveexec_b64 s[14:15], vcc
; %bb.1306:
	s_xor_b64 s[6:7], exec, -1
; %bb.1307:
	s_or_b64 exec, exec, s[14:15]
	s_and_b64 s[6:7], s[6:7], exec
	s_or_saveexec_b64 s[12:13], s[12:13]
	v_mov_b32_e32 v3, 0x7e00
	s_xor_b64 exec, exec, s[12:13]
	s_cbranch_execnz .LBB208_1325
.LBB208_1308:
	s_or_b64 exec, exec, s[12:13]
	s_and_saveexec_b64 s[12:13], s[6:7]
	s_cbranch_execz .LBB208_1310
.LBB208_1309:
	v_lshlrev_b32_e32 v3, 24, v5
	v_and_b32_e32 v5, 0xffff, v5
	v_and_b32_e32 v8, 7, v5
	v_ffbh_u32_e32 v13, v8
	v_min_u32_e32 v13, 32, v13
	v_subrev_u32_e32 v14, 28, v13
	v_bfe_u32 v12, v5, 3, 4
	v_lshlrev_b32_e32 v5, v14, v5
	v_sub_u32_e32 v13, 29, v13
	v_and_b32_e32 v5, 7, v5
	v_cmp_eq_u32_e32 vcc, 0, v12
	v_cndmask_b32_e32 v12, v12, v13, vcc
	v_cndmask_b32_e32 v5, v8, v5, vcc
	v_mov_b32_e32 v8, 0x3b800000
	v_lshlrev_b32_e32 v5, 20, v5
	v_and_b32_e32 v3, 0x80000000, v3
	v_lshl_add_u32 v8, v12, 23, v8
	v_or3_b32 v3, v3, v8, v5
	v_cvt_f16_f32_e32 v3, v3
.LBB208_1310:
	s_or_b64 exec, exec, s[12:13]
.LBB208_1311:
	s_mov_b64 s[6:7], -1
.LBB208_1312:
	s_branch .LBB208_1345
.LBB208_1313:
	s_cmp_gt_i32 s17, 22
	s_cbranch_scc0 .LBB208_1323
; %bb.1314:
	s_cmp_lt_i32 s17, 24
	s_cbranch_scc1 .LBB208_1326
; %bb.1315:
	s_cmp_gt_i32 s17, 24
	s_cbranch_scc0 .LBB208_1327
; %bb.1316:
	global_load_ubyte v5, v[10:11], off
	s_movk_i32 s4, 0x7f
	s_waitcnt vmcnt(0)
	v_cmp_lt_i16_e32 vcc, s4, v5
	s_mov_b64 s[4:5], 0
	s_and_saveexec_b64 s[6:7], vcc
	s_xor_b64 s[6:7], exec, s[6:7]
	s_cbranch_execz .LBB208_1339
; %bb.1317:
	s_movk_i32 s4, 0x80
	v_cmp_eq_u16_e32 vcc, s4, v5
	s_mov_b64 s[4:5], -1
	s_and_saveexec_b64 s[12:13], vcc
; %bb.1318:
	s_xor_b64 s[4:5], exec, -1
; %bb.1319:
	s_or_b64 exec, exec, s[12:13]
	s_and_b64 s[4:5], s[4:5], exec
	s_or_saveexec_b64 s[6:7], s[6:7]
	v_mov_b32_e32 v3, 0x7e00
	s_xor_b64 exec, exec, s[6:7]
	s_cbranch_execnz .LBB208_1340
.LBB208_1320:
	s_or_b64 exec, exec, s[6:7]
	s_and_saveexec_b64 s[6:7], s[4:5]
	s_cbranch_execz .LBB208_1322
.LBB208_1321:
	v_lshlrev_b32_e32 v3, 24, v5
	v_and_b32_e32 v5, 0xffff, v5
	v_and_b32_e32 v8, 3, v5
	v_ffbh_u32_e32 v13, v8
	v_min_u32_e32 v13, 32, v13
	v_subrev_u32_e32 v14, 29, v13
	v_bfe_u32 v12, v5, 2, 5
	v_lshlrev_b32_e32 v5, v14, v5
	v_sub_u32_e32 v13, 30, v13
	v_and_b32_e32 v5, 3, v5
	v_cmp_eq_u32_e32 vcc, 0, v12
	v_cndmask_b32_e32 v12, v12, v13, vcc
	v_cndmask_b32_e32 v5, v8, v5, vcc
	v_mov_b32_e32 v8, 0x37800000
	v_lshlrev_b32_e32 v5, 21, v5
	v_and_b32_e32 v3, 0x80000000, v3
	v_lshl_add_u32 v8, v12, 23, v8
	v_or3_b32 v3, v3, v8, v5
	v_cvt_f16_f32_e32 v3, v3
.LBB208_1322:
	s_or_b64 exec, exec, s[6:7]
	s_mov_b64 s[4:5], 0
	s_branch .LBB208_1328
.LBB208_1323:
	s_mov_b64 s[4:5], -1
                                        ; implicit-def: $vgpr3
	s_branch .LBB208_1334
.LBB208_1324:
	s_or_saveexec_b64 s[12:13], s[12:13]
	v_mov_b32_e32 v3, 0x7e00
	s_xor_b64 exec, exec, s[12:13]
	s_cbranch_execz .LBB208_1308
.LBB208_1325:
	v_cmp_ne_u16_e32 vcc, 0, v5
	s_andn2_b64 s[6:7], s[6:7], exec
	s_and_b64 s[14:15], vcc, exec
	s_or_b64 s[6:7], s[6:7], s[14:15]
	v_mov_b32_e32 v3, v5
	s_or_b64 exec, exec, s[12:13]
	s_and_saveexec_b64 s[12:13], s[6:7]
	s_cbranch_execnz .LBB208_1309
	s_branch .LBB208_1310
.LBB208_1326:
	s_mov_b64 s[4:5], -1
                                        ; implicit-def: $vgpr3
	s_branch .LBB208_1331
.LBB208_1327:
	s_mov_b64 s[4:5], -1
                                        ; implicit-def: $vgpr3
.LBB208_1328:
	s_and_b64 vcc, exec, s[4:5]
	s_cbranch_vccz .LBB208_1330
; %bb.1329:
	global_load_ubyte v3, v[10:11], off
	s_mov_b32 s4, 0x7f800000
	s_waitcnt vmcnt(0)
	v_lshlrev_b32_e32 v3, 24, v3
	v_and_b32_e32 v5, 0x7f000000, v3
	v_ffbh_u32_e32 v8, v5
	v_min_u32_e32 v8, 32, v8
	v_sub_u32_e64 v8, v8, 4 clamp
	v_lshlrev_b32_e32 v13, v8, v5
	v_lshlrev_b32_e32 v8, 23, v8
	v_lshrrev_b32_e32 v13, 4, v13
	v_add_u32_e32 v12, 0x1000000, v5
	v_sub_u32_e32 v8, v13, v8
	v_ashrrev_i32_e32 v12, 8, v12
	v_add_u32_e32 v8, 0x3c000000, v8
	v_and_or_b32 v8, v12, s4, v8
	v_cmp_ne_u32_e32 vcc, 0, v5
	v_cndmask_b32_e32 v5, 0, v8, vcc
	s_brev_b32 s4, 1
	v_and_or_b32 v3, v3, s4, v5
	v_cvt_f16_f32_e32 v3, v3
.LBB208_1330:
	s_mov_b64 s[4:5], 0
.LBB208_1331:
	s_andn2_b64 vcc, exec, s[4:5]
	s_cbranch_vccnz .LBB208_1333
; %bb.1332:
	global_load_ubyte v3, v[10:11], off
	s_movk_i32 s4, 0x7f00
	s_brev_b32 s5, 16
	s_waitcnt vmcnt(0)
	v_lshlrev_b16_e32 v5, 8, v3
	v_lshlrev_b32_e32 v3, 25, v3
	v_lshrrev_b32_e32 v8, 4, v3
	v_and_or_b32 v12, v5, s4, 0.5
	v_or_b32_e32 v8, 0x70000000, v8
	v_add_f32_e32 v12, -0.5, v12
	v_mul_f32_e32 v8, 0x7800000, v8
	v_cmp_gt_u32_e32 vcc, s5, v3
	v_bfe_i32 v5, v5, 0, 16
	v_cndmask_b32_e32 v3, v8, v12, vcc
	s_brev_b32 s4, 1
	v_and_or_b32 v3, v5, s4, v3
	v_cvt_f16_f32_e32 v3, v3
.LBB208_1333:
	s_mov_b64 s[4:5], 0
	s_mov_b64 s[6:7], -1
.LBB208_1334:
	s_andn2_b64 vcc, exec, s[4:5]
	s_mov_b64 s[4:5], 0
	s_cbranch_vccnz .LBB208_1345
; %bb.1335:
	s_cmp_gt_i32 s17, 14
	s_cbranch_scc0 .LBB208_1338
; %bb.1336:
	s_cmp_eq_u32 s17, 15
	s_cbranch_scc0 .LBB208_1341
; %bb.1337:
	global_load_ushort v3, v[10:11], off
	s_mov_b64 s[0:1], 0
	s_mov_b64 s[6:7], -1
	s_waitcnt vmcnt(0)
	v_lshlrev_b32_e32 v3, 16, v3
	v_cvt_f16_f32_e32 v3, v3
	s_branch .LBB208_1342
.LBB208_1338:
	s_mov_b64 s[12:13], -1
                                        ; implicit-def: $vgpr3
	s_branch .LBB208_1343
.LBB208_1339:
	s_or_saveexec_b64 s[6:7], s[6:7]
	v_mov_b32_e32 v3, 0x7e00
	s_xor_b64 exec, exec, s[6:7]
	s_cbranch_execz .LBB208_1320
.LBB208_1340:
	v_cmp_ne_u16_e32 vcc, 0, v5
	s_andn2_b64 s[4:5], s[4:5], exec
	s_and_b64 s[12:13], vcc, exec
	s_or_b64 s[4:5], s[4:5], s[12:13]
	v_mov_b32_e32 v3, v5
	s_or_b64 exec, exec, s[6:7]
	s_and_saveexec_b64 s[6:7], s[4:5]
	s_cbranch_execnz .LBB208_1321
	s_branch .LBB208_1322
.LBB208_1341:
	s_mov_b64 s[0:1], -1
                                        ; implicit-def: $vgpr3
.LBB208_1342:
	s_mov_b64 s[12:13], 0
.LBB208_1343:
	s_and_b64 vcc, exec, s[12:13]
	s_cbranch_vccz .LBB208_1345
; %bb.1344:
	s_cmp_lg_u32 s17, 11
	s_mov_b64 s[4:5], -1
	s_cselect_b64 s[0:1], -1, 0
.LBB208_1345:
	s_and_b64 vcc, exec, s[0:1]
	s_cbranch_vccnz .LBB208_1408
; %bb.1346:
	s_andn2_b64 vcc, exec, s[4:5]
	s_cbranch_vccnz .LBB208_1348
.LBB208_1347:
	global_load_ubyte v3, v[10:11], off
	v_mov_b32_e32 v5, 0x3c00
	s_mov_b64 s[6:7], -1
	s_waitcnt vmcnt(0)
	v_cmp_ne_u16_e32 vcc, 0, v3
	v_cndmask_b32_e32 v3, 0, v5, vcc
.LBB208_1348:
	s_branch .LBB208_1275
.LBB208_1349:
	s_cmp_lt_i32 s17, 5
	s_cbranch_scc1 .LBB208_1354
; %bb.1350:
	s_cmp_lt_i32 s17, 8
	s_cbranch_scc1 .LBB208_1355
; %bb.1351:
	;; [unrolled: 3-line block ×3, first 2 shown]
	s_cmp_gt_i32 s17, 9
	s_cbranch_scc0 .LBB208_1357
; %bb.1353:
	global_load_dwordx2 v[12:13], v[10:11], off
	s_movk_i32 s0, 0x1ff
	s_movk_i32 s1, 0xffe
	v_mov_b32_e32 v3, 0x7c00
	v_mov_b32_e32 v5, 0x7e00
	s_movk_i32 s4, 0x40f
	s_mov_b32 s5, 0x8000
	s_waitcnt vmcnt(0)
	v_and_or_b32 v8, v13, s0, v12
	v_cmp_ne_u32_e32 vcc, 0, v8
	v_lshrrev_b32_e32 v12, 8, v13
	v_bfe_u32 v14, v13, 20, 11
	v_cndmask_b32_e64 v8, 0, 1, vcc
	v_sub_u32_e32 v15, 0x3f1, v14
	v_and_or_b32 v8, v12, s1, v8
	v_add_u32_e32 v14, 0xfffffc10, v14
	v_med3_i32 v12, v15, 0, 13
	v_or_b32_e32 v15, 0x1000, v8
	v_lshl_or_b32 v16, v14, 12, v8
	v_cmp_ne_u32_e32 vcc, 0, v8
	v_lshrrev_b32_e32 v8, v12, v15
	v_lshlrev_b32_e32 v12, v12, v8
	v_cndmask_b32_e32 v5, v3, v5, vcc
	v_cmp_ne_u32_e32 vcc, v12, v15
	v_cndmask_b32_e64 v12, 0, 1, vcc
	v_or_b32_e32 v8, v8, v12
	v_cmp_gt_i32_e32 vcc, 1, v14
	v_cndmask_b32_e32 v8, v16, v8, vcc
	v_and_b32_e32 v12, 7, v8
	v_cmp_lt_i32_e32 vcc, 5, v12
	v_cndmask_b32_e64 v15, 0, 1, vcc
	v_cmp_eq_u32_e32 vcc, 3, v12
	v_cndmask_b32_e64 v12, 0, 1, vcc
	v_lshrrev_b32_e32 v8, 2, v8
	v_or_b32_e32 v12, v12, v15
	v_add_u32_e32 v8, v8, v12
	v_cmp_gt_i32_e32 vcc, 31, v14
	v_cndmask_b32_e32 v3, v3, v8, vcc
	v_cmp_eq_u32_e32 vcc, s4, v14
	v_lshrrev_b32_e32 v13, 16, v13
	v_cndmask_b32_e32 v3, v3, v5, vcc
	v_and_or_b32 v3, v13, s5, v3
	s_mov_b64 s[0:1], 0
	s_branch .LBB208_1358
.LBB208_1354:
                                        ; implicit-def: $vgpr3
	s_branch .LBB208_1376
.LBB208_1355:
	s_mov_b64 s[0:1], -1
                                        ; implicit-def: $vgpr3
	s_branch .LBB208_1364
.LBB208_1356:
	s_mov_b64 s[0:1], -1
                                        ; implicit-def: $vgpr3
	s_branch .LBB208_1361
.LBB208_1357:
	s_mov_b64 s[0:1], -1
                                        ; implicit-def: $vgpr3
.LBB208_1358:
	s_andn2_b64 vcc, exec, s[0:1]
	s_cbranch_vccnz .LBB208_1360
; %bb.1359:
	global_load_dword v3, v[10:11], off
	s_waitcnt vmcnt(0)
	v_cvt_f16_f32_e32 v3, v3
.LBB208_1360:
	s_mov_b64 s[0:1], 0
.LBB208_1361:
	s_andn2_b64 vcc, exec, s[0:1]
	s_cbranch_vccnz .LBB208_1363
; %bb.1362:
	global_load_dword v3, v[10:11], off
.LBB208_1363:
	s_mov_b64 s[0:1], 0
.LBB208_1364:
	s_andn2_b64 vcc, exec, s[0:1]
	s_cbranch_vccnz .LBB208_1375
; %bb.1365:
	s_cmp_lt_i32 s17, 6
	s_cbranch_scc1 .LBB208_1368
; %bb.1366:
	s_cmp_gt_i32 s17, 6
	s_cbranch_scc0 .LBB208_1369
; %bb.1367:
	global_load_dwordx2 v[12:13], v[10:11], off
	s_movk_i32 s0, 0x1ff
	s_movk_i32 s1, 0xffe
	s_waitcnt vmcnt(1)
	v_mov_b32_e32 v3, 0x7c00
	v_mov_b32_e32 v5, 0x7e00
	s_movk_i32 s4, 0x40f
	s_mov_b32 s5, 0x8000
	s_waitcnt vmcnt(0)
	v_and_or_b32 v8, v13, s0, v12
	v_cmp_ne_u32_e32 vcc, 0, v8
	v_lshrrev_b32_e32 v12, 8, v13
	v_bfe_u32 v14, v13, 20, 11
	v_cndmask_b32_e64 v8, 0, 1, vcc
	v_sub_u32_e32 v15, 0x3f1, v14
	v_and_or_b32 v8, v12, s1, v8
	v_add_u32_e32 v14, 0xfffffc10, v14
	v_med3_i32 v12, v15, 0, 13
	v_or_b32_e32 v15, 0x1000, v8
	v_lshl_or_b32 v16, v14, 12, v8
	v_cmp_ne_u32_e32 vcc, 0, v8
	v_lshrrev_b32_e32 v8, v12, v15
	v_lshlrev_b32_e32 v12, v12, v8
	v_cndmask_b32_e32 v5, v3, v5, vcc
	v_cmp_ne_u32_e32 vcc, v12, v15
	v_cndmask_b32_e64 v12, 0, 1, vcc
	v_or_b32_e32 v8, v8, v12
	v_cmp_gt_i32_e32 vcc, 1, v14
	v_cndmask_b32_e32 v8, v16, v8, vcc
	v_and_b32_e32 v12, 7, v8
	v_cmp_lt_i32_e32 vcc, 5, v12
	v_cndmask_b32_e64 v15, 0, 1, vcc
	v_cmp_eq_u32_e32 vcc, 3, v12
	v_cndmask_b32_e64 v12, 0, 1, vcc
	v_lshrrev_b32_e32 v8, 2, v8
	v_or_b32_e32 v12, v12, v15
	v_add_u32_e32 v8, v8, v12
	v_cmp_gt_i32_e32 vcc, 31, v14
	v_cndmask_b32_e32 v3, v3, v8, vcc
	v_cmp_eq_u32_e32 vcc, s4, v14
	v_lshrrev_b32_e32 v13, 16, v13
	v_cndmask_b32_e32 v3, v3, v5, vcc
	v_and_or_b32 v3, v13, s5, v3
	s_mov_b64 s[0:1], 0
	s_branch .LBB208_1370
.LBB208_1368:
	s_mov_b64 s[0:1], -1
                                        ; implicit-def: $vgpr3
	s_branch .LBB208_1373
.LBB208_1369:
	s_mov_b64 s[0:1], -1
                                        ; implicit-def: $vgpr3
.LBB208_1370:
	s_andn2_b64 vcc, exec, s[0:1]
	s_cbranch_vccnz .LBB208_1372
; %bb.1371:
	global_load_dword v3, v[10:11], off
	s_waitcnt vmcnt(0)
	v_cvt_f16_f32_e32 v3, v3
.LBB208_1372:
	s_mov_b64 s[0:1], 0
.LBB208_1373:
	s_andn2_b64 vcc, exec, s[0:1]
	s_cbranch_vccnz .LBB208_1375
; %bb.1374:
	global_load_ushort v3, v[10:11], off
.LBB208_1375:
	s_cbranch_execnz .LBB208_1395
.LBB208_1376:
	s_cmp_lt_i32 s17, 2
	s_cbranch_scc1 .LBB208_1380
; %bb.1377:
	s_cmp_lt_i32 s17, 3
	s_cbranch_scc1 .LBB208_1381
; %bb.1378:
	s_cmp_gt_i32 s17, 3
	s_cbranch_scc0 .LBB208_1382
; %bb.1379:
	global_load_dwordx2 v[12:13], v[10:11], off
	s_mov_b64 s[0:1], 0
	s_waitcnt vmcnt(0)
	v_xor_b32_e32 v5, v12, v13
	v_ffbh_i32_e32 v3, v13
	v_ashrrev_i32_e32 v5, 31, v5
	v_add_u32_e32 v3, -1, v3
	v_add_u32_e32 v5, 32, v5
	v_min_u32_e32 v3, v3, v5
	v_lshlrev_b64 v[12:13], v3, v[12:13]
	v_sub_u32_e32 v3, 32, v3
	v_min_u32_e32 v5, 1, v12
	v_or_b32_e32 v5, v13, v5
	v_cvt_f32_i32_e32 v5, v5
	v_ldexp_f32 v3, v5, v3
	v_cvt_f16_f32_e32 v3, v3
	s_branch .LBB208_1383
.LBB208_1380:
	s_mov_b64 s[0:1], -1
                                        ; implicit-def: $vgpr3
	s_branch .LBB208_1389
.LBB208_1381:
	s_mov_b64 s[0:1], -1
                                        ; implicit-def: $vgpr3
	s_branch .LBB208_1386
.LBB208_1382:
	s_mov_b64 s[0:1], -1
                                        ; implicit-def: $vgpr3
.LBB208_1383:
	s_andn2_b64 vcc, exec, s[0:1]
	s_cbranch_vccnz .LBB208_1385
; %bb.1384:
	global_load_dword v3, v[10:11], off
	s_waitcnt vmcnt(0)
	v_cvt_f32_i32_e32 v3, v3
	v_cvt_f16_f32_e32 v3, v3
.LBB208_1385:
	s_mov_b64 s[0:1], 0
.LBB208_1386:
	s_andn2_b64 vcc, exec, s[0:1]
	s_cbranch_vccnz .LBB208_1388
; %bb.1387:
	global_load_ushort v3, v[10:11], off
	s_waitcnt vmcnt(0)
	v_cvt_f16_i16_e32 v3, v3
.LBB208_1388:
	s_mov_b64 s[0:1], 0
.LBB208_1389:
	s_andn2_b64 vcc, exec, s[0:1]
	s_cbranch_vccnz .LBB208_1395
; %bb.1390:
	s_cmp_gt_i32 s17, 0
	s_cbranch_scc0 .LBB208_1392
; %bb.1391:
	global_load_sbyte v3, v[10:11], off
	s_mov_b64 s[0:1], 0
	s_waitcnt vmcnt(0)
	v_cvt_f16_i16_e32 v3, v3
	s_branch .LBB208_1393
.LBB208_1392:
	s_mov_b64 s[0:1], -1
                                        ; implicit-def: $vgpr3
.LBB208_1393:
	s_andn2_b64 vcc, exec, s[0:1]
	s_cbranch_vccnz .LBB208_1395
; %bb.1394:
	global_load_ubyte v3, v[10:11], off
	s_waitcnt vmcnt(0)
	v_cvt_f16_u16_e32 v3, v3
.LBB208_1395:
.LBB208_1396:
	v_mov_b32_e32 v5, s11
	v_add_co_u32_e32 v8, vcc, s10, v9
	s_cmp_lt_i32 s17, 11
	v_addc_co_u32_e32 v9, vcc, 0, v5, vcc
	s_cbranch_scc1 .LBB208_1403
; %bb.1397:
	s_cmp_gt_i32 s17, 25
	s_mov_b64 s[4:5], 0
	s_cbranch_scc0 .LBB208_1405
; %bb.1398:
	s_cmp_gt_i32 s17, 28
	s_cbranch_scc0 .LBB208_1406
; %bb.1399:
	s_cmp_gt_i32 s17, 43
	;; [unrolled: 3-line block ×3, first 2 shown]
	s_cbranch_scc0 .LBB208_1409
; %bb.1401:
	s_cmp_eq_u32 s17, 46
	s_mov_b64 s[12:13], 0
	s_cbranch_scc0 .LBB208_1410
; %bb.1402:
	global_load_dword v5, v[8:9], off
	s_mov_b64 s[0:1], 0
	s_mov_b64 s[6:7], -1
	s_waitcnt vmcnt(0)
	v_lshlrev_b32_e32 v5, 16, v5
	v_cvt_f16_f32_e32 v10, v5
	s_branch .LBB208_1411
.LBB208_1403:
	s_mov_b64 s[6:7], 0
                                        ; implicit-def: $vgpr10
	s_cbranch_execnz .LBB208_1477
.LBB208_1404:
	s_andn2_b64 vcc, exec, s[6:7]
	s_cbranch_vccnz .LBB208_2088
	s_branch .LBB208_1525
.LBB208_1405:
	s_mov_b64 s[12:13], -1
	s_mov_b64 s[6:7], 0
	s_mov_b64 s[0:1], 0
                                        ; implicit-def: $vgpr10
	s_branch .LBB208_1440
.LBB208_1406:
	s_mov_b64 s[12:13], -1
	s_mov_b64 s[6:7], 0
	s_mov_b64 s[0:1], 0
                                        ; implicit-def: $vgpr10
	s_branch .LBB208_1421
.LBB208_1407:
	s_mov_b64 s[12:13], -1
	s_mov_b64 s[6:7], 0
	s_mov_b64 s[0:1], 0
                                        ; implicit-def: $vgpr10
	s_branch .LBB208_1416
.LBB208_1408:
	s_trap 2
	s_or_b64 s[2:3], s[2:3], exec
	s_cbranch_execz .LBB208_1347
	s_branch .LBB208_1348
.LBB208_1409:
	s_mov_b64 s[12:13], -1
	s_mov_b64 s[6:7], 0
	s_mov_b64 s[0:1], 0
                                        ; implicit-def: $vgpr10
	s_branch .LBB208_1411
.LBB208_1410:
	s_mov_b64 s[0:1], -1
                                        ; implicit-def: $vgpr10
	s_mov_b64 s[6:7], 0
.LBB208_1411:
	s_and_b64 vcc, exec, s[12:13]
	s_cbranch_vccz .LBB208_1415
; %bb.1412:
	s_cmp_eq_u32 s17, 44
	s_cbranch_scc0 .LBB208_1414
; %bb.1413:
	global_load_ubyte v5, v[8:9], off
	s_movk_i32 s6, 0xff
	v_mov_b32_e32 v11, 0x7e00
	s_mov_b64 s[0:1], 0
	s_waitcnt vmcnt(0)
	v_lshlrev_b32_e32 v10, 23, v5
	v_cvt_f16_f32_e32 v10, v10
	v_cmp_ne_u32_e32 vcc, s6, v5
	s_mov_b64 s[6:7], -1
	v_cndmask_b32_e32 v10, v11, v10, vcc
	v_cmp_ne_u32_e32 vcc, 0, v5
	v_cndmask_b32_e32 v10, 0, v10, vcc
	s_branch .LBB208_1415
.LBB208_1414:
	s_mov_b64 s[0:1], -1
                                        ; implicit-def: $vgpr10
.LBB208_1415:
	s_mov_b64 s[12:13], 0
.LBB208_1416:
	s_and_b64 vcc, exec, s[12:13]
	s_cbranch_vccz .LBB208_1420
; %bb.1417:
	s_cmp_eq_u32 s17, 29
	s_cbranch_scc0 .LBB208_1419
; %bb.1418:
	global_load_dwordx2 v[10:11], v[8:9], off
	s_mov_b64 s[0:1], 0
	s_mov_b64 s[6:7], -1
	s_mov_b64 s[12:13], 0
	s_waitcnt vmcnt(0)
	v_ffbh_u32_e32 v5, v11
	v_min_u32_e32 v5, 32, v5
	v_lshlrev_b64 v[10:11], v5, v[10:11]
	v_sub_u32_e32 v5, 32, v5
	v_min_u32_e32 v10, 1, v10
	v_or_b32_e32 v10, v11, v10
	v_cvt_f32_u32_e32 v10, v10
	v_ldexp_f32 v5, v10, v5
	v_cvt_f16_f32_e32 v10, v5
	s_branch .LBB208_1421
.LBB208_1419:
	s_mov_b64 s[0:1], -1
                                        ; implicit-def: $vgpr10
.LBB208_1420:
	s_mov_b64 s[12:13], 0
.LBB208_1421:
	s_and_b64 vcc, exec, s[12:13]
	s_cbranch_vccz .LBB208_1439
; %bb.1422:
	s_cmp_lt_i32 s17, 27
	s_cbranch_scc1 .LBB208_1425
; %bb.1423:
	s_cmp_gt_i32 s17, 27
	s_cbranch_scc0 .LBB208_1426
; %bb.1424:
	global_load_dword v5, v[8:9], off
	s_mov_b64 s[6:7], 0
	s_waitcnt vmcnt(0)
	v_cvt_f32_u32_e32 v5, v5
	v_cvt_f16_f32_e32 v10, v5
	s_branch .LBB208_1427
.LBB208_1425:
	s_mov_b64 s[6:7], -1
                                        ; implicit-def: $vgpr10
	s_branch .LBB208_1430
.LBB208_1426:
	s_mov_b64 s[6:7], -1
                                        ; implicit-def: $vgpr10
.LBB208_1427:
	s_andn2_b64 vcc, exec, s[6:7]
	s_cbranch_vccnz .LBB208_1429
; %bb.1428:
	global_load_ushort v5, v[8:9], off
	s_waitcnt vmcnt(0)
	v_cvt_f16_u16_e32 v10, v5
.LBB208_1429:
	s_mov_b64 s[6:7], 0
.LBB208_1430:
	s_andn2_b64 vcc, exec, s[6:7]
	s_cbranch_vccnz .LBB208_1438
; %bb.1431:
	global_load_ubyte v5, v[8:9], off
	s_movk_i32 s6, 0x7f
	s_waitcnt vmcnt(0)
	v_cmp_lt_i16_e32 vcc, s6, v5
	s_mov_b64 s[6:7], 0
	s_and_saveexec_b64 s[12:13], vcc
	s_xor_b64 s[12:13], exec, s[12:13]
	s_cbranch_execz .LBB208_1452
; %bb.1432:
	s_movk_i32 s6, 0x80
	v_cmp_eq_u16_e32 vcc, s6, v5
	s_mov_b64 s[6:7], -1
	s_and_saveexec_b64 s[14:15], vcc
; %bb.1433:
	s_xor_b64 s[6:7], exec, -1
; %bb.1434:
	s_or_b64 exec, exec, s[14:15]
	s_and_b64 s[6:7], s[6:7], exec
	s_or_saveexec_b64 s[12:13], s[12:13]
	v_mov_b32_e32 v10, 0x7e00
	s_xor_b64 exec, exec, s[12:13]
	s_cbranch_execnz .LBB208_1453
.LBB208_1435:
	s_or_b64 exec, exec, s[12:13]
	s_and_saveexec_b64 s[12:13], s[6:7]
	s_cbranch_execz .LBB208_1437
.LBB208_1436:
	v_lshlrev_b32_e32 v10, 24, v5
	v_and_b32_e32 v5, 0xffff, v5
	v_and_b32_e32 v11, 7, v5
	v_ffbh_u32_e32 v13, v11
	v_min_u32_e32 v13, 32, v13
	v_subrev_u32_e32 v14, 28, v13
	v_bfe_u32 v12, v5, 3, 4
	v_lshlrev_b32_e32 v5, v14, v5
	v_sub_u32_e32 v13, 29, v13
	v_and_b32_e32 v5, 7, v5
	v_cmp_eq_u32_e32 vcc, 0, v12
	v_cndmask_b32_e32 v12, v12, v13, vcc
	v_cndmask_b32_e32 v5, v11, v5, vcc
	v_mov_b32_e32 v11, 0x3b800000
	v_lshlrev_b32_e32 v5, 20, v5
	v_and_b32_e32 v10, 0x80000000, v10
	v_lshl_add_u32 v11, v12, 23, v11
	v_or3_b32 v5, v10, v11, v5
	v_cvt_f16_f32_e32 v10, v5
.LBB208_1437:
	s_or_b64 exec, exec, s[12:13]
.LBB208_1438:
	s_mov_b64 s[6:7], -1
.LBB208_1439:
	s_mov_b64 s[12:13], 0
.LBB208_1440:
	s_and_b64 vcc, exec, s[12:13]
	s_cbranch_vccz .LBB208_1473
; %bb.1441:
	s_cmp_gt_i32 s17, 22
	s_cbranch_scc0 .LBB208_1451
; %bb.1442:
	s_cmp_lt_i32 s17, 24
	s_cbranch_scc1 .LBB208_1454
; %bb.1443:
	s_cmp_gt_i32 s17, 24
	s_cbranch_scc0 .LBB208_1455
; %bb.1444:
	global_load_ubyte v5, v[8:9], off
	s_movk_i32 s4, 0x7f
	s_waitcnt vmcnt(0)
	v_cmp_lt_i16_e32 vcc, s4, v5
	s_mov_b64 s[4:5], 0
	s_and_saveexec_b64 s[6:7], vcc
	s_xor_b64 s[6:7], exec, s[6:7]
	s_cbranch_execz .LBB208_1467
; %bb.1445:
	s_movk_i32 s4, 0x80
	v_cmp_eq_u16_e32 vcc, s4, v5
	s_mov_b64 s[4:5], -1
	s_and_saveexec_b64 s[12:13], vcc
; %bb.1446:
	s_xor_b64 s[4:5], exec, -1
; %bb.1447:
	s_or_b64 exec, exec, s[12:13]
	s_and_b64 s[4:5], s[4:5], exec
	s_or_saveexec_b64 s[6:7], s[6:7]
	v_mov_b32_e32 v10, 0x7e00
	s_xor_b64 exec, exec, s[6:7]
	s_cbranch_execnz .LBB208_1468
.LBB208_1448:
	s_or_b64 exec, exec, s[6:7]
	s_and_saveexec_b64 s[6:7], s[4:5]
	s_cbranch_execz .LBB208_1450
.LBB208_1449:
	v_lshlrev_b32_e32 v10, 24, v5
	v_and_b32_e32 v5, 0xffff, v5
	v_and_b32_e32 v11, 3, v5
	v_ffbh_u32_e32 v13, v11
	v_min_u32_e32 v13, 32, v13
	v_subrev_u32_e32 v14, 29, v13
	v_bfe_u32 v12, v5, 2, 5
	v_lshlrev_b32_e32 v5, v14, v5
	v_sub_u32_e32 v13, 30, v13
	v_and_b32_e32 v5, 3, v5
	v_cmp_eq_u32_e32 vcc, 0, v12
	v_cndmask_b32_e32 v12, v12, v13, vcc
	v_cndmask_b32_e32 v5, v11, v5, vcc
	v_mov_b32_e32 v11, 0x37800000
	v_lshlrev_b32_e32 v5, 21, v5
	v_and_b32_e32 v10, 0x80000000, v10
	v_lshl_add_u32 v11, v12, 23, v11
	v_or3_b32 v5, v10, v11, v5
	v_cvt_f16_f32_e32 v10, v5
.LBB208_1450:
	s_or_b64 exec, exec, s[6:7]
	s_mov_b64 s[4:5], 0
	s_branch .LBB208_1456
.LBB208_1451:
	s_mov_b64 s[4:5], -1
                                        ; implicit-def: $vgpr10
	s_branch .LBB208_1462
.LBB208_1452:
	s_or_saveexec_b64 s[12:13], s[12:13]
	v_mov_b32_e32 v10, 0x7e00
	s_xor_b64 exec, exec, s[12:13]
	s_cbranch_execz .LBB208_1435
.LBB208_1453:
	v_cmp_ne_u16_e32 vcc, 0, v5
	s_andn2_b64 s[6:7], s[6:7], exec
	s_and_b64 s[14:15], vcc, exec
	s_or_b64 s[6:7], s[6:7], s[14:15]
	v_mov_b32_e32 v10, v5
	s_or_b64 exec, exec, s[12:13]
	s_and_saveexec_b64 s[12:13], s[6:7]
	s_cbranch_execnz .LBB208_1436
	s_branch .LBB208_1437
.LBB208_1454:
	s_mov_b64 s[4:5], -1
                                        ; implicit-def: $vgpr10
	s_branch .LBB208_1459
.LBB208_1455:
	s_mov_b64 s[4:5], -1
                                        ; implicit-def: $vgpr10
.LBB208_1456:
	s_and_b64 vcc, exec, s[4:5]
	s_cbranch_vccz .LBB208_1458
; %bb.1457:
	global_load_ubyte v5, v[8:9], off
	s_mov_b32 s4, 0x7f800000
	s_waitcnt vmcnt(0)
	v_lshlrev_b32_e32 v5, 24, v5
	v_and_b32_e32 v10, 0x7f000000, v5
	v_ffbh_u32_e32 v11, v10
	v_min_u32_e32 v11, 32, v11
	v_sub_u32_e64 v11, v11, 4 clamp
	v_lshlrev_b32_e32 v13, v11, v10
	v_lshlrev_b32_e32 v11, 23, v11
	v_lshrrev_b32_e32 v13, 4, v13
	v_add_u32_e32 v12, 0x1000000, v10
	v_sub_u32_e32 v11, v13, v11
	v_ashrrev_i32_e32 v12, 8, v12
	v_add_u32_e32 v11, 0x3c000000, v11
	v_and_or_b32 v11, v12, s4, v11
	v_cmp_ne_u32_e32 vcc, 0, v10
	v_cndmask_b32_e32 v10, 0, v11, vcc
	s_brev_b32 s4, 1
	v_and_or_b32 v5, v5, s4, v10
	v_cvt_f16_f32_e32 v10, v5
.LBB208_1458:
	s_mov_b64 s[4:5], 0
.LBB208_1459:
	s_andn2_b64 vcc, exec, s[4:5]
	s_cbranch_vccnz .LBB208_1461
; %bb.1460:
	global_load_ubyte v5, v[8:9], off
	s_movk_i32 s4, 0x7f00
	s_brev_b32 s5, 16
	s_waitcnt vmcnt(0)
	v_lshlrev_b16_e32 v10, 8, v5
	v_lshlrev_b32_e32 v5, 25, v5
	v_lshrrev_b32_e32 v11, 4, v5
	v_and_or_b32 v12, v10, s4, 0.5
	v_or_b32_e32 v11, 0x70000000, v11
	v_add_f32_e32 v12, -0.5, v12
	v_mul_f32_e32 v11, 0x7800000, v11
	v_cmp_gt_u32_e32 vcc, s5, v5
	v_bfe_i32 v10, v10, 0, 16
	v_cndmask_b32_e32 v5, v11, v12, vcc
	s_brev_b32 s4, 1
	v_and_or_b32 v5, v10, s4, v5
	v_cvt_f16_f32_e32 v10, v5
.LBB208_1461:
	s_mov_b64 s[4:5], 0
	s_mov_b64 s[6:7], -1
.LBB208_1462:
	s_andn2_b64 vcc, exec, s[4:5]
	s_mov_b64 s[4:5], 0
	s_cbranch_vccnz .LBB208_1473
; %bb.1463:
	s_cmp_gt_i32 s17, 14
	s_cbranch_scc0 .LBB208_1466
; %bb.1464:
	s_cmp_eq_u32 s17, 15
	s_cbranch_scc0 .LBB208_1469
; %bb.1465:
	global_load_ushort v5, v[8:9], off
	s_mov_b64 s[0:1], 0
	s_mov_b64 s[6:7], -1
	s_waitcnt vmcnt(0)
	v_lshlrev_b32_e32 v5, 16, v5
	v_cvt_f16_f32_e32 v10, v5
	s_branch .LBB208_1470
.LBB208_1466:
	s_mov_b64 s[12:13], -1
                                        ; implicit-def: $vgpr10
	s_branch .LBB208_1471
.LBB208_1467:
	s_or_saveexec_b64 s[6:7], s[6:7]
	v_mov_b32_e32 v10, 0x7e00
	s_xor_b64 exec, exec, s[6:7]
	s_cbranch_execz .LBB208_1448
.LBB208_1468:
	v_cmp_ne_u16_e32 vcc, 0, v5
	s_andn2_b64 s[4:5], s[4:5], exec
	s_and_b64 s[12:13], vcc, exec
	s_or_b64 s[4:5], s[4:5], s[12:13]
	v_mov_b32_e32 v10, v5
	s_or_b64 exec, exec, s[6:7]
	s_and_saveexec_b64 s[6:7], s[4:5]
	s_cbranch_execnz .LBB208_1449
	s_branch .LBB208_1450
.LBB208_1469:
	s_mov_b64 s[0:1], -1
                                        ; implicit-def: $vgpr10
.LBB208_1470:
	s_mov_b64 s[12:13], 0
.LBB208_1471:
	s_and_b64 vcc, exec, s[12:13]
	s_cbranch_vccz .LBB208_1473
; %bb.1472:
	s_cmp_lg_u32 s17, 11
	s_mov_b64 s[4:5], -1
	s_cselect_b64 s[0:1], -1, 0
.LBB208_1473:
	s_and_b64 vcc, exec, s[0:1]
	s_cbranch_vccnz .LBB208_1536
; %bb.1474:
	s_andn2_b64 vcc, exec, s[4:5]
	s_cbranch_vccnz .LBB208_1476
.LBB208_1475:
	global_load_ubyte v5, v[8:9], off
	v_mov_b32_e32 v10, 0x3c00
	s_mov_b64 s[6:7], -1
	s_waitcnt vmcnt(0)
	v_cmp_ne_u16_e32 vcc, 0, v5
	v_cndmask_b32_e32 v10, 0, v10, vcc
.LBB208_1476:
	s_branch .LBB208_1404
.LBB208_1477:
	s_cmp_lt_i32 s17, 5
	s_cbranch_scc1 .LBB208_1482
; %bb.1478:
	s_cmp_lt_i32 s17, 8
	s_cbranch_scc1 .LBB208_1483
; %bb.1479:
	;; [unrolled: 3-line block ×3, first 2 shown]
	s_cmp_gt_i32 s17, 9
	s_cbranch_scc0 .LBB208_1485
; %bb.1481:
	global_load_dwordx2 v[10:11], v[8:9], off
	s_movk_i32 s0, 0x1ff
	s_movk_i32 s1, 0xffe
	v_mov_b32_e32 v5, 0x7c00
	v_mov_b32_e32 v12, 0x7e00
	s_movk_i32 s4, 0x40f
	s_mov_b32 s5, 0x8000
	s_waitcnt vmcnt(0)
	v_and_or_b32 v10, v11, s0, v10
	v_cmp_ne_u32_e32 vcc, 0, v10
	v_lshrrev_b32_e32 v13, 8, v11
	v_bfe_u32 v14, v11, 20, 11
	v_cndmask_b32_e64 v10, 0, 1, vcc
	v_sub_u32_e32 v15, 0x3f1, v14
	v_and_or_b32 v10, v13, s1, v10
	v_add_u32_e32 v14, 0xfffffc10, v14
	v_med3_i32 v13, v15, 0, 13
	v_or_b32_e32 v15, 0x1000, v10
	v_cmp_ne_u32_e32 vcc, 0, v10
	v_lshl_or_b32 v16, v14, 12, v10
	v_cndmask_b32_e32 v10, v5, v12, vcc
	v_lshrrev_b32_e32 v12, v13, v15
	v_lshlrev_b32_e32 v13, v13, v12
	v_cmp_ne_u32_e32 vcc, v13, v15
	v_cndmask_b32_e64 v13, 0, 1, vcc
	v_or_b32_e32 v12, v12, v13
	v_cmp_gt_i32_e32 vcc, 1, v14
	v_cndmask_b32_e32 v12, v16, v12, vcc
	v_and_b32_e32 v13, 7, v12
	v_cmp_lt_i32_e32 vcc, 5, v13
	v_cndmask_b32_e64 v15, 0, 1, vcc
	v_cmp_eq_u32_e32 vcc, 3, v13
	v_cndmask_b32_e64 v13, 0, 1, vcc
	v_lshrrev_b32_e32 v12, 2, v12
	v_or_b32_e32 v13, v13, v15
	v_add_u32_e32 v12, v12, v13
	v_cmp_gt_i32_e32 vcc, 31, v14
	v_cndmask_b32_e32 v5, v5, v12, vcc
	v_cmp_eq_u32_e32 vcc, s4, v14
	v_lshrrev_b32_e32 v11, 16, v11
	v_cndmask_b32_e32 v5, v5, v10, vcc
	v_and_or_b32 v10, v11, s5, v5
	s_mov_b64 s[0:1], 0
	s_branch .LBB208_1486
.LBB208_1482:
	s_mov_b64 s[0:1], -1
                                        ; implicit-def: $vgpr10
	s_branch .LBB208_1504
.LBB208_1483:
	s_mov_b64 s[0:1], -1
                                        ; implicit-def: $vgpr10
	s_branch .LBB208_1492
.LBB208_1484:
	s_mov_b64 s[0:1], -1
                                        ; implicit-def: $vgpr10
	s_branch .LBB208_1489
.LBB208_1485:
	s_mov_b64 s[0:1], -1
                                        ; implicit-def: $vgpr10
.LBB208_1486:
	s_andn2_b64 vcc, exec, s[0:1]
	s_cbranch_vccnz .LBB208_1488
; %bb.1487:
	global_load_dword v5, v[8:9], off
	s_waitcnt vmcnt(0)
	v_cvt_f16_f32_e32 v10, v5
.LBB208_1488:
	s_mov_b64 s[0:1], 0
.LBB208_1489:
	s_andn2_b64 vcc, exec, s[0:1]
	s_cbranch_vccnz .LBB208_1491
; %bb.1490:
	global_load_dword v10, v[8:9], off
.LBB208_1491:
	s_mov_b64 s[0:1], 0
.LBB208_1492:
	s_andn2_b64 vcc, exec, s[0:1]
	s_cbranch_vccnz .LBB208_1503
; %bb.1493:
	s_cmp_lt_i32 s17, 6
	s_cbranch_scc1 .LBB208_1496
; %bb.1494:
	s_cmp_gt_i32 s17, 6
	s_cbranch_scc0 .LBB208_1497
; %bb.1495:
	global_load_dwordx2 v[10:11], v[8:9], off
	s_movk_i32 s0, 0x1ff
	s_movk_i32 s1, 0xffe
	v_mov_b32_e32 v5, 0x7c00
	v_mov_b32_e32 v12, 0x7e00
	s_movk_i32 s4, 0x40f
	s_mov_b32 s5, 0x8000
	s_waitcnt vmcnt(0)
	v_and_or_b32 v10, v11, s0, v10
	v_cmp_ne_u32_e32 vcc, 0, v10
	v_lshrrev_b32_e32 v13, 8, v11
	v_bfe_u32 v14, v11, 20, 11
	v_cndmask_b32_e64 v10, 0, 1, vcc
	v_sub_u32_e32 v15, 0x3f1, v14
	v_and_or_b32 v10, v13, s1, v10
	v_add_u32_e32 v14, 0xfffffc10, v14
	v_med3_i32 v13, v15, 0, 13
	v_or_b32_e32 v15, 0x1000, v10
	v_cmp_ne_u32_e32 vcc, 0, v10
	v_lshl_or_b32 v16, v14, 12, v10
	v_cndmask_b32_e32 v10, v5, v12, vcc
	v_lshrrev_b32_e32 v12, v13, v15
	v_lshlrev_b32_e32 v13, v13, v12
	v_cmp_ne_u32_e32 vcc, v13, v15
	v_cndmask_b32_e64 v13, 0, 1, vcc
	v_or_b32_e32 v12, v12, v13
	v_cmp_gt_i32_e32 vcc, 1, v14
	v_cndmask_b32_e32 v12, v16, v12, vcc
	v_and_b32_e32 v13, 7, v12
	v_cmp_lt_i32_e32 vcc, 5, v13
	v_cndmask_b32_e64 v15, 0, 1, vcc
	v_cmp_eq_u32_e32 vcc, 3, v13
	v_cndmask_b32_e64 v13, 0, 1, vcc
	v_lshrrev_b32_e32 v12, 2, v12
	v_or_b32_e32 v13, v13, v15
	v_add_u32_e32 v12, v12, v13
	v_cmp_gt_i32_e32 vcc, 31, v14
	v_cndmask_b32_e32 v5, v5, v12, vcc
	v_cmp_eq_u32_e32 vcc, s4, v14
	v_lshrrev_b32_e32 v11, 16, v11
	v_cndmask_b32_e32 v5, v5, v10, vcc
	v_and_or_b32 v10, v11, s5, v5
	s_mov_b64 s[0:1], 0
	s_branch .LBB208_1498
.LBB208_1496:
	s_mov_b64 s[0:1], -1
                                        ; implicit-def: $vgpr10
	s_branch .LBB208_1501
.LBB208_1497:
	s_mov_b64 s[0:1], -1
                                        ; implicit-def: $vgpr10
.LBB208_1498:
	s_andn2_b64 vcc, exec, s[0:1]
	s_cbranch_vccnz .LBB208_1500
; %bb.1499:
	global_load_dword v5, v[8:9], off
	s_waitcnt vmcnt(0)
	v_cvt_f16_f32_e32 v10, v5
.LBB208_1500:
	s_mov_b64 s[0:1], 0
.LBB208_1501:
	s_andn2_b64 vcc, exec, s[0:1]
	s_cbranch_vccnz .LBB208_1503
; %bb.1502:
	global_load_ushort v10, v[8:9], off
.LBB208_1503:
	s_mov_b64 s[0:1], 0
.LBB208_1504:
	s_andn2_b64 vcc, exec, s[0:1]
	s_cbranch_vccnz .LBB208_1524
; %bb.1505:
	s_cmp_lt_i32 s17, 2
	s_cbranch_scc1 .LBB208_1509
; %bb.1506:
	s_cmp_lt_i32 s17, 3
	s_cbranch_scc1 .LBB208_1510
; %bb.1507:
	s_cmp_gt_i32 s17, 3
	s_cbranch_scc0 .LBB208_1511
; %bb.1508:
	global_load_dwordx2 v[10:11], v[8:9], off
	s_mov_b64 s[0:1], 0
	s_waitcnt vmcnt(0)
	v_xor_b32_e32 v12, v10, v11
	v_ffbh_i32_e32 v5, v11
	v_ashrrev_i32_e32 v12, 31, v12
	v_add_u32_e32 v5, -1, v5
	v_add_u32_e32 v12, 32, v12
	v_min_u32_e32 v5, v5, v12
	v_lshlrev_b64 v[10:11], v5, v[10:11]
	v_sub_u32_e32 v5, 32, v5
	v_min_u32_e32 v10, 1, v10
	v_or_b32_e32 v10, v11, v10
	v_cvt_f32_i32_e32 v10, v10
	v_ldexp_f32 v5, v10, v5
	v_cvt_f16_f32_e32 v10, v5
	s_branch .LBB208_1512
.LBB208_1509:
	s_mov_b64 s[0:1], -1
                                        ; implicit-def: $vgpr10
	s_branch .LBB208_1518
.LBB208_1510:
	s_mov_b64 s[0:1], -1
                                        ; implicit-def: $vgpr10
	s_branch .LBB208_1515
.LBB208_1511:
	s_mov_b64 s[0:1], -1
                                        ; implicit-def: $vgpr10
.LBB208_1512:
	s_andn2_b64 vcc, exec, s[0:1]
	s_cbranch_vccnz .LBB208_1514
; %bb.1513:
	global_load_dword v5, v[8:9], off
	s_waitcnt vmcnt(0)
	v_cvt_f32_i32_e32 v5, v5
	v_cvt_f16_f32_e32 v10, v5
.LBB208_1514:
	s_mov_b64 s[0:1], 0
.LBB208_1515:
	s_andn2_b64 vcc, exec, s[0:1]
	s_cbranch_vccnz .LBB208_1517
; %bb.1516:
	global_load_ushort v5, v[8:9], off
	s_waitcnt vmcnt(0)
	v_cvt_f16_i16_e32 v10, v5
.LBB208_1517:
	s_mov_b64 s[0:1], 0
.LBB208_1518:
	s_andn2_b64 vcc, exec, s[0:1]
	s_cbranch_vccnz .LBB208_1524
; %bb.1519:
	s_cmp_gt_i32 s17, 0
	s_cbranch_scc0 .LBB208_1521
; %bb.1520:
	global_load_sbyte v5, v[8:9], off
	s_mov_b64 s[0:1], 0
	s_waitcnt vmcnt(0)
	v_cvt_f16_i16_e32 v10, v5
	s_branch .LBB208_1522
.LBB208_1521:
	s_mov_b64 s[0:1], -1
                                        ; implicit-def: $vgpr10
.LBB208_1522:
	s_andn2_b64 vcc, exec, s[0:1]
	s_cbranch_vccnz .LBB208_1524
; %bb.1523:
	global_load_ubyte v5, v[8:9], off
	s_waitcnt vmcnt(0)
	v_cvt_f16_u16_e32 v10, v5
.LBB208_1524:
.LBB208_1525:
	v_mov_b32_e32 v5, s11
	v_add_co_u32_e32 v7, vcc, s10, v7
	s_cmp_lt_i32 s17, 11
	v_addc_co_u32_e32 v8, vcc, 0, v5, vcc
	s_cbranch_scc1 .LBB208_1532
; %bb.1526:
	s_cmp_gt_i32 s17, 25
	s_mov_b64 s[4:5], 0
	s_cbranch_scc0 .LBB208_1533
; %bb.1527:
	s_cmp_gt_i32 s17, 28
	s_cbranch_scc0 .LBB208_1534
; %bb.1528:
	s_cmp_gt_i32 s17, 43
	;; [unrolled: 3-line block ×3, first 2 shown]
	s_cbranch_scc0 .LBB208_1537
; %bb.1530:
	s_cmp_eq_u32 s17, 46
	s_mov_b64 s[10:11], 0
	s_cbranch_scc0 .LBB208_1538
; %bb.1531:
	global_load_dword v5, v[7:8], off
	s_mov_b64 s[0:1], 0
	s_mov_b64 s[6:7], -1
	s_waitcnt vmcnt(0)
	v_lshlrev_b32_e32 v5, 16, v5
	v_cvt_f16_f32_e32 v9, v5
	s_branch .LBB208_1539
.LBB208_1532:
	s_mov_b64 s[0:1], -1
	s_mov_b64 s[6:7], 0
                                        ; implicit-def: $vgpr9
	s_branch .LBB208_1605
.LBB208_1533:
	s_mov_b64 s[10:11], -1
	s_mov_b64 s[6:7], 0
	s_mov_b64 s[0:1], 0
                                        ; implicit-def: $vgpr9
	s_branch .LBB208_1568
.LBB208_1534:
	s_mov_b64 s[10:11], -1
	s_mov_b64 s[6:7], 0
	s_mov_b64 s[0:1], 0
                                        ; implicit-def: $vgpr9
	s_branch .LBB208_1549
.LBB208_1535:
	s_mov_b64 s[10:11], -1
	s_mov_b64 s[6:7], 0
	s_mov_b64 s[0:1], 0
                                        ; implicit-def: $vgpr9
	s_branch .LBB208_1544
.LBB208_1536:
	s_trap 2
	s_or_b64 s[2:3], s[2:3], exec
	s_cbranch_execz .LBB208_1475
	s_branch .LBB208_1476
.LBB208_1537:
	s_mov_b64 s[10:11], -1
	s_mov_b64 s[6:7], 0
	s_mov_b64 s[0:1], 0
                                        ; implicit-def: $vgpr9
	s_branch .LBB208_1539
.LBB208_1538:
	s_mov_b64 s[0:1], -1
                                        ; implicit-def: $vgpr9
	s_mov_b64 s[6:7], 0
.LBB208_1539:
	s_and_b64 vcc, exec, s[10:11]
	s_cbranch_vccz .LBB208_1543
; %bb.1540:
	s_cmp_eq_u32 s17, 44
	s_cbranch_scc0 .LBB208_1542
; %bb.1541:
	global_load_ubyte v5, v[7:8], off
	s_movk_i32 s6, 0xff
	v_mov_b32_e32 v11, 0x7e00
	s_mov_b64 s[0:1], 0
	s_waitcnt vmcnt(0)
	v_lshlrev_b32_e32 v9, 23, v5
	v_cvt_f16_f32_e32 v9, v9
	v_cmp_ne_u32_e32 vcc, s6, v5
	s_mov_b64 s[6:7], -1
	v_cndmask_b32_e32 v9, v11, v9, vcc
	v_cmp_ne_u32_e32 vcc, 0, v5
	v_cndmask_b32_e32 v9, 0, v9, vcc
	s_branch .LBB208_1543
.LBB208_1542:
	s_mov_b64 s[0:1], -1
                                        ; implicit-def: $vgpr9
.LBB208_1543:
	s_mov_b64 s[10:11], 0
.LBB208_1544:
	s_and_b64 vcc, exec, s[10:11]
	s_cbranch_vccz .LBB208_1548
; %bb.1545:
	s_cmp_eq_u32 s17, 29
	s_cbranch_scc0 .LBB208_1547
; %bb.1546:
	global_load_dwordx2 v[11:12], v[7:8], off
	s_mov_b64 s[0:1], 0
	s_mov_b64 s[6:7], -1
	s_mov_b64 s[10:11], 0
	s_waitcnt vmcnt(0)
	v_ffbh_u32_e32 v5, v12
	v_min_u32_e32 v5, 32, v5
	v_lshlrev_b64 v[11:12], v5, v[11:12]
	v_sub_u32_e32 v5, 32, v5
	v_min_u32_e32 v9, 1, v11
	v_or_b32_e32 v9, v12, v9
	v_cvt_f32_u32_e32 v9, v9
	v_ldexp_f32 v5, v9, v5
	v_cvt_f16_f32_e32 v9, v5
	s_branch .LBB208_1549
.LBB208_1547:
	s_mov_b64 s[0:1], -1
                                        ; implicit-def: $vgpr9
.LBB208_1548:
	s_mov_b64 s[10:11], 0
.LBB208_1549:
	s_and_b64 vcc, exec, s[10:11]
	s_cbranch_vccz .LBB208_1567
; %bb.1550:
	s_cmp_lt_i32 s17, 27
	s_cbranch_scc1 .LBB208_1553
; %bb.1551:
	s_cmp_gt_i32 s17, 27
	s_cbranch_scc0 .LBB208_1554
; %bb.1552:
	global_load_dword v5, v[7:8], off
	s_mov_b64 s[6:7], 0
	s_waitcnt vmcnt(0)
	v_cvt_f32_u32_e32 v5, v5
	v_cvt_f16_f32_e32 v9, v5
	s_branch .LBB208_1555
.LBB208_1553:
	s_mov_b64 s[6:7], -1
                                        ; implicit-def: $vgpr9
	s_branch .LBB208_1558
.LBB208_1554:
	s_mov_b64 s[6:7], -1
                                        ; implicit-def: $vgpr9
.LBB208_1555:
	s_andn2_b64 vcc, exec, s[6:7]
	s_cbranch_vccnz .LBB208_1557
; %bb.1556:
	global_load_ushort v5, v[7:8], off
	s_waitcnt vmcnt(0)
	v_cvt_f16_u16_e32 v9, v5
.LBB208_1557:
	s_mov_b64 s[6:7], 0
.LBB208_1558:
	s_andn2_b64 vcc, exec, s[6:7]
	s_cbranch_vccnz .LBB208_1566
; %bb.1559:
	global_load_ubyte v5, v[7:8], off
	s_movk_i32 s6, 0x7f
	s_waitcnt vmcnt(0)
	v_cmp_lt_i16_e32 vcc, s6, v5
	s_mov_b64 s[6:7], 0
	s_and_saveexec_b64 s[10:11], vcc
	s_xor_b64 s[10:11], exec, s[10:11]
	s_cbranch_execz .LBB208_1580
; %bb.1560:
	s_movk_i32 s6, 0x80
	v_cmp_eq_u16_e32 vcc, s6, v5
	s_mov_b64 s[6:7], -1
	s_and_saveexec_b64 s[12:13], vcc
; %bb.1561:
	s_xor_b64 s[6:7], exec, -1
; %bb.1562:
	s_or_b64 exec, exec, s[12:13]
	s_and_b64 s[6:7], s[6:7], exec
	s_or_saveexec_b64 s[10:11], s[10:11]
	v_mov_b32_e32 v9, 0x7e00
	s_xor_b64 exec, exec, s[10:11]
	s_cbranch_execnz .LBB208_1581
.LBB208_1563:
	s_or_b64 exec, exec, s[10:11]
	s_and_saveexec_b64 s[10:11], s[6:7]
	s_cbranch_execz .LBB208_1565
.LBB208_1564:
	v_lshlrev_b32_e32 v9, 24, v5
	v_and_b32_e32 v5, 0xffff, v5
	v_and_b32_e32 v11, 7, v5
	v_ffbh_u32_e32 v13, v11
	v_min_u32_e32 v13, 32, v13
	v_subrev_u32_e32 v14, 28, v13
	v_bfe_u32 v12, v5, 3, 4
	v_lshlrev_b32_e32 v5, v14, v5
	v_sub_u32_e32 v13, 29, v13
	v_and_b32_e32 v5, 7, v5
	v_cmp_eq_u32_e32 vcc, 0, v12
	v_cndmask_b32_e32 v12, v12, v13, vcc
	v_cndmask_b32_e32 v5, v11, v5, vcc
	v_mov_b32_e32 v11, 0x3b800000
	v_lshlrev_b32_e32 v5, 20, v5
	v_and_b32_e32 v9, 0x80000000, v9
	v_lshl_add_u32 v11, v12, 23, v11
	v_or3_b32 v5, v9, v11, v5
	v_cvt_f16_f32_e32 v9, v5
.LBB208_1565:
	s_or_b64 exec, exec, s[10:11]
.LBB208_1566:
	s_mov_b64 s[6:7], -1
.LBB208_1567:
	s_mov_b64 s[10:11], 0
.LBB208_1568:
	s_and_b64 vcc, exec, s[10:11]
	s_cbranch_vccz .LBB208_1601
; %bb.1569:
	s_cmp_gt_i32 s17, 22
	s_cbranch_scc0 .LBB208_1579
; %bb.1570:
	s_cmp_lt_i32 s17, 24
	s_cbranch_scc1 .LBB208_1582
; %bb.1571:
	s_cmp_gt_i32 s17, 24
	s_cbranch_scc0 .LBB208_1583
; %bb.1572:
	global_load_ubyte v5, v[7:8], off
	s_movk_i32 s4, 0x7f
	s_waitcnt vmcnt(0)
	v_cmp_lt_i16_e32 vcc, s4, v5
	s_mov_b64 s[4:5], 0
	s_and_saveexec_b64 s[6:7], vcc
	s_xor_b64 s[6:7], exec, s[6:7]
	s_cbranch_execz .LBB208_1595
; %bb.1573:
	s_movk_i32 s4, 0x80
	v_cmp_eq_u16_e32 vcc, s4, v5
	s_mov_b64 s[4:5], -1
	s_and_saveexec_b64 s[10:11], vcc
; %bb.1574:
	s_xor_b64 s[4:5], exec, -1
; %bb.1575:
	s_or_b64 exec, exec, s[10:11]
	s_and_b64 s[4:5], s[4:5], exec
	s_or_saveexec_b64 s[6:7], s[6:7]
	v_mov_b32_e32 v9, 0x7e00
	s_xor_b64 exec, exec, s[6:7]
	s_cbranch_execnz .LBB208_1596
.LBB208_1576:
	s_or_b64 exec, exec, s[6:7]
	s_and_saveexec_b64 s[6:7], s[4:5]
	s_cbranch_execz .LBB208_1578
.LBB208_1577:
	v_lshlrev_b32_e32 v9, 24, v5
	v_and_b32_e32 v5, 0xffff, v5
	v_and_b32_e32 v11, 3, v5
	v_ffbh_u32_e32 v13, v11
	v_min_u32_e32 v13, 32, v13
	v_subrev_u32_e32 v14, 29, v13
	v_bfe_u32 v12, v5, 2, 5
	v_lshlrev_b32_e32 v5, v14, v5
	v_sub_u32_e32 v13, 30, v13
	v_and_b32_e32 v5, 3, v5
	v_cmp_eq_u32_e32 vcc, 0, v12
	v_cndmask_b32_e32 v12, v12, v13, vcc
	v_cndmask_b32_e32 v5, v11, v5, vcc
	v_mov_b32_e32 v11, 0x37800000
	v_lshlrev_b32_e32 v5, 21, v5
	v_and_b32_e32 v9, 0x80000000, v9
	v_lshl_add_u32 v11, v12, 23, v11
	v_or3_b32 v5, v9, v11, v5
	v_cvt_f16_f32_e32 v9, v5
.LBB208_1578:
	s_or_b64 exec, exec, s[6:7]
	s_mov_b64 s[4:5], 0
	s_branch .LBB208_1584
.LBB208_1579:
	s_mov_b64 s[4:5], -1
                                        ; implicit-def: $vgpr9
	s_branch .LBB208_1590
.LBB208_1580:
	s_or_saveexec_b64 s[10:11], s[10:11]
	v_mov_b32_e32 v9, 0x7e00
	s_xor_b64 exec, exec, s[10:11]
	s_cbranch_execz .LBB208_1563
.LBB208_1581:
	v_cmp_ne_u16_e32 vcc, 0, v5
	s_andn2_b64 s[6:7], s[6:7], exec
	s_and_b64 s[12:13], vcc, exec
	s_or_b64 s[6:7], s[6:7], s[12:13]
	v_mov_b32_e32 v9, v5
	s_or_b64 exec, exec, s[10:11]
	s_and_saveexec_b64 s[10:11], s[6:7]
	s_cbranch_execnz .LBB208_1564
	s_branch .LBB208_1565
.LBB208_1582:
	s_mov_b64 s[4:5], -1
                                        ; implicit-def: $vgpr9
	s_branch .LBB208_1587
.LBB208_1583:
	s_mov_b64 s[4:5], -1
                                        ; implicit-def: $vgpr9
.LBB208_1584:
	s_and_b64 vcc, exec, s[4:5]
	s_cbranch_vccz .LBB208_1586
; %bb.1585:
	global_load_ubyte v5, v[7:8], off
	s_mov_b32 s4, 0x7f800000
	s_waitcnt vmcnt(0)
	v_lshlrev_b32_e32 v5, 24, v5
	v_and_b32_e32 v9, 0x7f000000, v5
	v_ffbh_u32_e32 v11, v9
	v_min_u32_e32 v11, 32, v11
	v_sub_u32_e64 v11, v11, 4 clamp
	v_lshlrev_b32_e32 v13, v11, v9
	v_lshlrev_b32_e32 v11, 23, v11
	v_lshrrev_b32_e32 v13, 4, v13
	v_add_u32_e32 v12, 0x1000000, v9
	v_sub_u32_e32 v11, v13, v11
	v_ashrrev_i32_e32 v12, 8, v12
	v_add_u32_e32 v11, 0x3c000000, v11
	v_and_or_b32 v11, v12, s4, v11
	v_cmp_ne_u32_e32 vcc, 0, v9
	v_cndmask_b32_e32 v9, 0, v11, vcc
	s_brev_b32 s4, 1
	v_and_or_b32 v5, v5, s4, v9
	v_cvt_f16_f32_e32 v9, v5
.LBB208_1586:
	s_mov_b64 s[4:5], 0
.LBB208_1587:
	s_andn2_b64 vcc, exec, s[4:5]
	s_cbranch_vccnz .LBB208_1589
; %bb.1588:
	global_load_ubyte v5, v[7:8], off
	s_movk_i32 s4, 0x7f00
	s_brev_b32 s5, 16
	s_waitcnt vmcnt(0)
	v_lshlrev_b16_e32 v9, 8, v5
	v_lshlrev_b32_e32 v5, 25, v5
	v_lshrrev_b32_e32 v11, 4, v5
	v_and_or_b32 v12, v9, s4, 0.5
	v_or_b32_e32 v11, 0x70000000, v11
	v_add_f32_e32 v12, -0.5, v12
	v_mul_f32_e32 v11, 0x7800000, v11
	v_cmp_gt_u32_e32 vcc, s5, v5
	v_bfe_i32 v9, v9, 0, 16
	v_cndmask_b32_e32 v5, v11, v12, vcc
	s_brev_b32 s4, 1
	v_and_or_b32 v5, v9, s4, v5
	v_cvt_f16_f32_e32 v9, v5
.LBB208_1589:
	s_mov_b64 s[4:5], 0
	s_mov_b64 s[6:7], -1
.LBB208_1590:
	s_andn2_b64 vcc, exec, s[4:5]
	s_mov_b64 s[4:5], 0
	s_cbranch_vccnz .LBB208_1601
; %bb.1591:
	s_cmp_gt_i32 s17, 14
	s_cbranch_scc0 .LBB208_1594
; %bb.1592:
	s_cmp_eq_u32 s17, 15
	s_cbranch_scc0 .LBB208_1597
; %bb.1593:
	global_load_ushort v5, v[7:8], off
	s_mov_b64 s[0:1], 0
	s_mov_b64 s[6:7], -1
	s_waitcnt vmcnt(0)
	v_lshlrev_b32_e32 v5, 16, v5
	v_cvt_f16_f32_e32 v9, v5
	s_branch .LBB208_1598
.LBB208_1594:
	s_mov_b64 s[10:11], -1
                                        ; implicit-def: $vgpr9
	s_branch .LBB208_1599
.LBB208_1595:
	s_or_saveexec_b64 s[6:7], s[6:7]
	v_mov_b32_e32 v9, 0x7e00
	s_xor_b64 exec, exec, s[6:7]
	s_cbranch_execz .LBB208_1576
.LBB208_1596:
	v_cmp_ne_u16_e32 vcc, 0, v5
	s_andn2_b64 s[4:5], s[4:5], exec
	s_and_b64 s[10:11], vcc, exec
	s_or_b64 s[4:5], s[4:5], s[10:11]
	v_mov_b32_e32 v9, v5
	s_or_b64 exec, exec, s[6:7]
	s_and_saveexec_b64 s[6:7], s[4:5]
	s_cbranch_execnz .LBB208_1577
	s_branch .LBB208_1578
.LBB208_1597:
	s_mov_b64 s[0:1], -1
                                        ; implicit-def: $vgpr9
.LBB208_1598:
	s_mov_b64 s[10:11], 0
.LBB208_1599:
	s_and_b64 vcc, exec, s[10:11]
	s_cbranch_vccz .LBB208_1601
; %bb.1600:
	s_cmp_lg_u32 s17, 11
	s_mov_b64 s[4:5], -1
	s_cselect_b64 s[0:1], -1, 0
.LBB208_1601:
	s_and_b64 vcc, exec, s[0:1]
	s_cbranch_vccnz .LBB208_2134
; %bb.1602:
	s_andn2_b64 vcc, exec, s[4:5]
	s_cbranch_vccnz .LBB208_1604
.LBB208_1603:
	global_load_ubyte v5, v[7:8], off
	v_mov_b32_e32 v9, 0x3c00
	s_mov_b64 s[6:7], -1
	s_waitcnt vmcnt(0)
	v_cmp_ne_u16_e32 vcc, 0, v5
	v_cndmask_b32_e32 v9, 0, v9, vcc
.LBB208_1604:
	s_mov_b64 s[0:1], 0
.LBB208_1605:
	s_and_b64 vcc, exec, s[0:1]
	s_cbranch_vccz .LBB208_1654
; %bb.1606:
	s_cmp_lt_i32 s17, 5
	s_cbranch_scc1 .LBB208_1611
; %bb.1607:
	s_cmp_lt_i32 s17, 8
	s_cbranch_scc1 .LBB208_1612
; %bb.1608:
	s_cmp_lt_i32 s17, 9
	s_cbranch_scc1 .LBB208_1613
; %bb.1609:
	s_cmp_gt_i32 s17, 9
	s_cbranch_scc0 .LBB208_1614
; %bb.1610:
	global_load_dwordx2 v[11:12], v[7:8], off
	s_movk_i32 s0, 0x1ff
	s_movk_i32 s1, 0xffe
	v_mov_b32_e32 v5, 0x7c00
	v_mov_b32_e32 v9, 0x7e00
	s_movk_i32 s4, 0x40f
	s_mov_b32 s5, 0x8000
	s_waitcnt vmcnt(0)
	v_and_or_b32 v11, v12, s0, v11
	v_cmp_ne_u32_e32 vcc, 0, v11
	v_lshrrev_b32_e32 v13, 8, v12
	v_bfe_u32 v14, v12, 20, 11
	v_cndmask_b32_e64 v11, 0, 1, vcc
	v_sub_u32_e32 v15, 0x3f1, v14
	v_and_or_b32 v11, v13, s1, v11
	v_add_u32_e32 v14, 0xfffffc10, v14
	v_med3_i32 v13, v15, 0, 13
	v_or_b32_e32 v15, 0x1000, v11
	v_lshl_or_b32 v16, v14, 12, v11
	v_cmp_ne_u32_e32 vcc, 0, v11
	v_lshrrev_b32_e32 v11, v13, v15
	v_lshlrev_b32_e32 v13, v13, v11
	v_cndmask_b32_e32 v9, v5, v9, vcc
	v_cmp_ne_u32_e32 vcc, v13, v15
	v_cndmask_b32_e64 v13, 0, 1, vcc
	v_or_b32_e32 v11, v11, v13
	v_cmp_gt_i32_e32 vcc, 1, v14
	v_cndmask_b32_e32 v11, v16, v11, vcc
	v_and_b32_e32 v13, 7, v11
	v_cmp_lt_i32_e32 vcc, 5, v13
	v_cndmask_b32_e64 v15, 0, 1, vcc
	v_cmp_eq_u32_e32 vcc, 3, v13
	v_cndmask_b32_e64 v13, 0, 1, vcc
	v_lshrrev_b32_e32 v11, 2, v11
	v_or_b32_e32 v13, v13, v15
	v_add_u32_e32 v11, v11, v13
	v_cmp_gt_i32_e32 vcc, 31, v14
	v_cndmask_b32_e32 v5, v5, v11, vcc
	v_cmp_eq_u32_e32 vcc, s4, v14
	v_lshrrev_b32_e32 v12, 16, v12
	v_cndmask_b32_e32 v5, v5, v9, vcc
	v_and_or_b32 v9, v12, s5, v5
	s_mov_b64 s[0:1], 0
	s_branch .LBB208_1615
.LBB208_1611:
	s_mov_b64 s[0:1], -1
                                        ; implicit-def: $vgpr9
	s_branch .LBB208_1633
.LBB208_1612:
	s_mov_b64 s[0:1], -1
                                        ; implicit-def: $vgpr9
	s_branch .LBB208_1621
.LBB208_1613:
	s_mov_b64 s[0:1], -1
                                        ; implicit-def: $vgpr9
	s_branch .LBB208_1618
.LBB208_1614:
	s_mov_b64 s[0:1], -1
                                        ; implicit-def: $vgpr9
.LBB208_1615:
	s_andn2_b64 vcc, exec, s[0:1]
	s_cbranch_vccnz .LBB208_1617
; %bb.1616:
	global_load_dword v5, v[7:8], off
	s_waitcnt vmcnt(0)
	v_cvt_f16_f32_e32 v9, v5
.LBB208_1617:
	s_mov_b64 s[0:1], 0
.LBB208_1618:
	s_andn2_b64 vcc, exec, s[0:1]
	s_cbranch_vccnz .LBB208_1620
; %bb.1619:
	global_load_dword v9, v[7:8], off
.LBB208_1620:
	s_mov_b64 s[0:1], 0
.LBB208_1621:
	s_andn2_b64 vcc, exec, s[0:1]
	s_cbranch_vccnz .LBB208_1632
; %bb.1622:
	s_cmp_lt_i32 s17, 6
	s_cbranch_scc1 .LBB208_1625
; %bb.1623:
	s_cmp_gt_i32 s17, 6
	s_cbranch_scc0 .LBB208_1626
; %bb.1624:
	global_load_dwordx2 v[11:12], v[7:8], off
	s_movk_i32 s0, 0x1ff
	s_movk_i32 s1, 0xffe
	v_mov_b32_e32 v5, 0x7c00
	s_waitcnt vmcnt(1)
	v_mov_b32_e32 v9, 0x7e00
	s_movk_i32 s4, 0x40f
	s_mov_b32 s5, 0x8000
	s_waitcnt vmcnt(0)
	v_and_or_b32 v11, v12, s0, v11
	v_cmp_ne_u32_e32 vcc, 0, v11
	v_lshrrev_b32_e32 v13, 8, v12
	v_bfe_u32 v14, v12, 20, 11
	v_cndmask_b32_e64 v11, 0, 1, vcc
	v_sub_u32_e32 v15, 0x3f1, v14
	v_and_or_b32 v11, v13, s1, v11
	v_add_u32_e32 v14, 0xfffffc10, v14
	v_med3_i32 v13, v15, 0, 13
	v_or_b32_e32 v15, 0x1000, v11
	v_lshl_or_b32 v16, v14, 12, v11
	v_cmp_ne_u32_e32 vcc, 0, v11
	v_lshrrev_b32_e32 v11, v13, v15
	v_lshlrev_b32_e32 v13, v13, v11
	v_cndmask_b32_e32 v9, v5, v9, vcc
	v_cmp_ne_u32_e32 vcc, v13, v15
	v_cndmask_b32_e64 v13, 0, 1, vcc
	v_or_b32_e32 v11, v11, v13
	v_cmp_gt_i32_e32 vcc, 1, v14
	v_cndmask_b32_e32 v11, v16, v11, vcc
	v_and_b32_e32 v13, 7, v11
	v_cmp_lt_i32_e32 vcc, 5, v13
	v_cndmask_b32_e64 v15, 0, 1, vcc
	v_cmp_eq_u32_e32 vcc, 3, v13
	v_cndmask_b32_e64 v13, 0, 1, vcc
	v_lshrrev_b32_e32 v11, 2, v11
	v_or_b32_e32 v13, v13, v15
	v_add_u32_e32 v11, v11, v13
	v_cmp_gt_i32_e32 vcc, 31, v14
	v_cndmask_b32_e32 v5, v5, v11, vcc
	v_cmp_eq_u32_e32 vcc, s4, v14
	v_lshrrev_b32_e32 v12, 16, v12
	v_cndmask_b32_e32 v5, v5, v9, vcc
	v_and_or_b32 v9, v12, s5, v5
	s_mov_b64 s[0:1], 0
	s_branch .LBB208_1627
.LBB208_1625:
	s_mov_b64 s[0:1], -1
                                        ; implicit-def: $vgpr9
	s_branch .LBB208_1630
.LBB208_1626:
	s_mov_b64 s[0:1], -1
                                        ; implicit-def: $vgpr9
.LBB208_1627:
	s_andn2_b64 vcc, exec, s[0:1]
	s_cbranch_vccnz .LBB208_1629
; %bb.1628:
	global_load_dword v5, v[7:8], off
	s_waitcnt vmcnt(0)
	v_cvt_f16_f32_e32 v9, v5
.LBB208_1629:
	s_mov_b64 s[0:1], 0
.LBB208_1630:
	s_andn2_b64 vcc, exec, s[0:1]
	s_cbranch_vccnz .LBB208_1632
; %bb.1631:
	global_load_ushort v9, v[7:8], off
.LBB208_1632:
	s_mov_b64 s[0:1], 0
.LBB208_1633:
	s_andn2_b64 vcc, exec, s[0:1]
	s_cbranch_vccnz .LBB208_1653
; %bb.1634:
	s_cmp_lt_i32 s17, 2
	s_cbranch_scc1 .LBB208_1638
; %bb.1635:
	s_cmp_lt_i32 s17, 3
	s_cbranch_scc1 .LBB208_1639
; %bb.1636:
	s_cmp_gt_i32 s17, 3
	s_cbranch_scc0 .LBB208_1640
; %bb.1637:
	global_load_dwordx2 v[11:12], v[7:8], off
	s_mov_b64 s[0:1], 0
	s_waitcnt vmcnt(0)
	v_xor_b32_e32 v9, v11, v12
	v_ffbh_i32_e32 v5, v12
	v_ashrrev_i32_e32 v9, 31, v9
	v_add_u32_e32 v5, -1, v5
	v_add_u32_e32 v9, 32, v9
	v_min_u32_e32 v5, v5, v9
	v_lshlrev_b64 v[11:12], v5, v[11:12]
	v_sub_u32_e32 v5, 32, v5
	v_min_u32_e32 v9, 1, v11
	v_or_b32_e32 v9, v12, v9
	v_cvt_f32_i32_e32 v9, v9
	v_ldexp_f32 v5, v9, v5
	v_cvt_f16_f32_e32 v9, v5
	s_branch .LBB208_1641
.LBB208_1638:
	s_mov_b64 s[0:1], -1
                                        ; implicit-def: $vgpr9
	s_branch .LBB208_1647
.LBB208_1639:
	s_mov_b64 s[0:1], -1
                                        ; implicit-def: $vgpr9
	s_branch .LBB208_1644
.LBB208_1640:
	s_mov_b64 s[0:1], -1
                                        ; implicit-def: $vgpr9
.LBB208_1641:
	s_andn2_b64 vcc, exec, s[0:1]
	s_cbranch_vccnz .LBB208_1643
; %bb.1642:
	global_load_dword v5, v[7:8], off
	s_waitcnt vmcnt(0)
	v_cvt_f32_i32_e32 v5, v5
	v_cvt_f16_f32_e32 v9, v5
.LBB208_1643:
	s_mov_b64 s[0:1], 0
.LBB208_1644:
	s_andn2_b64 vcc, exec, s[0:1]
	s_cbranch_vccnz .LBB208_1646
; %bb.1645:
	global_load_ushort v5, v[7:8], off
	s_waitcnt vmcnt(0)
	v_cvt_f16_i16_e32 v9, v5
.LBB208_1646:
	s_mov_b64 s[0:1], 0
.LBB208_1647:
	s_andn2_b64 vcc, exec, s[0:1]
	s_cbranch_vccnz .LBB208_1653
; %bb.1648:
	s_cmp_gt_i32 s17, 0
	s_cbranch_scc0 .LBB208_1650
; %bb.1649:
	global_load_sbyte v5, v[7:8], off
	s_mov_b64 s[0:1], 0
	s_waitcnt vmcnt(0)
	v_cvt_f16_i16_e32 v9, v5
	s_branch .LBB208_1651
.LBB208_1650:
	s_mov_b64 s[0:1], -1
                                        ; implicit-def: $vgpr9
.LBB208_1651:
	s_andn2_b64 vcc, exec, s[0:1]
	s_cbranch_vccnz .LBB208_1653
; %bb.1652:
	global_load_ubyte v5, v[7:8], off
	s_waitcnt vmcnt(0)
	v_cvt_f16_u16_e32 v9, v5
.LBB208_1653:
	s_mov_b64 s[6:7], -1
.LBB208_1654:
	s_andn2_b64 vcc, exec, s[6:7]
	s_cbranch_vccnz .LBB208_2088
; %bb.1655:
	s_load_dwordx2 s[4:5], s[34:35], 0x158
	s_bfe_u32 s18, s16, 0x80010
	v_mov_b32_e32 v7, s9
	s_waitcnt lgkmcnt(0)
	s_lshr_b32 s17, s4, 16
	v_mov_b32_e32 v5, s5
	v_mov_b32_e32 v8, s17
	v_cmp_ge_f16_e32 vcc, s4, v1
	v_cndmask_b32_e32 v1, v5, v8, vcc
	v_add_co_u32_e32 v5, vcc, s8, v6
	s_cmp_lt_i32 s18, 11
	v_addc_co_u32_e32 v6, vcc, 0, v7, vcc
	s_cbranch_scc1 .LBB208_1733
; %bb.1656:
	s_and_b32 s19, 0xffff, s18
	s_mov_b64 s[12:13], -1
	s_mov_b64 s[6:7], 0
	s_cmp_gt_i32 s19, 25
	s_mov_b64 s[10:11], 0
	s_mov_b64 s[0:1], 0
	s_cbranch_scc0 .LBB208_1689
; %bb.1657:
	s_cmp_gt_i32 s19, 28
	s_cbranch_scc0 .LBB208_1672
; %bb.1658:
	s_cmp_gt_i32 s19, 43
	s_cbranch_scc0 .LBB208_1668
; %bb.1659:
	s_cmp_gt_i32 s19, 45
	s_cbranch_scc0 .LBB208_1662
; %bb.1660:
	s_mov_b64 s[0:1], -1
	s_mov_b64 s[12:13], 0
	s_cmp_eq_u32 s19, 46
	s_cbranch_scc0 .LBB208_1662
; %bb.1661:
	v_cvt_f32_f16_e32 v7, v1
	s_movk_i32 s0, 0x7fff
	v_cmp_o_f16_e32 vcc, v1, v1
	v_mov_b32_e32 v8, 0x7fc0
	v_bfe_u32 v11, v7, 16, 1
	v_add3_u32 v7, v7, v11, s0
	v_cndmask_b32_sdwa v7, v8, v7, vcc dst_sel:DWORD dst_unused:UNUSED_PAD src0_sel:DWORD src1_sel:WORD_1
	global_store_dword v[5:6], v7, off
	s_mov_b64 s[0:1], 0
	s_mov_b64 s[10:11], -1
.LBB208_1662:
	s_and_b64 vcc, exec, s[12:13]
	s_cbranch_vccz .LBB208_1667
; %bb.1663:
	s_cmp_eq_u32 s19, 44
	s_mov_b64 s[0:1], -1
	s_cbranch_scc0 .LBB208_1667
; %bb.1664:
	v_cvt_f32_f16_e32 v7, v1
	s_movk_i32 s0, 0xff
	v_mov_b32_e32 v11, 0xff
	v_bfe_u32 v8, v7, 23, 8
	v_cmp_ne_u32_e32 vcc, s0, v8
	s_and_saveexec_b64 s[10:11], vcc
; %bb.1665:
	s_mov_b32 s0, 0x3fffff
	v_lshrrev_b32_e32 v11, 23, v7
	v_and_b32_e32 v12, 0x400000, v7
	v_and_or_b32 v7, v7, s0, v8
	v_cmp_ne_u32_e32 vcc, 0, v12
	v_cmp_ne_u32_e64 s[0:1], 0, v7
	s_and_b64 s[0:1], vcc, s[0:1]
	v_cndmask_b32_e64 v7, 0, 1, s[0:1]
	v_add_u32_e32 v11, v11, v7
; %bb.1666:
	s_or_b64 exec, exec, s[10:11]
	s_mov_b64 s[0:1], 0
	s_mov_b64 s[10:11], -1
	global_store_byte v[5:6], v11, off
.LBB208_1667:
	s_mov_b64 s[12:13], 0
.LBB208_1668:
	s_and_b64 vcc, exec, s[12:13]
	s_cbranch_vccz .LBB208_1671
; %bb.1669:
	s_cmp_eq_u32 s19, 29
	s_mov_b64 s[0:1], -1
	s_cbranch_scc0 .LBB208_1671
; %bb.1670:
	v_cvt_f32_f16_e32 v7, v1
	v_mov_b32_e32 v8, 0
	s_mov_b64 s[0:1], 0
	s_mov_b64 s[10:11], -1
	v_cvt_u32_f32_e32 v7, v7
	global_store_dwordx2 v[5:6], v[7:8], off
.LBB208_1671:
	s_mov_b64 s[12:13], 0
.LBB208_1672:
	s_and_b64 vcc, exec, s[12:13]
	s_cbranch_vccz .LBB208_1688
; %bb.1673:
	s_cmp_lt_i32 s19, 27
	s_mov_b64 s[10:11], -1
	s_cbranch_scc1 .LBB208_1679
; %bb.1674:
	s_cmp_gt_i32 s19, 27
	s_cbranch_scc0 .LBB208_1676
; %bb.1675:
	v_cvt_f32_f16_e32 v7, v1
	s_mov_b64 s[10:11], 0
	v_cvt_u32_f32_e32 v7, v7
	global_store_dword v[5:6], v7, off
.LBB208_1676:
	s_andn2_b64 vcc, exec, s[10:11]
	s_cbranch_vccnz .LBB208_1678
; %bb.1677:
	v_cvt_u16_f16_e32 v7, v1
	global_store_short v[5:6], v7, off
.LBB208_1678:
	s_mov_b64 s[10:11], 0
.LBB208_1679:
	s_andn2_b64 vcc, exec, s[10:11]
	s_cbranch_vccnz .LBB208_1687
; %bb.1680:
	v_cvt_f32_f16_e32 v7, v1
	s_mov_b32 s10, 0x43800000
	v_mov_b32_e32 v11, 0x80
	v_and_b32_e32 v8, 0x7fffffff, v7
	v_cmp_gt_u32_e32 vcc, s10, v8
	s_and_saveexec_b64 s[10:11], vcc
	s_cbranch_execz .LBB208_1686
; %bb.1681:
	s_mov_b32 s12, 0x3bffffff
	v_cmp_lt_u32_e32 vcc, s12, v8
	s_mov_b64 s[12:13], 0
                                        ; implicit-def: $vgpr8
	s_and_saveexec_b64 s[14:15], vcc
	s_xor_b64 s[14:15], exec, s[14:15]
	s_cbranch_execz .LBB208_2135
; %bb.1682:
	v_bfe_u32 v8, v7, 20, 1
	s_mov_b32 s20, 0x487ffff
	v_add3_u32 v8, v7, v8, s20
	s_mov_b64 s[12:13], exec
	v_lshrrev_b32_e32 v8, 20, v8
	s_andn2_saveexec_b64 s[14:15], s[14:15]
	s_cbranch_execnz .LBB208_2136
.LBB208_1683:
	s_or_b64 exec, exec, s[14:15]
	v_mov_b32_e32 v11, 0
	s_and_saveexec_b64 s[14:15], s[12:13]
.LBB208_1684:
	v_lshrrev_b32_e32 v7, 24, v7
	s_movk_i32 s12, 0x80
	v_and_or_b32 v11, v7, s12, v8
.LBB208_1685:
	s_or_b64 exec, exec, s[14:15]
.LBB208_1686:
	s_or_b64 exec, exec, s[10:11]
	global_store_byte v[5:6], v11, off
.LBB208_1687:
	s_mov_b64 s[10:11], -1
.LBB208_1688:
	s_mov_b64 s[12:13], 0
.LBB208_1689:
	s_and_b64 vcc, exec, s[12:13]
	s_cbranch_vccz .LBB208_1729
; %bb.1690:
	s_cmp_gt_i32 s19, 22
	s_mov_b64 s[6:7], -1
	s_cbranch_scc0 .LBB208_1722
; %bb.1691:
	s_cmp_lt_i32 s19, 24
	s_cbranch_scc1 .LBB208_1711
; %bb.1692:
	s_cmp_gt_i32 s19, 24
	s_cbranch_scc0 .LBB208_1700
; %bb.1693:
	v_cvt_f32_f16_e32 v7, v1
	s_mov_b32 s6, 0x47800000
	v_mov_b32_e32 v11, 0x80
	v_and_b32_e32 v8, 0x7fffffff, v7
	v_cmp_gt_u32_e32 vcc, s6, v8
	s_and_saveexec_b64 s[6:7], vcc
	s_cbranch_execz .LBB208_1699
; %bb.1694:
	s_mov_b32 s10, 0x37ffffff
	v_cmp_lt_u32_e32 vcc, s10, v8
	s_mov_b64 s[10:11], 0
                                        ; implicit-def: $vgpr8
	s_and_saveexec_b64 s[12:13], vcc
	s_xor_b64 s[12:13], exec, s[12:13]
	s_cbranch_execz .LBB208_2138
; %bb.1695:
	v_bfe_u32 v8, v7, 21, 1
	s_mov_b32 s14, 0x88fffff
	v_add3_u32 v8, v7, v8, s14
	s_mov_b64 s[10:11], exec
	v_lshrrev_b32_e32 v8, 21, v8
	s_andn2_saveexec_b64 s[12:13], s[12:13]
	s_cbranch_execnz .LBB208_2139
.LBB208_1696:
	s_or_b64 exec, exec, s[12:13]
	v_mov_b32_e32 v11, 0
	s_and_saveexec_b64 s[12:13], s[10:11]
.LBB208_1697:
	v_lshrrev_b32_e32 v7, 24, v7
	s_movk_i32 s10, 0x80
	v_and_or_b32 v11, v7, s10, v8
.LBB208_1698:
	s_or_b64 exec, exec, s[12:13]
.LBB208_1699:
	s_or_b64 exec, exec, s[6:7]
	s_mov_b64 s[6:7], 0
	global_store_byte v[5:6], v11, off
.LBB208_1700:
	s_and_b64 vcc, exec, s[6:7]
	s_cbranch_vccz .LBB208_1710
; %bb.1701:
	v_cvt_f32_f16_e32 v7, v1
	s_mov_b32 s6, 0x43f00000
                                        ; implicit-def: $vgpr8
	v_and_b32_e32 v11, 0x7fffffff, v7
	v_cmp_gt_u32_e32 vcc, s6, v11
	s_and_saveexec_b64 s[6:7], vcc
	s_xor_b64 s[6:7], exec, s[6:7]
	s_cbranch_execz .LBB208_1707
; %bb.1702:
	s_mov_b32 s10, 0x3c7fffff
	v_cmp_lt_u32_e32 vcc, s10, v11
                                        ; implicit-def: $vgpr8
	s_and_saveexec_b64 s[10:11], vcc
	s_xor_b64 s[10:11], exec, s[10:11]
; %bb.1703:
	v_bfe_u32 v8, v7, 20, 1
	s_mov_b32 s12, 0x407ffff
	v_add3_u32 v8, v7, v8, s12
	v_lshrrev_b32_e32 v11, 20, v8
	v_and_b32_e32 v8, 0xff00000, v8
	s_mov_b32 s12, 0x7f00000
	v_mov_b32_e32 v12, 0x7e
	v_cmp_ne_u32_e32 vcc, s12, v8
	v_cndmask_b32_e32 v8, v12, v11, vcc
; %bb.1704:
	s_andn2_saveexec_b64 s[10:11], s[10:11]
; %bb.1705:
	s_mov_b32 s12, 0x46800000
	v_add_f32_e64 v8, |v7|, s12
; %bb.1706:
	s_or_b64 exec, exec, s[10:11]
                                        ; implicit-def: $vgpr11
.LBB208_1707:
	s_andn2_saveexec_b64 s[6:7], s[6:7]
; %bb.1708:
	s_mov_b32 s10, 0x7f800000
	v_mov_b32_e32 v8, 0x7e
	v_mov_b32_e32 v12, 0x7f
	v_cmp_lt_u32_e32 vcc, s10, v11
	v_cndmask_b32_e32 v8, v8, v12, vcc
; %bb.1709:
	s_or_b64 exec, exec, s[6:7]
	v_lshrrev_b32_e32 v7, 24, v7
	s_movk_i32 s6, 0x80
	v_and_or_b32 v7, v7, s6, v8
	global_store_byte v[5:6], v7, off
.LBB208_1710:
	s_mov_b64 s[6:7], 0
.LBB208_1711:
	s_andn2_b64 vcc, exec, s[6:7]
	s_cbranch_vccnz .LBB208_1721
; %bb.1712:
	v_cvt_f32_f16_e32 v7, v1
	s_mov_b32 s6, 0x47800000
                                        ; implicit-def: $vgpr8
	v_and_b32_e32 v11, 0x7fffffff, v7
	v_cmp_gt_u32_e32 vcc, s6, v11
	s_and_saveexec_b64 s[6:7], vcc
	s_xor_b64 s[6:7], exec, s[6:7]
	s_cbranch_execz .LBB208_1718
; %bb.1713:
	s_mov_b32 s10, 0x387fffff
	v_cmp_lt_u32_e32 vcc, s10, v11
                                        ; implicit-def: $vgpr8
	s_and_saveexec_b64 s[10:11], vcc
	s_xor_b64 s[10:11], exec, s[10:11]
; %bb.1714:
	v_bfe_u32 v8, v7, 21, 1
	s_mov_b32 s12, 0x80fffff
	v_add3_u32 v8, v7, v8, s12
	v_lshrrev_b32_e32 v8, 21, v8
; %bb.1715:
	s_andn2_saveexec_b64 s[10:11], s[10:11]
; %bb.1716:
	s_mov_b32 s12, 0x43000000
	v_add_f32_e64 v8, |v7|, s12
; %bb.1717:
	s_or_b64 exec, exec, s[10:11]
                                        ; implicit-def: $vgpr11
.LBB208_1718:
	s_andn2_saveexec_b64 s[6:7], s[6:7]
; %bb.1719:
	s_mov_b32 s10, 0x7f800000
	v_mov_b32_e32 v8, 0x7c
	v_mov_b32_e32 v12, 0x7f
	v_cmp_lt_u32_e32 vcc, s10, v11
	v_cndmask_b32_e32 v8, v8, v12, vcc
; %bb.1720:
	s_or_b64 exec, exec, s[6:7]
	v_lshrrev_b32_e32 v7, 24, v7
	s_movk_i32 s6, 0x80
	v_and_or_b32 v7, v7, s6, v8
	global_store_byte v[5:6], v7, off
.LBB208_1721:
	s_mov_b64 s[6:7], 0
	s_mov_b64 s[10:11], -1
.LBB208_1722:
	s_andn2_b64 vcc, exec, s[6:7]
	s_mov_b64 s[6:7], 0
	s_cbranch_vccnz .LBB208_1729
; %bb.1723:
	s_cmp_gt_i32 s19, 14
	s_mov_b64 s[12:13], -1
	s_cbranch_scc0 .LBB208_1727
; %bb.1724:
	s_cmp_eq_u32 s19, 15
	s_mov_b64 s[0:1], -1
	s_cbranch_scc0 .LBB208_1726
; %bb.1725:
	v_cvt_f32_f16_e32 v7, v1
	s_movk_i32 s0, 0x7fff
	v_cmp_o_f16_e32 vcc, v1, v1
	v_mov_b32_e32 v8, 0x7fc0
	v_bfe_u32 v11, v7, 16, 1
	v_add3_u32 v7, v7, v11, s0
	v_cndmask_b32_sdwa v7, v8, v7, vcc dst_sel:DWORD dst_unused:UNUSED_PAD src0_sel:DWORD src1_sel:WORD_1
	global_store_short v[5:6], v7, off
	s_mov_b64 s[0:1], 0
	s_mov_b64 s[10:11], -1
.LBB208_1726:
	s_mov_b64 s[12:13], 0
.LBB208_1727:
	s_and_b64 vcc, exec, s[12:13]
	s_cbranch_vccz .LBB208_1729
; %bb.1728:
	s_cmp_lg_u32 s19, 11
	s_mov_b64 s[6:7], -1
	s_cselect_b64 s[0:1], -1, 0
.LBB208_1729:
	s_and_b64 vcc, exec, s[0:1]
	s_cbranch_vccnz .LBB208_2137
; %bb.1730:
	s_andn2_b64 vcc, exec, s[6:7]
	s_cbranch_vccnz .LBB208_1732
.LBB208_1731:
	v_and_b32_e32 v7, 0x7fff, v1
	v_cmp_ne_u16_e32 vcc, 0, v7
	v_cndmask_b32_e64 v7, 0, 1, vcc
	s_mov_b64 s[10:11], -1
	global_store_byte v[5:6], v7, off
.LBB208_1732:
	s_mov_b64 s[0:1], 0
	s_branch .LBB208_1734
.LBB208_1733:
	s_mov_b64 s[0:1], -1
	s_mov_b64 s[10:11], 0
.LBB208_1734:
	s_and_b64 vcc, exec, s[0:1]
	s_cbranch_vccz .LBB208_1773
; %bb.1735:
	s_and_b32 s6, 0xffff, s18
	s_cmp_lt_i32 s6, 5
	s_mov_b64 s[0:1], -1
	s_cbranch_scc1 .LBB208_1756
; %bb.1736:
	s_cmp_lt_i32 s6, 8
	s_cbranch_scc1 .LBB208_1746
; %bb.1737:
	s_cmp_lt_i32 s6, 9
	s_cbranch_scc1 .LBB208_1743
; %bb.1738:
	s_cmp_gt_i32 s6, 9
	s_cbranch_scc0 .LBB208_1740
; %bb.1739:
	v_cvt_f32_f16_e32 v7, v1
	v_mov_b32_e32 v13, 0
	v_mov_b32_e32 v14, v13
	s_mov_b64 s[0:1], 0
	v_cvt_f64_f32_e32 v[11:12], v7
	global_store_dwordx4 v[5:6], v[11:14], off
.LBB208_1740:
	s_andn2_b64 vcc, exec, s[0:1]
	s_cbranch_vccnz .LBB208_1742
; %bb.1741:
	v_cvt_f32_f16_e32 v7, v1
	v_mov_b32_e32 v8, 0
	global_store_dwordx2 v[5:6], v[7:8], off
.LBB208_1742:
	s_mov_b64 s[0:1], 0
.LBB208_1743:
	s_andn2_b64 vcc, exec, s[0:1]
	s_cbranch_vccnz .LBB208_1745
; %bb.1744:
	v_and_b32_e32 v7, 0xffff, v1
	global_store_dword v[5:6], v7, off
.LBB208_1745:
	s_mov_b64 s[0:1], 0
.LBB208_1746:
	s_andn2_b64 vcc, exec, s[0:1]
	s_cbranch_vccnz .LBB208_1755
; %bb.1747:
	s_cmp_lt_i32 s6, 6
	s_mov_b64 s[0:1], -1
	s_cbranch_scc1 .LBB208_1753
; %bb.1748:
	s_cmp_gt_i32 s6, 6
	s_cbranch_scc0 .LBB208_1750
; %bb.1749:
	v_cvt_f32_f16_e32 v7, v1
	s_mov_b64 s[0:1], 0
	v_cvt_f64_f32_e32 v[7:8], v7
	global_store_dwordx2 v[5:6], v[7:8], off
.LBB208_1750:
	s_andn2_b64 vcc, exec, s[0:1]
	s_cbranch_vccnz .LBB208_1752
; %bb.1751:
	v_cvt_f32_f16_e32 v7, v1
	global_store_dword v[5:6], v7, off
.LBB208_1752:
	s_mov_b64 s[0:1], 0
.LBB208_1753:
	s_andn2_b64 vcc, exec, s[0:1]
	s_cbranch_vccnz .LBB208_1755
; %bb.1754:
	global_store_short v[5:6], v1, off
.LBB208_1755:
	s_mov_b64 s[0:1], 0
.LBB208_1756:
	s_andn2_b64 vcc, exec, s[0:1]
	s_cbranch_vccnz .LBB208_1772
; %bb.1757:
	s_cmp_lt_i32 s6, 2
	s_mov_b64 s[0:1], -1
	s_cbranch_scc1 .LBB208_1767
; %bb.1758:
	s_cmp_lt_i32 s6, 3
	s_cbranch_scc1 .LBB208_1764
; %bb.1759:
	s_cmp_gt_i32 s6, 3
	s_cbranch_scc0 .LBB208_1761
; %bb.1760:
	v_cvt_f32_f16_e32 v7, v1
	s_mov_b64 s[0:1], 0
	v_cvt_i32_f32_e32 v7, v7
	v_ashrrev_i32_e32 v8, 31, v7
	global_store_dwordx2 v[5:6], v[7:8], off
.LBB208_1761:
	s_andn2_b64 vcc, exec, s[0:1]
	s_cbranch_vccnz .LBB208_1763
; %bb.1762:
	v_cvt_f32_f16_e32 v7, v1
	v_cvt_i32_f32_e32 v7, v7
	global_store_dword v[5:6], v7, off
.LBB208_1763:
	s_mov_b64 s[0:1], 0
.LBB208_1764:
	s_andn2_b64 vcc, exec, s[0:1]
	s_cbranch_vccnz .LBB208_1766
; %bb.1765:
	v_cvt_i16_f16_e32 v7, v1
	global_store_short v[5:6], v7, off
.LBB208_1766:
	s_mov_b64 s[0:1], 0
.LBB208_1767:
	s_andn2_b64 vcc, exec, s[0:1]
	s_cbranch_vccnz .LBB208_1772
; %bb.1768:
	s_cmp_gt_i32 s6, 0
	s_mov_b64 s[0:1], -1
	s_cbranch_scc0 .LBB208_1770
; %bb.1769:
	v_cvt_i16_f16_e32 v7, v1
	global_store_byte v[5:6], v7, off
	s_mov_b64 s[0:1], 0
.LBB208_1770:
	s_andn2_b64 vcc, exec, s[0:1]
	s_cbranch_vccnz .LBB208_1772
; %bb.1771:
	v_cvt_f32_f16_e32 v1, v1
	v_cvt_i32_f32_e32 v1, v1
	global_store_byte v[5:6], v1, off
.LBB208_1772:
	s_mov_b64 s[10:11], -1
.LBB208_1773:
	s_andn2_b64 vcc, exec, s[10:11]
	s_cbranch_vccnz .LBB208_2088
; %bb.1774:
	s_lshr_b32 s0, s16, 16
	v_mov_b32_e32 v1, s5
	v_mov_b32_e32 v5, s17
	s_waitcnt vmcnt(0)
	v_cmp_ge_f16_e32 vcc, s4, v3
	s_and_b32 s16, s0, 0xff
	v_cndmask_b32_e32 v1, v1, v5, vcc
	v_mov_b32_e32 v5, s9
	v_add_co_u32_e32 v3, vcc, s8, v4
	s_cmp_lt_i32 s16, 11
	v_addc_co_u32_e32 v4, vcc, 0, v5, vcc
	s_cbranch_scc1 .LBB208_1852
; %bb.1775:
	s_and_b32 s18, 0xffff, s16
	s_mov_b64 s[12:13], -1
	s_mov_b64 s[6:7], 0
	s_cmp_gt_i32 s18, 25
	s_mov_b64 s[10:11], 0
	s_mov_b64 s[0:1], 0
	s_cbranch_scc0 .LBB208_1808
; %bb.1776:
	s_cmp_gt_i32 s18, 28
	s_cbranch_scc0 .LBB208_1791
; %bb.1777:
	s_cmp_gt_i32 s18, 43
	;; [unrolled: 3-line block ×3, first 2 shown]
	s_cbranch_scc0 .LBB208_1781
; %bb.1779:
	s_mov_b64 s[0:1], -1
	s_mov_b64 s[12:13], 0
	s_cmp_eq_u32 s18, 46
	s_cbranch_scc0 .LBB208_1781
; %bb.1780:
	v_cvt_f32_f16_e32 v5, v1
	s_movk_i32 s0, 0x7fff
	v_cmp_o_f16_e32 vcc, v1, v1
	v_mov_b32_e32 v6, 0x7fc0
	v_bfe_u32 v7, v5, 16, 1
	v_add3_u32 v5, v5, v7, s0
	v_cndmask_b32_sdwa v5, v6, v5, vcc dst_sel:DWORD dst_unused:UNUSED_PAD src0_sel:DWORD src1_sel:WORD_1
	global_store_dword v[3:4], v5, off
	s_mov_b64 s[0:1], 0
	s_mov_b64 s[10:11], -1
.LBB208_1781:
	s_and_b64 vcc, exec, s[12:13]
	s_cbranch_vccz .LBB208_1786
; %bb.1782:
	s_cmp_eq_u32 s18, 44
	s_mov_b64 s[0:1], -1
	s_cbranch_scc0 .LBB208_1786
; %bb.1783:
	v_cvt_f32_f16_e32 v5, v1
	s_movk_i32 s0, 0xff
	v_mov_b32_e32 v7, 0xff
	v_bfe_u32 v6, v5, 23, 8
	v_cmp_ne_u32_e32 vcc, s0, v6
	s_and_saveexec_b64 s[10:11], vcc
; %bb.1784:
	s_mov_b32 s0, 0x3fffff
	v_lshrrev_b32_e32 v7, 23, v5
	v_and_b32_e32 v8, 0x400000, v5
	v_and_or_b32 v5, v5, s0, v6
	v_cmp_ne_u32_e32 vcc, 0, v8
	v_cmp_ne_u32_e64 s[0:1], 0, v5
	s_and_b64 s[0:1], vcc, s[0:1]
	v_cndmask_b32_e64 v5, 0, 1, s[0:1]
	v_add_u32_e32 v7, v7, v5
; %bb.1785:
	s_or_b64 exec, exec, s[10:11]
	s_mov_b64 s[0:1], 0
	s_mov_b64 s[10:11], -1
	global_store_byte v[3:4], v7, off
.LBB208_1786:
	s_mov_b64 s[12:13], 0
.LBB208_1787:
	s_and_b64 vcc, exec, s[12:13]
	s_cbranch_vccz .LBB208_1790
; %bb.1788:
	s_cmp_eq_u32 s18, 29
	s_mov_b64 s[0:1], -1
	s_cbranch_scc0 .LBB208_1790
; %bb.1789:
	v_cvt_f32_f16_e32 v5, v1
	v_mov_b32_e32 v6, 0
	s_mov_b64 s[0:1], 0
	s_mov_b64 s[10:11], -1
	v_cvt_u32_f32_e32 v5, v5
	global_store_dwordx2 v[3:4], v[5:6], off
.LBB208_1790:
	s_mov_b64 s[12:13], 0
.LBB208_1791:
	s_and_b64 vcc, exec, s[12:13]
	s_cbranch_vccz .LBB208_1807
; %bb.1792:
	s_cmp_lt_i32 s18, 27
	s_mov_b64 s[10:11], -1
	s_cbranch_scc1 .LBB208_1798
; %bb.1793:
	s_cmp_gt_i32 s18, 27
	s_cbranch_scc0 .LBB208_1795
; %bb.1794:
	v_cvt_f32_f16_e32 v5, v1
	s_mov_b64 s[10:11], 0
	v_cvt_u32_f32_e32 v5, v5
	global_store_dword v[3:4], v5, off
.LBB208_1795:
	s_andn2_b64 vcc, exec, s[10:11]
	s_cbranch_vccnz .LBB208_1797
; %bb.1796:
	v_cvt_u16_f16_e32 v5, v1
	global_store_short v[3:4], v5, off
.LBB208_1797:
	s_mov_b64 s[10:11], 0
.LBB208_1798:
	s_andn2_b64 vcc, exec, s[10:11]
	s_cbranch_vccnz .LBB208_1806
; %bb.1799:
	v_cvt_f32_f16_e32 v5, v1
	s_mov_b32 s10, 0x43800000
	v_mov_b32_e32 v7, 0x80
	v_and_b32_e32 v6, 0x7fffffff, v5
	v_cmp_gt_u32_e32 vcc, s10, v6
	s_and_saveexec_b64 s[10:11], vcc
	s_cbranch_execz .LBB208_1805
; %bb.1800:
	s_mov_b32 s12, 0x3bffffff
	v_cmp_lt_u32_e32 vcc, s12, v6
	s_mov_b64 s[12:13], 0
                                        ; implicit-def: $vgpr6
	s_and_saveexec_b64 s[14:15], vcc
	s_xor_b64 s[14:15], exec, s[14:15]
	s_cbranch_execz .LBB208_2140
; %bb.1801:
	v_bfe_u32 v6, v5, 20, 1
	s_mov_b32 s19, 0x487ffff
	v_add3_u32 v6, v5, v6, s19
	s_mov_b64 s[12:13], exec
	v_lshrrev_b32_e32 v6, 20, v6
	s_andn2_saveexec_b64 s[14:15], s[14:15]
	s_cbranch_execnz .LBB208_2141
.LBB208_1802:
	s_or_b64 exec, exec, s[14:15]
	v_mov_b32_e32 v7, 0
	s_and_saveexec_b64 s[14:15], s[12:13]
.LBB208_1803:
	v_lshrrev_b32_e32 v5, 24, v5
	s_movk_i32 s12, 0x80
	v_and_or_b32 v7, v5, s12, v6
.LBB208_1804:
	s_or_b64 exec, exec, s[14:15]
.LBB208_1805:
	s_or_b64 exec, exec, s[10:11]
	global_store_byte v[3:4], v7, off
.LBB208_1806:
	s_mov_b64 s[10:11], -1
.LBB208_1807:
	s_mov_b64 s[12:13], 0
.LBB208_1808:
	s_and_b64 vcc, exec, s[12:13]
	s_cbranch_vccz .LBB208_1848
; %bb.1809:
	s_cmp_gt_i32 s18, 22
	s_mov_b64 s[6:7], -1
	s_cbranch_scc0 .LBB208_1841
; %bb.1810:
	s_cmp_lt_i32 s18, 24
	s_cbranch_scc1 .LBB208_1830
; %bb.1811:
	s_cmp_gt_i32 s18, 24
	s_cbranch_scc0 .LBB208_1819
; %bb.1812:
	v_cvt_f32_f16_e32 v5, v1
	s_mov_b32 s6, 0x47800000
	v_mov_b32_e32 v7, 0x80
	v_and_b32_e32 v6, 0x7fffffff, v5
	v_cmp_gt_u32_e32 vcc, s6, v6
	s_and_saveexec_b64 s[6:7], vcc
	s_cbranch_execz .LBB208_1818
; %bb.1813:
	s_mov_b32 s10, 0x37ffffff
	v_cmp_lt_u32_e32 vcc, s10, v6
	s_mov_b64 s[10:11], 0
                                        ; implicit-def: $vgpr6
	s_and_saveexec_b64 s[12:13], vcc
	s_xor_b64 s[12:13], exec, s[12:13]
	s_cbranch_execz .LBB208_2143
; %bb.1814:
	v_bfe_u32 v6, v5, 21, 1
	s_mov_b32 s14, 0x88fffff
	v_add3_u32 v6, v5, v6, s14
	s_mov_b64 s[10:11], exec
	v_lshrrev_b32_e32 v6, 21, v6
	s_andn2_saveexec_b64 s[12:13], s[12:13]
	s_cbranch_execnz .LBB208_2144
.LBB208_1815:
	s_or_b64 exec, exec, s[12:13]
	v_mov_b32_e32 v7, 0
	s_and_saveexec_b64 s[12:13], s[10:11]
.LBB208_1816:
	v_lshrrev_b32_e32 v5, 24, v5
	s_movk_i32 s10, 0x80
	v_and_or_b32 v7, v5, s10, v6
.LBB208_1817:
	s_or_b64 exec, exec, s[12:13]
.LBB208_1818:
	s_or_b64 exec, exec, s[6:7]
	s_mov_b64 s[6:7], 0
	global_store_byte v[3:4], v7, off
.LBB208_1819:
	s_and_b64 vcc, exec, s[6:7]
	s_cbranch_vccz .LBB208_1829
; %bb.1820:
	v_cvt_f32_f16_e32 v5, v1
	s_mov_b32 s6, 0x43f00000
                                        ; implicit-def: $vgpr6
	v_and_b32_e32 v7, 0x7fffffff, v5
	v_cmp_gt_u32_e32 vcc, s6, v7
	s_and_saveexec_b64 s[6:7], vcc
	s_xor_b64 s[6:7], exec, s[6:7]
	s_cbranch_execz .LBB208_1826
; %bb.1821:
	s_mov_b32 s10, 0x3c7fffff
	v_cmp_lt_u32_e32 vcc, s10, v7
                                        ; implicit-def: $vgpr6
	s_and_saveexec_b64 s[10:11], vcc
	s_xor_b64 s[10:11], exec, s[10:11]
; %bb.1822:
	v_bfe_u32 v6, v5, 20, 1
	s_mov_b32 s12, 0x407ffff
	v_add3_u32 v6, v5, v6, s12
	v_lshrrev_b32_e32 v7, 20, v6
	v_and_b32_e32 v6, 0xff00000, v6
	s_mov_b32 s12, 0x7f00000
	v_mov_b32_e32 v8, 0x7e
	v_cmp_ne_u32_e32 vcc, s12, v6
	v_cndmask_b32_e32 v6, v8, v7, vcc
; %bb.1823:
	s_andn2_saveexec_b64 s[10:11], s[10:11]
; %bb.1824:
	s_mov_b32 s12, 0x46800000
	v_add_f32_e64 v6, |v5|, s12
; %bb.1825:
	s_or_b64 exec, exec, s[10:11]
                                        ; implicit-def: $vgpr7
.LBB208_1826:
	s_andn2_saveexec_b64 s[6:7], s[6:7]
; %bb.1827:
	s_mov_b32 s10, 0x7f800000
	v_mov_b32_e32 v6, 0x7e
	v_mov_b32_e32 v8, 0x7f
	v_cmp_lt_u32_e32 vcc, s10, v7
	v_cndmask_b32_e32 v6, v6, v8, vcc
; %bb.1828:
	s_or_b64 exec, exec, s[6:7]
	v_lshrrev_b32_e32 v5, 24, v5
	s_movk_i32 s6, 0x80
	v_and_or_b32 v5, v5, s6, v6
	global_store_byte v[3:4], v5, off
.LBB208_1829:
	s_mov_b64 s[6:7], 0
.LBB208_1830:
	s_andn2_b64 vcc, exec, s[6:7]
	s_cbranch_vccnz .LBB208_1840
; %bb.1831:
	v_cvt_f32_f16_e32 v5, v1
	s_mov_b32 s6, 0x47800000
                                        ; implicit-def: $vgpr6
	v_and_b32_e32 v7, 0x7fffffff, v5
	v_cmp_gt_u32_e32 vcc, s6, v7
	s_and_saveexec_b64 s[6:7], vcc
	s_xor_b64 s[6:7], exec, s[6:7]
	s_cbranch_execz .LBB208_1837
; %bb.1832:
	s_mov_b32 s10, 0x387fffff
	v_cmp_lt_u32_e32 vcc, s10, v7
                                        ; implicit-def: $vgpr6
	s_and_saveexec_b64 s[10:11], vcc
	s_xor_b64 s[10:11], exec, s[10:11]
; %bb.1833:
	v_bfe_u32 v6, v5, 21, 1
	s_mov_b32 s12, 0x80fffff
	v_add3_u32 v6, v5, v6, s12
	v_lshrrev_b32_e32 v6, 21, v6
; %bb.1834:
	s_andn2_saveexec_b64 s[10:11], s[10:11]
; %bb.1835:
	s_mov_b32 s12, 0x43000000
	v_add_f32_e64 v6, |v5|, s12
; %bb.1836:
	s_or_b64 exec, exec, s[10:11]
                                        ; implicit-def: $vgpr7
.LBB208_1837:
	s_andn2_saveexec_b64 s[6:7], s[6:7]
; %bb.1838:
	s_mov_b32 s10, 0x7f800000
	v_mov_b32_e32 v6, 0x7c
	v_mov_b32_e32 v8, 0x7f
	v_cmp_lt_u32_e32 vcc, s10, v7
	v_cndmask_b32_e32 v6, v6, v8, vcc
; %bb.1839:
	s_or_b64 exec, exec, s[6:7]
	v_lshrrev_b32_e32 v5, 24, v5
	s_movk_i32 s6, 0x80
	v_and_or_b32 v5, v5, s6, v6
	global_store_byte v[3:4], v5, off
.LBB208_1840:
	s_mov_b64 s[6:7], 0
	s_mov_b64 s[10:11], -1
.LBB208_1841:
	s_andn2_b64 vcc, exec, s[6:7]
	s_mov_b64 s[6:7], 0
	s_cbranch_vccnz .LBB208_1848
; %bb.1842:
	s_cmp_gt_i32 s18, 14
	s_mov_b64 s[12:13], -1
	s_cbranch_scc0 .LBB208_1846
; %bb.1843:
	s_cmp_eq_u32 s18, 15
	s_mov_b64 s[0:1], -1
	s_cbranch_scc0 .LBB208_1845
; %bb.1844:
	v_cvt_f32_f16_e32 v5, v1
	s_movk_i32 s0, 0x7fff
	v_cmp_o_f16_e32 vcc, v1, v1
	v_mov_b32_e32 v6, 0x7fc0
	v_bfe_u32 v7, v5, 16, 1
	v_add3_u32 v5, v5, v7, s0
	v_cndmask_b32_sdwa v5, v6, v5, vcc dst_sel:DWORD dst_unused:UNUSED_PAD src0_sel:DWORD src1_sel:WORD_1
	global_store_short v[3:4], v5, off
	s_mov_b64 s[0:1], 0
	s_mov_b64 s[10:11], -1
.LBB208_1845:
	s_mov_b64 s[12:13], 0
.LBB208_1846:
	s_and_b64 vcc, exec, s[12:13]
	s_cbranch_vccz .LBB208_1848
; %bb.1847:
	s_cmp_lg_u32 s18, 11
	s_mov_b64 s[6:7], -1
	s_cselect_b64 s[0:1], -1, 0
.LBB208_1848:
	s_and_b64 vcc, exec, s[0:1]
	s_cbranch_vccnz .LBB208_2142
; %bb.1849:
	s_andn2_b64 vcc, exec, s[6:7]
	s_cbranch_vccnz .LBB208_1851
.LBB208_1850:
	v_and_b32_e32 v5, 0x7fff, v1
	v_cmp_ne_u16_e32 vcc, 0, v5
	v_cndmask_b32_e64 v5, 0, 1, vcc
	s_mov_b64 s[10:11], -1
	global_store_byte v[3:4], v5, off
.LBB208_1851:
	s_mov_b64 s[0:1], 0
	s_branch .LBB208_1853
.LBB208_1852:
	s_mov_b64 s[0:1], -1
	s_mov_b64 s[10:11], 0
.LBB208_1853:
	s_and_b64 vcc, exec, s[0:1]
	s_cbranch_vccz .LBB208_1892
; %bb.1854:
	s_and_b32 s6, 0xffff, s16
	s_cmp_lt_i32 s6, 5
	s_mov_b64 s[0:1], -1
	s_cbranch_scc1 .LBB208_1875
; %bb.1855:
	s_cmp_lt_i32 s6, 8
	s_cbranch_scc1 .LBB208_1865
; %bb.1856:
	s_cmp_lt_i32 s6, 9
	s_cbranch_scc1 .LBB208_1862
; %bb.1857:
	s_cmp_gt_i32 s6, 9
	s_cbranch_scc0 .LBB208_1859
; %bb.1858:
	v_cvt_f32_f16_e32 v5, v1
	v_mov_b32_e32 v7, 0
	v_mov_b32_e32 v8, v7
	s_mov_b64 s[0:1], 0
	v_cvt_f64_f32_e32 v[5:6], v5
	global_store_dwordx4 v[3:4], v[5:8], off
.LBB208_1859:
	s_andn2_b64 vcc, exec, s[0:1]
	s_cbranch_vccnz .LBB208_1861
; %bb.1860:
	v_cvt_f32_f16_e32 v5, v1
	v_mov_b32_e32 v6, 0
	global_store_dwordx2 v[3:4], v[5:6], off
.LBB208_1861:
	s_mov_b64 s[0:1], 0
.LBB208_1862:
	s_andn2_b64 vcc, exec, s[0:1]
	s_cbranch_vccnz .LBB208_1864
; %bb.1863:
	v_and_b32_e32 v5, 0xffff, v1
	global_store_dword v[3:4], v5, off
.LBB208_1864:
	s_mov_b64 s[0:1], 0
.LBB208_1865:
	s_andn2_b64 vcc, exec, s[0:1]
	s_cbranch_vccnz .LBB208_1874
; %bb.1866:
	s_cmp_lt_i32 s6, 6
	s_mov_b64 s[0:1], -1
	s_cbranch_scc1 .LBB208_1872
; %bb.1867:
	s_cmp_gt_i32 s6, 6
	s_cbranch_scc0 .LBB208_1869
; %bb.1868:
	v_cvt_f32_f16_e32 v5, v1
	s_mov_b64 s[0:1], 0
	v_cvt_f64_f32_e32 v[5:6], v5
	global_store_dwordx2 v[3:4], v[5:6], off
.LBB208_1869:
	s_andn2_b64 vcc, exec, s[0:1]
	s_cbranch_vccnz .LBB208_1871
; %bb.1870:
	v_cvt_f32_f16_e32 v5, v1
	global_store_dword v[3:4], v5, off
.LBB208_1871:
	s_mov_b64 s[0:1], 0
.LBB208_1872:
	s_andn2_b64 vcc, exec, s[0:1]
	s_cbranch_vccnz .LBB208_1874
; %bb.1873:
	global_store_short v[3:4], v1, off
.LBB208_1874:
	s_mov_b64 s[0:1], 0
.LBB208_1875:
	s_andn2_b64 vcc, exec, s[0:1]
	s_cbranch_vccnz .LBB208_1891
; %bb.1876:
	s_cmp_lt_i32 s6, 2
	s_mov_b64 s[0:1], -1
	s_cbranch_scc1 .LBB208_1886
; %bb.1877:
	s_cmp_lt_i32 s6, 3
	s_cbranch_scc1 .LBB208_1883
; %bb.1878:
	s_cmp_gt_i32 s6, 3
	s_cbranch_scc0 .LBB208_1880
; %bb.1879:
	v_cvt_f32_f16_e32 v5, v1
	s_mov_b64 s[0:1], 0
	v_cvt_i32_f32_e32 v5, v5
	v_ashrrev_i32_e32 v6, 31, v5
	global_store_dwordx2 v[3:4], v[5:6], off
.LBB208_1880:
	s_andn2_b64 vcc, exec, s[0:1]
	s_cbranch_vccnz .LBB208_1882
; %bb.1881:
	v_cvt_f32_f16_e32 v5, v1
	v_cvt_i32_f32_e32 v5, v5
	global_store_dword v[3:4], v5, off
.LBB208_1882:
	s_mov_b64 s[0:1], 0
.LBB208_1883:
	s_andn2_b64 vcc, exec, s[0:1]
	s_cbranch_vccnz .LBB208_1885
; %bb.1884:
	v_cvt_i16_f16_e32 v5, v1
	global_store_short v[3:4], v5, off
.LBB208_1885:
	s_mov_b64 s[0:1], 0
.LBB208_1886:
	s_andn2_b64 vcc, exec, s[0:1]
	s_cbranch_vccnz .LBB208_1891
; %bb.1887:
	s_cmp_gt_i32 s6, 0
	s_mov_b64 s[0:1], -1
	s_cbranch_scc0 .LBB208_1889
; %bb.1888:
	v_cvt_i16_f16_e32 v5, v1
	global_store_byte v[3:4], v5, off
	s_mov_b64 s[0:1], 0
.LBB208_1889:
	s_andn2_b64 vcc, exec, s[0:1]
	s_cbranch_vccnz .LBB208_1891
; %bb.1890:
	v_cvt_f32_f16_e32 v1, v1
	v_cvt_i32_f32_e32 v1, v1
	global_store_byte v[3:4], v1, off
.LBB208_1891:
	s_mov_b64 s[10:11], -1
.LBB208_1892:
	s_andn2_b64 vcc, exec, s[10:11]
	s_cbranch_vccnz .LBB208_2088
; %bb.1893:
	v_mov_b32_e32 v1, s5
	v_mov_b32_e32 v3, s17
	v_cmp_ge_f16_e32 vcc, s4, v10
	v_cndmask_b32_e32 v3, v1, v3, vcc
	v_mov_b32_e32 v4, s9
	v_add_co_u32_e32 v1, vcc, s8, v2
	s_cmp_lt_i32 s16, 11
	v_addc_co_u32_e32 v2, vcc, 0, v4, vcc
	s_cbranch_scc1 .LBB208_1971
; %bb.1894:
	s_and_b32 s18, 0xffff, s16
	s_mov_b64 s[12:13], -1
	s_mov_b64 s[6:7], 0
	s_cmp_gt_i32 s18, 25
	s_mov_b64 s[10:11], 0
	s_mov_b64 s[0:1], 0
	s_cbranch_scc0 .LBB208_1927
; %bb.1895:
	s_cmp_gt_i32 s18, 28
	s_cbranch_scc0 .LBB208_1910
; %bb.1896:
	s_cmp_gt_i32 s18, 43
	;; [unrolled: 3-line block ×3, first 2 shown]
	s_cbranch_scc0 .LBB208_1900
; %bb.1898:
	s_mov_b64 s[0:1], -1
	s_mov_b64 s[12:13], 0
	s_cmp_eq_u32 s18, 46
	s_cbranch_scc0 .LBB208_1900
; %bb.1899:
	v_cvt_f32_f16_e32 v4, v3
	s_movk_i32 s0, 0x7fff
	v_cmp_o_f16_e32 vcc, v3, v3
	v_mov_b32_e32 v5, 0x7fc0
	v_bfe_u32 v6, v4, 16, 1
	v_add3_u32 v4, v4, v6, s0
	v_cndmask_b32_sdwa v4, v5, v4, vcc dst_sel:DWORD dst_unused:UNUSED_PAD src0_sel:DWORD src1_sel:WORD_1
	global_store_dword v[1:2], v4, off
	s_mov_b64 s[0:1], 0
	s_mov_b64 s[10:11], -1
.LBB208_1900:
	s_and_b64 vcc, exec, s[12:13]
	s_cbranch_vccz .LBB208_1905
; %bb.1901:
	s_cmp_eq_u32 s18, 44
	s_mov_b64 s[0:1], -1
	s_cbranch_scc0 .LBB208_1905
; %bb.1902:
	v_cvt_f32_f16_e32 v4, v3
	s_movk_i32 s0, 0xff
	v_mov_b32_e32 v6, 0xff
	v_bfe_u32 v5, v4, 23, 8
	v_cmp_ne_u32_e32 vcc, s0, v5
	s_and_saveexec_b64 s[10:11], vcc
; %bb.1903:
	s_mov_b32 s0, 0x3fffff
	v_lshrrev_b32_e32 v6, 23, v4
	v_and_b32_e32 v7, 0x400000, v4
	v_and_or_b32 v4, v4, s0, v5
	v_cmp_ne_u32_e32 vcc, 0, v7
	v_cmp_ne_u32_e64 s[0:1], 0, v4
	s_and_b64 s[0:1], vcc, s[0:1]
	v_cndmask_b32_e64 v4, 0, 1, s[0:1]
	v_add_u32_e32 v6, v6, v4
; %bb.1904:
	s_or_b64 exec, exec, s[10:11]
	s_mov_b64 s[0:1], 0
	s_mov_b64 s[10:11], -1
	global_store_byte v[1:2], v6, off
.LBB208_1905:
	s_mov_b64 s[12:13], 0
.LBB208_1906:
	s_and_b64 vcc, exec, s[12:13]
	s_cbranch_vccz .LBB208_1909
; %bb.1907:
	s_cmp_eq_u32 s18, 29
	s_mov_b64 s[0:1], -1
	s_cbranch_scc0 .LBB208_1909
; %bb.1908:
	v_cvt_f32_f16_e32 v4, v3
	v_mov_b32_e32 v5, 0
	s_mov_b64 s[0:1], 0
	s_mov_b64 s[10:11], -1
	v_cvt_u32_f32_e32 v4, v4
	global_store_dwordx2 v[1:2], v[4:5], off
.LBB208_1909:
	s_mov_b64 s[12:13], 0
.LBB208_1910:
	s_and_b64 vcc, exec, s[12:13]
	s_cbranch_vccz .LBB208_1926
; %bb.1911:
	s_cmp_lt_i32 s18, 27
	s_mov_b64 s[10:11], -1
	s_cbranch_scc1 .LBB208_1917
; %bb.1912:
	s_cmp_gt_i32 s18, 27
	s_cbranch_scc0 .LBB208_1914
; %bb.1913:
	v_cvt_f32_f16_e32 v4, v3
	s_mov_b64 s[10:11], 0
	v_cvt_u32_f32_e32 v4, v4
	global_store_dword v[1:2], v4, off
.LBB208_1914:
	s_andn2_b64 vcc, exec, s[10:11]
	s_cbranch_vccnz .LBB208_1916
; %bb.1915:
	v_cvt_u16_f16_e32 v4, v3
	global_store_short v[1:2], v4, off
.LBB208_1916:
	s_mov_b64 s[10:11], 0
.LBB208_1917:
	s_andn2_b64 vcc, exec, s[10:11]
	s_cbranch_vccnz .LBB208_1925
; %bb.1918:
	v_cvt_f32_f16_e32 v4, v3
	s_mov_b32 s10, 0x43800000
	v_mov_b32_e32 v6, 0x80
	v_and_b32_e32 v5, 0x7fffffff, v4
	v_cmp_gt_u32_e32 vcc, s10, v5
	s_and_saveexec_b64 s[10:11], vcc
	s_cbranch_execz .LBB208_1924
; %bb.1919:
	s_mov_b32 s12, 0x3bffffff
	v_cmp_lt_u32_e32 vcc, s12, v5
	s_mov_b64 s[12:13], 0
                                        ; implicit-def: $vgpr5
	s_and_saveexec_b64 s[14:15], vcc
	s_xor_b64 s[14:15], exec, s[14:15]
	s_cbranch_execz .LBB208_2145
; %bb.1920:
	v_bfe_u32 v5, v4, 20, 1
	s_mov_b32 s19, 0x487ffff
	v_add3_u32 v5, v4, v5, s19
	s_mov_b64 s[12:13], exec
	v_lshrrev_b32_e32 v5, 20, v5
	s_andn2_saveexec_b64 s[14:15], s[14:15]
	s_cbranch_execnz .LBB208_2146
.LBB208_1921:
	s_or_b64 exec, exec, s[14:15]
	v_mov_b32_e32 v6, 0
	s_and_saveexec_b64 s[14:15], s[12:13]
.LBB208_1922:
	v_lshrrev_b32_e32 v4, 24, v4
	s_movk_i32 s12, 0x80
	v_and_or_b32 v6, v4, s12, v5
.LBB208_1923:
	s_or_b64 exec, exec, s[14:15]
.LBB208_1924:
	s_or_b64 exec, exec, s[10:11]
	global_store_byte v[1:2], v6, off
.LBB208_1925:
	s_mov_b64 s[10:11], -1
.LBB208_1926:
	s_mov_b64 s[12:13], 0
.LBB208_1927:
	s_and_b64 vcc, exec, s[12:13]
	s_cbranch_vccz .LBB208_1967
; %bb.1928:
	s_cmp_gt_i32 s18, 22
	s_mov_b64 s[6:7], -1
	s_cbranch_scc0 .LBB208_1960
; %bb.1929:
	s_cmp_lt_i32 s18, 24
	s_cbranch_scc1 .LBB208_1949
; %bb.1930:
	s_cmp_gt_i32 s18, 24
	s_cbranch_scc0 .LBB208_1938
; %bb.1931:
	v_cvt_f32_f16_e32 v4, v3
	s_mov_b32 s6, 0x47800000
	v_mov_b32_e32 v6, 0x80
	v_and_b32_e32 v5, 0x7fffffff, v4
	v_cmp_gt_u32_e32 vcc, s6, v5
	s_and_saveexec_b64 s[6:7], vcc
	s_cbranch_execz .LBB208_1937
; %bb.1932:
	s_mov_b32 s10, 0x37ffffff
	v_cmp_lt_u32_e32 vcc, s10, v5
	s_mov_b64 s[10:11], 0
                                        ; implicit-def: $vgpr5
	s_and_saveexec_b64 s[12:13], vcc
	s_xor_b64 s[12:13], exec, s[12:13]
	s_cbranch_execz .LBB208_2148
; %bb.1933:
	v_bfe_u32 v5, v4, 21, 1
	s_mov_b32 s14, 0x88fffff
	v_add3_u32 v5, v4, v5, s14
	s_mov_b64 s[10:11], exec
	v_lshrrev_b32_e32 v5, 21, v5
	s_andn2_saveexec_b64 s[12:13], s[12:13]
	s_cbranch_execnz .LBB208_2149
.LBB208_1934:
	s_or_b64 exec, exec, s[12:13]
	v_mov_b32_e32 v6, 0
	s_and_saveexec_b64 s[12:13], s[10:11]
.LBB208_1935:
	v_lshrrev_b32_e32 v4, 24, v4
	s_movk_i32 s10, 0x80
	v_and_or_b32 v6, v4, s10, v5
.LBB208_1936:
	s_or_b64 exec, exec, s[12:13]
.LBB208_1937:
	s_or_b64 exec, exec, s[6:7]
	s_mov_b64 s[6:7], 0
	global_store_byte v[1:2], v6, off
.LBB208_1938:
	s_and_b64 vcc, exec, s[6:7]
	s_cbranch_vccz .LBB208_1948
; %bb.1939:
	v_cvt_f32_f16_e32 v4, v3
	s_mov_b32 s6, 0x43f00000
                                        ; implicit-def: $vgpr5
	v_and_b32_e32 v6, 0x7fffffff, v4
	v_cmp_gt_u32_e32 vcc, s6, v6
	s_and_saveexec_b64 s[6:7], vcc
	s_xor_b64 s[6:7], exec, s[6:7]
	s_cbranch_execz .LBB208_1945
; %bb.1940:
	s_mov_b32 s10, 0x3c7fffff
	v_cmp_lt_u32_e32 vcc, s10, v6
                                        ; implicit-def: $vgpr5
	s_and_saveexec_b64 s[10:11], vcc
	s_xor_b64 s[10:11], exec, s[10:11]
; %bb.1941:
	v_bfe_u32 v5, v4, 20, 1
	s_mov_b32 s12, 0x407ffff
	v_add3_u32 v5, v4, v5, s12
	v_lshrrev_b32_e32 v6, 20, v5
	v_and_b32_e32 v5, 0xff00000, v5
	s_mov_b32 s12, 0x7f00000
	v_mov_b32_e32 v7, 0x7e
	v_cmp_ne_u32_e32 vcc, s12, v5
	v_cndmask_b32_e32 v5, v7, v6, vcc
; %bb.1942:
	s_andn2_saveexec_b64 s[10:11], s[10:11]
; %bb.1943:
	s_mov_b32 s12, 0x46800000
	v_add_f32_e64 v5, |v4|, s12
; %bb.1944:
	s_or_b64 exec, exec, s[10:11]
                                        ; implicit-def: $vgpr6
.LBB208_1945:
	s_andn2_saveexec_b64 s[6:7], s[6:7]
; %bb.1946:
	s_mov_b32 s10, 0x7f800000
	v_mov_b32_e32 v5, 0x7e
	v_mov_b32_e32 v7, 0x7f
	v_cmp_lt_u32_e32 vcc, s10, v6
	v_cndmask_b32_e32 v5, v5, v7, vcc
; %bb.1947:
	s_or_b64 exec, exec, s[6:7]
	v_lshrrev_b32_e32 v4, 24, v4
	s_movk_i32 s6, 0x80
	v_and_or_b32 v4, v4, s6, v5
	global_store_byte v[1:2], v4, off
.LBB208_1948:
	s_mov_b64 s[6:7], 0
.LBB208_1949:
	s_andn2_b64 vcc, exec, s[6:7]
	s_cbranch_vccnz .LBB208_1959
; %bb.1950:
	v_cvt_f32_f16_e32 v4, v3
	s_mov_b32 s6, 0x47800000
                                        ; implicit-def: $vgpr5
	v_and_b32_e32 v6, 0x7fffffff, v4
	v_cmp_gt_u32_e32 vcc, s6, v6
	s_and_saveexec_b64 s[6:7], vcc
	s_xor_b64 s[6:7], exec, s[6:7]
	s_cbranch_execz .LBB208_1956
; %bb.1951:
	s_mov_b32 s10, 0x387fffff
	v_cmp_lt_u32_e32 vcc, s10, v6
                                        ; implicit-def: $vgpr5
	s_and_saveexec_b64 s[10:11], vcc
	s_xor_b64 s[10:11], exec, s[10:11]
; %bb.1952:
	v_bfe_u32 v5, v4, 21, 1
	s_mov_b32 s12, 0x80fffff
	v_add3_u32 v5, v4, v5, s12
	v_lshrrev_b32_e32 v5, 21, v5
; %bb.1953:
	s_andn2_saveexec_b64 s[10:11], s[10:11]
; %bb.1954:
	s_mov_b32 s12, 0x43000000
	v_add_f32_e64 v5, |v4|, s12
; %bb.1955:
	s_or_b64 exec, exec, s[10:11]
                                        ; implicit-def: $vgpr6
.LBB208_1956:
	s_andn2_saveexec_b64 s[6:7], s[6:7]
; %bb.1957:
	s_mov_b32 s10, 0x7f800000
	v_mov_b32_e32 v5, 0x7c
	v_mov_b32_e32 v7, 0x7f
	v_cmp_lt_u32_e32 vcc, s10, v6
	v_cndmask_b32_e32 v5, v5, v7, vcc
; %bb.1958:
	s_or_b64 exec, exec, s[6:7]
	v_lshrrev_b32_e32 v4, 24, v4
	s_movk_i32 s6, 0x80
	v_and_or_b32 v4, v4, s6, v5
	global_store_byte v[1:2], v4, off
.LBB208_1959:
	s_mov_b64 s[6:7], 0
	s_mov_b64 s[10:11], -1
.LBB208_1960:
	s_andn2_b64 vcc, exec, s[6:7]
	s_mov_b64 s[6:7], 0
	s_cbranch_vccnz .LBB208_1967
; %bb.1961:
	s_cmp_gt_i32 s18, 14
	s_mov_b64 s[12:13], -1
	s_cbranch_scc0 .LBB208_1965
; %bb.1962:
	s_cmp_eq_u32 s18, 15
	s_mov_b64 s[0:1], -1
	s_cbranch_scc0 .LBB208_1964
; %bb.1963:
	v_cvt_f32_f16_e32 v4, v3
	s_movk_i32 s0, 0x7fff
	v_cmp_o_f16_e32 vcc, v3, v3
	v_mov_b32_e32 v5, 0x7fc0
	v_bfe_u32 v6, v4, 16, 1
	v_add3_u32 v4, v4, v6, s0
	v_cndmask_b32_sdwa v4, v5, v4, vcc dst_sel:DWORD dst_unused:UNUSED_PAD src0_sel:DWORD src1_sel:WORD_1
	global_store_short v[1:2], v4, off
	s_mov_b64 s[0:1], 0
	s_mov_b64 s[10:11], -1
.LBB208_1964:
	s_mov_b64 s[12:13], 0
.LBB208_1965:
	s_and_b64 vcc, exec, s[12:13]
	s_cbranch_vccz .LBB208_1967
; %bb.1966:
	s_cmp_lg_u32 s18, 11
	s_mov_b64 s[6:7], -1
	s_cselect_b64 s[0:1], -1, 0
.LBB208_1967:
	s_and_b64 vcc, exec, s[0:1]
	s_cbranch_vccnz .LBB208_2147
; %bb.1968:
	s_andn2_b64 vcc, exec, s[6:7]
	s_cbranch_vccnz .LBB208_1970
.LBB208_1969:
	v_and_b32_e32 v4, 0x7fff, v3
	v_cmp_ne_u16_e32 vcc, 0, v4
	v_cndmask_b32_e64 v4, 0, 1, vcc
	s_mov_b64 s[10:11], -1
	global_store_byte v[1:2], v4, off
.LBB208_1970:
	s_mov_b64 s[0:1], 0
	s_branch .LBB208_1972
.LBB208_1971:
	s_mov_b64 s[0:1], -1
	s_mov_b64 s[10:11], 0
.LBB208_1972:
	s_and_b64 vcc, exec, s[0:1]
	s_cbranch_vccz .LBB208_2011
; %bb.1973:
	s_and_b32 s6, 0xffff, s16
	s_cmp_lt_i32 s6, 5
	s_mov_b64 s[0:1], -1
	s_cbranch_scc1 .LBB208_1994
; %bb.1974:
	s_cmp_lt_i32 s6, 8
	s_cbranch_scc1 .LBB208_1984
; %bb.1975:
	s_cmp_lt_i32 s6, 9
	s_cbranch_scc1 .LBB208_1981
; %bb.1976:
	s_cmp_gt_i32 s6, 9
	s_cbranch_scc0 .LBB208_1978
; %bb.1977:
	v_cvt_f32_f16_e32 v4, v3
	v_mov_b32_e32 v6, 0
	v_mov_b32_e32 v7, v6
	s_mov_b64 s[0:1], 0
	v_cvt_f64_f32_e32 v[4:5], v4
	global_store_dwordx4 v[1:2], v[4:7], off
.LBB208_1978:
	s_andn2_b64 vcc, exec, s[0:1]
	s_cbranch_vccnz .LBB208_1980
; %bb.1979:
	v_cvt_f32_f16_e32 v4, v3
	v_mov_b32_e32 v5, 0
	global_store_dwordx2 v[1:2], v[4:5], off
.LBB208_1980:
	s_mov_b64 s[0:1], 0
.LBB208_1981:
	s_andn2_b64 vcc, exec, s[0:1]
	s_cbranch_vccnz .LBB208_1983
; %bb.1982:
	v_and_b32_e32 v4, 0xffff, v3
	global_store_dword v[1:2], v4, off
.LBB208_1983:
	s_mov_b64 s[0:1], 0
.LBB208_1984:
	s_andn2_b64 vcc, exec, s[0:1]
	s_cbranch_vccnz .LBB208_1993
; %bb.1985:
	s_cmp_lt_i32 s6, 6
	s_mov_b64 s[0:1], -1
	s_cbranch_scc1 .LBB208_1991
; %bb.1986:
	s_cmp_gt_i32 s6, 6
	s_cbranch_scc0 .LBB208_1988
; %bb.1987:
	v_cvt_f32_f16_e32 v4, v3
	s_mov_b64 s[0:1], 0
	v_cvt_f64_f32_e32 v[4:5], v4
	global_store_dwordx2 v[1:2], v[4:5], off
.LBB208_1988:
	s_andn2_b64 vcc, exec, s[0:1]
	s_cbranch_vccnz .LBB208_1990
; %bb.1989:
	v_cvt_f32_f16_e32 v4, v3
	global_store_dword v[1:2], v4, off
.LBB208_1990:
	s_mov_b64 s[0:1], 0
.LBB208_1991:
	s_andn2_b64 vcc, exec, s[0:1]
	s_cbranch_vccnz .LBB208_1993
; %bb.1992:
	global_store_short v[1:2], v3, off
.LBB208_1993:
	s_mov_b64 s[0:1], 0
.LBB208_1994:
	s_andn2_b64 vcc, exec, s[0:1]
	s_cbranch_vccnz .LBB208_2010
; %bb.1995:
	s_cmp_lt_i32 s6, 2
	s_mov_b64 s[0:1], -1
	s_cbranch_scc1 .LBB208_2005
; %bb.1996:
	s_cmp_lt_i32 s6, 3
	s_cbranch_scc1 .LBB208_2002
; %bb.1997:
	s_cmp_gt_i32 s6, 3
	s_cbranch_scc0 .LBB208_1999
; %bb.1998:
	v_cvt_f32_f16_e32 v4, v3
	s_mov_b64 s[0:1], 0
	v_cvt_i32_f32_e32 v4, v4
	v_ashrrev_i32_e32 v5, 31, v4
	global_store_dwordx2 v[1:2], v[4:5], off
.LBB208_1999:
	s_andn2_b64 vcc, exec, s[0:1]
	s_cbranch_vccnz .LBB208_2001
; %bb.2000:
	v_cvt_f32_f16_e32 v4, v3
	v_cvt_i32_f32_e32 v4, v4
	global_store_dword v[1:2], v4, off
.LBB208_2001:
	s_mov_b64 s[0:1], 0
.LBB208_2002:
	s_andn2_b64 vcc, exec, s[0:1]
	s_cbranch_vccnz .LBB208_2004
; %bb.2003:
	v_cvt_i16_f16_e32 v4, v3
	global_store_short v[1:2], v4, off
.LBB208_2004:
	s_mov_b64 s[0:1], 0
.LBB208_2005:
	s_andn2_b64 vcc, exec, s[0:1]
	s_cbranch_vccnz .LBB208_2010
; %bb.2006:
	s_cmp_gt_i32 s6, 0
	s_mov_b64 s[0:1], -1
	s_cbranch_scc0 .LBB208_2008
; %bb.2007:
	v_cvt_i16_f16_e32 v4, v3
	global_store_byte v[1:2], v4, off
	s_mov_b64 s[0:1], 0
.LBB208_2008:
	s_andn2_b64 vcc, exec, s[0:1]
	s_cbranch_vccnz .LBB208_2010
; %bb.2009:
	v_cvt_f32_f16_e32 v3, v3
	v_cvt_i32_f32_e32 v3, v3
	global_store_byte v[1:2], v3, off
.LBB208_2010:
	s_mov_b64 s[10:11], -1
.LBB208_2011:
	s_andn2_b64 vcc, exec, s[10:11]
	s_cbranch_vccnz .LBB208_2088
; %bb.2012:
	v_mov_b32_e32 v1, s5
	v_mov_b32_e32 v2, s17
	v_cmp_ge_f16_e32 vcc, s4, v9
	v_cndmask_b32_e32 v2, v1, v2, vcc
	v_mov_b32_e32 v1, s9
	v_add_co_u32_e32 v0, vcc, s8, v0
	s_cmp_lt_i32 s16, 11
	v_addc_co_u32_e32 v1, vcc, 0, v1, vcc
	s_cbranch_scc1 .LBB208_2133
; %bb.2013:
	s_and_b32 s12, 0xffff, s16
	s_mov_b64 s[6:7], -1
	s_mov_b64 s[4:5], 0
	s_cmp_gt_i32 s12, 25
	s_mov_b64 s[0:1], 0
	s_cbranch_scc0 .LBB208_2046
; %bb.2014:
	s_cmp_gt_i32 s12, 28
	s_cbranch_scc0 .LBB208_2030
; %bb.2015:
	s_cmp_gt_i32 s12, 43
	s_cbranch_scc0 .LBB208_2026
; %bb.2016:
	s_cmp_gt_i32 s12, 45
	s_cbranch_scc0 .LBB208_2020
; %bb.2017:
	s_cmp_eq_u32 s12, 46
	s_mov_b64 s[0:1], -1
	s_cbranch_scc0 .LBB208_2019
; %bb.2018:
	v_cvt_f32_f16_e32 v3, v2
	s_movk_i32 s0, 0x7fff
	v_cmp_o_f16_e32 vcc, v2, v2
	v_mov_b32_e32 v4, 0x7fc0
	v_bfe_u32 v5, v3, 16, 1
	v_add3_u32 v3, v3, v5, s0
	v_cndmask_b32_sdwa v3, v4, v3, vcc dst_sel:DWORD dst_unused:UNUSED_PAD src0_sel:DWORD src1_sel:WORD_1
	global_store_dword v[0:1], v3, off
	s_mov_b64 s[0:1], 0
.LBB208_2019:
	s_mov_b64 s[6:7], 0
.LBB208_2020:
	s_and_b64 vcc, exec, s[6:7]
	s_cbranch_vccz .LBB208_2025
; %bb.2021:
	s_cmp_eq_u32 s12, 44
	s_mov_b64 s[0:1], -1
	s_cbranch_scc0 .LBB208_2025
; %bb.2022:
	v_cvt_f32_f16_e32 v3, v2
	s_movk_i32 s0, 0xff
	v_mov_b32_e32 v5, 0xff
	v_bfe_u32 v4, v3, 23, 8
	v_cmp_ne_u32_e32 vcc, s0, v4
	s_and_saveexec_b64 s[6:7], vcc
; %bb.2023:
	s_mov_b32 s0, 0x3fffff
	v_lshrrev_b32_e32 v5, 23, v3
	v_and_b32_e32 v6, 0x400000, v3
	v_and_or_b32 v3, v3, s0, v4
	v_cmp_ne_u32_e32 vcc, 0, v6
	v_cmp_ne_u32_e64 s[0:1], 0, v3
	s_and_b64 s[0:1], vcc, s[0:1]
	v_cndmask_b32_e64 v3, 0, 1, s[0:1]
	v_add_u32_e32 v5, v5, v3
; %bb.2024:
	s_or_b64 exec, exec, s[6:7]
	s_mov_b64 s[0:1], 0
	global_store_byte v[0:1], v5, off
.LBB208_2025:
	s_mov_b64 s[6:7], 0
.LBB208_2026:
	s_and_b64 vcc, exec, s[6:7]
	s_cbranch_vccz .LBB208_2029
; %bb.2027:
	s_cmp_eq_u32 s12, 29
	s_mov_b64 s[0:1], -1
	s_cbranch_scc0 .LBB208_2029
; %bb.2028:
	v_cvt_f32_f16_e32 v3, v2
	v_mov_b32_e32 v4, 0
	s_mov_b64 s[0:1], 0
	v_cvt_u32_f32_e32 v3, v3
	global_store_dwordx2 v[0:1], v[3:4], off
.LBB208_2029:
	s_mov_b64 s[6:7], 0
.LBB208_2030:
	s_and_b64 vcc, exec, s[6:7]
	s_cbranch_vccz .LBB208_2045
; %bb.2031:
	s_cmp_lt_i32 s12, 27
	s_mov_b64 s[6:7], -1
	s_cbranch_scc1 .LBB208_2037
; %bb.2032:
	s_cmp_gt_i32 s12, 27
	s_cbranch_scc0 .LBB208_2034
; %bb.2033:
	v_cvt_f32_f16_e32 v3, v2
	s_mov_b64 s[6:7], 0
	v_cvt_u32_f32_e32 v3, v3
	global_store_dword v[0:1], v3, off
.LBB208_2034:
	s_andn2_b64 vcc, exec, s[6:7]
	s_cbranch_vccnz .LBB208_2036
; %bb.2035:
	v_cvt_u16_f16_e32 v3, v2
	global_store_short v[0:1], v3, off
.LBB208_2036:
	s_mov_b64 s[6:7], 0
.LBB208_2037:
	s_andn2_b64 vcc, exec, s[6:7]
	s_cbranch_vccnz .LBB208_2045
; %bb.2038:
	v_cvt_f32_f16_e32 v3, v2
	s_mov_b32 s6, 0x43800000
	v_mov_b32_e32 v5, 0x80
	v_and_b32_e32 v4, 0x7fffffff, v3
	v_cmp_gt_u32_e32 vcc, s6, v4
	s_and_saveexec_b64 s[6:7], vcc
	s_cbranch_execz .LBB208_2044
; %bb.2039:
	s_mov_b32 s8, 0x3bffffff
	v_cmp_lt_u32_e32 vcc, s8, v4
	s_mov_b64 s[8:9], 0
                                        ; implicit-def: $vgpr4
	s_and_saveexec_b64 s[10:11], vcc
	s_xor_b64 s[10:11], exec, s[10:11]
	s_cbranch_execz .LBB208_2150
; %bb.2040:
	v_bfe_u32 v4, v3, 20, 1
	s_mov_b32 s13, 0x487ffff
	v_add3_u32 v4, v3, v4, s13
	s_mov_b64 s[8:9], exec
	v_lshrrev_b32_e32 v4, 20, v4
	s_andn2_saveexec_b64 s[10:11], s[10:11]
	s_cbranch_execnz .LBB208_2151
.LBB208_2041:
	s_or_b64 exec, exec, s[10:11]
	v_mov_b32_e32 v5, 0
	s_and_saveexec_b64 s[10:11], s[8:9]
.LBB208_2042:
	v_lshrrev_b32_e32 v3, 24, v3
	s_movk_i32 s8, 0x80
	v_and_or_b32 v5, v3, s8, v4
.LBB208_2043:
	s_or_b64 exec, exec, s[10:11]
.LBB208_2044:
	s_or_b64 exec, exec, s[6:7]
	global_store_byte v[0:1], v5, off
.LBB208_2045:
	s_mov_b64 s[6:7], 0
.LBB208_2046:
	s_and_b64 vcc, exec, s[6:7]
	s_cbranch_vccz .LBB208_2086
; %bb.2047:
	s_cmp_gt_i32 s12, 22
	s_mov_b64 s[4:5], -1
	s_cbranch_scc0 .LBB208_2079
; %bb.2048:
	s_cmp_lt_i32 s12, 24
	s_cbranch_scc1 .LBB208_2068
; %bb.2049:
	s_cmp_gt_i32 s12, 24
	s_cbranch_scc0 .LBB208_2057
; %bb.2050:
	v_cvt_f32_f16_e32 v3, v2
	s_mov_b32 s4, 0x47800000
	v_mov_b32_e32 v5, 0x80
	v_and_b32_e32 v4, 0x7fffffff, v3
	v_cmp_gt_u32_e32 vcc, s4, v4
	s_and_saveexec_b64 s[4:5], vcc
	s_cbranch_execz .LBB208_2056
; %bb.2051:
	s_mov_b32 s6, 0x37ffffff
	v_cmp_lt_u32_e32 vcc, s6, v4
	s_mov_b64 s[6:7], 0
                                        ; implicit-def: $vgpr4
	s_and_saveexec_b64 s[8:9], vcc
	s_xor_b64 s[8:9], exec, s[8:9]
	s_cbranch_execz .LBB208_2153
; %bb.2052:
	v_bfe_u32 v4, v3, 21, 1
	s_mov_b32 s10, 0x88fffff
	v_add3_u32 v4, v3, v4, s10
	s_mov_b64 s[6:7], exec
	v_lshrrev_b32_e32 v4, 21, v4
	s_andn2_saveexec_b64 s[8:9], s[8:9]
	s_cbranch_execnz .LBB208_2154
.LBB208_2053:
	s_or_b64 exec, exec, s[8:9]
	v_mov_b32_e32 v5, 0
	s_and_saveexec_b64 s[8:9], s[6:7]
.LBB208_2054:
	v_lshrrev_b32_e32 v3, 24, v3
	s_movk_i32 s6, 0x80
	v_and_or_b32 v5, v3, s6, v4
.LBB208_2055:
	s_or_b64 exec, exec, s[8:9]
.LBB208_2056:
	s_or_b64 exec, exec, s[4:5]
	s_mov_b64 s[4:5], 0
	global_store_byte v[0:1], v5, off
.LBB208_2057:
	s_and_b64 vcc, exec, s[4:5]
	s_cbranch_vccz .LBB208_2067
; %bb.2058:
	v_cvt_f32_f16_e32 v3, v2
	s_mov_b32 s4, 0x43f00000
                                        ; implicit-def: $vgpr4
	v_and_b32_e32 v5, 0x7fffffff, v3
	v_cmp_gt_u32_e32 vcc, s4, v5
	s_and_saveexec_b64 s[4:5], vcc
	s_xor_b64 s[4:5], exec, s[4:5]
	s_cbranch_execz .LBB208_2064
; %bb.2059:
	s_mov_b32 s6, 0x3c7fffff
	v_cmp_lt_u32_e32 vcc, s6, v5
                                        ; implicit-def: $vgpr4
	s_and_saveexec_b64 s[6:7], vcc
	s_xor_b64 s[6:7], exec, s[6:7]
; %bb.2060:
	v_bfe_u32 v4, v3, 20, 1
	s_mov_b32 s8, 0x407ffff
	v_add3_u32 v4, v3, v4, s8
	v_lshrrev_b32_e32 v5, 20, v4
	v_and_b32_e32 v4, 0xff00000, v4
	s_mov_b32 s8, 0x7f00000
	v_mov_b32_e32 v6, 0x7e
	v_cmp_ne_u32_e32 vcc, s8, v4
	v_cndmask_b32_e32 v4, v6, v5, vcc
; %bb.2061:
	s_andn2_saveexec_b64 s[6:7], s[6:7]
; %bb.2062:
	s_mov_b32 s8, 0x46800000
	v_add_f32_e64 v4, |v3|, s8
; %bb.2063:
	s_or_b64 exec, exec, s[6:7]
                                        ; implicit-def: $vgpr5
.LBB208_2064:
	s_andn2_saveexec_b64 s[4:5], s[4:5]
; %bb.2065:
	s_mov_b32 s6, 0x7f800000
	v_mov_b32_e32 v4, 0x7e
	v_mov_b32_e32 v6, 0x7f
	v_cmp_lt_u32_e32 vcc, s6, v5
	v_cndmask_b32_e32 v4, v4, v6, vcc
; %bb.2066:
	s_or_b64 exec, exec, s[4:5]
	v_lshrrev_b32_e32 v3, 24, v3
	s_movk_i32 s4, 0x80
	v_and_or_b32 v3, v3, s4, v4
	global_store_byte v[0:1], v3, off
.LBB208_2067:
	s_mov_b64 s[4:5], 0
.LBB208_2068:
	s_andn2_b64 vcc, exec, s[4:5]
	s_cbranch_vccnz .LBB208_2078
; %bb.2069:
	v_cvt_f32_f16_e32 v3, v2
	s_mov_b32 s4, 0x47800000
                                        ; implicit-def: $vgpr4
	v_and_b32_e32 v5, 0x7fffffff, v3
	v_cmp_gt_u32_e32 vcc, s4, v5
	s_and_saveexec_b64 s[4:5], vcc
	s_xor_b64 s[4:5], exec, s[4:5]
	s_cbranch_execz .LBB208_2075
; %bb.2070:
	s_mov_b32 s6, 0x387fffff
	v_cmp_lt_u32_e32 vcc, s6, v5
                                        ; implicit-def: $vgpr4
	s_and_saveexec_b64 s[6:7], vcc
	s_xor_b64 s[6:7], exec, s[6:7]
; %bb.2071:
	v_bfe_u32 v4, v3, 21, 1
	s_mov_b32 s8, 0x80fffff
	v_add3_u32 v4, v3, v4, s8
	v_lshrrev_b32_e32 v4, 21, v4
; %bb.2072:
	s_andn2_saveexec_b64 s[6:7], s[6:7]
; %bb.2073:
	s_mov_b32 s8, 0x43000000
	v_add_f32_e64 v4, |v3|, s8
; %bb.2074:
	s_or_b64 exec, exec, s[6:7]
                                        ; implicit-def: $vgpr5
.LBB208_2075:
	s_andn2_saveexec_b64 s[4:5], s[4:5]
; %bb.2076:
	s_mov_b32 s6, 0x7f800000
	v_mov_b32_e32 v4, 0x7c
	v_mov_b32_e32 v6, 0x7f
	v_cmp_lt_u32_e32 vcc, s6, v5
	v_cndmask_b32_e32 v4, v4, v6, vcc
; %bb.2077:
	s_or_b64 exec, exec, s[4:5]
	v_lshrrev_b32_e32 v3, 24, v3
	s_movk_i32 s4, 0x80
	v_and_or_b32 v3, v3, s4, v4
	global_store_byte v[0:1], v3, off
.LBB208_2078:
	s_mov_b64 s[4:5], 0
.LBB208_2079:
	s_andn2_b64 vcc, exec, s[4:5]
	s_mov_b64 s[4:5], 0
	s_cbranch_vccnz .LBB208_2086
; %bb.2080:
	s_cmp_gt_i32 s12, 14
	s_mov_b64 s[6:7], -1
	s_cbranch_scc0 .LBB208_2084
; %bb.2081:
	s_cmp_eq_u32 s12, 15
	s_mov_b64 s[0:1], -1
	s_cbranch_scc0 .LBB208_2083
; %bb.2082:
	v_cvt_f32_f16_e32 v3, v2
	s_movk_i32 s0, 0x7fff
	v_cmp_o_f16_e32 vcc, v2, v2
	v_mov_b32_e32 v4, 0x7fc0
	v_bfe_u32 v5, v3, 16, 1
	v_add3_u32 v3, v3, v5, s0
	v_cndmask_b32_sdwa v3, v4, v3, vcc dst_sel:DWORD dst_unused:UNUSED_PAD src0_sel:DWORD src1_sel:WORD_1
	global_store_short v[0:1], v3, off
	s_mov_b64 s[0:1], 0
.LBB208_2083:
	s_mov_b64 s[6:7], 0
.LBB208_2084:
	s_and_b64 vcc, exec, s[6:7]
	s_cbranch_vccz .LBB208_2086
; %bb.2085:
	s_cmp_lg_u32 s12, 11
	s_mov_b64 s[4:5], -1
	s_cselect_b64 s[0:1], -1, 0
.LBB208_2086:
	s_and_b64 vcc, exec, s[0:1]
	s_cbranch_vccnz .LBB208_2152
.LBB208_2087:
	s_mov_b64 s[0:1], 0
	s_branch .LBB208_2089
.LBB208_2088:
	s_mov_b64 s[0:1], 0
	s_mov_b64 s[4:5], 0
                                        ; implicit-def: $vgpr0_vgpr1
                                        ; implicit-def: $sgpr16
                                        ; implicit-def: $vgpr2
.LBB208_2089:
	s_and_b64 s[6:7], s[4:5], exec
	s_andn2_b64 s[4:5], s[28:29], exec
	s_and_b64 s[2:3], s[2:3], exec
	s_and_b64 s[0:1], s[0:1], exec
	s_or_b64 s[28:29], s[4:5], s[2:3]
.LBB208_2090:
	s_or_b64 exec, exec, s[30:31]
	s_and_saveexec_b64 s[2:3], s[28:29]
	s_cbranch_execz .LBB208_2093
; %bb.2091:
	; divergent unreachable
	s_or_b64 exec, exec, s[2:3]
	s_and_saveexec_b64 s[2:3], s[6:7]
	s_xor_b64 s[2:3], exec, s[2:3]
	s_cbranch_execnz .LBB208_2094
.LBB208_2092:
	s_or_b64 exec, exec, s[2:3]
	s_and_saveexec_b64 s[2:3], s[0:1]
	s_cbranch_execnz .LBB208_2095
	s_branch .LBB208_2132
.LBB208_2093:
	s_or_b64 exec, exec, s[2:3]
	s_and_saveexec_b64 s[2:3], s[6:7]
	s_xor_b64 s[2:3], exec, s[2:3]
	s_cbranch_execz .LBB208_2092
.LBB208_2094:
	s_waitcnt vmcnt(0)
	v_and_b32_e32 v3, 0x7fff, v2
	v_cmp_ne_u16_e32 vcc, 0, v3
	v_cndmask_b32_e64 v3, 0, 1, vcc
	global_store_byte v[0:1], v3, off
	s_or_b64 exec, exec, s[2:3]
	s_and_saveexec_b64 s[2:3], s[0:1]
	s_cbranch_execz .LBB208_2132
.LBB208_2095:
	s_sext_i32_i16 s2, s16
	s_cmp_lt_i32 s2, 5
	s_mov_b64 s[0:1], -1
	s_cbranch_scc1 .LBB208_2116
; %bb.2096:
	s_cmp_lt_i32 s2, 8
	s_cbranch_scc1 .LBB208_2106
; %bb.2097:
	s_cmp_lt_i32 s2, 9
	s_cbranch_scc1 .LBB208_2103
; %bb.2098:
	s_cmp_gt_i32 s2, 9
	s_cbranch_scc0 .LBB208_2100
; %bb.2099:
	s_waitcnt vmcnt(0)
	v_cvt_f32_f16_e32 v3, v2
	v_mov_b32_e32 v5, 0
	v_mov_b32_e32 v6, v5
	s_mov_b64 s[0:1], 0
	v_cvt_f64_f32_e32 v[3:4], v3
	global_store_dwordx4 v[0:1], v[3:6], off
.LBB208_2100:
	s_andn2_b64 vcc, exec, s[0:1]
	s_cbranch_vccnz .LBB208_2102
; %bb.2101:
	s_waitcnt vmcnt(0)
	v_cvt_f32_f16_e32 v3, v2
	v_mov_b32_e32 v4, 0
	global_store_dwordx2 v[0:1], v[3:4], off
.LBB208_2102:
	s_mov_b64 s[0:1], 0
.LBB208_2103:
	s_andn2_b64 vcc, exec, s[0:1]
	s_cbranch_vccnz .LBB208_2105
; %bb.2104:
	s_waitcnt vmcnt(0)
	v_and_b32_e32 v3, 0xffff, v2
	global_store_dword v[0:1], v3, off
.LBB208_2105:
	s_mov_b64 s[0:1], 0
.LBB208_2106:
	s_andn2_b64 vcc, exec, s[0:1]
	s_cbranch_vccnz .LBB208_2115
; %bb.2107:
	s_sext_i32_i16 s2, s16
	s_cmp_lt_i32 s2, 6
	s_mov_b64 s[0:1], -1
	s_cbranch_scc1 .LBB208_2113
; %bb.2108:
	s_cmp_gt_i32 s2, 6
	s_cbranch_scc0 .LBB208_2110
; %bb.2109:
	s_waitcnt vmcnt(0)
	v_cvt_f32_f16_e32 v3, v2
	s_mov_b64 s[0:1], 0
	v_cvt_f64_f32_e32 v[3:4], v3
	global_store_dwordx2 v[0:1], v[3:4], off
.LBB208_2110:
	s_andn2_b64 vcc, exec, s[0:1]
	s_cbranch_vccnz .LBB208_2112
; %bb.2111:
	s_waitcnt vmcnt(0)
	v_cvt_f32_f16_e32 v3, v2
	global_store_dword v[0:1], v3, off
.LBB208_2112:
	s_mov_b64 s[0:1], 0
.LBB208_2113:
	s_andn2_b64 vcc, exec, s[0:1]
	s_cbranch_vccnz .LBB208_2115
; %bb.2114:
	s_waitcnt vmcnt(0)
	global_store_short v[0:1], v2, off
.LBB208_2115:
	s_mov_b64 s[0:1], 0
.LBB208_2116:
	s_andn2_b64 vcc, exec, s[0:1]
	s_cbranch_vccnz .LBB208_2132
; %bb.2117:
	s_sext_i32_i16 s2, s16
	s_cmp_lt_i32 s2, 2
	s_mov_b64 s[0:1], -1
	s_cbranch_scc1 .LBB208_2127
; %bb.2118:
	s_cmp_lt_i32 s2, 3
	s_cbranch_scc1 .LBB208_2124
; %bb.2119:
	s_cmp_gt_i32 s2, 3
	s_cbranch_scc0 .LBB208_2121
; %bb.2120:
	s_waitcnt vmcnt(0)
	v_cvt_f32_f16_e32 v3, v2
	s_mov_b64 s[0:1], 0
	v_cvt_i32_f32_e32 v3, v3
	v_ashrrev_i32_e32 v4, 31, v3
	global_store_dwordx2 v[0:1], v[3:4], off
.LBB208_2121:
	s_andn2_b64 vcc, exec, s[0:1]
	s_cbranch_vccnz .LBB208_2123
; %bb.2122:
	s_waitcnt vmcnt(0)
	v_cvt_f32_f16_e32 v3, v2
	v_cvt_i32_f32_e32 v3, v3
	global_store_dword v[0:1], v3, off
.LBB208_2123:
	s_mov_b64 s[0:1], 0
.LBB208_2124:
	s_andn2_b64 vcc, exec, s[0:1]
	s_cbranch_vccnz .LBB208_2126
; %bb.2125:
	s_waitcnt vmcnt(0)
	v_cvt_i16_f16_e32 v3, v2
	global_store_short v[0:1], v3, off
.LBB208_2126:
	s_mov_b64 s[0:1], 0
.LBB208_2127:
	s_andn2_b64 vcc, exec, s[0:1]
	s_cbranch_vccnz .LBB208_2132
; %bb.2128:
	s_sext_i32_i16 s0, s16
	s_cmp_gt_i32 s0, 0
	s_mov_b64 s[0:1], -1
	s_cbranch_scc0 .LBB208_2130
; %bb.2129:
	s_waitcnt vmcnt(0)
	v_cvt_i16_f16_e32 v3, v2
	global_store_byte v[0:1], v3, off
	s_mov_b64 s[0:1], 0
.LBB208_2130:
	s_andn2_b64 vcc, exec, s[0:1]
	s_cbranch_vccnz .LBB208_2132
; %bb.2131:
	v_cvt_f32_f16_e32 v2, v2
	v_cvt_i32_f32_e32 v2, v2
	s_waitcnt vmcnt(0)
	global_store_byte v[0:1], v2, off
	s_endpgm
.LBB208_2132:
	s_endpgm
.LBB208_2133:
	s_mov_b64 s[4:5], 0
	s_mov_b64 s[0:1], -1
	s_branch .LBB208_2089
.LBB208_2134:
	s_trap 2
	s_or_b64 s[2:3], s[2:3], exec
	s_cbranch_execz .LBB208_1603
	s_branch .LBB208_1604
.LBB208_2135:
	s_andn2_saveexec_b64 s[14:15], s[14:15]
	s_cbranch_execz .LBB208_1683
.LBB208_2136:
	s_mov_b32 s20, 0x46000000
	v_add_f32_e64 v8, |v7|, s20
	v_and_b32_e32 v8, 0xff, v8
	v_cmp_ne_u32_e32 vcc, 0, v8
	s_andn2_b64 s[12:13], s[12:13], exec
	s_and_b64 s[20:21], vcc, exec
	s_or_b64 s[12:13], s[12:13], s[20:21]
	s_or_b64 exec, exec, s[14:15]
	v_mov_b32_e32 v11, 0
	s_and_saveexec_b64 s[14:15], s[12:13]
	s_cbranch_execnz .LBB208_1684
	s_branch .LBB208_1685
.LBB208_2137:
	s_trap 2
	s_or_b64 s[2:3], s[2:3], exec
	s_cbranch_execz .LBB208_1731
	s_branch .LBB208_1732
.LBB208_2138:
	s_andn2_saveexec_b64 s[12:13], s[12:13]
	s_cbranch_execz .LBB208_1696
.LBB208_2139:
	s_mov_b32 s14, 0x42800000
	v_add_f32_e64 v8, |v7|, s14
	v_and_b32_e32 v8, 0xff, v8
	v_cmp_ne_u32_e32 vcc, 0, v8
	s_andn2_b64 s[10:11], s[10:11], exec
	s_and_b64 s[14:15], vcc, exec
	s_or_b64 s[10:11], s[10:11], s[14:15]
	s_or_b64 exec, exec, s[12:13]
	v_mov_b32_e32 v11, 0
	s_and_saveexec_b64 s[12:13], s[10:11]
	s_cbranch_execnz .LBB208_1697
	s_branch .LBB208_1698
.LBB208_2140:
	s_andn2_saveexec_b64 s[14:15], s[14:15]
	s_cbranch_execz .LBB208_1802
.LBB208_2141:
	s_mov_b32 s19, 0x46000000
	v_add_f32_e64 v6, |v5|, s19
	v_and_b32_e32 v6, 0xff, v6
	v_cmp_ne_u32_e32 vcc, 0, v6
	s_andn2_b64 s[12:13], s[12:13], exec
	s_and_b64 s[20:21], vcc, exec
	s_or_b64 s[12:13], s[12:13], s[20:21]
	s_or_b64 exec, exec, s[14:15]
	v_mov_b32_e32 v7, 0
	s_and_saveexec_b64 s[14:15], s[12:13]
	s_cbranch_execnz .LBB208_1803
	s_branch .LBB208_1804
.LBB208_2142:
	s_trap 2
	s_or_b64 s[2:3], s[2:3], exec
	s_cbranch_execz .LBB208_1850
	s_branch .LBB208_1851
.LBB208_2143:
	s_andn2_saveexec_b64 s[12:13], s[12:13]
	s_cbranch_execz .LBB208_1815
.LBB208_2144:
	s_mov_b32 s14, 0x42800000
	v_add_f32_e64 v6, |v5|, s14
	v_and_b32_e32 v6, 0xff, v6
	v_cmp_ne_u32_e32 vcc, 0, v6
	s_andn2_b64 s[10:11], s[10:11], exec
	s_and_b64 s[14:15], vcc, exec
	s_or_b64 s[10:11], s[10:11], s[14:15]
	s_or_b64 exec, exec, s[12:13]
	v_mov_b32_e32 v7, 0
	s_and_saveexec_b64 s[12:13], s[10:11]
	s_cbranch_execnz .LBB208_1816
	s_branch .LBB208_1817
.LBB208_2145:
	s_andn2_saveexec_b64 s[14:15], s[14:15]
	s_cbranch_execz .LBB208_1921
.LBB208_2146:
	s_mov_b32 s19, 0x46000000
	v_add_f32_e64 v5, |v4|, s19
	v_and_b32_e32 v5, 0xff, v5
	v_cmp_ne_u32_e32 vcc, 0, v5
	s_andn2_b64 s[12:13], s[12:13], exec
	s_and_b64 s[20:21], vcc, exec
	s_or_b64 s[12:13], s[12:13], s[20:21]
	s_or_b64 exec, exec, s[14:15]
	v_mov_b32_e32 v6, 0
	s_and_saveexec_b64 s[14:15], s[12:13]
	s_cbranch_execnz .LBB208_1922
	s_branch .LBB208_1923
.LBB208_2147:
	s_trap 2
	s_or_b64 s[2:3], s[2:3], exec
	s_cbranch_execz .LBB208_1969
	s_branch .LBB208_1970
.LBB208_2148:
	s_andn2_saveexec_b64 s[12:13], s[12:13]
	s_cbranch_execz .LBB208_1934
.LBB208_2149:
	s_mov_b32 s14, 0x42800000
	v_add_f32_e64 v5, |v4|, s14
	v_and_b32_e32 v5, 0xff, v5
	v_cmp_ne_u32_e32 vcc, 0, v5
	s_andn2_b64 s[10:11], s[10:11], exec
	s_and_b64 s[14:15], vcc, exec
	s_or_b64 s[10:11], s[10:11], s[14:15]
	s_or_b64 exec, exec, s[12:13]
	v_mov_b32_e32 v6, 0
	s_and_saveexec_b64 s[12:13], s[10:11]
	s_cbranch_execnz .LBB208_1935
	s_branch .LBB208_1936
.LBB208_2150:
	s_andn2_saveexec_b64 s[10:11], s[10:11]
	s_cbranch_execz .LBB208_2041
.LBB208_2151:
	s_mov_b32 s13, 0x46000000
	v_add_f32_e64 v4, |v3|, s13
	v_and_b32_e32 v4, 0xff, v4
	v_cmp_ne_u32_e32 vcc, 0, v4
	s_andn2_b64 s[8:9], s[8:9], exec
	s_and_b64 s[14:15], vcc, exec
	s_or_b64 s[8:9], s[8:9], s[14:15]
	s_or_b64 exec, exec, s[10:11]
	v_mov_b32_e32 v5, 0
	s_and_saveexec_b64 s[10:11], s[8:9]
	s_cbranch_execnz .LBB208_2042
	s_branch .LBB208_2043
.LBB208_2152:
	s_mov_b64 s[4:5], 0
	s_or_b64 s[2:3], s[2:3], exec
	s_trap 2
	s_branch .LBB208_2087
.LBB208_2153:
	s_andn2_saveexec_b64 s[8:9], s[8:9]
	s_cbranch_execz .LBB208_2053
.LBB208_2154:
	s_mov_b32 s10, 0x42800000
	v_add_f32_e64 v4, |v3|, s10
	v_and_b32_e32 v4, 0xff, v4
	v_cmp_ne_u32_e32 vcc, 0, v4
	s_andn2_b64 s[6:7], s[6:7], exec
	s_and_b64 s[10:11], vcc, exec
	s_or_b64 s[6:7], s[6:7], s[10:11]
	s_or_b64 exec, exec, s[8:9]
	v_mov_b32_e32 v5, 0
	s_and_saveexec_b64 s[8:9], s[6:7]
	s_cbranch_execnz .LBB208_2054
	s_branch .LBB208_2055
	.section	.rodata,"a",@progbits
	.p2align	6, 0x0
	.amdhsa_kernel _ZN2at6native32elementwise_kernel_manual_unrollILi128ELi4EZNS0_15gpu_kernel_implINS0_13BUnaryFunctorIN3c104HalfES5_S5_ZNS0_12_GLOBAL__N_121threshold_kernel_implIS5_EEvRNS_18TensorIteratorBaseET_SA_EUlS5_S5_E_EEEEvS9_RKSA_EUlibE0_EEviT1_
		.amdhsa_group_segment_fixed_size 0
		.amdhsa_private_segment_fixed_size 0
		.amdhsa_kernarg_size 360
		.amdhsa_user_sgpr_count 6
		.amdhsa_user_sgpr_private_segment_buffer 1
		.amdhsa_user_sgpr_dispatch_ptr 0
		.amdhsa_user_sgpr_queue_ptr 0
		.amdhsa_user_sgpr_kernarg_segment_ptr 1
		.amdhsa_user_sgpr_dispatch_id 0
		.amdhsa_user_sgpr_flat_scratch_init 0
		.amdhsa_user_sgpr_private_segment_size 0
		.amdhsa_uses_dynamic_stack 0
		.amdhsa_system_sgpr_private_segment_wavefront_offset 0
		.amdhsa_system_sgpr_workgroup_id_x 1
		.amdhsa_system_sgpr_workgroup_id_y 0
		.amdhsa_system_sgpr_workgroup_id_z 0
		.amdhsa_system_sgpr_workgroup_info 0
		.amdhsa_system_vgpr_workitem_id 0
		.amdhsa_next_free_vgpr 18
		.amdhsa_next_free_sgpr 81
		.amdhsa_reserve_vcc 1
		.amdhsa_reserve_flat_scratch 0
		.amdhsa_float_round_mode_32 0
		.amdhsa_float_round_mode_16_64 0
		.amdhsa_float_denorm_mode_32 3
		.amdhsa_float_denorm_mode_16_64 3
		.amdhsa_dx10_clamp 1
		.amdhsa_ieee_mode 1
		.amdhsa_fp16_overflow 0
		.amdhsa_exception_fp_ieee_invalid_op 0
		.amdhsa_exception_fp_denorm_src 0
		.amdhsa_exception_fp_ieee_div_zero 0
		.amdhsa_exception_fp_ieee_overflow 0
		.amdhsa_exception_fp_ieee_underflow 0
		.amdhsa_exception_fp_ieee_inexact 0
		.amdhsa_exception_int_div_zero 0
	.end_amdhsa_kernel
	.section	.text._ZN2at6native32elementwise_kernel_manual_unrollILi128ELi4EZNS0_15gpu_kernel_implINS0_13BUnaryFunctorIN3c104HalfES5_S5_ZNS0_12_GLOBAL__N_121threshold_kernel_implIS5_EEvRNS_18TensorIteratorBaseET_SA_EUlS5_S5_E_EEEEvS9_RKSA_EUlibE0_EEviT1_,"axG",@progbits,_ZN2at6native32elementwise_kernel_manual_unrollILi128ELi4EZNS0_15gpu_kernel_implINS0_13BUnaryFunctorIN3c104HalfES5_S5_ZNS0_12_GLOBAL__N_121threshold_kernel_implIS5_EEvRNS_18TensorIteratorBaseET_SA_EUlS5_S5_E_EEEEvS9_RKSA_EUlibE0_EEviT1_,comdat
.Lfunc_end208:
	.size	_ZN2at6native32elementwise_kernel_manual_unrollILi128ELi4EZNS0_15gpu_kernel_implINS0_13BUnaryFunctorIN3c104HalfES5_S5_ZNS0_12_GLOBAL__N_121threshold_kernel_implIS5_EEvRNS_18TensorIteratorBaseET_SA_EUlS5_S5_E_EEEEvS9_RKSA_EUlibE0_EEviT1_, .Lfunc_end208-_ZN2at6native32elementwise_kernel_manual_unrollILi128ELi4EZNS0_15gpu_kernel_implINS0_13BUnaryFunctorIN3c104HalfES5_S5_ZNS0_12_GLOBAL__N_121threshold_kernel_implIS5_EEvRNS_18TensorIteratorBaseET_SA_EUlS5_S5_E_EEEEvS9_RKSA_EUlibE0_EEviT1_
                                        ; -- End function
	.set _ZN2at6native32elementwise_kernel_manual_unrollILi128ELi4EZNS0_15gpu_kernel_implINS0_13BUnaryFunctorIN3c104HalfES5_S5_ZNS0_12_GLOBAL__N_121threshold_kernel_implIS5_EEvRNS_18TensorIteratorBaseET_SA_EUlS5_S5_E_EEEEvS9_RKSA_EUlibE0_EEviT1_.num_vgpr, 18
	.set _ZN2at6native32elementwise_kernel_manual_unrollILi128ELi4EZNS0_15gpu_kernel_implINS0_13BUnaryFunctorIN3c104HalfES5_S5_ZNS0_12_GLOBAL__N_121threshold_kernel_implIS5_EEvRNS_18TensorIteratorBaseET_SA_EUlS5_S5_E_EEEEvS9_RKSA_EUlibE0_EEviT1_.num_agpr, 0
	.set _ZN2at6native32elementwise_kernel_manual_unrollILi128ELi4EZNS0_15gpu_kernel_implINS0_13BUnaryFunctorIN3c104HalfES5_S5_ZNS0_12_GLOBAL__N_121threshold_kernel_implIS5_EEvRNS_18TensorIteratorBaseET_SA_EUlS5_S5_E_EEEEvS9_RKSA_EUlibE0_EEviT1_.numbered_sgpr, 81
	.set _ZN2at6native32elementwise_kernel_manual_unrollILi128ELi4EZNS0_15gpu_kernel_implINS0_13BUnaryFunctorIN3c104HalfES5_S5_ZNS0_12_GLOBAL__N_121threshold_kernel_implIS5_EEvRNS_18TensorIteratorBaseET_SA_EUlS5_S5_E_EEEEvS9_RKSA_EUlibE0_EEviT1_.num_named_barrier, 0
	.set _ZN2at6native32elementwise_kernel_manual_unrollILi128ELi4EZNS0_15gpu_kernel_implINS0_13BUnaryFunctorIN3c104HalfES5_S5_ZNS0_12_GLOBAL__N_121threshold_kernel_implIS5_EEvRNS_18TensorIteratorBaseET_SA_EUlS5_S5_E_EEEEvS9_RKSA_EUlibE0_EEviT1_.private_seg_size, 0
	.set _ZN2at6native32elementwise_kernel_manual_unrollILi128ELi4EZNS0_15gpu_kernel_implINS0_13BUnaryFunctorIN3c104HalfES5_S5_ZNS0_12_GLOBAL__N_121threshold_kernel_implIS5_EEvRNS_18TensorIteratorBaseET_SA_EUlS5_S5_E_EEEEvS9_RKSA_EUlibE0_EEviT1_.uses_vcc, 1
	.set _ZN2at6native32elementwise_kernel_manual_unrollILi128ELi4EZNS0_15gpu_kernel_implINS0_13BUnaryFunctorIN3c104HalfES5_S5_ZNS0_12_GLOBAL__N_121threshold_kernel_implIS5_EEvRNS_18TensorIteratorBaseET_SA_EUlS5_S5_E_EEEEvS9_RKSA_EUlibE0_EEviT1_.uses_flat_scratch, 0
	.set _ZN2at6native32elementwise_kernel_manual_unrollILi128ELi4EZNS0_15gpu_kernel_implINS0_13BUnaryFunctorIN3c104HalfES5_S5_ZNS0_12_GLOBAL__N_121threshold_kernel_implIS5_EEvRNS_18TensorIteratorBaseET_SA_EUlS5_S5_E_EEEEvS9_RKSA_EUlibE0_EEviT1_.has_dyn_sized_stack, 0
	.set _ZN2at6native32elementwise_kernel_manual_unrollILi128ELi4EZNS0_15gpu_kernel_implINS0_13BUnaryFunctorIN3c104HalfES5_S5_ZNS0_12_GLOBAL__N_121threshold_kernel_implIS5_EEvRNS_18TensorIteratorBaseET_SA_EUlS5_S5_E_EEEEvS9_RKSA_EUlibE0_EEviT1_.has_recursion, 0
	.set _ZN2at6native32elementwise_kernel_manual_unrollILi128ELi4EZNS0_15gpu_kernel_implINS0_13BUnaryFunctorIN3c104HalfES5_S5_ZNS0_12_GLOBAL__N_121threshold_kernel_implIS5_EEvRNS_18TensorIteratorBaseET_SA_EUlS5_S5_E_EEEEvS9_RKSA_EUlibE0_EEviT1_.has_indirect_call, 0
	.section	.AMDGPU.csdata,"",@progbits
; Kernel info:
; codeLenInByte = 40972
; TotalNumSgprs: 85
; NumVgprs: 18
; ScratchSize: 0
; MemoryBound: 0
; FloatMode: 240
; IeeeMode: 1
; LDSByteSize: 0 bytes/workgroup (compile time only)
; SGPRBlocks: 10
; VGPRBlocks: 4
; NumSGPRsForWavesPerEU: 85
; NumVGPRsForWavesPerEU: 18
; Occupancy: 9
; WaveLimiterHint : 1
; COMPUTE_PGM_RSRC2:SCRATCH_EN: 0
; COMPUTE_PGM_RSRC2:USER_SGPR: 6
; COMPUTE_PGM_RSRC2:TRAP_HANDLER: 0
; COMPUTE_PGM_RSRC2:TGID_X_EN: 1
; COMPUTE_PGM_RSRC2:TGID_Y_EN: 0
; COMPUTE_PGM_RSRC2:TGID_Z_EN: 0
; COMPUTE_PGM_RSRC2:TIDIG_COMP_CNT: 0
	.section	.text._ZN2at6native29vectorized_elementwise_kernelILi16ENS0_13BinaryFunctorIN3c104HalfES4_S4_ZNS0_12_GLOBAL__N_121threshold_kernel_implIS4_EEvRNS_18TensorIteratorBaseET_S9_EUlS4_S4_E_EESt5arrayIPcLm3EEEEviT0_T1_,"axG",@progbits,_ZN2at6native29vectorized_elementwise_kernelILi16ENS0_13BinaryFunctorIN3c104HalfES4_S4_ZNS0_12_GLOBAL__N_121threshold_kernel_implIS4_EEvRNS_18TensorIteratorBaseET_S9_EUlS4_S4_E_EESt5arrayIPcLm3EEEEviT0_T1_,comdat
	.globl	_ZN2at6native29vectorized_elementwise_kernelILi16ENS0_13BinaryFunctorIN3c104HalfES4_S4_ZNS0_12_GLOBAL__N_121threshold_kernel_implIS4_EEvRNS_18TensorIteratorBaseET_S9_EUlS4_S4_E_EESt5arrayIPcLm3EEEEviT0_T1_ ; -- Begin function _ZN2at6native29vectorized_elementwise_kernelILi16ENS0_13BinaryFunctorIN3c104HalfES4_S4_ZNS0_12_GLOBAL__N_121threshold_kernel_implIS4_EEvRNS_18TensorIteratorBaseET_S9_EUlS4_S4_E_EESt5arrayIPcLm3EEEEviT0_T1_
	.p2align	8
	.type	_ZN2at6native29vectorized_elementwise_kernelILi16ENS0_13BinaryFunctorIN3c104HalfES4_S4_ZNS0_12_GLOBAL__N_121threshold_kernel_implIS4_EEvRNS_18TensorIteratorBaseET_S9_EUlS4_S4_E_EESt5arrayIPcLm3EEEEviT0_T1_,@function
_ZN2at6native29vectorized_elementwise_kernelILi16ENS0_13BinaryFunctorIN3c104HalfES4_S4_ZNS0_12_GLOBAL__N_121threshold_kernel_implIS4_EEvRNS_18TensorIteratorBaseET_S9_EUlS4_S4_E_EESt5arrayIPcLm3EEEEviT0_T1_: ; @_ZN2at6native29vectorized_elementwise_kernelILi16ENS0_13BinaryFunctorIN3c104HalfES4_S4_ZNS0_12_GLOBAL__N_121threshold_kernel_implIS4_EEvRNS_18TensorIteratorBaseET_S9_EUlS4_S4_E_EESt5arrayIPcLm3EEEEviT0_T1_
; %bb.0:
	s_load_dwordx2 s[12:13], s[4:5], 0x0
	s_load_dwordx4 s[8:11], s[4:5], 0x8
	s_load_dwordx2 s[16:17], s[4:5], 0x18
	s_lshl_b32 s14, s6, 11
	s_mov_b64 s[0:1], -1
	s_waitcnt lgkmcnt(0)
	s_sub_i32 s18, s12, s14
	s_lshr_b32 s12, s13, 16
	s_cmpk_gt_i32 s18, 0x7ff
	s_cbranch_scc0 .LBB209_2
; %bb.1:
	s_ashr_i32 s15, s14, 31
	s_lshl_b64 s[0:1], s[14:15], 1
	s_add_u32 s2, s10, s0
	s_addc_u32 s3, s11, s1
	v_lshlrev_b32_e32 v9, 4, v0
	global_load_dwordx4 v[1:4], v9, s[2:3]
	s_add_u32 s2, s16, s0
	s_addc_u32 s3, s17, s1
	global_load_dwordx4 v[5:8], v9, s[2:3]
	v_mov_b32_e32 v10, s12
	s_add_u32 s20, s8, s0
	s_addc_u32 s21, s9, s1
	s_mov_b32 s15, 0x5040100
	s_waitcnt vmcnt(1)
	v_cmp_le_f16_sdwa vcc, v1, s13 src0_sel:WORD_1 src1_sel:DWORD
	v_cmp_ge_f16_e64 s[6:7], s13, v1
	v_cmp_le_f16_sdwa s[0:1], v2, s13 src0_sel:WORD_1 src1_sel:DWORD
	s_waitcnt vmcnt(0)
	v_cndmask_b32_e64 v1, v5, v10, s[6:7]
	v_cndmask_b32_sdwa v5, v5, v10, vcc dst_sel:DWORD dst_unused:UNUSED_PAD src0_sel:WORD_1 src1_sel:DWORD
	v_cmp_ge_f16_e32 vcc, s13, v2
	v_cndmask_b32_e32 v2, v6, v10, vcc
	v_cmp_ge_f16_e32 vcc, s13, v3
	v_cmp_le_f16_sdwa s[2:3], v3, s13 src0_sel:WORD_1 src1_sel:DWORD
	v_cndmask_b32_e32 v3, v7, v10, vcc
	v_cmp_ge_f16_e32 vcc, s13, v4
	v_cmp_le_f16_sdwa s[4:5], v4, s13 src0_sel:WORD_1 src1_sel:DWORD
	v_cndmask_b32_e32 v4, v8, v10, vcc
	s_mov_b64 vcc, s[0:1]
	v_cndmask_b32_sdwa v6, v6, v10, vcc dst_sel:DWORD dst_unused:UNUSED_PAD src0_sel:WORD_1 src1_sel:DWORD
	s_mov_b64 vcc, s[2:3]
	v_perm_b32 v1, v5, v1, s15
	v_cndmask_b32_sdwa v5, v7, v10, vcc dst_sel:DWORD dst_unused:UNUSED_PAD src0_sel:WORD_1 src1_sel:DWORD
	s_mov_b64 vcc, s[4:5]
	v_perm_b32 v2, v6, v2, s15
	v_cndmask_b32_sdwa v6, v8, v10, vcc dst_sel:DWORD dst_unused:UNUSED_PAD src0_sel:WORD_1 src1_sel:DWORD
	v_perm_b32 v3, v5, v3, s15
	v_perm_b32 v4, v6, v4, s15
	global_store_dwordx4 v9, v[1:4], s[20:21]
	s_mov_b64 s[0:1], 0
.LBB209_2:
	s_andn2_b64 vcc, exec, s[0:1]
	s_cbranch_vccnz .LBB209_27
; %bb.3:
	v_cmp_gt_i32_e32 vcc, s18, v0
	v_mov_b32_e32 v2, 0
	v_mov_b32_e32 v3, 0
	v_or_b32_e32 v1, s14, v0
	v_mov_b32_e32 v5, 0
	v_mov_b32_e32 v14, v0
	s_and_saveexec_b64 s[2:3], vcc
	s_cbranch_execz .LBB209_5
; %bb.4:
	v_mov_b32_e32 v2, 0
	v_lshlrev_b64 v[4:5], 1, v[1:2]
	v_mov_b32_e32 v2, s17
	v_add_co_u32_e64 v6, s[0:1], s16, v4
	v_addc_co_u32_e64 v7, s[0:1], v2, v5, s[0:1]
	v_mov_b32_e32 v2, s11
	v_add_co_u32_e64 v8, s[0:1], s10, v4
	v_addc_co_u32_e64 v9, s[0:1], v2, v5, s[0:1]
	global_load_ushort v5, v[8:9], off
	global_load_ushort v2, v[6:7], off
	v_or_b32_e32 v14, 0x100, v0
.LBB209_5:
	s_or_b64 exec, exec, s[2:3]
	v_cmp_gt_i32_e64 s[0:1], s18, v14
	v_mov_b32_e32 v6, 0
	s_and_saveexec_b64 s[2:3], s[0:1]
	s_cbranch_execz .LBB209_7
; %bb.6:
	v_add_u32_e32 v3, s14, v14
	v_mov_b32_e32 v4, 0
	v_lshlrev_b64 v[3:4], 1, v[3:4]
	v_mov_b32_e32 v6, s17
	v_add_co_u32_e64 v7, s[0:1], s16, v3
	v_addc_co_u32_e64 v8, s[0:1], v6, v4, s[0:1]
	v_mov_b32_e32 v6, s11
	v_add_co_u32_e64 v9, s[0:1], s10, v3
	v_addc_co_u32_e64 v10, s[0:1], v6, v4, s[0:1]
	global_load_ushort v3, v[9:10], off
	global_load_ushort v6, v[7:8], off
	v_add_u32_e32 v14, 0x100, v14
.LBB209_7:
	s_or_b64 exec, exec, s[2:3]
	v_cmp_gt_i32_e64 s[0:1], s18, v14
	v_mov_b32_e32 v8, 0
	v_mov_b32_e32 v4, 0
	v_mov_b32_e32 v9, 0
	s_and_saveexec_b64 s[2:3], s[0:1]
	s_cbranch_execz .LBB209_9
; %bb.8:
	v_add_u32_e32 v7, s14, v14
	v_mov_b32_e32 v8, 0
	v_lshlrev_b64 v[7:8], 1, v[7:8]
	v_mov_b32_e32 v9, s17
	v_add_co_u32_e64 v10, s[0:1], s16, v7
	v_addc_co_u32_e64 v11, s[0:1], v9, v8, s[0:1]
	v_mov_b32_e32 v9, s11
	v_add_co_u32_e64 v12, s[0:1], s10, v7
	v_addc_co_u32_e64 v13, s[0:1], v9, v8, s[0:1]
	global_load_ushort v9, v[12:13], off
	global_load_ushort v8, v[10:11], off
	v_add_u32_e32 v14, 0x100, v14
.LBB209_9:
	s_or_b64 exec, exec, s[2:3]
	v_cmp_gt_i32_e64 s[0:1], s18, v14
	v_mov_b32_e32 v10, 0
	s_and_saveexec_b64 s[2:3], s[0:1]
	s_cbranch_execz .LBB209_11
; %bb.10:
	v_add_u32_e32 v10, s14, v14
	v_mov_b32_e32 v11, 0
	v_lshlrev_b64 v[10:11], 1, v[10:11]
	v_mov_b32_e32 v4, s17
	v_add_co_u32_e64 v12, s[0:1], s16, v10
	v_addc_co_u32_e64 v13, s[0:1], v4, v11, s[0:1]
	v_mov_b32_e32 v4, s11
	v_add_co_u32_e64 v15, s[0:1], s10, v10
	v_addc_co_u32_e64 v16, s[0:1], v4, v11, s[0:1]
	global_load_ushort v4, v[15:16], off
	global_load_ushort v10, v[12:13], off
	v_add_u32_e32 v14, 0x100, v14
.LBB209_11:
	s_or_b64 exec, exec, s[2:3]
	v_cmp_gt_i32_e64 s[0:1], s18, v14
	v_mov_b32_e32 v12, 0
	v_mov_b32_e32 v7, 0
	v_mov_b32_e32 v13, 0
	s_and_saveexec_b64 s[2:3], s[0:1]
	s_cbranch_execz .LBB209_13
; %bb.12:
	v_add_u32_e32 v11, s14, v14
	v_mov_b32_e32 v12, 0
	v_lshlrev_b64 v[11:12], 1, v[11:12]
	v_mov_b32_e32 v13, s17
	v_add_co_u32_e64 v15, s[0:1], s16, v11
	v_addc_co_u32_e64 v16, s[0:1], v13, v12, s[0:1]
	v_mov_b32_e32 v13, s11
	v_add_co_u32_e64 v17, s[0:1], s10, v11
	v_addc_co_u32_e64 v18, s[0:1], v13, v12, s[0:1]
	global_load_ushort v13, v[17:18], off
	global_load_ushort v12, v[15:16], off
	v_add_u32_e32 v14, 0x100, v14
.LBB209_13:
	;; [unrolled: 40-line block ×3, first 2 shown]
	s_or_b64 exec, exec, s[2:3]
	v_cmp_gt_i32_e64 s[0:1], s18, v14
	v_mov_b32_e32 v18, 0
	s_and_saveexec_b64 s[2:3], s[0:1]
	s_cbranch_execnz .LBB209_28
; %bb.18:
	s_or_b64 exec, exec, s[2:3]
	s_and_saveexec_b64 s[0:1], vcc
	s_cbranch_execnz .LBB209_29
.LBB209_19:
	s_or_b64 exec, exec, s[0:1]
	v_cmp_gt_i32_e32 vcc, s18, v0
	s_and_saveexec_b64 s[0:1], vcc
	s_cbranch_execnz .LBB209_30
.LBB209_20:
	s_or_b64 exec, exec, s[0:1]
	v_cmp_gt_i32_e32 vcc, s18, v0
	s_and_saveexec_b64 s[0:1], vcc
	s_cbranch_execnz .LBB209_31
.LBB209_21:
	s_or_b64 exec, exec, s[0:1]
	v_cmp_gt_i32_e32 vcc, s18, v0
	s_and_saveexec_b64 s[0:1], vcc
	s_cbranch_execnz .LBB209_32
.LBB209_22:
	s_or_b64 exec, exec, s[0:1]
	v_cmp_gt_i32_e32 vcc, s18, v0
	s_and_saveexec_b64 s[0:1], vcc
	s_cbranch_execnz .LBB209_33
.LBB209_23:
	s_or_b64 exec, exec, s[0:1]
	v_cmp_gt_i32_e32 vcc, s18, v0
	s_and_saveexec_b64 s[0:1], vcc
	s_cbranch_execnz .LBB209_34
.LBB209_24:
	s_or_b64 exec, exec, s[0:1]
	v_cmp_gt_i32_e32 vcc, s18, v0
	s_and_saveexec_b64 s[0:1], vcc
	s_cbranch_execnz .LBB209_35
.LBB209_25:
	s_or_b64 exec, exec, s[0:1]
	v_cmp_gt_i32_e32 vcc, s18, v0
	s_and_saveexec_b64 s[0:1], vcc
	s_cbranch_execz .LBB209_27
.LBB209_26:
	v_mov_b32_e32 v1, s12
	s_waitcnt vmcnt(1)
	v_cmp_ge_f16_e32 vcc, s13, v11
	s_waitcnt vmcnt(0)
	v_cndmask_b32_e32 v2, v18, v1, vcc
	v_add_u32_e32 v0, s14, v0
	v_mov_b32_e32 v1, 0
	v_lshlrev_b64 v[0:1], 1, v[0:1]
	v_mov_b32_e32 v3, s9
	v_add_co_u32_e32 v0, vcc, s8, v0
	v_addc_co_u32_e32 v1, vcc, v3, v1, vcc
	global_store_short v[0:1], v2, off
.LBB209_27:
	s_endpgm
.LBB209_28:
	v_add_u32_e32 v18, s14, v14
	v_mov_b32_e32 v19, 0
	v_lshlrev_b64 v[18:19], 1, v[18:19]
	v_mov_b32_e32 v11, s17
	v_add_co_u32_e64 v20, s[0:1], s16, v18
	v_addc_co_u32_e64 v21, s[0:1], v11, v19, s[0:1]
	v_mov_b32_e32 v11, s11
	v_add_co_u32_e64 v22, s[0:1], s10, v18
	v_addc_co_u32_e64 v23, s[0:1], v11, v19, s[0:1]
	global_load_ushort v11, v[22:23], off
	global_load_ushort v18, v[20:21], off
	s_or_b64 exec, exec, s[2:3]
	s_and_saveexec_b64 s[0:1], vcc
	s_cbranch_execz .LBB209_19
.LBB209_29:
	v_mov_b32_e32 v14, s12
	s_waitcnt vmcnt(1)
	v_cmp_ge_f16_e32 vcc, s13, v5
	s_waitcnt vmcnt(0)
	v_cndmask_b32_e32 v5, v2, v14, vcc
	v_mov_b32_e32 v2, 0
	v_lshlrev_b64 v[1:2], 1, v[1:2]
	v_mov_b32_e32 v14, s9
	v_add_co_u32_e32 v1, vcc, s8, v1
	v_or_b32_e32 v0, 0x100, v0
	v_addc_co_u32_e32 v2, vcc, v14, v2, vcc
	global_store_short v[1:2], v5, off
	s_or_b64 exec, exec, s[0:1]
	v_cmp_gt_i32_e32 vcc, s18, v0
	s_and_saveexec_b64 s[0:1], vcc
	s_cbranch_execz .LBB209_20
.LBB209_30:
	v_mov_b32_e32 v1, s12
	s_waitcnt vmcnt(1)
	v_cmp_ge_f16_e32 vcc, s13, v3
	s_waitcnt vmcnt(0)
	v_cndmask_b32_e32 v3, v6, v1, vcc
	v_add_u32_e32 v1, s14, v0
	v_mov_b32_e32 v2, 0
	v_lshlrev_b64 v[1:2], 1, v[1:2]
	v_mov_b32_e32 v5, s9
	v_add_co_u32_e32 v1, vcc, s8, v1
	v_addc_co_u32_e32 v2, vcc, v5, v2, vcc
	v_add_u32_e32 v0, 0x100, v0
	global_store_short v[1:2], v3, off
	s_or_b64 exec, exec, s[0:1]
	v_cmp_gt_i32_e32 vcc, s18, v0
	s_and_saveexec_b64 s[0:1], vcc
	s_cbranch_execz .LBB209_21
.LBB209_31:
	v_mov_b32_e32 v1, s12
	s_waitcnt vmcnt(1)
	v_cmp_ge_f16_e32 vcc, s13, v9
	s_waitcnt vmcnt(0)
	v_cndmask_b32_e32 v3, v8, v1, vcc
	v_add_u32_e32 v1, s14, v0
	v_mov_b32_e32 v2, 0
	v_lshlrev_b64 v[1:2], 1, v[1:2]
	v_mov_b32_e32 v5, s9
	v_add_co_u32_e32 v1, vcc, s8, v1
	v_addc_co_u32_e32 v2, vcc, v5, v2, vcc
	v_add_u32_e32 v0, 0x100, v0
	global_store_short v[1:2], v3, off
	s_or_b64 exec, exec, s[0:1]
	v_cmp_gt_i32_e32 vcc, s18, v0
	s_and_saveexec_b64 s[0:1], vcc
	s_cbranch_execz .LBB209_22
.LBB209_32:
	v_mov_b32_e32 v1, s12
	s_waitcnt vmcnt(1)
	v_cmp_ge_f16_e32 vcc, s13, v4
	s_waitcnt vmcnt(0)
	v_cndmask_b32_e32 v3, v10, v1, vcc
	v_add_u32_e32 v1, s14, v0
	v_mov_b32_e32 v2, 0
	v_lshlrev_b64 v[1:2], 1, v[1:2]
	v_mov_b32_e32 v4, s9
	v_add_co_u32_e32 v1, vcc, s8, v1
	v_addc_co_u32_e32 v2, vcc, v4, v2, vcc
	v_add_u32_e32 v0, 0x100, v0
	global_store_short v[1:2], v3, off
	s_or_b64 exec, exec, s[0:1]
	v_cmp_gt_i32_e32 vcc, s18, v0
	s_and_saveexec_b64 s[0:1], vcc
	s_cbranch_execz .LBB209_23
.LBB209_33:
	v_mov_b32_e32 v1, s12
	s_waitcnt vmcnt(1)
	v_cmp_ge_f16_e32 vcc, s13, v13
	s_waitcnt vmcnt(0)
	v_cndmask_b32_e32 v3, v12, v1, vcc
	v_add_u32_e32 v1, s14, v0
	v_mov_b32_e32 v2, 0
	v_lshlrev_b64 v[1:2], 1, v[1:2]
	v_mov_b32_e32 v4, s9
	v_add_co_u32_e32 v1, vcc, s8, v1
	v_addc_co_u32_e32 v2, vcc, v4, v2, vcc
	v_add_u32_e32 v0, 0x100, v0
	global_store_short v[1:2], v3, off
	s_or_b64 exec, exec, s[0:1]
	v_cmp_gt_i32_e32 vcc, s18, v0
	s_and_saveexec_b64 s[0:1], vcc
	s_cbranch_execz .LBB209_24
.LBB209_34:
	v_mov_b32_e32 v1, s12
	s_waitcnt vmcnt(1)
	v_cmp_ge_f16_e32 vcc, s13, v7
	s_waitcnt vmcnt(0)
	v_cndmask_b32_e32 v3, v15, v1, vcc
	v_add_u32_e32 v1, s14, v0
	v_mov_b32_e32 v2, 0
	v_lshlrev_b64 v[1:2], 1, v[1:2]
	v_mov_b32_e32 v4, s9
	v_add_co_u32_e32 v1, vcc, s8, v1
	v_addc_co_u32_e32 v2, vcc, v4, v2, vcc
	v_add_u32_e32 v0, 0x100, v0
	global_store_short v[1:2], v3, off
	s_or_b64 exec, exec, s[0:1]
	v_cmp_gt_i32_e32 vcc, s18, v0
	s_and_saveexec_b64 s[0:1], vcc
	s_cbranch_execz .LBB209_25
.LBB209_35:
	v_mov_b32_e32 v1, s12
	s_waitcnt vmcnt(1)
	v_cmp_ge_f16_e32 vcc, s13, v17
	s_waitcnt vmcnt(0)
	v_cndmask_b32_e32 v3, v16, v1, vcc
	v_add_u32_e32 v1, s14, v0
	v_mov_b32_e32 v2, 0
	v_lshlrev_b64 v[1:2], 1, v[1:2]
	v_mov_b32_e32 v4, s9
	v_add_co_u32_e32 v1, vcc, s8, v1
	v_addc_co_u32_e32 v2, vcc, v4, v2, vcc
	v_add_u32_e32 v0, 0x100, v0
	global_store_short v[1:2], v3, off
	s_or_b64 exec, exec, s[0:1]
	v_cmp_gt_i32_e32 vcc, s18, v0
	s_and_saveexec_b64 s[0:1], vcc
	s_cbranch_execnz .LBB209_26
	s_branch .LBB209_27
	.section	.rodata,"a",@progbits
	.p2align	6, 0x0
	.amdhsa_kernel _ZN2at6native29vectorized_elementwise_kernelILi16ENS0_13BinaryFunctorIN3c104HalfES4_S4_ZNS0_12_GLOBAL__N_121threshold_kernel_implIS4_EEvRNS_18TensorIteratorBaseET_S9_EUlS4_S4_E_EESt5arrayIPcLm3EEEEviT0_T1_
		.amdhsa_group_segment_fixed_size 0
		.amdhsa_private_segment_fixed_size 0
		.amdhsa_kernarg_size 32
		.amdhsa_user_sgpr_count 6
		.amdhsa_user_sgpr_private_segment_buffer 1
		.amdhsa_user_sgpr_dispatch_ptr 0
		.amdhsa_user_sgpr_queue_ptr 0
		.amdhsa_user_sgpr_kernarg_segment_ptr 1
		.amdhsa_user_sgpr_dispatch_id 0
		.amdhsa_user_sgpr_flat_scratch_init 0
		.amdhsa_user_sgpr_private_segment_size 0
		.amdhsa_uses_dynamic_stack 0
		.amdhsa_system_sgpr_private_segment_wavefront_offset 0
		.amdhsa_system_sgpr_workgroup_id_x 1
		.amdhsa_system_sgpr_workgroup_id_y 0
		.amdhsa_system_sgpr_workgroup_id_z 0
		.amdhsa_system_sgpr_workgroup_info 0
		.amdhsa_system_vgpr_workitem_id 0
		.amdhsa_next_free_vgpr 24
		.amdhsa_next_free_sgpr 22
		.amdhsa_reserve_vcc 1
		.amdhsa_reserve_flat_scratch 0
		.amdhsa_float_round_mode_32 0
		.amdhsa_float_round_mode_16_64 0
		.amdhsa_float_denorm_mode_32 3
		.amdhsa_float_denorm_mode_16_64 3
		.amdhsa_dx10_clamp 1
		.amdhsa_ieee_mode 1
		.amdhsa_fp16_overflow 0
		.amdhsa_exception_fp_ieee_invalid_op 0
		.amdhsa_exception_fp_denorm_src 0
		.amdhsa_exception_fp_ieee_div_zero 0
		.amdhsa_exception_fp_ieee_overflow 0
		.amdhsa_exception_fp_ieee_underflow 0
		.amdhsa_exception_fp_ieee_inexact 0
		.amdhsa_exception_int_div_zero 0
	.end_amdhsa_kernel
	.section	.text._ZN2at6native29vectorized_elementwise_kernelILi16ENS0_13BinaryFunctorIN3c104HalfES4_S4_ZNS0_12_GLOBAL__N_121threshold_kernel_implIS4_EEvRNS_18TensorIteratorBaseET_S9_EUlS4_S4_E_EESt5arrayIPcLm3EEEEviT0_T1_,"axG",@progbits,_ZN2at6native29vectorized_elementwise_kernelILi16ENS0_13BinaryFunctorIN3c104HalfES4_S4_ZNS0_12_GLOBAL__N_121threshold_kernel_implIS4_EEvRNS_18TensorIteratorBaseET_S9_EUlS4_S4_E_EESt5arrayIPcLm3EEEEviT0_T1_,comdat
.Lfunc_end209:
	.size	_ZN2at6native29vectorized_elementwise_kernelILi16ENS0_13BinaryFunctorIN3c104HalfES4_S4_ZNS0_12_GLOBAL__N_121threshold_kernel_implIS4_EEvRNS_18TensorIteratorBaseET_S9_EUlS4_S4_E_EESt5arrayIPcLm3EEEEviT0_T1_, .Lfunc_end209-_ZN2at6native29vectorized_elementwise_kernelILi16ENS0_13BinaryFunctorIN3c104HalfES4_S4_ZNS0_12_GLOBAL__N_121threshold_kernel_implIS4_EEvRNS_18TensorIteratorBaseET_S9_EUlS4_S4_E_EESt5arrayIPcLm3EEEEviT0_T1_
                                        ; -- End function
	.set _ZN2at6native29vectorized_elementwise_kernelILi16ENS0_13BinaryFunctorIN3c104HalfES4_S4_ZNS0_12_GLOBAL__N_121threshold_kernel_implIS4_EEvRNS_18TensorIteratorBaseET_S9_EUlS4_S4_E_EESt5arrayIPcLm3EEEEviT0_T1_.num_vgpr, 24
	.set _ZN2at6native29vectorized_elementwise_kernelILi16ENS0_13BinaryFunctorIN3c104HalfES4_S4_ZNS0_12_GLOBAL__N_121threshold_kernel_implIS4_EEvRNS_18TensorIteratorBaseET_S9_EUlS4_S4_E_EESt5arrayIPcLm3EEEEviT0_T1_.num_agpr, 0
	.set _ZN2at6native29vectorized_elementwise_kernelILi16ENS0_13BinaryFunctorIN3c104HalfES4_S4_ZNS0_12_GLOBAL__N_121threshold_kernel_implIS4_EEvRNS_18TensorIteratorBaseET_S9_EUlS4_S4_E_EESt5arrayIPcLm3EEEEviT0_T1_.numbered_sgpr, 22
	.set _ZN2at6native29vectorized_elementwise_kernelILi16ENS0_13BinaryFunctorIN3c104HalfES4_S4_ZNS0_12_GLOBAL__N_121threshold_kernel_implIS4_EEvRNS_18TensorIteratorBaseET_S9_EUlS4_S4_E_EESt5arrayIPcLm3EEEEviT0_T1_.num_named_barrier, 0
	.set _ZN2at6native29vectorized_elementwise_kernelILi16ENS0_13BinaryFunctorIN3c104HalfES4_S4_ZNS0_12_GLOBAL__N_121threshold_kernel_implIS4_EEvRNS_18TensorIteratorBaseET_S9_EUlS4_S4_E_EESt5arrayIPcLm3EEEEviT0_T1_.private_seg_size, 0
	.set _ZN2at6native29vectorized_elementwise_kernelILi16ENS0_13BinaryFunctorIN3c104HalfES4_S4_ZNS0_12_GLOBAL__N_121threshold_kernel_implIS4_EEvRNS_18TensorIteratorBaseET_S9_EUlS4_S4_E_EESt5arrayIPcLm3EEEEviT0_T1_.uses_vcc, 1
	.set _ZN2at6native29vectorized_elementwise_kernelILi16ENS0_13BinaryFunctorIN3c104HalfES4_S4_ZNS0_12_GLOBAL__N_121threshold_kernel_implIS4_EEvRNS_18TensorIteratorBaseET_S9_EUlS4_S4_E_EESt5arrayIPcLm3EEEEviT0_T1_.uses_flat_scratch, 0
	.set _ZN2at6native29vectorized_elementwise_kernelILi16ENS0_13BinaryFunctorIN3c104HalfES4_S4_ZNS0_12_GLOBAL__N_121threshold_kernel_implIS4_EEvRNS_18TensorIteratorBaseET_S9_EUlS4_S4_E_EESt5arrayIPcLm3EEEEviT0_T1_.has_dyn_sized_stack, 0
	.set _ZN2at6native29vectorized_elementwise_kernelILi16ENS0_13BinaryFunctorIN3c104HalfES4_S4_ZNS0_12_GLOBAL__N_121threshold_kernel_implIS4_EEvRNS_18TensorIteratorBaseET_S9_EUlS4_S4_E_EESt5arrayIPcLm3EEEEviT0_T1_.has_recursion, 0
	.set _ZN2at6native29vectorized_elementwise_kernelILi16ENS0_13BinaryFunctorIN3c104HalfES4_S4_ZNS0_12_GLOBAL__N_121threshold_kernel_implIS4_EEvRNS_18TensorIteratorBaseET_S9_EUlS4_S4_E_EESt5arrayIPcLm3EEEEviT0_T1_.has_indirect_call, 0
	.section	.AMDGPU.csdata,"",@progbits
; Kernel info:
; codeLenInByte = 1900
; TotalNumSgprs: 26
; NumVgprs: 24
; ScratchSize: 0
; MemoryBound: 0
; FloatMode: 240
; IeeeMode: 1
; LDSByteSize: 0 bytes/workgroup (compile time only)
; SGPRBlocks: 3
; VGPRBlocks: 5
; NumSGPRsForWavesPerEU: 26
; NumVGPRsForWavesPerEU: 24
; Occupancy: 10
; WaveLimiterHint : 0
; COMPUTE_PGM_RSRC2:SCRATCH_EN: 0
; COMPUTE_PGM_RSRC2:USER_SGPR: 6
; COMPUTE_PGM_RSRC2:TRAP_HANDLER: 0
; COMPUTE_PGM_RSRC2:TGID_X_EN: 1
; COMPUTE_PGM_RSRC2:TGID_Y_EN: 0
; COMPUTE_PGM_RSRC2:TGID_Z_EN: 0
; COMPUTE_PGM_RSRC2:TIDIG_COMP_CNT: 0
	.section	.text._ZN2at6native29vectorized_elementwise_kernelILi8ENS0_13BinaryFunctorIN3c104HalfES4_S4_ZNS0_12_GLOBAL__N_121threshold_kernel_implIS4_EEvRNS_18TensorIteratorBaseET_S9_EUlS4_S4_E_EESt5arrayIPcLm3EEEEviT0_T1_,"axG",@progbits,_ZN2at6native29vectorized_elementwise_kernelILi8ENS0_13BinaryFunctorIN3c104HalfES4_S4_ZNS0_12_GLOBAL__N_121threshold_kernel_implIS4_EEvRNS_18TensorIteratorBaseET_S9_EUlS4_S4_E_EESt5arrayIPcLm3EEEEviT0_T1_,comdat
	.globl	_ZN2at6native29vectorized_elementwise_kernelILi8ENS0_13BinaryFunctorIN3c104HalfES4_S4_ZNS0_12_GLOBAL__N_121threshold_kernel_implIS4_EEvRNS_18TensorIteratorBaseET_S9_EUlS4_S4_E_EESt5arrayIPcLm3EEEEviT0_T1_ ; -- Begin function _ZN2at6native29vectorized_elementwise_kernelILi8ENS0_13BinaryFunctorIN3c104HalfES4_S4_ZNS0_12_GLOBAL__N_121threshold_kernel_implIS4_EEvRNS_18TensorIteratorBaseET_S9_EUlS4_S4_E_EESt5arrayIPcLm3EEEEviT0_T1_
	.p2align	8
	.type	_ZN2at6native29vectorized_elementwise_kernelILi8ENS0_13BinaryFunctorIN3c104HalfES4_S4_ZNS0_12_GLOBAL__N_121threshold_kernel_implIS4_EEvRNS_18TensorIteratorBaseET_S9_EUlS4_S4_E_EESt5arrayIPcLm3EEEEviT0_T1_,@function
_ZN2at6native29vectorized_elementwise_kernelILi8ENS0_13BinaryFunctorIN3c104HalfES4_S4_ZNS0_12_GLOBAL__N_121threshold_kernel_implIS4_EEvRNS_18TensorIteratorBaseET_S9_EUlS4_S4_E_EESt5arrayIPcLm3EEEEviT0_T1_: ; @_ZN2at6native29vectorized_elementwise_kernelILi8ENS0_13BinaryFunctorIN3c104HalfES4_S4_ZNS0_12_GLOBAL__N_121threshold_kernel_implIS4_EEvRNS_18TensorIteratorBaseET_S9_EUlS4_S4_E_EESt5arrayIPcLm3EEEEviT0_T1_
; %bb.0:
	s_load_dwordx2 s[12:13], s[4:5], 0x0
	s_load_dwordx4 s[8:11], s[4:5], 0x8
	s_load_dwordx2 s[16:17], s[4:5], 0x18
	s_lshl_b32 s14, s6, 11
	s_mov_b64 s[0:1], -1
	s_waitcnt lgkmcnt(0)
	s_sub_i32 s18, s12, s14
	s_lshr_b32 s12, s13, 16
	s_cmpk_gt_i32 s18, 0x7ff
	s_cbranch_scc0 .LBB210_2
; %bb.1:
	s_ashr_i32 s15, s14, 31
	s_lshl_b64 s[0:1], s[14:15], 1
	s_add_u32 s2, s10, s0
	s_addc_u32 s3, s11, s1
	v_lshlrev_b32_e32 v9, 4, v0
	global_load_dwordx4 v[1:4], v9, s[2:3]
	s_add_u32 s2, s16, s0
	s_addc_u32 s3, s17, s1
	global_load_dwordx4 v[5:8], v9, s[2:3]
	v_mov_b32_e32 v10, s12
	s_add_u32 s20, s8, s0
	s_addc_u32 s21, s9, s1
	s_mov_b32 s15, 0x5040100
	s_waitcnt vmcnt(1)
	v_cmp_le_f16_sdwa vcc, v1, s13 src0_sel:WORD_1 src1_sel:DWORD
	v_cmp_ge_f16_e64 s[6:7], s13, v1
	v_cmp_le_f16_sdwa s[0:1], v2, s13 src0_sel:WORD_1 src1_sel:DWORD
	s_waitcnt vmcnt(0)
	v_cndmask_b32_e64 v1, v5, v10, s[6:7]
	v_cndmask_b32_sdwa v5, v5, v10, vcc dst_sel:DWORD dst_unused:UNUSED_PAD src0_sel:WORD_1 src1_sel:DWORD
	v_cmp_ge_f16_e32 vcc, s13, v2
	v_cndmask_b32_e32 v2, v6, v10, vcc
	v_cmp_ge_f16_e32 vcc, s13, v3
	v_cmp_le_f16_sdwa s[2:3], v3, s13 src0_sel:WORD_1 src1_sel:DWORD
	v_cndmask_b32_e32 v3, v7, v10, vcc
	v_cmp_ge_f16_e32 vcc, s13, v4
	v_cmp_le_f16_sdwa s[4:5], v4, s13 src0_sel:WORD_1 src1_sel:DWORD
	v_cndmask_b32_e32 v4, v8, v10, vcc
	s_mov_b64 vcc, s[0:1]
	v_cndmask_b32_sdwa v6, v6, v10, vcc dst_sel:DWORD dst_unused:UNUSED_PAD src0_sel:WORD_1 src1_sel:DWORD
	s_mov_b64 vcc, s[2:3]
	v_perm_b32 v1, v5, v1, s15
	v_cndmask_b32_sdwa v5, v7, v10, vcc dst_sel:DWORD dst_unused:UNUSED_PAD src0_sel:WORD_1 src1_sel:DWORD
	s_mov_b64 vcc, s[4:5]
	v_perm_b32 v2, v6, v2, s15
	v_cndmask_b32_sdwa v6, v8, v10, vcc dst_sel:DWORD dst_unused:UNUSED_PAD src0_sel:WORD_1 src1_sel:DWORD
	v_perm_b32 v3, v5, v3, s15
	v_perm_b32 v4, v6, v4, s15
	global_store_dwordx4 v9, v[1:4], s[20:21]
	s_mov_b64 s[0:1], 0
.LBB210_2:
	s_andn2_b64 vcc, exec, s[0:1]
	s_cbranch_vccnz .LBB210_27
; %bb.3:
	v_cmp_gt_i32_e32 vcc, s18, v0
	v_mov_b32_e32 v2, 0
	v_mov_b32_e32 v3, 0
	v_or_b32_e32 v1, s14, v0
	v_mov_b32_e32 v5, 0
	v_mov_b32_e32 v14, v0
	s_and_saveexec_b64 s[2:3], vcc
	s_cbranch_execz .LBB210_5
; %bb.4:
	v_mov_b32_e32 v2, 0
	v_lshlrev_b64 v[4:5], 1, v[1:2]
	v_mov_b32_e32 v2, s17
	v_add_co_u32_e64 v6, s[0:1], s16, v4
	v_addc_co_u32_e64 v7, s[0:1], v2, v5, s[0:1]
	v_mov_b32_e32 v2, s11
	v_add_co_u32_e64 v8, s[0:1], s10, v4
	v_addc_co_u32_e64 v9, s[0:1], v2, v5, s[0:1]
	global_load_ushort v5, v[8:9], off
	global_load_ushort v2, v[6:7], off
	v_or_b32_e32 v14, 0x100, v0
.LBB210_5:
	s_or_b64 exec, exec, s[2:3]
	v_cmp_gt_i32_e64 s[0:1], s18, v14
	v_mov_b32_e32 v6, 0
	s_and_saveexec_b64 s[2:3], s[0:1]
	s_cbranch_execz .LBB210_7
; %bb.6:
	v_add_u32_e32 v3, s14, v14
	v_mov_b32_e32 v4, 0
	v_lshlrev_b64 v[3:4], 1, v[3:4]
	v_mov_b32_e32 v6, s17
	v_add_co_u32_e64 v7, s[0:1], s16, v3
	v_addc_co_u32_e64 v8, s[0:1], v6, v4, s[0:1]
	v_mov_b32_e32 v6, s11
	v_add_co_u32_e64 v9, s[0:1], s10, v3
	v_addc_co_u32_e64 v10, s[0:1], v6, v4, s[0:1]
	global_load_ushort v3, v[9:10], off
	global_load_ushort v6, v[7:8], off
	v_add_u32_e32 v14, 0x100, v14
.LBB210_7:
	s_or_b64 exec, exec, s[2:3]
	v_cmp_gt_i32_e64 s[0:1], s18, v14
	v_mov_b32_e32 v8, 0
	v_mov_b32_e32 v4, 0
	v_mov_b32_e32 v9, 0
	s_and_saveexec_b64 s[2:3], s[0:1]
	s_cbranch_execz .LBB210_9
; %bb.8:
	v_add_u32_e32 v7, s14, v14
	v_mov_b32_e32 v8, 0
	v_lshlrev_b64 v[7:8], 1, v[7:8]
	v_mov_b32_e32 v9, s17
	v_add_co_u32_e64 v10, s[0:1], s16, v7
	v_addc_co_u32_e64 v11, s[0:1], v9, v8, s[0:1]
	v_mov_b32_e32 v9, s11
	v_add_co_u32_e64 v12, s[0:1], s10, v7
	v_addc_co_u32_e64 v13, s[0:1], v9, v8, s[0:1]
	global_load_ushort v9, v[12:13], off
	global_load_ushort v8, v[10:11], off
	v_add_u32_e32 v14, 0x100, v14
.LBB210_9:
	s_or_b64 exec, exec, s[2:3]
	v_cmp_gt_i32_e64 s[0:1], s18, v14
	v_mov_b32_e32 v10, 0
	s_and_saveexec_b64 s[2:3], s[0:1]
	s_cbranch_execz .LBB210_11
; %bb.10:
	v_add_u32_e32 v10, s14, v14
	v_mov_b32_e32 v11, 0
	v_lshlrev_b64 v[10:11], 1, v[10:11]
	v_mov_b32_e32 v4, s17
	v_add_co_u32_e64 v12, s[0:1], s16, v10
	v_addc_co_u32_e64 v13, s[0:1], v4, v11, s[0:1]
	v_mov_b32_e32 v4, s11
	v_add_co_u32_e64 v15, s[0:1], s10, v10
	v_addc_co_u32_e64 v16, s[0:1], v4, v11, s[0:1]
	global_load_ushort v4, v[15:16], off
	global_load_ushort v10, v[12:13], off
	v_add_u32_e32 v14, 0x100, v14
.LBB210_11:
	s_or_b64 exec, exec, s[2:3]
	v_cmp_gt_i32_e64 s[0:1], s18, v14
	v_mov_b32_e32 v12, 0
	v_mov_b32_e32 v7, 0
	v_mov_b32_e32 v13, 0
	s_and_saveexec_b64 s[2:3], s[0:1]
	s_cbranch_execz .LBB210_13
; %bb.12:
	v_add_u32_e32 v11, s14, v14
	v_mov_b32_e32 v12, 0
	v_lshlrev_b64 v[11:12], 1, v[11:12]
	v_mov_b32_e32 v13, s17
	v_add_co_u32_e64 v15, s[0:1], s16, v11
	v_addc_co_u32_e64 v16, s[0:1], v13, v12, s[0:1]
	v_mov_b32_e32 v13, s11
	v_add_co_u32_e64 v17, s[0:1], s10, v11
	v_addc_co_u32_e64 v18, s[0:1], v13, v12, s[0:1]
	global_load_ushort v13, v[17:18], off
	global_load_ushort v12, v[15:16], off
	v_add_u32_e32 v14, 0x100, v14
.LBB210_13:
	;; [unrolled: 40-line block ×3, first 2 shown]
	s_or_b64 exec, exec, s[2:3]
	v_cmp_gt_i32_e64 s[0:1], s18, v14
	v_mov_b32_e32 v18, 0
	s_and_saveexec_b64 s[2:3], s[0:1]
	s_cbranch_execnz .LBB210_28
; %bb.18:
	s_or_b64 exec, exec, s[2:3]
	s_and_saveexec_b64 s[0:1], vcc
	s_cbranch_execnz .LBB210_29
.LBB210_19:
	s_or_b64 exec, exec, s[0:1]
	v_cmp_gt_i32_e32 vcc, s18, v0
	s_and_saveexec_b64 s[0:1], vcc
	s_cbranch_execnz .LBB210_30
.LBB210_20:
	s_or_b64 exec, exec, s[0:1]
	v_cmp_gt_i32_e32 vcc, s18, v0
	s_and_saveexec_b64 s[0:1], vcc
	s_cbranch_execnz .LBB210_31
.LBB210_21:
	s_or_b64 exec, exec, s[0:1]
	v_cmp_gt_i32_e32 vcc, s18, v0
	s_and_saveexec_b64 s[0:1], vcc
	s_cbranch_execnz .LBB210_32
.LBB210_22:
	s_or_b64 exec, exec, s[0:1]
	v_cmp_gt_i32_e32 vcc, s18, v0
	s_and_saveexec_b64 s[0:1], vcc
	s_cbranch_execnz .LBB210_33
.LBB210_23:
	s_or_b64 exec, exec, s[0:1]
	v_cmp_gt_i32_e32 vcc, s18, v0
	s_and_saveexec_b64 s[0:1], vcc
	s_cbranch_execnz .LBB210_34
.LBB210_24:
	s_or_b64 exec, exec, s[0:1]
	v_cmp_gt_i32_e32 vcc, s18, v0
	s_and_saveexec_b64 s[0:1], vcc
	s_cbranch_execnz .LBB210_35
.LBB210_25:
	s_or_b64 exec, exec, s[0:1]
	v_cmp_gt_i32_e32 vcc, s18, v0
	s_and_saveexec_b64 s[0:1], vcc
	s_cbranch_execz .LBB210_27
.LBB210_26:
	v_mov_b32_e32 v1, s12
	s_waitcnt vmcnt(1)
	v_cmp_ge_f16_e32 vcc, s13, v11
	s_waitcnt vmcnt(0)
	v_cndmask_b32_e32 v2, v18, v1, vcc
	v_add_u32_e32 v0, s14, v0
	v_mov_b32_e32 v1, 0
	v_lshlrev_b64 v[0:1], 1, v[0:1]
	v_mov_b32_e32 v3, s9
	v_add_co_u32_e32 v0, vcc, s8, v0
	v_addc_co_u32_e32 v1, vcc, v3, v1, vcc
	global_store_short v[0:1], v2, off
.LBB210_27:
	s_endpgm
.LBB210_28:
	v_add_u32_e32 v18, s14, v14
	v_mov_b32_e32 v19, 0
	v_lshlrev_b64 v[18:19], 1, v[18:19]
	v_mov_b32_e32 v11, s17
	v_add_co_u32_e64 v20, s[0:1], s16, v18
	v_addc_co_u32_e64 v21, s[0:1], v11, v19, s[0:1]
	v_mov_b32_e32 v11, s11
	v_add_co_u32_e64 v22, s[0:1], s10, v18
	v_addc_co_u32_e64 v23, s[0:1], v11, v19, s[0:1]
	global_load_ushort v11, v[22:23], off
	global_load_ushort v18, v[20:21], off
	s_or_b64 exec, exec, s[2:3]
	s_and_saveexec_b64 s[0:1], vcc
	s_cbranch_execz .LBB210_19
.LBB210_29:
	v_mov_b32_e32 v14, s12
	s_waitcnt vmcnt(1)
	v_cmp_ge_f16_e32 vcc, s13, v5
	s_waitcnt vmcnt(0)
	v_cndmask_b32_e32 v5, v2, v14, vcc
	v_mov_b32_e32 v2, 0
	v_lshlrev_b64 v[1:2], 1, v[1:2]
	v_mov_b32_e32 v14, s9
	v_add_co_u32_e32 v1, vcc, s8, v1
	v_or_b32_e32 v0, 0x100, v0
	v_addc_co_u32_e32 v2, vcc, v14, v2, vcc
	global_store_short v[1:2], v5, off
	s_or_b64 exec, exec, s[0:1]
	v_cmp_gt_i32_e32 vcc, s18, v0
	s_and_saveexec_b64 s[0:1], vcc
	s_cbranch_execz .LBB210_20
.LBB210_30:
	v_mov_b32_e32 v1, s12
	s_waitcnt vmcnt(1)
	v_cmp_ge_f16_e32 vcc, s13, v3
	s_waitcnt vmcnt(0)
	v_cndmask_b32_e32 v3, v6, v1, vcc
	v_add_u32_e32 v1, s14, v0
	v_mov_b32_e32 v2, 0
	v_lshlrev_b64 v[1:2], 1, v[1:2]
	v_mov_b32_e32 v5, s9
	v_add_co_u32_e32 v1, vcc, s8, v1
	v_addc_co_u32_e32 v2, vcc, v5, v2, vcc
	v_add_u32_e32 v0, 0x100, v0
	global_store_short v[1:2], v3, off
	s_or_b64 exec, exec, s[0:1]
	v_cmp_gt_i32_e32 vcc, s18, v0
	s_and_saveexec_b64 s[0:1], vcc
	s_cbranch_execz .LBB210_21
.LBB210_31:
	v_mov_b32_e32 v1, s12
	s_waitcnt vmcnt(1)
	v_cmp_ge_f16_e32 vcc, s13, v9
	s_waitcnt vmcnt(0)
	v_cndmask_b32_e32 v3, v8, v1, vcc
	v_add_u32_e32 v1, s14, v0
	v_mov_b32_e32 v2, 0
	v_lshlrev_b64 v[1:2], 1, v[1:2]
	v_mov_b32_e32 v5, s9
	v_add_co_u32_e32 v1, vcc, s8, v1
	v_addc_co_u32_e32 v2, vcc, v5, v2, vcc
	v_add_u32_e32 v0, 0x100, v0
	global_store_short v[1:2], v3, off
	s_or_b64 exec, exec, s[0:1]
	v_cmp_gt_i32_e32 vcc, s18, v0
	s_and_saveexec_b64 s[0:1], vcc
	s_cbranch_execz .LBB210_22
.LBB210_32:
	v_mov_b32_e32 v1, s12
	s_waitcnt vmcnt(1)
	v_cmp_ge_f16_e32 vcc, s13, v4
	s_waitcnt vmcnt(0)
	v_cndmask_b32_e32 v3, v10, v1, vcc
	v_add_u32_e32 v1, s14, v0
	v_mov_b32_e32 v2, 0
	v_lshlrev_b64 v[1:2], 1, v[1:2]
	v_mov_b32_e32 v4, s9
	v_add_co_u32_e32 v1, vcc, s8, v1
	v_addc_co_u32_e32 v2, vcc, v4, v2, vcc
	v_add_u32_e32 v0, 0x100, v0
	global_store_short v[1:2], v3, off
	s_or_b64 exec, exec, s[0:1]
	v_cmp_gt_i32_e32 vcc, s18, v0
	s_and_saveexec_b64 s[0:1], vcc
	s_cbranch_execz .LBB210_23
.LBB210_33:
	v_mov_b32_e32 v1, s12
	s_waitcnt vmcnt(1)
	v_cmp_ge_f16_e32 vcc, s13, v13
	s_waitcnt vmcnt(0)
	v_cndmask_b32_e32 v3, v12, v1, vcc
	v_add_u32_e32 v1, s14, v0
	v_mov_b32_e32 v2, 0
	v_lshlrev_b64 v[1:2], 1, v[1:2]
	v_mov_b32_e32 v4, s9
	v_add_co_u32_e32 v1, vcc, s8, v1
	v_addc_co_u32_e32 v2, vcc, v4, v2, vcc
	v_add_u32_e32 v0, 0x100, v0
	global_store_short v[1:2], v3, off
	s_or_b64 exec, exec, s[0:1]
	v_cmp_gt_i32_e32 vcc, s18, v0
	s_and_saveexec_b64 s[0:1], vcc
	s_cbranch_execz .LBB210_24
.LBB210_34:
	v_mov_b32_e32 v1, s12
	s_waitcnt vmcnt(1)
	v_cmp_ge_f16_e32 vcc, s13, v7
	s_waitcnt vmcnt(0)
	v_cndmask_b32_e32 v3, v15, v1, vcc
	v_add_u32_e32 v1, s14, v0
	v_mov_b32_e32 v2, 0
	v_lshlrev_b64 v[1:2], 1, v[1:2]
	v_mov_b32_e32 v4, s9
	v_add_co_u32_e32 v1, vcc, s8, v1
	v_addc_co_u32_e32 v2, vcc, v4, v2, vcc
	v_add_u32_e32 v0, 0x100, v0
	global_store_short v[1:2], v3, off
	s_or_b64 exec, exec, s[0:1]
	v_cmp_gt_i32_e32 vcc, s18, v0
	s_and_saveexec_b64 s[0:1], vcc
	s_cbranch_execz .LBB210_25
.LBB210_35:
	v_mov_b32_e32 v1, s12
	s_waitcnt vmcnt(1)
	v_cmp_ge_f16_e32 vcc, s13, v17
	s_waitcnt vmcnt(0)
	v_cndmask_b32_e32 v3, v16, v1, vcc
	v_add_u32_e32 v1, s14, v0
	v_mov_b32_e32 v2, 0
	v_lshlrev_b64 v[1:2], 1, v[1:2]
	v_mov_b32_e32 v4, s9
	v_add_co_u32_e32 v1, vcc, s8, v1
	v_addc_co_u32_e32 v2, vcc, v4, v2, vcc
	v_add_u32_e32 v0, 0x100, v0
	global_store_short v[1:2], v3, off
	s_or_b64 exec, exec, s[0:1]
	v_cmp_gt_i32_e32 vcc, s18, v0
	s_and_saveexec_b64 s[0:1], vcc
	s_cbranch_execnz .LBB210_26
	s_branch .LBB210_27
	.section	.rodata,"a",@progbits
	.p2align	6, 0x0
	.amdhsa_kernel _ZN2at6native29vectorized_elementwise_kernelILi8ENS0_13BinaryFunctorIN3c104HalfES4_S4_ZNS0_12_GLOBAL__N_121threshold_kernel_implIS4_EEvRNS_18TensorIteratorBaseET_S9_EUlS4_S4_E_EESt5arrayIPcLm3EEEEviT0_T1_
		.amdhsa_group_segment_fixed_size 0
		.amdhsa_private_segment_fixed_size 0
		.amdhsa_kernarg_size 32
		.amdhsa_user_sgpr_count 6
		.amdhsa_user_sgpr_private_segment_buffer 1
		.amdhsa_user_sgpr_dispatch_ptr 0
		.amdhsa_user_sgpr_queue_ptr 0
		.amdhsa_user_sgpr_kernarg_segment_ptr 1
		.amdhsa_user_sgpr_dispatch_id 0
		.amdhsa_user_sgpr_flat_scratch_init 0
		.amdhsa_user_sgpr_private_segment_size 0
		.amdhsa_uses_dynamic_stack 0
		.amdhsa_system_sgpr_private_segment_wavefront_offset 0
		.amdhsa_system_sgpr_workgroup_id_x 1
		.amdhsa_system_sgpr_workgroup_id_y 0
		.amdhsa_system_sgpr_workgroup_id_z 0
		.amdhsa_system_sgpr_workgroup_info 0
		.amdhsa_system_vgpr_workitem_id 0
		.amdhsa_next_free_vgpr 24
		.amdhsa_next_free_sgpr 22
		.amdhsa_reserve_vcc 1
		.amdhsa_reserve_flat_scratch 0
		.amdhsa_float_round_mode_32 0
		.amdhsa_float_round_mode_16_64 0
		.amdhsa_float_denorm_mode_32 3
		.amdhsa_float_denorm_mode_16_64 3
		.amdhsa_dx10_clamp 1
		.amdhsa_ieee_mode 1
		.amdhsa_fp16_overflow 0
		.amdhsa_exception_fp_ieee_invalid_op 0
		.amdhsa_exception_fp_denorm_src 0
		.amdhsa_exception_fp_ieee_div_zero 0
		.amdhsa_exception_fp_ieee_overflow 0
		.amdhsa_exception_fp_ieee_underflow 0
		.amdhsa_exception_fp_ieee_inexact 0
		.amdhsa_exception_int_div_zero 0
	.end_amdhsa_kernel
	.section	.text._ZN2at6native29vectorized_elementwise_kernelILi8ENS0_13BinaryFunctorIN3c104HalfES4_S4_ZNS0_12_GLOBAL__N_121threshold_kernel_implIS4_EEvRNS_18TensorIteratorBaseET_S9_EUlS4_S4_E_EESt5arrayIPcLm3EEEEviT0_T1_,"axG",@progbits,_ZN2at6native29vectorized_elementwise_kernelILi8ENS0_13BinaryFunctorIN3c104HalfES4_S4_ZNS0_12_GLOBAL__N_121threshold_kernel_implIS4_EEvRNS_18TensorIteratorBaseET_S9_EUlS4_S4_E_EESt5arrayIPcLm3EEEEviT0_T1_,comdat
.Lfunc_end210:
	.size	_ZN2at6native29vectorized_elementwise_kernelILi8ENS0_13BinaryFunctorIN3c104HalfES4_S4_ZNS0_12_GLOBAL__N_121threshold_kernel_implIS4_EEvRNS_18TensorIteratorBaseET_S9_EUlS4_S4_E_EESt5arrayIPcLm3EEEEviT0_T1_, .Lfunc_end210-_ZN2at6native29vectorized_elementwise_kernelILi8ENS0_13BinaryFunctorIN3c104HalfES4_S4_ZNS0_12_GLOBAL__N_121threshold_kernel_implIS4_EEvRNS_18TensorIteratorBaseET_S9_EUlS4_S4_E_EESt5arrayIPcLm3EEEEviT0_T1_
                                        ; -- End function
	.set _ZN2at6native29vectorized_elementwise_kernelILi8ENS0_13BinaryFunctorIN3c104HalfES4_S4_ZNS0_12_GLOBAL__N_121threshold_kernel_implIS4_EEvRNS_18TensorIteratorBaseET_S9_EUlS4_S4_E_EESt5arrayIPcLm3EEEEviT0_T1_.num_vgpr, 24
	.set _ZN2at6native29vectorized_elementwise_kernelILi8ENS0_13BinaryFunctorIN3c104HalfES4_S4_ZNS0_12_GLOBAL__N_121threshold_kernel_implIS4_EEvRNS_18TensorIteratorBaseET_S9_EUlS4_S4_E_EESt5arrayIPcLm3EEEEviT0_T1_.num_agpr, 0
	.set _ZN2at6native29vectorized_elementwise_kernelILi8ENS0_13BinaryFunctorIN3c104HalfES4_S4_ZNS0_12_GLOBAL__N_121threshold_kernel_implIS4_EEvRNS_18TensorIteratorBaseET_S9_EUlS4_S4_E_EESt5arrayIPcLm3EEEEviT0_T1_.numbered_sgpr, 22
	.set _ZN2at6native29vectorized_elementwise_kernelILi8ENS0_13BinaryFunctorIN3c104HalfES4_S4_ZNS0_12_GLOBAL__N_121threshold_kernel_implIS4_EEvRNS_18TensorIteratorBaseET_S9_EUlS4_S4_E_EESt5arrayIPcLm3EEEEviT0_T1_.num_named_barrier, 0
	.set _ZN2at6native29vectorized_elementwise_kernelILi8ENS0_13BinaryFunctorIN3c104HalfES4_S4_ZNS0_12_GLOBAL__N_121threshold_kernel_implIS4_EEvRNS_18TensorIteratorBaseET_S9_EUlS4_S4_E_EESt5arrayIPcLm3EEEEviT0_T1_.private_seg_size, 0
	.set _ZN2at6native29vectorized_elementwise_kernelILi8ENS0_13BinaryFunctorIN3c104HalfES4_S4_ZNS0_12_GLOBAL__N_121threshold_kernel_implIS4_EEvRNS_18TensorIteratorBaseET_S9_EUlS4_S4_E_EESt5arrayIPcLm3EEEEviT0_T1_.uses_vcc, 1
	.set _ZN2at6native29vectorized_elementwise_kernelILi8ENS0_13BinaryFunctorIN3c104HalfES4_S4_ZNS0_12_GLOBAL__N_121threshold_kernel_implIS4_EEvRNS_18TensorIteratorBaseET_S9_EUlS4_S4_E_EESt5arrayIPcLm3EEEEviT0_T1_.uses_flat_scratch, 0
	.set _ZN2at6native29vectorized_elementwise_kernelILi8ENS0_13BinaryFunctorIN3c104HalfES4_S4_ZNS0_12_GLOBAL__N_121threshold_kernel_implIS4_EEvRNS_18TensorIteratorBaseET_S9_EUlS4_S4_E_EESt5arrayIPcLm3EEEEviT0_T1_.has_dyn_sized_stack, 0
	.set _ZN2at6native29vectorized_elementwise_kernelILi8ENS0_13BinaryFunctorIN3c104HalfES4_S4_ZNS0_12_GLOBAL__N_121threshold_kernel_implIS4_EEvRNS_18TensorIteratorBaseET_S9_EUlS4_S4_E_EESt5arrayIPcLm3EEEEviT0_T1_.has_recursion, 0
	.set _ZN2at6native29vectorized_elementwise_kernelILi8ENS0_13BinaryFunctorIN3c104HalfES4_S4_ZNS0_12_GLOBAL__N_121threshold_kernel_implIS4_EEvRNS_18TensorIteratorBaseET_S9_EUlS4_S4_E_EESt5arrayIPcLm3EEEEviT0_T1_.has_indirect_call, 0
	.section	.AMDGPU.csdata,"",@progbits
; Kernel info:
; codeLenInByte = 1900
; TotalNumSgprs: 26
; NumVgprs: 24
; ScratchSize: 0
; MemoryBound: 0
; FloatMode: 240
; IeeeMode: 1
; LDSByteSize: 0 bytes/workgroup (compile time only)
; SGPRBlocks: 3
; VGPRBlocks: 5
; NumSGPRsForWavesPerEU: 26
; NumVGPRsForWavesPerEU: 24
; Occupancy: 10
; WaveLimiterHint : 0
; COMPUTE_PGM_RSRC2:SCRATCH_EN: 0
; COMPUTE_PGM_RSRC2:USER_SGPR: 6
; COMPUTE_PGM_RSRC2:TRAP_HANDLER: 0
; COMPUTE_PGM_RSRC2:TGID_X_EN: 1
; COMPUTE_PGM_RSRC2:TGID_Y_EN: 0
; COMPUTE_PGM_RSRC2:TGID_Z_EN: 0
; COMPUTE_PGM_RSRC2:TIDIG_COMP_CNT: 0
	.section	.text._ZN2at6native29vectorized_elementwise_kernelILi4ENS0_13BinaryFunctorIN3c104HalfES4_S4_ZNS0_12_GLOBAL__N_121threshold_kernel_implIS4_EEvRNS_18TensorIteratorBaseET_S9_EUlS4_S4_E_EESt5arrayIPcLm3EEEEviT0_T1_,"axG",@progbits,_ZN2at6native29vectorized_elementwise_kernelILi4ENS0_13BinaryFunctorIN3c104HalfES4_S4_ZNS0_12_GLOBAL__N_121threshold_kernel_implIS4_EEvRNS_18TensorIteratorBaseET_S9_EUlS4_S4_E_EESt5arrayIPcLm3EEEEviT0_T1_,comdat
	.globl	_ZN2at6native29vectorized_elementwise_kernelILi4ENS0_13BinaryFunctorIN3c104HalfES4_S4_ZNS0_12_GLOBAL__N_121threshold_kernel_implIS4_EEvRNS_18TensorIteratorBaseET_S9_EUlS4_S4_E_EESt5arrayIPcLm3EEEEviT0_T1_ ; -- Begin function _ZN2at6native29vectorized_elementwise_kernelILi4ENS0_13BinaryFunctorIN3c104HalfES4_S4_ZNS0_12_GLOBAL__N_121threshold_kernel_implIS4_EEvRNS_18TensorIteratorBaseET_S9_EUlS4_S4_E_EESt5arrayIPcLm3EEEEviT0_T1_
	.p2align	8
	.type	_ZN2at6native29vectorized_elementwise_kernelILi4ENS0_13BinaryFunctorIN3c104HalfES4_S4_ZNS0_12_GLOBAL__N_121threshold_kernel_implIS4_EEvRNS_18TensorIteratorBaseET_S9_EUlS4_S4_E_EESt5arrayIPcLm3EEEEviT0_T1_,@function
_ZN2at6native29vectorized_elementwise_kernelILi4ENS0_13BinaryFunctorIN3c104HalfES4_S4_ZNS0_12_GLOBAL__N_121threshold_kernel_implIS4_EEvRNS_18TensorIteratorBaseET_S9_EUlS4_S4_E_EESt5arrayIPcLm3EEEEviT0_T1_: ; @_ZN2at6native29vectorized_elementwise_kernelILi4ENS0_13BinaryFunctorIN3c104HalfES4_S4_ZNS0_12_GLOBAL__N_121threshold_kernel_implIS4_EEvRNS_18TensorIteratorBaseET_S9_EUlS4_S4_E_EESt5arrayIPcLm3EEEEviT0_T1_
; %bb.0:
	s_load_dwordx2 s[2:3], s[4:5], 0x0
	s_load_dwordx4 s[8:11], s[4:5], 0x8
	s_load_dwordx2 s[12:13], s[4:5], 0x18
	s_lshl_b32 s4, s6, 11
	s_mov_b64 s[0:1], -1
	s_waitcnt lgkmcnt(0)
	s_sub_i32 s14, s2, s4
	s_lshr_b32 s2, s3, 16
	s_cmpk_gt_i32 s14, 0x7ff
	s_cbranch_scc0 .LBB211_2
; %bb.1:
	s_ashr_i32 s5, s4, 31
	s_lshl_b64 s[0:1], s[4:5], 1
	s_add_u32 s6, s10, s0
	s_addc_u32 s7, s11, s1
	s_add_u32 s16, s12, s0
	v_lshlrev_b32_e32 v9, 3, v0
	s_addc_u32 s17, s13, s1
	global_load_dwordx2 v[1:2], v9, s[16:17]
	global_load_dwordx2 v[3:4], v9, s[16:17] offset:2048
	global_load_dwordx2 v[5:6], v9, s[6:7]
	global_load_dwordx2 v[7:8], v9, s[6:7] offset:2048
	v_mov_b32_e32 v10, s2
	s_add_u32 s0, s8, s0
	s_addc_u32 s1, s9, s1
	s_waitcnt vmcnt(3)
	v_lshrrev_b32_e32 v11, 16, v1
	v_lshrrev_b32_e32 v12, 16, v2
	s_waitcnt vmcnt(1)
	v_cmp_ge_f16_e32 vcc, s3, v5
	v_cndmask_b32_e32 v1, v1, v10, vcc
	v_cmp_ge_f16_e32 vcc, s3, v6
	v_cndmask_b32_e32 v2, v2, v10, vcc
	s_waitcnt vmcnt(0)
	v_cmp_ge_f16_e32 vcc, s3, v7
	v_lshrrev_b32_e32 v13, 16, v3
	v_cndmask_b32_e32 v3, v3, v10, vcc
	v_cmp_ge_f16_e32 vcc, s3, v8
	v_lshrrev_b32_e32 v14, 16, v4
	v_cndmask_b32_e32 v4, v4, v10, vcc
	v_cmp_le_f16_sdwa vcc, v5, s3 src0_sel:WORD_1 src1_sel:DWORD
	v_cndmask_b32_e32 v5, v11, v10, vcc
	v_cmp_le_f16_sdwa vcc, v6, s3 src0_sel:WORD_1 src1_sel:DWORD
	;; [unrolled: 2-line block ×3, first 2 shown]
	v_and_b32_e32 v1, 0xffff, v1
	v_cndmask_b32_e32 v7, v13, v10, vcc
	v_cmp_le_f16_sdwa vcc, v8, s3 src0_sel:WORD_1 src1_sel:DWORD
	v_lshlrev_b32_e32 v5, 16, v5
	v_and_b32_e32 v2, 0xffff, v2
	v_and_b32_e32 v3, 0xffff, v3
	v_cndmask_b32_e32 v8, v14, v10, vcc
	v_lshlrev_b32_e32 v6, 16, v6
	v_lshlrev_b32_e32 v7, 16, v7
	v_or_b32_e32 v1, v5, v1
	v_and_b32_e32 v4, 0xffff, v4
	v_lshlrev_b32_e32 v8, 16, v8
	v_or3_b32 v2, 0, v2, v6
	v_or_b32_e32 v3, v7, v3
	v_or3_b32 v1, v1, 0, 0
	v_or3_b32 v4, 0, v4, v8
	;; [unrolled: 1-line block ×3, first 2 shown]
	global_store_dwordx2 v9, v[1:2], s[0:1]
	global_store_dwordx2 v9, v[3:4], s[0:1] offset:2048
	s_mov_b64 s[0:1], 0
.LBB211_2:
	s_andn2_b64 vcc, exec, s[0:1]
	s_cbranch_vccnz .LBB211_27
; %bb.3:
	v_cmp_gt_i32_e32 vcc, s14, v0
	v_mov_b32_e32 v2, 0
	v_mov_b32_e32 v3, 0
	v_or_b32_e32 v1, s4, v0
	v_mov_b32_e32 v5, 0
	v_mov_b32_e32 v14, v0
	s_and_saveexec_b64 s[6:7], vcc
	s_cbranch_execz .LBB211_5
; %bb.4:
	v_mov_b32_e32 v2, 0
	v_lshlrev_b64 v[4:5], 1, v[1:2]
	v_mov_b32_e32 v2, s13
	v_add_co_u32_e64 v6, s[0:1], s12, v4
	v_addc_co_u32_e64 v7, s[0:1], v2, v5, s[0:1]
	v_mov_b32_e32 v2, s11
	v_add_co_u32_e64 v8, s[0:1], s10, v4
	v_addc_co_u32_e64 v9, s[0:1], v2, v5, s[0:1]
	global_load_ushort v5, v[8:9], off
	global_load_ushort v2, v[6:7], off
	v_or_b32_e32 v14, 0x100, v0
.LBB211_5:
	s_or_b64 exec, exec, s[6:7]
	v_cmp_gt_i32_e64 s[0:1], s14, v14
	v_mov_b32_e32 v6, 0
	s_and_saveexec_b64 s[6:7], s[0:1]
	s_cbranch_execz .LBB211_7
; %bb.6:
	v_add_u32_e32 v3, s4, v14
	v_mov_b32_e32 v4, 0
	v_lshlrev_b64 v[3:4], 1, v[3:4]
	v_mov_b32_e32 v6, s13
	v_add_co_u32_e64 v7, s[0:1], s12, v3
	v_addc_co_u32_e64 v8, s[0:1], v6, v4, s[0:1]
	v_mov_b32_e32 v6, s11
	v_add_co_u32_e64 v9, s[0:1], s10, v3
	v_addc_co_u32_e64 v10, s[0:1], v6, v4, s[0:1]
	global_load_ushort v3, v[9:10], off
	global_load_ushort v6, v[7:8], off
	v_add_u32_e32 v14, 0x100, v14
.LBB211_7:
	s_or_b64 exec, exec, s[6:7]
	v_cmp_gt_i32_e64 s[0:1], s14, v14
	v_mov_b32_e32 v8, 0
	v_mov_b32_e32 v4, 0
	v_mov_b32_e32 v9, 0
	s_and_saveexec_b64 s[6:7], s[0:1]
	s_cbranch_execz .LBB211_9
; %bb.8:
	v_add_u32_e32 v7, s4, v14
	v_mov_b32_e32 v8, 0
	v_lshlrev_b64 v[7:8], 1, v[7:8]
	v_mov_b32_e32 v9, s13
	v_add_co_u32_e64 v10, s[0:1], s12, v7
	v_addc_co_u32_e64 v11, s[0:1], v9, v8, s[0:1]
	v_mov_b32_e32 v9, s11
	v_add_co_u32_e64 v12, s[0:1], s10, v7
	v_addc_co_u32_e64 v13, s[0:1], v9, v8, s[0:1]
	global_load_ushort v9, v[12:13], off
	global_load_ushort v8, v[10:11], off
	v_add_u32_e32 v14, 0x100, v14
.LBB211_9:
	s_or_b64 exec, exec, s[6:7]
	v_cmp_gt_i32_e64 s[0:1], s14, v14
	v_mov_b32_e32 v10, 0
	s_and_saveexec_b64 s[6:7], s[0:1]
	s_cbranch_execz .LBB211_11
; %bb.10:
	v_add_u32_e32 v10, s4, v14
	v_mov_b32_e32 v11, 0
	v_lshlrev_b64 v[10:11], 1, v[10:11]
	v_mov_b32_e32 v4, s13
	v_add_co_u32_e64 v12, s[0:1], s12, v10
	v_addc_co_u32_e64 v13, s[0:1], v4, v11, s[0:1]
	v_mov_b32_e32 v4, s11
	v_add_co_u32_e64 v15, s[0:1], s10, v10
	v_addc_co_u32_e64 v16, s[0:1], v4, v11, s[0:1]
	global_load_ushort v4, v[15:16], off
	global_load_ushort v10, v[12:13], off
	v_add_u32_e32 v14, 0x100, v14
.LBB211_11:
	s_or_b64 exec, exec, s[6:7]
	v_cmp_gt_i32_e64 s[0:1], s14, v14
	v_mov_b32_e32 v12, 0
	v_mov_b32_e32 v7, 0
	v_mov_b32_e32 v13, 0
	s_and_saveexec_b64 s[6:7], s[0:1]
	s_cbranch_execz .LBB211_13
; %bb.12:
	v_add_u32_e32 v11, s4, v14
	v_mov_b32_e32 v12, 0
	v_lshlrev_b64 v[11:12], 1, v[11:12]
	v_mov_b32_e32 v13, s13
	v_add_co_u32_e64 v15, s[0:1], s12, v11
	v_addc_co_u32_e64 v16, s[0:1], v13, v12, s[0:1]
	v_mov_b32_e32 v13, s11
	v_add_co_u32_e64 v17, s[0:1], s10, v11
	v_addc_co_u32_e64 v18, s[0:1], v13, v12, s[0:1]
	global_load_ushort v13, v[17:18], off
	global_load_ushort v12, v[15:16], off
	v_add_u32_e32 v14, 0x100, v14
.LBB211_13:
	;; [unrolled: 40-line block ×3, first 2 shown]
	s_or_b64 exec, exec, s[6:7]
	v_cmp_gt_i32_e64 s[0:1], s14, v14
	v_mov_b32_e32 v18, 0
	s_and_saveexec_b64 s[6:7], s[0:1]
	s_cbranch_execnz .LBB211_28
; %bb.18:
	s_or_b64 exec, exec, s[6:7]
	s_and_saveexec_b64 s[0:1], vcc
	s_cbranch_execnz .LBB211_29
.LBB211_19:
	s_or_b64 exec, exec, s[0:1]
	v_cmp_gt_i32_e32 vcc, s14, v0
	s_and_saveexec_b64 s[0:1], vcc
	s_cbranch_execnz .LBB211_30
.LBB211_20:
	s_or_b64 exec, exec, s[0:1]
	v_cmp_gt_i32_e32 vcc, s14, v0
	s_and_saveexec_b64 s[0:1], vcc
	s_cbranch_execnz .LBB211_31
.LBB211_21:
	s_or_b64 exec, exec, s[0:1]
	v_cmp_gt_i32_e32 vcc, s14, v0
	s_and_saveexec_b64 s[0:1], vcc
	s_cbranch_execnz .LBB211_32
.LBB211_22:
	s_or_b64 exec, exec, s[0:1]
	v_cmp_gt_i32_e32 vcc, s14, v0
	s_and_saveexec_b64 s[0:1], vcc
	s_cbranch_execnz .LBB211_33
.LBB211_23:
	s_or_b64 exec, exec, s[0:1]
	v_cmp_gt_i32_e32 vcc, s14, v0
	s_and_saveexec_b64 s[0:1], vcc
	s_cbranch_execnz .LBB211_34
.LBB211_24:
	s_or_b64 exec, exec, s[0:1]
	v_cmp_gt_i32_e32 vcc, s14, v0
	s_and_saveexec_b64 s[0:1], vcc
	s_cbranch_execnz .LBB211_35
.LBB211_25:
	s_or_b64 exec, exec, s[0:1]
	v_cmp_gt_i32_e32 vcc, s14, v0
	s_and_saveexec_b64 s[0:1], vcc
	s_cbranch_execz .LBB211_27
.LBB211_26:
	v_mov_b32_e32 v1, s2
	s_waitcnt vmcnt(1)
	v_cmp_ge_f16_e32 vcc, s3, v11
	s_waitcnt vmcnt(0)
	v_cndmask_b32_e32 v2, v18, v1, vcc
	v_add_u32_e32 v0, s4, v0
	v_mov_b32_e32 v1, 0
	v_lshlrev_b64 v[0:1], 1, v[0:1]
	v_mov_b32_e32 v3, s9
	v_add_co_u32_e32 v0, vcc, s8, v0
	v_addc_co_u32_e32 v1, vcc, v3, v1, vcc
	global_store_short v[0:1], v2, off
.LBB211_27:
	s_endpgm
.LBB211_28:
	v_add_u32_e32 v18, s4, v14
	v_mov_b32_e32 v19, 0
	v_lshlrev_b64 v[18:19], 1, v[18:19]
	v_mov_b32_e32 v11, s13
	v_add_co_u32_e64 v20, s[0:1], s12, v18
	v_addc_co_u32_e64 v21, s[0:1], v11, v19, s[0:1]
	v_mov_b32_e32 v11, s11
	v_add_co_u32_e64 v22, s[0:1], s10, v18
	v_addc_co_u32_e64 v23, s[0:1], v11, v19, s[0:1]
	global_load_ushort v11, v[22:23], off
	global_load_ushort v18, v[20:21], off
	s_or_b64 exec, exec, s[6:7]
	s_and_saveexec_b64 s[0:1], vcc
	s_cbranch_execz .LBB211_19
.LBB211_29:
	v_mov_b32_e32 v14, s2
	s_waitcnt vmcnt(1)
	v_cmp_ge_f16_e32 vcc, s3, v5
	s_waitcnt vmcnt(0)
	v_cndmask_b32_e32 v5, v2, v14, vcc
	v_mov_b32_e32 v2, 0
	v_lshlrev_b64 v[1:2], 1, v[1:2]
	v_mov_b32_e32 v14, s9
	v_add_co_u32_e32 v1, vcc, s8, v1
	v_or_b32_e32 v0, 0x100, v0
	v_addc_co_u32_e32 v2, vcc, v14, v2, vcc
	global_store_short v[1:2], v5, off
	s_or_b64 exec, exec, s[0:1]
	v_cmp_gt_i32_e32 vcc, s14, v0
	s_and_saveexec_b64 s[0:1], vcc
	s_cbranch_execz .LBB211_20
.LBB211_30:
	v_mov_b32_e32 v1, s2
	s_waitcnt vmcnt(1)
	v_cmp_ge_f16_e32 vcc, s3, v3
	s_waitcnt vmcnt(0)
	v_cndmask_b32_e32 v3, v6, v1, vcc
	v_add_u32_e32 v1, s4, v0
	v_mov_b32_e32 v2, 0
	v_lshlrev_b64 v[1:2], 1, v[1:2]
	v_mov_b32_e32 v5, s9
	v_add_co_u32_e32 v1, vcc, s8, v1
	v_addc_co_u32_e32 v2, vcc, v5, v2, vcc
	v_add_u32_e32 v0, 0x100, v0
	global_store_short v[1:2], v3, off
	s_or_b64 exec, exec, s[0:1]
	v_cmp_gt_i32_e32 vcc, s14, v0
	s_and_saveexec_b64 s[0:1], vcc
	s_cbranch_execz .LBB211_21
.LBB211_31:
	v_mov_b32_e32 v1, s2
	s_waitcnt vmcnt(1)
	v_cmp_ge_f16_e32 vcc, s3, v9
	s_waitcnt vmcnt(0)
	v_cndmask_b32_e32 v3, v8, v1, vcc
	v_add_u32_e32 v1, s4, v0
	v_mov_b32_e32 v2, 0
	v_lshlrev_b64 v[1:2], 1, v[1:2]
	v_mov_b32_e32 v5, s9
	v_add_co_u32_e32 v1, vcc, s8, v1
	v_addc_co_u32_e32 v2, vcc, v5, v2, vcc
	v_add_u32_e32 v0, 0x100, v0
	global_store_short v[1:2], v3, off
	s_or_b64 exec, exec, s[0:1]
	v_cmp_gt_i32_e32 vcc, s14, v0
	s_and_saveexec_b64 s[0:1], vcc
	s_cbranch_execz .LBB211_22
.LBB211_32:
	v_mov_b32_e32 v1, s2
	s_waitcnt vmcnt(1)
	v_cmp_ge_f16_e32 vcc, s3, v4
	s_waitcnt vmcnt(0)
	v_cndmask_b32_e32 v3, v10, v1, vcc
	v_add_u32_e32 v1, s4, v0
	v_mov_b32_e32 v2, 0
	v_lshlrev_b64 v[1:2], 1, v[1:2]
	v_mov_b32_e32 v4, s9
	v_add_co_u32_e32 v1, vcc, s8, v1
	v_addc_co_u32_e32 v2, vcc, v4, v2, vcc
	v_add_u32_e32 v0, 0x100, v0
	global_store_short v[1:2], v3, off
	s_or_b64 exec, exec, s[0:1]
	v_cmp_gt_i32_e32 vcc, s14, v0
	s_and_saveexec_b64 s[0:1], vcc
	s_cbranch_execz .LBB211_23
.LBB211_33:
	v_mov_b32_e32 v1, s2
	s_waitcnt vmcnt(1)
	v_cmp_ge_f16_e32 vcc, s3, v13
	s_waitcnt vmcnt(0)
	v_cndmask_b32_e32 v3, v12, v1, vcc
	v_add_u32_e32 v1, s4, v0
	v_mov_b32_e32 v2, 0
	v_lshlrev_b64 v[1:2], 1, v[1:2]
	v_mov_b32_e32 v4, s9
	v_add_co_u32_e32 v1, vcc, s8, v1
	v_addc_co_u32_e32 v2, vcc, v4, v2, vcc
	v_add_u32_e32 v0, 0x100, v0
	global_store_short v[1:2], v3, off
	s_or_b64 exec, exec, s[0:1]
	v_cmp_gt_i32_e32 vcc, s14, v0
	s_and_saveexec_b64 s[0:1], vcc
	s_cbranch_execz .LBB211_24
.LBB211_34:
	v_mov_b32_e32 v1, s2
	s_waitcnt vmcnt(1)
	v_cmp_ge_f16_e32 vcc, s3, v7
	s_waitcnt vmcnt(0)
	v_cndmask_b32_e32 v3, v15, v1, vcc
	v_add_u32_e32 v1, s4, v0
	v_mov_b32_e32 v2, 0
	v_lshlrev_b64 v[1:2], 1, v[1:2]
	v_mov_b32_e32 v4, s9
	v_add_co_u32_e32 v1, vcc, s8, v1
	v_addc_co_u32_e32 v2, vcc, v4, v2, vcc
	v_add_u32_e32 v0, 0x100, v0
	global_store_short v[1:2], v3, off
	s_or_b64 exec, exec, s[0:1]
	v_cmp_gt_i32_e32 vcc, s14, v0
	s_and_saveexec_b64 s[0:1], vcc
	s_cbranch_execz .LBB211_25
.LBB211_35:
	v_mov_b32_e32 v1, s2
	s_waitcnt vmcnt(1)
	v_cmp_ge_f16_e32 vcc, s3, v17
	s_waitcnt vmcnt(0)
	v_cndmask_b32_e32 v3, v16, v1, vcc
	v_add_u32_e32 v1, s4, v0
	v_mov_b32_e32 v2, 0
	v_lshlrev_b64 v[1:2], 1, v[1:2]
	v_mov_b32_e32 v4, s9
	v_add_co_u32_e32 v1, vcc, s8, v1
	v_addc_co_u32_e32 v2, vcc, v4, v2, vcc
	v_add_u32_e32 v0, 0x100, v0
	global_store_short v[1:2], v3, off
	s_or_b64 exec, exec, s[0:1]
	v_cmp_gt_i32_e32 vcc, s14, v0
	s_and_saveexec_b64 s[0:1], vcc
	s_cbranch_execnz .LBB211_26
	s_branch .LBB211_27
	.section	.rodata,"a",@progbits
	.p2align	6, 0x0
	.amdhsa_kernel _ZN2at6native29vectorized_elementwise_kernelILi4ENS0_13BinaryFunctorIN3c104HalfES4_S4_ZNS0_12_GLOBAL__N_121threshold_kernel_implIS4_EEvRNS_18TensorIteratorBaseET_S9_EUlS4_S4_E_EESt5arrayIPcLm3EEEEviT0_T1_
		.amdhsa_group_segment_fixed_size 0
		.amdhsa_private_segment_fixed_size 0
		.amdhsa_kernarg_size 32
		.amdhsa_user_sgpr_count 6
		.amdhsa_user_sgpr_private_segment_buffer 1
		.amdhsa_user_sgpr_dispatch_ptr 0
		.amdhsa_user_sgpr_queue_ptr 0
		.amdhsa_user_sgpr_kernarg_segment_ptr 1
		.amdhsa_user_sgpr_dispatch_id 0
		.amdhsa_user_sgpr_flat_scratch_init 0
		.amdhsa_user_sgpr_private_segment_size 0
		.amdhsa_uses_dynamic_stack 0
		.amdhsa_system_sgpr_private_segment_wavefront_offset 0
		.amdhsa_system_sgpr_workgroup_id_x 1
		.amdhsa_system_sgpr_workgroup_id_y 0
		.amdhsa_system_sgpr_workgroup_id_z 0
		.amdhsa_system_sgpr_workgroup_info 0
		.amdhsa_system_vgpr_workitem_id 0
		.amdhsa_next_free_vgpr 24
		.amdhsa_next_free_sgpr 18
		.amdhsa_reserve_vcc 1
		.amdhsa_reserve_flat_scratch 0
		.amdhsa_float_round_mode_32 0
		.amdhsa_float_round_mode_16_64 0
		.amdhsa_float_denorm_mode_32 3
		.amdhsa_float_denorm_mode_16_64 3
		.amdhsa_dx10_clamp 1
		.amdhsa_ieee_mode 1
		.amdhsa_fp16_overflow 0
		.amdhsa_exception_fp_ieee_invalid_op 0
		.amdhsa_exception_fp_denorm_src 0
		.amdhsa_exception_fp_ieee_div_zero 0
		.amdhsa_exception_fp_ieee_overflow 0
		.amdhsa_exception_fp_ieee_underflow 0
		.amdhsa_exception_fp_ieee_inexact 0
		.amdhsa_exception_int_div_zero 0
	.end_amdhsa_kernel
	.section	.text._ZN2at6native29vectorized_elementwise_kernelILi4ENS0_13BinaryFunctorIN3c104HalfES4_S4_ZNS0_12_GLOBAL__N_121threshold_kernel_implIS4_EEvRNS_18TensorIteratorBaseET_S9_EUlS4_S4_E_EESt5arrayIPcLm3EEEEviT0_T1_,"axG",@progbits,_ZN2at6native29vectorized_elementwise_kernelILi4ENS0_13BinaryFunctorIN3c104HalfES4_S4_ZNS0_12_GLOBAL__N_121threshold_kernel_implIS4_EEvRNS_18TensorIteratorBaseET_S9_EUlS4_S4_E_EESt5arrayIPcLm3EEEEviT0_T1_,comdat
.Lfunc_end211:
	.size	_ZN2at6native29vectorized_elementwise_kernelILi4ENS0_13BinaryFunctorIN3c104HalfES4_S4_ZNS0_12_GLOBAL__N_121threshold_kernel_implIS4_EEvRNS_18TensorIteratorBaseET_S9_EUlS4_S4_E_EESt5arrayIPcLm3EEEEviT0_T1_, .Lfunc_end211-_ZN2at6native29vectorized_elementwise_kernelILi4ENS0_13BinaryFunctorIN3c104HalfES4_S4_ZNS0_12_GLOBAL__N_121threshold_kernel_implIS4_EEvRNS_18TensorIteratorBaseET_S9_EUlS4_S4_E_EESt5arrayIPcLm3EEEEviT0_T1_
                                        ; -- End function
	.set _ZN2at6native29vectorized_elementwise_kernelILi4ENS0_13BinaryFunctorIN3c104HalfES4_S4_ZNS0_12_GLOBAL__N_121threshold_kernel_implIS4_EEvRNS_18TensorIteratorBaseET_S9_EUlS4_S4_E_EESt5arrayIPcLm3EEEEviT0_T1_.num_vgpr, 24
	.set _ZN2at6native29vectorized_elementwise_kernelILi4ENS0_13BinaryFunctorIN3c104HalfES4_S4_ZNS0_12_GLOBAL__N_121threshold_kernel_implIS4_EEvRNS_18TensorIteratorBaseET_S9_EUlS4_S4_E_EESt5arrayIPcLm3EEEEviT0_T1_.num_agpr, 0
	.set _ZN2at6native29vectorized_elementwise_kernelILi4ENS0_13BinaryFunctorIN3c104HalfES4_S4_ZNS0_12_GLOBAL__N_121threshold_kernel_implIS4_EEvRNS_18TensorIteratorBaseET_S9_EUlS4_S4_E_EESt5arrayIPcLm3EEEEviT0_T1_.numbered_sgpr, 18
	.set _ZN2at6native29vectorized_elementwise_kernelILi4ENS0_13BinaryFunctorIN3c104HalfES4_S4_ZNS0_12_GLOBAL__N_121threshold_kernel_implIS4_EEvRNS_18TensorIteratorBaseET_S9_EUlS4_S4_E_EESt5arrayIPcLm3EEEEviT0_T1_.num_named_barrier, 0
	.set _ZN2at6native29vectorized_elementwise_kernelILi4ENS0_13BinaryFunctorIN3c104HalfES4_S4_ZNS0_12_GLOBAL__N_121threshold_kernel_implIS4_EEvRNS_18TensorIteratorBaseET_S9_EUlS4_S4_E_EESt5arrayIPcLm3EEEEviT0_T1_.private_seg_size, 0
	.set _ZN2at6native29vectorized_elementwise_kernelILi4ENS0_13BinaryFunctorIN3c104HalfES4_S4_ZNS0_12_GLOBAL__N_121threshold_kernel_implIS4_EEvRNS_18TensorIteratorBaseET_S9_EUlS4_S4_E_EESt5arrayIPcLm3EEEEviT0_T1_.uses_vcc, 1
	.set _ZN2at6native29vectorized_elementwise_kernelILi4ENS0_13BinaryFunctorIN3c104HalfES4_S4_ZNS0_12_GLOBAL__N_121threshold_kernel_implIS4_EEvRNS_18TensorIteratorBaseET_S9_EUlS4_S4_E_EESt5arrayIPcLm3EEEEviT0_T1_.uses_flat_scratch, 0
	.set _ZN2at6native29vectorized_elementwise_kernelILi4ENS0_13BinaryFunctorIN3c104HalfES4_S4_ZNS0_12_GLOBAL__N_121threshold_kernel_implIS4_EEvRNS_18TensorIteratorBaseET_S9_EUlS4_S4_E_EESt5arrayIPcLm3EEEEviT0_T1_.has_dyn_sized_stack, 0
	.set _ZN2at6native29vectorized_elementwise_kernelILi4ENS0_13BinaryFunctorIN3c104HalfES4_S4_ZNS0_12_GLOBAL__N_121threshold_kernel_implIS4_EEvRNS_18TensorIteratorBaseET_S9_EUlS4_S4_E_EESt5arrayIPcLm3EEEEviT0_T1_.has_recursion, 0
	.set _ZN2at6native29vectorized_elementwise_kernelILi4ENS0_13BinaryFunctorIN3c104HalfES4_S4_ZNS0_12_GLOBAL__N_121threshold_kernel_implIS4_EEvRNS_18TensorIteratorBaseET_S9_EUlS4_S4_E_EESt5arrayIPcLm3EEEEviT0_T1_.has_indirect_call, 0
	.section	.AMDGPU.csdata,"",@progbits
; Kernel info:
; codeLenInByte = 1956
; TotalNumSgprs: 22
; NumVgprs: 24
; ScratchSize: 0
; MemoryBound: 0
; FloatMode: 240
; IeeeMode: 1
; LDSByteSize: 0 bytes/workgroup (compile time only)
; SGPRBlocks: 2
; VGPRBlocks: 5
; NumSGPRsForWavesPerEU: 22
; NumVGPRsForWavesPerEU: 24
; Occupancy: 10
; WaveLimiterHint : 1
; COMPUTE_PGM_RSRC2:SCRATCH_EN: 0
; COMPUTE_PGM_RSRC2:USER_SGPR: 6
; COMPUTE_PGM_RSRC2:TRAP_HANDLER: 0
; COMPUTE_PGM_RSRC2:TGID_X_EN: 1
; COMPUTE_PGM_RSRC2:TGID_Y_EN: 0
; COMPUTE_PGM_RSRC2:TGID_Z_EN: 0
; COMPUTE_PGM_RSRC2:TIDIG_COMP_CNT: 0
	.section	.text._ZN2at6native29vectorized_elementwise_kernelILi2ENS0_13BinaryFunctorIN3c104HalfES4_S4_ZNS0_12_GLOBAL__N_121threshold_kernel_implIS4_EEvRNS_18TensorIteratorBaseET_S9_EUlS4_S4_E_EESt5arrayIPcLm3EEEEviT0_T1_,"axG",@progbits,_ZN2at6native29vectorized_elementwise_kernelILi2ENS0_13BinaryFunctorIN3c104HalfES4_S4_ZNS0_12_GLOBAL__N_121threshold_kernel_implIS4_EEvRNS_18TensorIteratorBaseET_S9_EUlS4_S4_E_EESt5arrayIPcLm3EEEEviT0_T1_,comdat
	.globl	_ZN2at6native29vectorized_elementwise_kernelILi2ENS0_13BinaryFunctorIN3c104HalfES4_S4_ZNS0_12_GLOBAL__N_121threshold_kernel_implIS4_EEvRNS_18TensorIteratorBaseET_S9_EUlS4_S4_E_EESt5arrayIPcLm3EEEEviT0_T1_ ; -- Begin function _ZN2at6native29vectorized_elementwise_kernelILi2ENS0_13BinaryFunctorIN3c104HalfES4_S4_ZNS0_12_GLOBAL__N_121threshold_kernel_implIS4_EEvRNS_18TensorIteratorBaseET_S9_EUlS4_S4_E_EESt5arrayIPcLm3EEEEviT0_T1_
	.p2align	8
	.type	_ZN2at6native29vectorized_elementwise_kernelILi2ENS0_13BinaryFunctorIN3c104HalfES4_S4_ZNS0_12_GLOBAL__N_121threshold_kernel_implIS4_EEvRNS_18TensorIteratorBaseET_S9_EUlS4_S4_E_EESt5arrayIPcLm3EEEEviT0_T1_,@function
_ZN2at6native29vectorized_elementwise_kernelILi2ENS0_13BinaryFunctorIN3c104HalfES4_S4_ZNS0_12_GLOBAL__N_121threshold_kernel_implIS4_EEvRNS_18TensorIteratorBaseET_S9_EUlS4_S4_E_EESt5arrayIPcLm3EEEEviT0_T1_: ; @_ZN2at6native29vectorized_elementwise_kernelILi2ENS0_13BinaryFunctorIN3c104HalfES4_S4_ZNS0_12_GLOBAL__N_121threshold_kernel_implIS4_EEvRNS_18TensorIteratorBaseET_S9_EUlS4_S4_E_EESt5arrayIPcLm3EEEEviT0_T1_
; %bb.0:
	s_load_dwordx2 s[2:3], s[4:5], 0x0
	s_load_dwordx4 s[8:11], s[4:5], 0x8
	s_load_dwordx2 s[12:13], s[4:5], 0x18
	s_lshl_b32 s4, s6, 11
	s_mov_b64 s[0:1], -1
	s_waitcnt lgkmcnt(0)
	s_sub_i32 s2, s2, s4
	s_cmpk_gt_i32 s2, 0x7ff
	s_cbranch_scc0 .LBB212_2
; %bb.1:
	s_ashr_i32 s5, s4, 31
	s_lshr_b32 s16, s3, 16
	s_lshl_b64 s[0:1], s[4:5], 1
	s_add_u32 s6, s10, s0
	s_addc_u32 s7, s11, s1
	s_add_u32 s14, s12, s0
	v_lshlrev_b32_e32 v1, 2, v0
	s_addc_u32 s15, s13, s1
	global_load_dword v2, v1, s[14:15]
	global_load_dword v3, v1, s[14:15] offset:1024
	global_load_dword v4, v1, s[14:15] offset:2048
	;; [unrolled: 1-line block ×3, first 2 shown]
	global_load_dword v6, v1, s[6:7]
	global_load_dword v7, v1, s[6:7] offset:1024
	global_load_dword v8, v1, s[6:7] offset:2048
	;; [unrolled: 1-line block ×3, first 2 shown]
	v_mov_b32_e32 v10, s16
	s_add_u32 s0, s8, s0
	s_addc_u32 s1, s9, s1
	s_waitcnt vmcnt(7)
	v_lshrrev_b32_e32 v11, 16, v2
	v_and_b32_e32 v2, 0xffff, v2
	s_waitcnt vmcnt(6)
	v_lshrrev_b32_e32 v12, 16, v3
	v_and_b32_e32 v3, 0xffff, v3
	s_waitcnt vmcnt(3)
	v_cmp_ge_f16_e32 vcc, s3, v6
	v_cndmask_b32_e32 v2, v2, v10, vcc
	v_cmp_le_f16_sdwa vcc, v6, s3 src0_sel:WORD_1 src1_sel:DWORD
	v_cndmask_b32_e32 v6, v11, v10, vcc
	s_waitcnt vmcnt(2)
	v_cmp_ge_f16_e32 vcc, s3, v7
	v_cndmask_b32_e32 v3, v3, v10, vcc
	v_cmp_le_f16_sdwa vcc, v7, s3 src0_sel:WORD_1 src1_sel:DWORD
	v_lshrrev_b32_e32 v13, 16, v4
	v_and_b32_e32 v4, 0xffff, v4
	v_cndmask_b32_e32 v7, v12, v10, vcc
	s_waitcnt vmcnt(1)
	v_cmp_ge_f16_e32 vcc, s3, v8
	v_cndmask_b32_e32 v4, v4, v10, vcc
	v_cmp_le_f16_sdwa vcc, v8, s3 src0_sel:WORD_1 src1_sel:DWORD
	v_lshrrev_b32_e32 v14, 16, v5
	v_and_b32_e32 v5, 0xffff, v5
	v_cndmask_b32_e32 v8, v13, v10, vcc
	s_waitcnt vmcnt(0)
	v_cmp_ge_f16_e32 vcc, s3, v9
	v_cndmask_b32_e32 v5, v5, v10, vcc
	v_cmp_le_f16_sdwa vcc, v9, s3 src0_sel:WORD_1 src1_sel:DWORD
	v_cndmask_b32_e32 v9, v14, v10, vcc
	v_lshl_or_b32 v2, v6, 16, v2
	v_lshl_or_b32 v3, v7, 16, v3
	;; [unrolled: 1-line block ×4, first 2 shown]
	global_store_dword v1, v2, s[0:1]
	global_store_dword v1, v3, s[0:1] offset:1024
	global_store_dword v1, v4, s[0:1] offset:2048
	;; [unrolled: 1-line block ×3, first 2 shown]
	s_mov_b64 s[0:1], 0
.LBB212_2:
	s_andn2_b64 vcc, exec, s[0:1]
	s_cbranch_vccnz .LBB212_27
; %bb.3:
	v_cmp_gt_i32_e32 vcc, s2, v0
	v_mov_b32_e32 v2, 0
	v_mov_b32_e32 v3, 0
	v_or_b32_e32 v1, s4, v0
	v_mov_b32_e32 v5, 0
	v_mov_b32_e32 v14, v0
	s_and_saveexec_b64 s[6:7], vcc
	s_cbranch_execz .LBB212_5
; %bb.4:
	v_mov_b32_e32 v2, 0
	v_lshlrev_b64 v[4:5], 1, v[1:2]
	v_mov_b32_e32 v2, s13
	v_add_co_u32_e64 v6, s[0:1], s12, v4
	v_addc_co_u32_e64 v7, s[0:1], v2, v5, s[0:1]
	v_mov_b32_e32 v2, s11
	v_add_co_u32_e64 v8, s[0:1], s10, v4
	v_addc_co_u32_e64 v9, s[0:1], v2, v5, s[0:1]
	global_load_ushort v5, v[8:9], off
	global_load_ushort v2, v[6:7], off
	v_or_b32_e32 v14, 0x100, v0
.LBB212_5:
	s_or_b64 exec, exec, s[6:7]
	v_cmp_gt_i32_e64 s[0:1], s2, v14
	v_mov_b32_e32 v6, 0
	s_and_saveexec_b64 s[6:7], s[0:1]
	s_cbranch_execz .LBB212_7
; %bb.6:
	v_add_u32_e32 v3, s4, v14
	v_mov_b32_e32 v4, 0
	v_lshlrev_b64 v[3:4], 1, v[3:4]
	v_mov_b32_e32 v6, s13
	v_add_co_u32_e64 v7, s[0:1], s12, v3
	v_addc_co_u32_e64 v8, s[0:1], v6, v4, s[0:1]
	v_mov_b32_e32 v6, s11
	v_add_co_u32_e64 v9, s[0:1], s10, v3
	v_addc_co_u32_e64 v10, s[0:1], v6, v4, s[0:1]
	global_load_ushort v3, v[9:10], off
	global_load_ushort v6, v[7:8], off
	v_add_u32_e32 v14, 0x100, v14
.LBB212_7:
	s_or_b64 exec, exec, s[6:7]
	v_cmp_gt_i32_e64 s[0:1], s2, v14
	v_mov_b32_e32 v8, 0
	v_mov_b32_e32 v4, 0
	v_mov_b32_e32 v9, 0
	s_and_saveexec_b64 s[6:7], s[0:1]
	s_cbranch_execz .LBB212_9
; %bb.8:
	v_add_u32_e32 v7, s4, v14
	v_mov_b32_e32 v8, 0
	v_lshlrev_b64 v[7:8], 1, v[7:8]
	v_mov_b32_e32 v9, s13
	v_add_co_u32_e64 v10, s[0:1], s12, v7
	v_addc_co_u32_e64 v11, s[0:1], v9, v8, s[0:1]
	v_mov_b32_e32 v9, s11
	v_add_co_u32_e64 v12, s[0:1], s10, v7
	v_addc_co_u32_e64 v13, s[0:1], v9, v8, s[0:1]
	global_load_ushort v9, v[12:13], off
	global_load_ushort v8, v[10:11], off
	v_add_u32_e32 v14, 0x100, v14
.LBB212_9:
	s_or_b64 exec, exec, s[6:7]
	v_cmp_gt_i32_e64 s[0:1], s2, v14
	v_mov_b32_e32 v10, 0
	s_and_saveexec_b64 s[6:7], s[0:1]
	s_cbranch_execz .LBB212_11
; %bb.10:
	v_add_u32_e32 v10, s4, v14
	v_mov_b32_e32 v11, 0
	v_lshlrev_b64 v[10:11], 1, v[10:11]
	v_mov_b32_e32 v4, s13
	v_add_co_u32_e64 v12, s[0:1], s12, v10
	v_addc_co_u32_e64 v13, s[0:1], v4, v11, s[0:1]
	v_mov_b32_e32 v4, s11
	v_add_co_u32_e64 v15, s[0:1], s10, v10
	v_addc_co_u32_e64 v16, s[0:1], v4, v11, s[0:1]
	global_load_ushort v4, v[15:16], off
	global_load_ushort v10, v[12:13], off
	v_add_u32_e32 v14, 0x100, v14
.LBB212_11:
	s_or_b64 exec, exec, s[6:7]
	v_cmp_gt_i32_e64 s[0:1], s2, v14
	v_mov_b32_e32 v12, 0
	v_mov_b32_e32 v7, 0
	v_mov_b32_e32 v13, 0
	s_and_saveexec_b64 s[6:7], s[0:1]
	s_cbranch_execz .LBB212_13
; %bb.12:
	v_add_u32_e32 v11, s4, v14
	v_mov_b32_e32 v12, 0
	v_lshlrev_b64 v[11:12], 1, v[11:12]
	v_mov_b32_e32 v13, s13
	v_add_co_u32_e64 v15, s[0:1], s12, v11
	v_addc_co_u32_e64 v16, s[0:1], v13, v12, s[0:1]
	v_mov_b32_e32 v13, s11
	v_add_co_u32_e64 v17, s[0:1], s10, v11
	v_addc_co_u32_e64 v18, s[0:1], v13, v12, s[0:1]
	global_load_ushort v13, v[17:18], off
	global_load_ushort v12, v[15:16], off
	v_add_u32_e32 v14, 0x100, v14
.LBB212_13:
	;; [unrolled: 40-line block ×3, first 2 shown]
	s_or_b64 exec, exec, s[6:7]
	v_cmp_gt_i32_e64 s[0:1], s2, v14
	v_mov_b32_e32 v18, 0
	s_and_saveexec_b64 s[6:7], s[0:1]
	s_cbranch_execnz .LBB212_28
; %bb.18:
	s_or_b64 exec, exec, s[6:7]
	s_lshr_b32 s5, s3, 16
	s_and_saveexec_b64 s[0:1], vcc
	s_cbranch_execnz .LBB212_29
.LBB212_19:
	s_or_b64 exec, exec, s[0:1]
	v_cmp_gt_i32_e32 vcc, s2, v0
	s_and_saveexec_b64 s[0:1], vcc
	s_cbranch_execnz .LBB212_30
.LBB212_20:
	s_or_b64 exec, exec, s[0:1]
	v_cmp_gt_i32_e32 vcc, s2, v0
	s_and_saveexec_b64 s[0:1], vcc
	s_cbranch_execnz .LBB212_31
.LBB212_21:
	s_or_b64 exec, exec, s[0:1]
	v_cmp_gt_i32_e32 vcc, s2, v0
	s_and_saveexec_b64 s[0:1], vcc
	s_cbranch_execnz .LBB212_32
.LBB212_22:
	s_or_b64 exec, exec, s[0:1]
	v_cmp_gt_i32_e32 vcc, s2, v0
	s_and_saveexec_b64 s[0:1], vcc
	s_cbranch_execnz .LBB212_33
.LBB212_23:
	s_or_b64 exec, exec, s[0:1]
	v_cmp_gt_i32_e32 vcc, s2, v0
	s_and_saveexec_b64 s[0:1], vcc
	s_cbranch_execnz .LBB212_34
.LBB212_24:
	s_or_b64 exec, exec, s[0:1]
	v_cmp_gt_i32_e32 vcc, s2, v0
	s_and_saveexec_b64 s[0:1], vcc
	s_cbranch_execnz .LBB212_35
.LBB212_25:
	s_or_b64 exec, exec, s[0:1]
	v_cmp_gt_i32_e32 vcc, s2, v0
	s_and_saveexec_b64 s[0:1], vcc
	s_cbranch_execz .LBB212_27
.LBB212_26:
	v_mov_b32_e32 v1, s5
	s_waitcnt vmcnt(1)
	v_cmp_ge_f16_e32 vcc, s3, v11
	s_waitcnt vmcnt(0)
	v_cndmask_b32_e32 v2, v18, v1, vcc
	v_add_u32_e32 v0, s4, v0
	v_mov_b32_e32 v1, 0
	v_lshlrev_b64 v[0:1], 1, v[0:1]
	v_mov_b32_e32 v3, s9
	v_add_co_u32_e32 v0, vcc, s8, v0
	v_addc_co_u32_e32 v1, vcc, v3, v1, vcc
	global_store_short v[0:1], v2, off
.LBB212_27:
	s_endpgm
.LBB212_28:
	v_add_u32_e32 v18, s4, v14
	v_mov_b32_e32 v19, 0
	v_lshlrev_b64 v[18:19], 1, v[18:19]
	v_mov_b32_e32 v11, s13
	v_add_co_u32_e64 v20, s[0:1], s12, v18
	v_addc_co_u32_e64 v21, s[0:1], v11, v19, s[0:1]
	v_mov_b32_e32 v11, s11
	v_add_co_u32_e64 v22, s[0:1], s10, v18
	v_addc_co_u32_e64 v23, s[0:1], v11, v19, s[0:1]
	global_load_ushort v11, v[22:23], off
	global_load_ushort v18, v[20:21], off
	s_or_b64 exec, exec, s[6:7]
	s_lshr_b32 s5, s3, 16
	s_and_saveexec_b64 s[0:1], vcc
	s_cbranch_execz .LBB212_19
.LBB212_29:
	v_mov_b32_e32 v14, s5
	s_waitcnt vmcnt(1)
	v_cmp_ge_f16_e32 vcc, s3, v5
	s_waitcnt vmcnt(0)
	v_cndmask_b32_e32 v5, v2, v14, vcc
	v_mov_b32_e32 v2, 0
	v_lshlrev_b64 v[1:2], 1, v[1:2]
	v_mov_b32_e32 v14, s9
	v_add_co_u32_e32 v1, vcc, s8, v1
	v_or_b32_e32 v0, 0x100, v0
	v_addc_co_u32_e32 v2, vcc, v14, v2, vcc
	global_store_short v[1:2], v5, off
	s_or_b64 exec, exec, s[0:1]
	v_cmp_gt_i32_e32 vcc, s2, v0
	s_and_saveexec_b64 s[0:1], vcc
	s_cbranch_execz .LBB212_20
.LBB212_30:
	v_mov_b32_e32 v1, s5
	s_waitcnt vmcnt(1)
	v_cmp_ge_f16_e32 vcc, s3, v3
	s_waitcnt vmcnt(0)
	v_cndmask_b32_e32 v3, v6, v1, vcc
	v_add_u32_e32 v1, s4, v0
	v_mov_b32_e32 v2, 0
	v_lshlrev_b64 v[1:2], 1, v[1:2]
	v_mov_b32_e32 v5, s9
	v_add_co_u32_e32 v1, vcc, s8, v1
	v_addc_co_u32_e32 v2, vcc, v5, v2, vcc
	v_add_u32_e32 v0, 0x100, v0
	global_store_short v[1:2], v3, off
	s_or_b64 exec, exec, s[0:1]
	v_cmp_gt_i32_e32 vcc, s2, v0
	s_and_saveexec_b64 s[0:1], vcc
	s_cbranch_execz .LBB212_21
.LBB212_31:
	v_mov_b32_e32 v1, s5
	s_waitcnt vmcnt(1)
	v_cmp_ge_f16_e32 vcc, s3, v9
	s_waitcnt vmcnt(0)
	v_cndmask_b32_e32 v3, v8, v1, vcc
	v_add_u32_e32 v1, s4, v0
	v_mov_b32_e32 v2, 0
	v_lshlrev_b64 v[1:2], 1, v[1:2]
	v_mov_b32_e32 v5, s9
	v_add_co_u32_e32 v1, vcc, s8, v1
	v_addc_co_u32_e32 v2, vcc, v5, v2, vcc
	v_add_u32_e32 v0, 0x100, v0
	global_store_short v[1:2], v3, off
	s_or_b64 exec, exec, s[0:1]
	v_cmp_gt_i32_e32 vcc, s2, v0
	s_and_saveexec_b64 s[0:1], vcc
	s_cbranch_execz .LBB212_22
.LBB212_32:
	v_mov_b32_e32 v1, s5
	s_waitcnt vmcnt(1)
	v_cmp_ge_f16_e32 vcc, s3, v4
	s_waitcnt vmcnt(0)
	v_cndmask_b32_e32 v3, v10, v1, vcc
	v_add_u32_e32 v1, s4, v0
	v_mov_b32_e32 v2, 0
	v_lshlrev_b64 v[1:2], 1, v[1:2]
	v_mov_b32_e32 v4, s9
	v_add_co_u32_e32 v1, vcc, s8, v1
	v_addc_co_u32_e32 v2, vcc, v4, v2, vcc
	v_add_u32_e32 v0, 0x100, v0
	global_store_short v[1:2], v3, off
	s_or_b64 exec, exec, s[0:1]
	v_cmp_gt_i32_e32 vcc, s2, v0
	s_and_saveexec_b64 s[0:1], vcc
	s_cbranch_execz .LBB212_23
.LBB212_33:
	v_mov_b32_e32 v1, s5
	s_waitcnt vmcnt(1)
	v_cmp_ge_f16_e32 vcc, s3, v13
	s_waitcnt vmcnt(0)
	v_cndmask_b32_e32 v3, v12, v1, vcc
	v_add_u32_e32 v1, s4, v0
	v_mov_b32_e32 v2, 0
	v_lshlrev_b64 v[1:2], 1, v[1:2]
	v_mov_b32_e32 v4, s9
	v_add_co_u32_e32 v1, vcc, s8, v1
	v_addc_co_u32_e32 v2, vcc, v4, v2, vcc
	v_add_u32_e32 v0, 0x100, v0
	global_store_short v[1:2], v3, off
	s_or_b64 exec, exec, s[0:1]
	v_cmp_gt_i32_e32 vcc, s2, v0
	s_and_saveexec_b64 s[0:1], vcc
	s_cbranch_execz .LBB212_24
.LBB212_34:
	v_mov_b32_e32 v1, s5
	s_waitcnt vmcnt(1)
	v_cmp_ge_f16_e32 vcc, s3, v7
	s_waitcnt vmcnt(0)
	v_cndmask_b32_e32 v3, v15, v1, vcc
	v_add_u32_e32 v1, s4, v0
	v_mov_b32_e32 v2, 0
	v_lshlrev_b64 v[1:2], 1, v[1:2]
	v_mov_b32_e32 v4, s9
	v_add_co_u32_e32 v1, vcc, s8, v1
	v_addc_co_u32_e32 v2, vcc, v4, v2, vcc
	v_add_u32_e32 v0, 0x100, v0
	global_store_short v[1:2], v3, off
	s_or_b64 exec, exec, s[0:1]
	v_cmp_gt_i32_e32 vcc, s2, v0
	s_and_saveexec_b64 s[0:1], vcc
	s_cbranch_execz .LBB212_25
.LBB212_35:
	v_mov_b32_e32 v1, s5
	s_waitcnt vmcnt(1)
	v_cmp_ge_f16_e32 vcc, s3, v17
	s_waitcnt vmcnt(0)
	v_cndmask_b32_e32 v3, v16, v1, vcc
	v_add_u32_e32 v1, s4, v0
	v_mov_b32_e32 v2, 0
	v_lshlrev_b64 v[1:2], 1, v[1:2]
	v_mov_b32_e32 v4, s9
	v_add_co_u32_e32 v1, vcc, s8, v1
	v_addc_co_u32_e32 v2, vcc, v4, v2, vcc
	v_add_u32_e32 v0, 0x100, v0
	global_store_short v[1:2], v3, off
	s_or_b64 exec, exec, s[0:1]
	v_cmp_gt_i32_e32 vcc, s2, v0
	s_and_saveexec_b64 s[0:1], vcc
	s_cbranch_execnz .LBB212_26
	s_branch .LBB212_27
	.section	.rodata,"a",@progbits
	.p2align	6, 0x0
	.amdhsa_kernel _ZN2at6native29vectorized_elementwise_kernelILi2ENS0_13BinaryFunctorIN3c104HalfES4_S4_ZNS0_12_GLOBAL__N_121threshold_kernel_implIS4_EEvRNS_18TensorIteratorBaseET_S9_EUlS4_S4_E_EESt5arrayIPcLm3EEEEviT0_T1_
		.amdhsa_group_segment_fixed_size 0
		.amdhsa_private_segment_fixed_size 0
		.amdhsa_kernarg_size 32
		.amdhsa_user_sgpr_count 6
		.amdhsa_user_sgpr_private_segment_buffer 1
		.amdhsa_user_sgpr_dispatch_ptr 0
		.amdhsa_user_sgpr_queue_ptr 0
		.amdhsa_user_sgpr_kernarg_segment_ptr 1
		.amdhsa_user_sgpr_dispatch_id 0
		.amdhsa_user_sgpr_flat_scratch_init 0
		.amdhsa_user_sgpr_private_segment_size 0
		.amdhsa_uses_dynamic_stack 0
		.amdhsa_system_sgpr_private_segment_wavefront_offset 0
		.amdhsa_system_sgpr_workgroup_id_x 1
		.amdhsa_system_sgpr_workgroup_id_y 0
		.amdhsa_system_sgpr_workgroup_id_z 0
		.amdhsa_system_sgpr_workgroup_info 0
		.amdhsa_system_vgpr_workitem_id 0
		.amdhsa_next_free_vgpr 24
		.amdhsa_next_free_sgpr 17
		.amdhsa_reserve_vcc 1
		.amdhsa_reserve_flat_scratch 0
		.amdhsa_float_round_mode_32 0
		.amdhsa_float_round_mode_16_64 0
		.amdhsa_float_denorm_mode_32 3
		.amdhsa_float_denorm_mode_16_64 3
		.amdhsa_dx10_clamp 1
		.amdhsa_ieee_mode 1
		.amdhsa_fp16_overflow 0
		.amdhsa_exception_fp_ieee_invalid_op 0
		.amdhsa_exception_fp_denorm_src 0
		.amdhsa_exception_fp_ieee_div_zero 0
		.amdhsa_exception_fp_ieee_overflow 0
		.amdhsa_exception_fp_ieee_underflow 0
		.amdhsa_exception_fp_ieee_inexact 0
		.amdhsa_exception_int_div_zero 0
	.end_amdhsa_kernel
	.section	.text._ZN2at6native29vectorized_elementwise_kernelILi2ENS0_13BinaryFunctorIN3c104HalfES4_S4_ZNS0_12_GLOBAL__N_121threshold_kernel_implIS4_EEvRNS_18TensorIteratorBaseET_S9_EUlS4_S4_E_EESt5arrayIPcLm3EEEEviT0_T1_,"axG",@progbits,_ZN2at6native29vectorized_elementwise_kernelILi2ENS0_13BinaryFunctorIN3c104HalfES4_S4_ZNS0_12_GLOBAL__N_121threshold_kernel_implIS4_EEvRNS_18TensorIteratorBaseET_S9_EUlS4_S4_E_EESt5arrayIPcLm3EEEEviT0_T1_,comdat
.Lfunc_end212:
	.size	_ZN2at6native29vectorized_elementwise_kernelILi2ENS0_13BinaryFunctorIN3c104HalfES4_S4_ZNS0_12_GLOBAL__N_121threshold_kernel_implIS4_EEvRNS_18TensorIteratorBaseET_S9_EUlS4_S4_E_EESt5arrayIPcLm3EEEEviT0_T1_, .Lfunc_end212-_ZN2at6native29vectorized_elementwise_kernelILi2ENS0_13BinaryFunctorIN3c104HalfES4_S4_ZNS0_12_GLOBAL__N_121threshold_kernel_implIS4_EEvRNS_18TensorIteratorBaseET_S9_EUlS4_S4_E_EESt5arrayIPcLm3EEEEviT0_T1_
                                        ; -- End function
	.set _ZN2at6native29vectorized_elementwise_kernelILi2ENS0_13BinaryFunctorIN3c104HalfES4_S4_ZNS0_12_GLOBAL__N_121threshold_kernel_implIS4_EEvRNS_18TensorIteratorBaseET_S9_EUlS4_S4_E_EESt5arrayIPcLm3EEEEviT0_T1_.num_vgpr, 24
	.set _ZN2at6native29vectorized_elementwise_kernelILi2ENS0_13BinaryFunctorIN3c104HalfES4_S4_ZNS0_12_GLOBAL__N_121threshold_kernel_implIS4_EEvRNS_18TensorIteratorBaseET_S9_EUlS4_S4_E_EESt5arrayIPcLm3EEEEviT0_T1_.num_agpr, 0
	.set _ZN2at6native29vectorized_elementwise_kernelILi2ENS0_13BinaryFunctorIN3c104HalfES4_S4_ZNS0_12_GLOBAL__N_121threshold_kernel_implIS4_EEvRNS_18TensorIteratorBaseET_S9_EUlS4_S4_E_EESt5arrayIPcLm3EEEEviT0_T1_.numbered_sgpr, 17
	.set _ZN2at6native29vectorized_elementwise_kernelILi2ENS0_13BinaryFunctorIN3c104HalfES4_S4_ZNS0_12_GLOBAL__N_121threshold_kernel_implIS4_EEvRNS_18TensorIteratorBaseET_S9_EUlS4_S4_E_EESt5arrayIPcLm3EEEEviT0_T1_.num_named_barrier, 0
	.set _ZN2at6native29vectorized_elementwise_kernelILi2ENS0_13BinaryFunctorIN3c104HalfES4_S4_ZNS0_12_GLOBAL__N_121threshold_kernel_implIS4_EEvRNS_18TensorIteratorBaseET_S9_EUlS4_S4_E_EESt5arrayIPcLm3EEEEviT0_T1_.private_seg_size, 0
	.set _ZN2at6native29vectorized_elementwise_kernelILi2ENS0_13BinaryFunctorIN3c104HalfES4_S4_ZNS0_12_GLOBAL__N_121threshold_kernel_implIS4_EEvRNS_18TensorIteratorBaseET_S9_EUlS4_S4_E_EESt5arrayIPcLm3EEEEviT0_T1_.uses_vcc, 1
	.set _ZN2at6native29vectorized_elementwise_kernelILi2ENS0_13BinaryFunctorIN3c104HalfES4_S4_ZNS0_12_GLOBAL__N_121threshold_kernel_implIS4_EEvRNS_18TensorIteratorBaseET_S9_EUlS4_S4_E_EESt5arrayIPcLm3EEEEviT0_T1_.uses_flat_scratch, 0
	.set _ZN2at6native29vectorized_elementwise_kernelILi2ENS0_13BinaryFunctorIN3c104HalfES4_S4_ZNS0_12_GLOBAL__N_121threshold_kernel_implIS4_EEvRNS_18TensorIteratorBaseET_S9_EUlS4_S4_E_EESt5arrayIPcLm3EEEEviT0_T1_.has_dyn_sized_stack, 0
	.set _ZN2at6native29vectorized_elementwise_kernelILi2ENS0_13BinaryFunctorIN3c104HalfES4_S4_ZNS0_12_GLOBAL__N_121threshold_kernel_implIS4_EEvRNS_18TensorIteratorBaseET_S9_EUlS4_S4_E_EESt5arrayIPcLm3EEEEviT0_T1_.has_recursion, 0
	.set _ZN2at6native29vectorized_elementwise_kernelILi2ENS0_13BinaryFunctorIN3c104HalfES4_S4_ZNS0_12_GLOBAL__N_121threshold_kernel_implIS4_EEvRNS_18TensorIteratorBaseET_S9_EUlS4_S4_E_EESt5arrayIPcLm3EEEEviT0_T1_.has_indirect_call, 0
	.section	.AMDGPU.csdata,"",@progbits
; Kernel info:
; codeLenInByte = 2000
; TotalNumSgprs: 21
; NumVgprs: 24
; ScratchSize: 0
; MemoryBound: 0
; FloatMode: 240
; IeeeMode: 1
; LDSByteSize: 0 bytes/workgroup (compile time only)
; SGPRBlocks: 2
; VGPRBlocks: 5
; NumSGPRsForWavesPerEU: 21
; NumVGPRsForWavesPerEU: 24
; Occupancy: 10
; WaveLimiterHint : 1
; COMPUTE_PGM_RSRC2:SCRATCH_EN: 0
; COMPUTE_PGM_RSRC2:USER_SGPR: 6
; COMPUTE_PGM_RSRC2:TRAP_HANDLER: 0
; COMPUTE_PGM_RSRC2:TGID_X_EN: 1
; COMPUTE_PGM_RSRC2:TGID_Y_EN: 0
; COMPUTE_PGM_RSRC2:TGID_Z_EN: 0
; COMPUTE_PGM_RSRC2:TIDIG_COMP_CNT: 0
	.section	.text._ZN2at6native27unrolled_elementwise_kernelINS0_13BinaryFunctorIN3c104HalfES4_S4_ZNS0_12_GLOBAL__N_121threshold_kernel_implIS4_EEvRNS_18TensorIteratorBaseET_S9_EUlS4_S4_E_EESt5arrayIPcLm3EELi4E23TrivialOffsetCalculatorILi2EjESF_ILi1EjENS0_6memory15LoadWithoutCastENSI_16StoreWithoutCastEEEviS9_T0_T2_T3_T4_T5_,"axG",@progbits,_ZN2at6native27unrolled_elementwise_kernelINS0_13BinaryFunctorIN3c104HalfES4_S4_ZNS0_12_GLOBAL__N_121threshold_kernel_implIS4_EEvRNS_18TensorIteratorBaseET_S9_EUlS4_S4_E_EESt5arrayIPcLm3EELi4E23TrivialOffsetCalculatorILi2EjESF_ILi1EjENS0_6memory15LoadWithoutCastENSI_16StoreWithoutCastEEEviS9_T0_T2_T3_T4_T5_,comdat
	.globl	_ZN2at6native27unrolled_elementwise_kernelINS0_13BinaryFunctorIN3c104HalfES4_S4_ZNS0_12_GLOBAL__N_121threshold_kernel_implIS4_EEvRNS_18TensorIteratorBaseET_S9_EUlS4_S4_E_EESt5arrayIPcLm3EELi4E23TrivialOffsetCalculatorILi2EjESF_ILi1EjENS0_6memory15LoadWithoutCastENSI_16StoreWithoutCastEEEviS9_T0_T2_T3_T4_T5_ ; -- Begin function _ZN2at6native27unrolled_elementwise_kernelINS0_13BinaryFunctorIN3c104HalfES4_S4_ZNS0_12_GLOBAL__N_121threshold_kernel_implIS4_EEvRNS_18TensorIteratorBaseET_S9_EUlS4_S4_E_EESt5arrayIPcLm3EELi4E23TrivialOffsetCalculatorILi2EjESF_ILi1EjENS0_6memory15LoadWithoutCastENSI_16StoreWithoutCastEEEviS9_T0_T2_T3_T4_T5_
	.p2align	8
	.type	_ZN2at6native27unrolled_elementwise_kernelINS0_13BinaryFunctorIN3c104HalfES4_S4_ZNS0_12_GLOBAL__N_121threshold_kernel_implIS4_EEvRNS_18TensorIteratorBaseET_S9_EUlS4_S4_E_EESt5arrayIPcLm3EELi4E23TrivialOffsetCalculatorILi2EjESF_ILi1EjENS0_6memory15LoadWithoutCastENSI_16StoreWithoutCastEEEviS9_T0_T2_T3_T4_T5_,@function
_ZN2at6native27unrolled_elementwise_kernelINS0_13BinaryFunctorIN3c104HalfES4_S4_ZNS0_12_GLOBAL__N_121threshold_kernel_implIS4_EEvRNS_18TensorIteratorBaseET_S9_EUlS4_S4_E_EESt5arrayIPcLm3EELi4E23TrivialOffsetCalculatorILi2EjESF_ILi1EjENS0_6memory15LoadWithoutCastENSI_16StoreWithoutCastEEEviS9_T0_T2_T3_T4_T5_: ; @_ZN2at6native27unrolled_elementwise_kernelINS0_13BinaryFunctorIN3c104HalfES4_S4_ZNS0_12_GLOBAL__N_121threshold_kernel_implIS4_EEvRNS_18TensorIteratorBaseET_S9_EUlS4_S4_E_EESt5arrayIPcLm3EELi4E23TrivialOffsetCalculatorILi2EjESF_ILi1EjENS0_6memory15LoadWithoutCastENSI_16StoreWithoutCastEEEviS9_T0_T2_T3_T4_T5_
; %bb.0:
	s_load_dwordx2 s[2:3], s[4:5], 0x0
	s_load_dwordx4 s[8:11], s[4:5], 0x8
	s_load_dwordx2 s[12:13], s[4:5], 0x18
	s_lshl_b32 s6, s6, 10
	v_mov_b32_e32 v4, 0
	s_waitcnt lgkmcnt(0)
	s_sub_i32 s2, s2, s6
	v_cmp_gt_i32_e32 vcc, s2, v0
	v_mov_b32_e32 v3, 0
	v_or_b32_e32 v1, s6, v0
	v_mov_b32_e32 v5, 0
	v_mov_b32_e32 v2, v0
	s_and_saveexec_b64 s[4:5], vcc
	s_cbranch_execz .LBB213_2
; %bb.1:
	v_mov_b32_e32 v2, 0
	v_lshlrev_b64 v[4:5], 1, v[1:2]
	v_mov_b32_e32 v2, s11
	v_add_co_u32_e64 v6, s[0:1], s10, v4
	v_addc_co_u32_e64 v7, s[0:1], v2, v5, s[0:1]
	v_mov_b32_e32 v2, s13
	v_add_co_u32_e64 v8, s[0:1], s12, v4
	v_addc_co_u32_e64 v9, s[0:1], v2, v5, s[0:1]
	global_load_ushort v5, v[6:7], off
	global_load_ushort v4, v[8:9], off
	v_or_b32_e32 v2, 0x100, v0
.LBB213_2:
	s_or_b64 exec, exec, s[4:5]
	v_cmp_gt_i32_e64 s[0:1], s2, v2
	v_mov_b32_e32 v7, 0
	s_and_saveexec_b64 s[4:5], s[0:1]
	s_cbranch_execz .LBB213_4
; %bb.3:
	v_add_u32_e32 v6, s6, v2
	v_mov_b32_e32 v7, 0
	v_lshlrev_b64 v[6:7], 1, v[6:7]
	v_mov_b32_e32 v3, s11
	v_add_co_u32_e64 v8, s[0:1], s10, v6
	v_addc_co_u32_e64 v9, s[0:1], v3, v7, s[0:1]
	v_mov_b32_e32 v3, s13
	v_add_co_u32_e64 v10, s[0:1], s12, v6
	v_addc_co_u32_e64 v11, s[0:1], v3, v7, s[0:1]
	global_load_ushort v3, v[8:9], off
	global_load_ushort v7, v[10:11], off
	v_add_u32_e32 v2, 0x100, v2
.LBB213_4:
	s_or_b64 exec, exec, s[4:5]
	v_cmp_gt_i32_e64 s[0:1], s2, v2
	v_mov_b32_e32 v8, 0
	v_mov_b32_e32 v6, 0
	;; [unrolled: 1-line block ×3, first 2 shown]
	s_and_saveexec_b64 s[4:5], s[0:1]
	s_cbranch_execz .LBB213_6
; %bb.5:
	v_add_u32_e32 v8, s6, v2
	v_mov_b32_e32 v9, 0
	v_lshlrev_b64 v[8:9], 1, v[8:9]
	v_mov_b32_e32 v11, s11
	v_add_co_u32_e64 v10, s[0:1], s10, v8
	v_addc_co_u32_e64 v11, s[0:1], v11, v9, s[0:1]
	v_mov_b32_e32 v13, s13
	v_add_co_u32_e64 v12, s[0:1], s12, v8
	v_addc_co_u32_e64 v13, s[0:1], v13, v9, s[0:1]
	global_load_ushort v9, v[10:11], off
	global_load_ushort v8, v[12:13], off
	v_add_u32_e32 v2, 0x100, v2
.LBB213_6:
	s_or_b64 exec, exec, s[4:5]
	v_cmp_gt_i32_e64 s[0:1], s2, v2
	v_mov_b32_e32 v10, 0
	s_and_saveexec_b64 s[4:5], s[0:1]
	s_cbranch_execnz .LBB213_12
; %bb.7:
	s_or_b64 exec, exec, s[4:5]
	s_lshr_b32 s4, s3, 16
	s_and_saveexec_b64 s[0:1], vcc
	s_cbranch_execnz .LBB213_13
.LBB213_8:
	s_or_b64 exec, exec, s[0:1]
	v_cmp_gt_i32_e32 vcc, s2, v0
	s_and_saveexec_b64 s[0:1], vcc
	s_cbranch_execnz .LBB213_14
.LBB213_9:
	s_or_b64 exec, exec, s[0:1]
	v_cmp_gt_i32_e32 vcc, s2, v0
	s_and_saveexec_b64 s[0:1], vcc
	s_cbranch_execnz .LBB213_15
.LBB213_10:
	s_or_b64 exec, exec, s[0:1]
	v_cmp_gt_i32_e32 vcc, s2, v0
	s_and_saveexec_b64 s[0:1], vcc
	s_cbranch_execnz .LBB213_16
.LBB213_11:
	s_endpgm
.LBB213_12:
	v_add_u32_e32 v10, s6, v2
	v_mov_b32_e32 v11, 0
	v_lshlrev_b64 v[10:11], 1, v[10:11]
	v_mov_b32_e32 v2, s11
	v_add_co_u32_e64 v12, s[0:1], s10, v10
	v_addc_co_u32_e64 v13, s[0:1], v2, v11, s[0:1]
	v_mov_b32_e32 v2, s13
	v_add_co_u32_e64 v14, s[0:1], s12, v10
	v_addc_co_u32_e64 v15, s[0:1], v2, v11, s[0:1]
	global_load_ushort v6, v[12:13], off
	global_load_ushort v10, v[14:15], off
	s_or_b64 exec, exec, s[4:5]
	s_lshr_b32 s4, s3, 16
	s_and_saveexec_b64 s[0:1], vcc
	s_cbranch_execz .LBB213_8
.LBB213_13:
	v_mov_b32_e32 v2, 0
	v_lshlrev_b64 v[1:2], 1, v[1:2]
	v_mov_b32_e32 v11, s9
	v_add_co_u32_e32 v1, vcc, s8, v1
	v_addc_co_u32_e32 v2, vcc, v11, v2, vcc
	v_mov_b32_e32 v11, s4
	s_waitcnt vmcnt(1)
	v_cmp_ge_f16_e32 vcc, s3, v5
	v_or_b32_e32 v0, 0x100, v0
	s_waitcnt vmcnt(0)
	v_cndmask_b32_e32 v4, v4, v11, vcc
	global_store_short v[1:2], v4, off
	s_or_b64 exec, exec, s[0:1]
	v_cmp_gt_i32_e32 vcc, s2, v0
	s_and_saveexec_b64 s[0:1], vcc
	s_cbranch_execz .LBB213_9
.LBB213_14:
	v_mov_b32_e32 v1, s4
	s_waitcnt vmcnt(1)
	v_cmp_ge_f16_e32 vcc, s3, v3
	s_waitcnt vmcnt(0)
	v_cndmask_b32_e32 v2, v7, v1, vcc
	v_add_u32_e32 v3, 0x100, v0
	v_add_u32_e32 v0, s6, v0
	v_mov_b32_e32 v1, 0
	v_lshlrev_b64 v[0:1], 1, v[0:1]
	v_mov_b32_e32 v4, s9
	v_add_co_u32_e32 v0, vcc, s8, v0
	v_addc_co_u32_e32 v1, vcc, v4, v1, vcc
	global_store_short v[0:1], v2, off
	v_mov_b32_e32 v0, v3
	s_or_b64 exec, exec, s[0:1]
	v_cmp_gt_i32_e32 vcc, s2, v0
	s_and_saveexec_b64 s[0:1], vcc
	s_cbranch_execz .LBB213_10
.LBB213_15:
	v_mov_b32_e32 v1, s4
	s_waitcnt vmcnt(1)
	v_cmp_ge_f16_e32 vcc, s3, v9
	s_waitcnt vmcnt(0)
	v_cndmask_b32_e32 v2, v8, v1, vcc
	v_add_u32_e32 v3, 0x100, v0
	v_add_u32_e32 v0, s6, v0
	v_mov_b32_e32 v1, 0
	v_lshlrev_b64 v[0:1], 1, v[0:1]
	v_mov_b32_e32 v4, s9
	v_add_co_u32_e32 v0, vcc, s8, v0
	v_addc_co_u32_e32 v1, vcc, v4, v1, vcc
	global_store_short v[0:1], v2, off
	v_mov_b32_e32 v0, v3
	s_or_b64 exec, exec, s[0:1]
	v_cmp_gt_i32_e32 vcc, s2, v0
	s_and_saveexec_b64 s[0:1], vcc
	s_cbranch_execz .LBB213_11
.LBB213_16:
	v_mov_b32_e32 v1, s4
	s_waitcnt vmcnt(1)
	v_cmp_ge_f16_e32 vcc, s3, v6
	s_waitcnt vmcnt(0)
	v_cndmask_b32_e32 v2, v10, v1, vcc
	v_add_u32_e32 v0, s6, v0
	v_mov_b32_e32 v1, 0
	v_lshlrev_b64 v[0:1], 1, v[0:1]
	v_mov_b32_e32 v3, s9
	v_add_co_u32_e32 v0, vcc, s8, v0
	v_addc_co_u32_e32 v1, vcc, v3, v1, vcc
	global_store_short v[0:1], v2, off
	s_endpgm
	.section	.rodata,"a",@progbits
	.p2align	6, 0x0
	.amdhsa_kernel _ZN2at6native27unrolled_elementwise_kernelINS0_13BinaryFunctorIN3c104HalfES4_S4_ZNS0_12_GLOBAL__N_121threshold_kernel_implIS4_EEvRNS_18TensorIteratorBaseET_S9_EUlS4_S4_E_EESt5arrayIPcLm3EELi4E23TrivialOffsetCalculatorILi2EjESF_ILi1EjENS0_6memory15LoadWithoutCastENSI_16StoreWithoutCastEEEviS9_T0_T2_T3_T4_T5_
		.amdhsa_group_segment_fixed_size 0
		.amdhsa_private_segment_fixed_size 0
		.amdhsa_kernarg_size 36
		.amdhsa_user_sgpr_count 6
		.amdhsa_user_sgpr_private_segment_buffer 1
		.amdhsa_user_sgpr_dispatch_ptr 0
		.amdhsa_user_sgpr_queue_ptr 0
		.amdhsa_user_sgpr_kernarg_segment_ptr 1
		.amdhsa_user_sgpr_dispatch_id 0
		.amdhsa_user_sgpr_flat_scratch_init 0
		.amdhsa_user_sgpr_private_segment_size 0
		.amdhsa_uses_dynamic_stack 0
		.amdhsa_system_sgpr_private_segment_wavefront_offset 0
		.amdhsa_system_sgpr_workgroup_id_x 1
		.amdhsa_system_sgpr_workgroup_id_y 0
		.amdhsa_system_sgpr_workgroup_id_z 0
		.amdhsa_system_sgpr_workgroup_info 0
		.amdhsa_system_vgpr_workitem_id 0
		.amdhsa_next_free_vgpr 16
		.amdhsa_next_free_sgpr 14
		.amdhsa_reserve_vcc 1
		.amdhsa_reserve_flat_scratch 0
		.amdhsa_float_round_mode_32 0
		.amdhsa_float_round_mode_16_64 0
		.amdhsa_float_denorm_mode_32 3
		.amdhsa_float_denorm_mode_16_64 3
		.amdhsa_dx10_clamp 1
		.amdhsa_ieee_mode 1
		.amdhsa_fp16_overflow 0
		.amdhsa_exception_fp_ieee_invalid_op 0
		.amdhsa_exception_fp_denorm_src 0
		.amdhsa_exception_fp_ieee_div_zero 0
		.amdhsa_exception_fp_ieee_overflow 0
		.amdhsa_exception_fp_ieee_underflow 0
		.amdhsa_exception_fp_ieee_inexact 0
		.amdhsa_exception_int_div_zero 0
	.end_amdhsa_kernel
	.section	.text._ZN2at6native27unrolled_elementwise_kernelINS0_13BinaryFunctorIN3c104HalfES4_S4_ZNS0_12_GLOBAL__N_121threshold_kernel_implIS4_EEvRNS_18TensorIteratorBaseET_S9_EUlS4_S4_E_EESt5arrayIPcLm3EELi4E23TrivialOffsetCalculatorILi2EjESF_ILi1EjENS0_6memory15LoadWithoutCastENSI_16StoreWithoutCastEEEviS9_T0_T2_T3_T4_T5_,"axG",@progbits,_ZN2at6native27unrolled_elementwise_kernelINS0_13BinaryFunctorIN3c104HalfES4_S4_ZNS0_12_GLOBAL__N_121threshold_kernel_implIS4_EEvRNS_18TensorIteratorBaseET_S9_EUlS4_S4_E_EESt5arrayIPcLm3EELi4E23TrivialOffsetCalculatorILi2EjESF_ILi1EjENS0_6memory15LoadWithoutCastENSI_16StoreWithoutCastEEEviS9_T0_T2_T3_T4_T5_,comdat
.Lfunc_end213:
	.size	_ZN2at6native27unrolled_elementwise_kernelINS0_13BinaryFunctorIN3c104HalfES4_S4_ZNS0_12_GLOBAL__N_121threshold_kernel_implIS4_EEvRNS_18TensorIteratorBaseET_S9_EUlS4_S4_E_EESt5arrayIPcLm3EELi4E23TrivialOffsetCalculatorILi2EjESF_ILi1EjENS0_6memory15LoadWithoutCastENSI_16StoreWithoutCastEEEviS9_T0_T2_T3_T4_T5_, .Lfunc_end213-_ZN2at6native27unrolled_elementwise_kernelINS0_13BinaryFunctorIN3c104HalfES4_S4_ZNS0_12_GLOBAL__N_121threshold_kernel_implIS4_EEvRNS_18TensorIteratorBaseET_S9_EUlS4_S4_E_EESt5arrayIPcLm3EELi4E23TrivialOffsetCalculatorILi2EjESF_ILi1EjENS0_6memory15LoadWithoutCastENSI_16StoreWithoutCastEEEviS9_T0_T2_T3_T4_T5_
                                        ; -- End function
	.set _ZN2at6native27unrolled_elementwise_kernelINS0_13BinaryFunctorIN3c104HalfES4_S4_ZNS0_12_GLOBAL__N_121threshold_kernel_implIS4_EEvRNS_18TensorIteratorBaseET_S9_EUlS4_S4_E_EESt5arrayIPcLm3EELi4E23TrivialOffsetCalculatorILi2EjESF_ILi1EjENS0_6memory15LoadWithoutCastENSI_16StoreWithoutCastEEEviS9_T0_T2_T3_T4_T5_.num_vgpr, 16
	.set _ZN2at6native27unrolled_elementwise_kernelINS0_13BinaryFunctorIN3c104HalfES4_S4_ZNS0_12_GLOBAL__N_121threshold_kernel_implIS4_EEvRNS_18TensorIteratorBaseET_S9_EUlS4_S4_E_EESt5arrayIPcLm3EELi4E23TrivialOffsetCalculatorILi2EjESF_ILi1EjENS0_6memory15LoadWithoutCastENSI_16StoreWithoutCastEEEviS9_T0_T2_T3_T4_T5_.num_agpr, 0
	.set _ZN2at6native27unrolled_elementwise_kernelINS0_13BinaryFunctorIN3c104HalfES4_S4_ZNS0_12_GLOBAL__N_121threshold_kernel_implIS4_EEvRNS_18TensorIteratorBaseET_S9_EUlS4_S4_E_EESt5arrayIPcLm3EELi4E23TrivialOffsetCalculatorILi2EjESF_ILi1EjENS0_6memory15LoadWithoutCastENSI_16StoreWithoutCastEEEviS9_T0_T2_T3_T4_T5_.numbered_sgpr, 14
	.set _ZN2at6native27unrolled_elementwise_kernelINS0_13BinaryFunctorIN3c104HalfES4_S4_ZNS0_12_GLOBAL__N_121threshold_kernel_implIS4_EEvRNS_18TensorIteratorBaseET_S9_EUlS4_S4_E_EESt5arrayIPcLm3EELi4E23TrivialOffsetCalculatorILi2EjESF_ILi1EjENS0_6memory15LoadWithoutCastENSI_16StoreWithoutCastEEEviS9_T0_T2_T3_T4_T5_.num_named_barrier, 0
	.set _ZN2at6native27unrolled_elementwise_kernelINS0_13BinaryFunctorIN3c104HalfES4_S4_ZNS0_12_GLOBAL__N_121threshold_kernel_implIS4_EEvRNS_18TensorIteratorBaseET_S9_EUlS4_S4_E_EESt5arrayIPcLm3EELi4E23TrivialOffsetCalculatorILi2EjESF_ILi1EjENS0_6memory15LoadWithoutCastENSI_16StoreWithoutCastEEEviS9_T0_T2_T3_T4_T5_.private_seg_size, 0
	.set _ZN2at6native27unrolled_elementwise_kernelINS0_13BinaryFunctorIN3c104HalfES4_S4_ZNS0_12_GLOBAL__N_121threshold_kernel_implIS4_EEvRNS_18TensorIteratorBaseET_S9_EUlS4_S4_E_EESt5arrayIPcLm3EELi4E23TrivialOffsetCalculatorILi2EjESF_ILi1EjENS0_6memory15LoadWithoutCastENSI_16StoreWithoutCastEEEviS9_T0_T2_T3_T4_T5_.uses_vcc, 1
	.set _ZN2at6native27unrolled_elementwise_kernelINS0_13BinaryFunctorIN3c104HalfES4_S4_ZNS0_12_GLOBAL__N_121threshold_kernel_implIS4_EEvRNS_18TensorIteratorBaseET_S9_EUlS4_S4_E_EESt5arrayIPcLm3EELi4E23TrivialOffsetCalculatorILi2EjESF_ILi1EjENS0_6memory15LoadWithoutCastENSI_16StoreWithoutCastEEEviS9_T0_T2_T3_T4_T5_.uses_flat_scratch, 0
	.set _ZN2at6native27unrolled_elementwise_kernelINS0_13BinaryFunctorIN3c104HalfES4_S4_ZNS0_12_GLOBAL__N_121threshold_kernel_implIS4_EEvRNS_18TensorIteratorBaseET_S9_EUlS4_S4_E_EESt5arrayIPcLm3EELi4E23TrivialOffsetCalculatorILi2EjESF_ILi1EjENS0_6memory15LoadWithoutCastENSI_16StoreWithoutCastEEEviS9_T0_T2_T3_T4_T5_.has_dyn_sized_stack, 0
	.set _ZN2at6native27unrolled_elementwise_kernelINS0_13BinaryFunctorIN3c104HalfES4_S4_ZNS0_12_GLOBAL__N_121threshold_kernel_implIS4_EEvRNS_18TensorIteratorBaseET_S9_EUlS4_S4_E_EESt5arrayIPcLm3EELi4E23TrivialOffsetCalculatorILi2EjESF_ILi1EjENS0_6memory15LoadWithoutCastENSI_16StoreWithoutCastEEEviS9_T0_T2_T3_T4_T5_.has_recursion, 0
	.set _ZN2at6native27unrolled_elementwise_kernelINS0_13BinaryFunctorIN3c104HalfES4_S4_ZNS0_12_GLOBAL__N_121threshold_kernel_implIS4_EEvRNS_18TensorIteratorBaseET_S9_EUlS4_S4_E_EESt5arrayIPcLm3EELi4E23TrivialOffsetCalculatorILi2EjESF_ILi1EjENS0_6memory15LoadWithoutCastENSI_16StoreWithoutCastEEEviS9_T0_T2_T3_T4_T5_.has_indirect_call, 0
	.section	.AMDGPU.csdata,"",@progbits
; Kernel info:
; codeLenInByte = 844
; TotalNumSgprs: 18
; NumVgprs: 16
; ScratchSize: 0
; MemoryBound: 0
; FloatMode: 240
; IeeeMode: 1
; LDSByteSize: 0 bytes/workgroup (compile time only)
; SGPRBlocks: 2
; VGPRBlocks: 3
; NumSGPRsForWavesPerEU: 18
; NumVGPRsForWavesPerEU: 16
; Occupancy: 10
; WaveLimiterHint : 0
; COMPUTE_PGM_RSRC2:SCRATCH_EN: 0
; COMPUTE_PGM_RSRC2:USER_SGPR: 6
; COMPUTE_PGM_RSRC2:TRAP_HANDLER: 0
; COMPUTE_PGM_RSRC2:TGID_X_EN: 1
; COMPUTE_PGM_RSRC2:TGID_Y_EN: 0
; COMPUTE_PGM_RSRC2:TGID_Z_EN: 0
; COMPUTE_PGM_RSRC2:TIDIG_COMP_CNT: 0
	.section	.text._ZN2at6native32elementwise_kernel_manual_unrollILi128ELi8EZNS0_22gpu_kernel_impl_nocastINS0_13BinaryFunctorIN3c104HalfES5_S5_ZNS0_12_GLOBAL__N_121threshold_kernel_implIS5_EEvRNS_18TensorIteratorBaseET_SA_EUlS5_S5_E_EEEEvS9_RKSA_EUlibE_EEviT1_,"axG",@progbits,_ZN2at6native32elementwise_kernel_manual_unrollILi128ELi8EZNS0_22gpu_kernel_impl_nocastINS0_13BinaryFunctorIN3c104HalfES5_S5_ZNS0_12_GLOBAL__N_121threshold_kernel_implIS5_EEvRNS_18TensorIteratorBaseET_SA_EUlS5_S5_E_EEEEvS9_RKSA_EUlibE_EEviT1_,comdat
	.globl	_ZN2at6native32elementwise_kernel_manual_unrollILi128ELi8EZNS0_22gpu_kernel_impl_nocastINS0_13BinaryFunctorIN3c104HalfES5_S5_ZNS0_12_GLOBAL__N_121threshold_kernel_implIS5_EEvRNS_18TensorIteratorBaseET_SA_EUlS5_S5_E_EEEEvS9_RKSA_EUlibE_EEviT1_ ; -- Begin function _ZN2at6native32elementwise_kernel_manual_unrollILi128ELi8EZNS0_22gpu_kernel_impl_nocastINS0_13BinaryFunctorIN3c104HalfES5_S5_ZNS0_12_GLOBAL__N_121threshold_kernel_implIS5_EEvRNS_18TensorIteratorBaseET_SA_EUlS5_S5_E_EEEEvS9_RKSA_EUlibE_EEviT1_
	.p2align	8
	.type	_ZN2at6native32elementwise_kernel_manual_unrollILi128ELi8EZNS0_22gpu_kernel_impl_nocastINS0_13BinaryFunctorIN3c104HalfES5_S5_ZNS0_12_GLOBAL__N_121threshold_kernel_implIS5_EEvRNS_18TensorIteratorBaseET_SA_EUlS5_S5_E_EEEEvS9_RKSA_EUlibE_EEviT1_,@function
_ZN2at6native32elementwise_kernel_manual_unrollILi128ELi8EZNS0_22gpu_kernel_impl_nocastINS0_13BinaryFunctorIN3c104HalfES5_S5_ZNS0_12_GLOBAL__N_121threshold_kernel_implIS5_EEvRNS_18TensorIteratorBaseET_SA_EUlS5_S5_E_EEEEvS9_RKSA_EUlibE_EEviT1_: ; @_ZN2at6native32elementwise_kernel_manual_unrollILi128ELi8EZNS0_22gpu_kernel_impl_nocastINS0_13BinaryFunctorIN3c104HalfES5_S5_ZNS0_12_GLOBAL__N_121threshold_kernel_implIS5_EEvRNS_18TensorIteratorBaseET_SA_EUlS5_S5_E_EEEEvS9_RKSA_EUlibE_EEviT1_
; %bb.0:
	s_load_dword s38, s[4:5], 0x0
	s_load_dword s33, s[4:5], 0x8
	s_add_u32 s12, s4, 8
	s_addc_u32 s13, s5, 0
	v_lshl_or_b32 v31, s6, 10, v0
	v_or_b32_e32 v41, 0x380, v31
	s_waitcnt lgkmcnt(0)
	s_add_i32 s34, s33, -1
	s_cmp_gt_u32 s34, 1
	v_cmp_le_i32_e32 vcc, s38, v41
	s_cselect_b64 s[14:15], -1, 0
	s_and_saveexec_b64 s[0:1], vcc
	s_xor_b64 s[16:17], exec, s[0:1]
	s_cbranch_execz .LBB214_106
; %bb.1:
	s_cmp_lg_u32 s33, 0
	s_load_dwordx4 s[8:11], s[12:13], 0x4
	s_load_dwordx2 s[22:23], s[12:13], 0x14
	s_load_dwordx4 s[4:7], s[12:13], 0xc4
	s_load_dwordx2 s[20:21], s[12:13], 0xd4
	s_load_dword s35, s[12:13], 0x1a0
	s_load_dwordx2 s[18:19], s[12:13], 0x198
	s_load_dwordx4 s[0:3], s[12:13], 0x188
	s_cselect_b64 s[26:27], -1, 0
	s_min_u32 s37, s34, 15
	s_cmp_gt_u32 s33, 1
	s_cselect_b64 s[24:25], -1, 0
	s_waitcnt lgkmcnt(0)
	s_lshr_b32 s36, s35, 16
	v_cmp_gt_i32_e32 vcc, s38, v31
	s_and_saveexec_b64 s[28:29], vcc
	s_cbranch_execnz .LBB214_9
; %bb.2:
	s_or_b64 exec, exec, s[28:29]
	v_cmp_gt_i32_e32 vcc, s38, v31
	s_and_saveexec_b64 s[28:29], vcc
	s_cbranch_execnz .LBB214_21
.LBB214_3:
	s_or_b64 exec, exec, s[28:29]
	v_cmp_gt_i32_e32 vcc, s38, v31
	s_and_saveexec_b64 s[28:29], vcc
	s_cbranch_execnz .LBB214_33
.LBB214_4:
	s_or_b64 exec, exec, s[28:29]
	v_cmp_gt_i32_e32 vcc, s38, v31
	s_and_saveexec_b64 s[28:29], vcc
	s_cbranch_execnz .LBB214_45
.LBB214_5:
	s_or_b64 exec, exec, s[28:29]
	v_cmp_gt_i32_e32 vcc, s38, v31
	s_and_saveexec_b64 s[28:29], vcc
	s_cbranch_execnz .LBB214_57
.LBB214_6:
	s_or_b64 exec, exec, s[28:29]
	v_cmp_gt_i32_e32 vcc, s38, v31
	s_and_saveexec_b64 s[28:29], vcc
	s_cbranch_execnz .LBB214_69
.LBB214_7:
	s_or_b64 exec, exec, s[28:29]
	v_cmp_gt_i32_e32 vcc, s38, v31
	s_and_saveexec_b64 s[28:29], vcc
	s_cbranch_execnz .LBB214_81
.LBB214_8:
	s_or_b64 exec, exec, s[28:29]
	v_cmp_gt_i32_e32 vcc, s38, v31
	s_and_saveexec_b64 s[28:29], vcc
	s_cbranch_execnz .LBB214_93
	s_branch .LBB214_105
.LBB214_9:
	s_andn2_b64 vcc, exec, s[14:15]
	s_cbranch_vccnz .LBB214_15
; %bb.10:
	s_andn2_b64 vcc, exec, s[26:27]
	s_cbranch_vccnz .LBB214_16
; %bb.11:
	s_add_i32 s30, s37, 1
	s_and_b32 s39, s30, 30
	s_add_u32 s30, s12, 0xffffffe8
	s_addc_u32 s31, s13, -1
	v_mov_b32_e32 v2, 0
	v_mov_b32_e32 v4, 0
	v_mov_b32_e32 v0, 0
	v_mov_b32_e32 v1, v31
.LBB214_12:                             ; =>This Inner Loop Header: Depth=1
	s_load_dwordx4 s[40:43], s[30:31], 0x1c
	s_load_dwordx2 s[48:49], s[30:31], 0x2c
	s_load_dwordx2 s[50:51], s[30:31], 0xec
	s_load_dwordx4 s[44:47], s[30:31], 0xdc
	s_add_u32 s30, s30, 24
	s_waitcnt lgkmcnt(0)
	v_mul_hi_u32 v3, s41, v1
	s_addc_u32 s31, s31, 0
	s_add_i32 s39, s39, -2
	s_cmp_lg_u32 s39, 0
	v_add_u32_e32 v3, v1, v3
	v_lshrrev_b32_e32 v3, s42, v3
	v_mul_lo_u32 v5, v3, s40
	v_mul_hi_u32 v6, s48, v3
	v_sub_u32_e32 v5, v1, v5
	v_add_u32_e32 v1, v3, v6
	v_lshrrev_b32_e32 v1, s49, v1
	v_mul_lo_u32 v8, v1, s43
	v_mul_lo_u32 v6, v5, s44
	;; [unrolled: 1-line block ×4, first 2 shown]
	v_sub_u32_e32 v3, v3, v8
	v_mul_lo_u32 v8, v3, s47
	v_mul_lo_u32 v9, v3, s50
	;; [unrolled: 1-line block ×3, first 2 shown]
	v_add3_u32 v0, v6, v0, v8
	v_add3_u32 v4, v7, v4, v9
	;; [unrolled: 1-line block ×3, first 2 shown]
	s_cbranch_scc1 .LBB214_12
; %bb.13:
	s_bitcmp1_b32 s37, 0
	s_cselect_b64 s[40:41], -1, 0
	s_and_b64 vcc, exec, s[40:41]
	s_cbranch_vccnz .LBB214_17
; %bb.14:
	s_load_dwordx2 s[40:41], s[30:31], 0x1c
	s_load_dword s39, s[30:31], 0x24
	s_load_dwordx2 s[42:43], s[30:31], 0xdc
	s_waitcnt lgkmcnt(0)
	v_mul_hi_u32 v3, s41, v1
	v_add_u32_e32 v3, v1, v3
	v_lshrrev_b32_e32 v3, s39, v3
	v_mul_lo_u32 v3, v3, s40
	s_load_dword s39, s[30:31], 0xe4
	v_sub_u32_e32 v3, v1, v3
	v_mad_u64_u32 v[0:1], s[30:31], v3, s42, v[0:1]
	v_mad_u64_u32 v[4:5], s[30:31], v3, s43, v[4:5]
	s_waitcnt lgkmcnt(0)
	v_mad_u64_u32 v[2:3], s[30:31], v3, s39, v[2:3]
	s_cbranch_execz .LBB214_18
	s_branch .LBB214_20
.LBB214_15:
                                        ; implicit-def: $vgpr0
                                        ; implicit-def: $vgpr4
                                        ; implicit-def: $vgpr2
	s_branch .LBB214_18
.LBB214_16:
	v_mov_b32_e32 v0, 0
	v_mov_b32_e32 v4, 0
	;; [unrolled: 1-line block ×3, first 2 shown]
.LBB214_17:
	s_cbranch_execnz .LBB214_20
.LBB214_18:
	v_mul_hi_u32 v0, s9, v31
	s_andn2_b64 vcc, exec, s[24:25]
	v_add_u32_e32 v0, v31, v0
	v_lshrrev_b32_e32 v1, s10, v0
	v_mul_lo_u32 v0, v1, s8
	v_sub_u32_e32 v2, v31, v0
	v_mul_lo_u32 v0, v2, s4
	v_mul_lo_u32 v4, v2, s5
	;; [unrolled: 1-line block ×3, first 2 shown]
	s_cbranch_vccnz .LBB214_20
; %bb.19:
	v_mul_hi_u32 v3, s22, v1
	v_add_u32_e32 v3, v1, v3
	v_lshrrev_b32_e32 v3, s23, v3
	v_mul_lo_u32 v3, v3, s11
	v_sub_u32_e32 v3, v1, v3
	v_mad_u64_u32 v[0:1], s[30:31], v3, s7, v[0:1]
	v_mad_u64_u32 v[4:5], s[30:31], v3, s20, v[4:5]
	;; [unrolled: 1-line block ×3, first 2 shown]
.LBB214_20:
	global_load_ushort v1, v4, s[2:3]
	global_load_ushort v3, v2, s[18:19]
	v_mov_b32_e32 v2, s36
	v_add_u32_e32 v31, 0x80, v31
	s_waitcnt vmcnt(1)
	v_cmp_ge_f16_e32 vcc, s35, v1
	s_waitcnt vmcnt(0)
	v_cndmask_b32_e32 v1, v3, v2, vcc
	global_store_short v0, v1, s[0:1]
	s_or_b64 exec, exec, s[28:29]
	v_cmp_gt_i32_e32 vcc, s38, v31
	s_and_saveexec_b64 s[28:29], vcc
	s_cbranch_execz .LBB214_3
.LBB214_21:
	s_andn2_b64 vcc, exec, s[14:15]
	s_cbranch_vccnz .LBB214_27
; %bb.22:
	s_andn2_b64 vcc, exec, s[26:27]
	s_cbranch_vccnz .LBB214_28
; %bb.23:
	s_add_i32 s30, s37, 1
	s_and_b32 s39, s30, 30
	s_add_u32 s30, s12, 0xffffffe8
	s_addc_u32 s31, s13, -1
	v_mov_b32_e32 v2, 0
	v_mov_b32_e32 v4, 0
	;; [unrolled: 1-line block ×4, first 2 shown]
.LBB214_24:                             ; =>This Inner Loop Header: Depth=1
	s_load_dwordx4 s[40:43], s[30:31], 0x1c
	s_load_dwordx2 s[48:49], s[30:31], 0x2c
	s_load_dwordx2 s[50:51], s[30:31], 0xec
	s_load_dwordx4 s[44:47], s[30:31], 0xdc
	s_add_u32 s30, s30, 24
	s_waitcnt lgkmcnt(0)
	v_mul_hi_u32 v3, s41, v1
	s_addc_u32 s31, s31, 0
	s_add_i32 s39, s39, -2
	s_cmp_eq_u32 s39, 0
	v_add_u32_e32 v3, v1, v3
	v_lshrrev_b32_e32 v3, s42, v3
	v_mul_lo_u32 v5, v3, s40
	v_mul_hi_u32 v6, s48, v3
	v_sub_u32_e32 v5, v1, v5
	v_add_u32_e32 v1, v3, v6
	v_lshrrev_b32_e32 v1, s49, v1
	v_mul_lo_u32 v8, v1, s43
	v_mul_lo_u32 v6, v5, s44
	;; [unrolled: 1-line block ×4, first 2 shown]
	v_sub_u32_e32 v3, v3, v8
	v_mul_lo_u32 v8, v3, s47
	v_mul_lo_u32 v9, v3, s50
	;; [unrolled: 1-line block ×3, first 2 shown]
	v_add3_u32 v0, v6, v0, v8
	v_add3_u32 v4, v7, v4, v9
	v_add3_u32 v2, v5, v2, v3
	s_cbranch_scc0 .LBB214_24
; %bb.25:
	s_bitcmp1_b32 s37, 0
	s_cselect_b64 s[40:41], -1, 0
	s_and_b64 vcc, exec, s[40:41]
	s_cbranch_vccnz .LBB214_29
; %bb.26:
	s_load_dwordx2 s[40:41], s[30:31], 0x1c
	s_load_dword s39, s[30:31], 0x24
	s_load_dwordx2 s[42:43], s[30:31], 0xdc
	s_waitcnt lgkmcnt(0)
	v_mul_hi_u32 v3, s41, v1
	v_add_u32_e32 v3, v1, v3
	v_lshrrev_b32_e32 v3, s39, v3
	v_mul_lo_u32 v3, v3, s40
	s_load_dword s39, s[30:31], 0xe4
	v_sub_u32_e32 v3, v1, v3
	v_mad_u64_u32 v[0:1], s[30:31], v3, s42, v[0:1]
	v_mad_u64_u32 v[4:5], s[30:31], v3, s43, v[4:5]
	s_waitcnt lgkmcnt(0)
	v_mad_u64_u32 v[2:3], s[30:31], v3, s39, v[2:3]
	s_branch .LBB214_29
.LBB214_27:
                                        ; implicit-def: $vgpr0
                                        ; implicit-def: $vgpr4
                                        ; implicit-def: $vgpr2
	s_branch .LBB214_30
.LBB214_28:
	v_mov_b32_e32 v0, 0
	v_mov_b32_e32 v4, 0
	;; [unrolled: 1-line block ×3, first 2 shown]
.LBB214_29:
	s_cbranch_execnz .LBB214_32
.LBB214_30:
	v_mul_hi_u32 v0, s9, v31
	s_andn2_b64 vcc, exec, s[24:25]
	v_add_u32_e32 v0, v31, v0
	v_lshrrev_b32_e32 v1, s10, v0
	v_mul_lo_u32 v0, v1, s8
	v_sub_u32_e32 v2, v31, v0
	v_mul_lo_u32 v0, v2, s4
	v_mul_lo_u32 v4, v2, s5
	;; [unrolled: 1-line block ×3, first 2 shown]
	s_cbranch_vccnz .LBB214_32
; %bb.31:
	v_mul_hi_u32 v3, s22, v1
	v_add_u32_e32 v3, v1, v3
	v_lshrrev_b32_e32 v3, s23, v3
	v_mul_lo_u32 v3, v3, s11
	v_sub_u32_e32 v3, v1, v3
	v_mad_u64_u32 v[0:1], s[30:31], v3, s7, v[0:1]
	v_mad_u64_u32 v[4:5], s[30:31], v3, s20, v[4:5]
	;; [unrolled: 1-line block ×3, first 2 shown]
.LBB214_32:
	global_load_ushort v1, v4, s[2:3]
	global_load_ushort v3, v2, s[18:19]
	v_mov_b32_e32 v2, s36
	v_add_u32_e32 v31, 0x80, v31
	s_waitcnt vmcnt(1)
	v_cmp_ge_f16_e32 vcc, s35, v1
	s_waitcnt vmcnt(0)
	v_cndmask_b32_e32 v1, v3, v2, vcc
	global_store_short v0, v1, s[0:1]
	s_or_b64 exec, exec, s[28:29]
	v_cmp_gt_i32_e32 vcc, s38, v31
	s_and_saveexec_b64 s[28:29], vcc
	s_cbranch_execz .LBB214_4
.LBB214_33:
	s_andn2_b64 vcc, exec, s[14:15]
	s_cbranch_vccnz .LBB214_39
; %bb.34:
	s_andn2_b64 vcc, exec, s[26:27]
	s_cbranch_vccnz .LBB214_40
; %bb.35:
	s_add_i32 s30, s37, 1
	s_and_b32 s39, s30, 30
	s_add_u32 s30, s12, 0xffffffe8
	s_addc_u32 s31, s13, -1
	v_mov_b32_e32 v2, 0
	v_mov_b32_e32 v4, 0
	;; [unrolled: 1-line block ×4, first 2 shown]
.LBB214_36:                             ; =>This Inner Loop Header: Depth=1
	s_load_dwordx4 s[40:43], s[30:31], 0x1c
	s_load_dwordx2 s[48:49], s[30:31], 0x2c
	s_load_dwordx2 s[50:51], s[30:31], 0xec
	s_load_dwordx4 s[44:47], s[30:31], 0xdc
	s_add_u32 s30, s30, 24
	s_waitcnt lgkmcnt(0)
	v_mul_hi_u32 v3, s41, v1
	s_addc_u32 s31, s31, 0
	s_add_i32 s39, s39, -2
	s_cmp_eq_u32 s39, 0
	v_add_u32_e32 v3, v1, v3
	v_lshrrev_b32_e32 v3, s42, v3
	v_mul_lo_u32 v5, v3, s40
	v_mul_hi_u32 v6, s48, v3
	v_sub_u32_e32 v5, v1, v5
	v_add_u32_e32 v1, v3, v6
	v_lshrrev_b32_e32 v1, s49, v1
	v_mul_lo_u32 v8, v1, s43
	v_mul_lo_u32 v6, v5, s44
	;; [unrolled: 1-line block ×4, first 2 shown]
	v_sub_u32_e32 v3, v3, v8
	v_mul_lo_u32 v8, v3, s47
	v_mul_lo_u32 v9, v3, s50
	;; [unrolled: 1-line block ×3, first 2 shown]
	v_add3_u32 v0, v6, v0, v8
	v_add3_u32 v4, v7, v4, v9
	;; [unrolled: 1-line block ×3, first 2 shown]
	s_cbranch_scc0 .LBB214_36
; %bb.37:
	s_bitcmp1_b32 s37, 0
	s_cselect_b64 s[40:41], -1, 0
	s_and_b64 vcc, exec, s[40:41]
	s_cbranch_vccnz .LBB214_41
; %bb.38:
	s_load_dwordx2 s[40:41], s[30:31], 0x1c
	s_load_dword s39, s[30:31], 0x24
	s_load_dwordx2 s[42:43], s[30:31], 0xdc
	s_waitcnt lgkmcnt(0)
	v_mul_hi_u32 v3, s41, v1
	v_add_u32_e32 v3, v1, v3
	v_lshrrev_b32_e32 v3, s39, v3
	v_mul_lo_u32 v3, v3, s40
	s_load_dword s39, s[30:31], 0xe4
	v_sub_u32_e32 v3, v1, v3
	v_mad_u64_u32 v[0:1], s[30:31], v3, s42, v[0:1]
	v_mad_u64_u32 v[4:5], s[30:31], v3, s43, v[4:5]
	s_waitcnt lgkmcnt(0)
	v_mad_u64_u32 v[2:3], s[30:31], v3, s39, v[2:3]
	s_branch .LBB214_41
.LBB214_39:
                                        ; implicit-def: $vgpr0
                                        ; implicit-def: $vgpr4
                                        ; implicit-def: $vgpr2
	s_branch .LBB214_42
.LBB214_40:
	v_mov_b32_e32 v0, 0
	v_mov_b32_e32 v4, 0
	;; [unrolled: 1-line block ×3, first 2 shown]
.LBB214_41:
	s_cbranch_execnz .LBB214_44
.LBB214_42:
	v_mul_hi_u32 v0, s9, v31
	s_andn2_b64 vcc, exec, s[24:25]
	v_add_u32_e32 v0, v31, v0
	v_lshrrev_b32_e32 v1, s10, v0
	v_mul_lo_u32 v0, v1, s8
	v_sub_u32_e32 v2, v31, v0
	v_mul_lo_u32 v0, v2, s4
	v_mul_lo_u32 v4, v2, s5
	v_mul_lo_u32 v2, v2, s6
	s_cbranch_vccnz .LBB214_44
; %bb.43:
	v_mul_hi_u32 v3, s22, v1
	v_add_u32_e32 v3, v1, v3
	v_lshrrev_b32_e32 v3, s23, v3
	v_mul_lo_u32 v3, v3, s11
	v_sub_u32_e32 v3, v1, v3
	v_mad_u64_u32 v[0:1], s[30:31], v3, s7, v[0:1]
	v_mad_u64_u32 v[4:5], s[30:31], v3, s20, v[4:5]
	;; [unrolled: 1-line block ×3, first 2 shown]
.LBB214_44:
	global_load_ushort v1, v4, s[2:3]
	global_load_ushort v3, v2, s[18:19]
	v_mov_b32_e32 v2, s36
	v_add_u32_e32 v31, 0x80, v31
	s_waitcnt vmcnt(1)
	v_cmp_ge_f16_e32 vcc, s35, v1
	s_waitcnt vmcnt(0)
	v_cndmask_b32_e32 v1, v3, v2, vcc
	global_store_short v0, v1, s[0:1]
	s_or_b64 exec, exec, s[28:29]
	v_cmp_gt_i32_e32 vcc, s38, v31
	s_and_saveexec_b64 s[28:29], vcc
	s_cbranch_execz .LBB214_5
.LBB214_45:
	s_andn2_b64 vcc, exec, s[14:15]
	s_cbranch_vccnz .LBB214_51
; %bb.46:
	s_andn2_b64 vcc, exec, s[26:27]
	s_cbranch_vccnz .LBB214_52
; %bb.47:
	s_add_i32 s30, s37, 1
	s_and_b32 s39, s30, 30
	s_add_u32 s30, s12, 0xffffffe8
	s_addc_u32 s31, s13, -1
	v_mov_b32_e32 v2, 0
	v_mov_b32_e32 v4, 0
	;; [unrolled: 1-line block ×4, first 2 shown]
.LBB214_48:                             ; =>This Inner Loop Header: Depth=1
	s_load_dwordx4 s[40:43], s[30:31], 0x1c
	s_load_dwordx2 s[48:49], s[30:31], 0x2c
	s_load_dwordx2 s[50:51], s[30:31], 0xec
	s_load_dwordx4 s[44:47], s[30:31], 0xdc
	s_add_u32 s30, s30, 24
	s_waitcnt lgkmcnt(0)
	v_mul_hi_u32 v3, s41, v1
	s_addc_u32 s31, s31, 0
	s_add_i32 s39, s39, -2
	s_cmp_eq_u32 s39, 0
	v_add_u32_e32 v3, v1, v3
	v_lshrrev_b32_e32 v3, s42, v3
	v_mul_lo_u32 v5, v3, s40
	v_mul_hi_u32 v6, s48, v3
	v_sub_u32_e32 v5, v1, v5
	v_add_u32_e32 v1, v3, v6
	v_lshrrev_b32_e32 v1, s49, v1
	v_mul_lo_u32 v8, v1, s43
	v_mul_lo_u32 v6, v5, s44
	;; [unrolled: 1-line block ×4, first 2 shown]
	v_sub_u32_e32 v3, v3, v8
	v_mul_lo_u32 v8, v3, s47
	v_mul_lo_u32 v9, v3, s50
	;; [unrolled: 1-line block ×3, first 2 shown]
	v_add3_u32 v0, v6, v0, v8
	v_add3_u32 v4, v7, v4, v9
	;; [unrolled: 1-line block ×3, first 2 shown]
	s_cbranch_scc0 .LBB214_48
; %bb.49:
	s_bitcmp1_b32 s37, 0
	s_cselect_b64 s[40:41], -1, 0
	s_and_b64 vcc, exec, s[40:41]
	s_cbranch_vccnz .LBB214_53
; %bb.50:
	s_load_dwordx2 s[40:41], s[30:31], 0x1c
	s_load_dword s39, s[30:31], 0x24
	s_load_dwordx2 s[42:43], s[30:31], 0xdc
	s_waitcnt lgkmcnt(0)
	v_mul_hi_u32 v3, s41, v1
	v_add_u32_e32 v3, v1, v3
	v_lshrrev_b32_e32 v3, s39, v3
	v_mul_lo_u32 v3, v3, s40
	s_load_dword s39, s[30:31], 0xe4
	v_sub_u32_e32 v3, v1, v3
	v_mad_u64_u32 v[0:1], s[30:31], v3, s42, v[0:1]
	v_mad_u64_u32 v[4:5], s[30:31], v3, s43, v[4:5]
	s_waitcnt lgkmcnt(0)
	v_mad_u64_u32 v[2:3], s[30:31], v3, s39, v[2:3]
	s_branch .LBB214_53
.LBB214_51:
                                        ; implicit-def: $vgpr0
                                        ; implicit-def: $vgpr4
                                        ; implicit-def: $vgpr2
	s_branch .LBB214_54
.LBB214_52:
	v_mov_b32_e32 v0, 0
	v_mov_b32_e32 v4, 0
	;; [unrolled: 1-line block ×3, first 2 shown]
.LBB214_53:
	s_cbranch_execnz .LBB214_56
.LBB214_54:
	v_mul_hi_u32 v0, s9, v31
	s_andn2_b64 vcc, exec, s[24:25]
	v_add_u32_e32 v0, v31, v0
	v_lshrrev_b32_e32 v1, s10, v0
	v_mul_lo_u32 v0, v1, s8
	v_sub_u32_e32 v2, v31, v0
	v_mul_lo_u32 v0, v2, s4
	v_mul_lo_u32 v4, v2, s5
	;; [unrolled: 1-line block ×3, first 2 shown]
	s_cbranch_vccnz .LBB214_56
; %bb.55:
	v_mul_hi_u32 v3, s22, v1
	v_add_u32_e32 v3, v1, v3
	v_lshrrev_b32_e32 v3, s23, v3
	v_mul_lo_u32 v3, v3, s11
	v_sub_u32_e32 v3, v1, v3
	v_mad_u64_u32 v[0:1], s[30:31], v3, s7, v[0:1]
	v_mad_u64_u32 v[4:5], s[30:31], v3, s20, v[4:5]
	v_mad_u64_u32 v[2:3], s[30:31], v3, s21, v[2:3]
.LBB214_56:
	global_load_ushort v1, v4, s[2:3]
	global_load_ushort v3, v2, s[18:19]
	v_mov_b32_e32 v2, s36
	v_add_u32_e32 v31, 0x80, v31
	s_waitcnt vmcnt(1)
	v_cmp_ge_f16_e32 vcc, s35, v1
	s_waitcnt vmcnt(0)
	v_cndmask_b32_e32 v1, v3, v2, vcc
	global_store_short v0, v1, s[0:1]
	s_or_b64 exec, exec, s[28:29]
	v_cmp_gt_i32_e32 vcc, s38, v31
	s_and_saveexec_b64 s[28:29], vcc
	s_cbranch_execz .LBB214_6
.LBB214_57:
	s_andn2_b64 vcc, exec, s[14:15]
	s_cbranch_vccnz .LBB214_63
; %bb.58:
	s_andn2_b64 vcc, exec, s[26:27]
	s_cbranch_vccnz .LBB214_64
; %bb.59:
	s_add_i32 s30, s37, 1
	s_and_b32 s39, s30, 30
	s_add_u32 s30, s12, 0xffffffe8
	s_addc_u32 s31, s13, -1
	v_mov_b32_e32 v2, 0
	v_mov_b32_e32 v4, 0
	;; [unrolled: 1-line block ×4, first 2 shown]
.LBB214_60:                             ; =>This Inner Loop Header: Depth=1
	s_load_dwordx4 s[40:43], s[30:31], 0x1c
	s_load_dwordx2 s[48:49], s[30:31], 0x2c
	s_load_dwordx2 s[50:51], s[30:31], 0xec
	s_load_dwordx4 s[44:47], s[30:31], 0xdc
	s_add_u32 s30, s30, 24
	s_waitcnt lgkmcnt(0)
	v_mul_hi_u32 v3, s41, v1
	s_addc_u32 s31, s31, 0
	s_add_i32 s39, s39, -2
	s_cmp_eq_u32 s39, 0
	v_add_u32_e32 v3, v1, v3
	v_lshrrev_b32_e32 v3, s42, v3
	v_mul_lo_u32 v5, v3, s40
	v_mul_hi_u32 v6, s48, v3
	v_sub_u32_e32 v5, v1, v5
	v_add_u32_e32 v1, v3, v6
	v_lshrrev_b32_e32 v1, s49, v1
	v_mul_lo_u32 v8, v1, s43
	v_mul_lo_u32 v6, v5, s44
	;; [unrolled: 1-line block ×4, first 2 shown]
	v_sub_u32_e32 v3, v3, v8
	v_mul_lo_u32 v8, v3, s47
	v_mul_lo_u32 v9, v3, s50
	;; [unrolled: 1-line block ×3, first 2 shown]
	v_add3_u32 v0, v6, v0, v8
	v_add3_u32 v4, v7, v4, v9
	;; [unrolled: 1-line block ×3, first 2 shown]
	s_cbranch_scc0 .LBB214_60
; %bb.61:
	s_bitcmp1_b32 s37, 0
	s_cselect_b64 s[40:41], -1, 0
	s_and_b64 vcc, exec, s[40:41]
	s_cbranch_vccnz .LBB214_65
; %bb.62:
	s_load_dwordx2 s[40:41], s[30:31], 0x1c
	s_load_dword s39, s[30:31], 0x24
	s_load_dwordx2 s[42:43], s[30:31], 0xdc
	s_waitcnt lgkmcnt(0)
	v_mul_hi_u32 v3, s41, v1
	v_add_u32_e32 v3, v1, v3
	v_lshrrev_b32_e32 v3, s39, v3
	v_mul_lo_u32 v3, v3, s40
	s_load_dword s39, s[30:31], 0xe4
	v_sub_u32_e32 v3, v1, v3
	v_mad_u64_u32 v[0:1], s[30:31], v3, s42, v[0:1]
	v_mad_u64_u32 v[4:5], s[30:31], v3, s43, v[4:5]
	s_waitcnt lgkmcnt(0)
	v_mad_u64_u32 v[2:3], s[30:31], v3, s39, v[2:3]
	s_branch .LBB214_65
.LBB214_63:
                                        ; implicit-def: $vgpr0
                                        ; implicit-def: $vgpr4
                                        ; implicit-def: $vgpr2
	s_branch .LBB214_66
.LBB214_64:
	v_mov_b32_e32 v0, 0
	v_mov_b32_e32 v4, 0
	;; [unrolled: 1-line block ×3, first 2 shown]
.LBB214_65:
	s_cbranch_execnz .LBB214_68
.LBB214_66:
	v_mul_hi_u32 v0, s9, v31
	s_andn2_b64 vcc, exec, s[24:25]
	v_add_u32_e32 v0, v31, v0
	v_lshrrev_b32_e32 v1, s10, v0
	v_mul_lo_u32 v0, v1, s8
	v_sub_u32_e32 v2, v31, v0
	v_mul_lo_u32 v0, v2, s4
	v_mul_lo_u32 v4, v2, s5
	v_mul_lo_u32 v2, v2, s6
	s_cbranch_vccnz .LBB214_68
; %bb.67:
	v_mul_hi_u32 v3, s22, v1
	v_add_u32_e32 v3, v1, v3
	v_lshrrev_b32_e32 v3, s23, v3
	v_mul_lo_u32 v3, v3, s11
	v_sub_u32_e32 v3, v1, v3
	v_mad_u64_u32 v[0:1], s[30:31], v3, s7, v[0:1]
	v_mad_u64_u32 v[4:5], s[30:31], v3, s20, v[4:5]
	;; [unrolled: 1-line block ×3, first 2 shown]
.LBB214_68:
	global_load_ushort v1, v4, s[2:3]
	global_load_ushort v3, v2, s[18:19]
	v_mov_b32_e32 v2, s36
	v_add_u32_e32 v31, 0x80, v31
	s_waitcnt vmcnt(1)
	v_cmp_ge_f16_e32 vcc, s35, v1
	s_waitcnt vmcnt(0)
	v_cndmask_b32_e32 v1, v3, v2, vcc
	global_store_short v0, v1, s[0:1]
	s_or_b64 exec, exec, s[28:29]
	v_cmp_gt_i32_e32 vcc, s38, v31
	s_and_saveexec_b64 s[28:29], vcc
	s_cbranch_execz .LBB214_7
.LBB214_69:
	s_andn2_b64 vcc, exec, s[14:15]
	s_cbranch_vccnz .LBB214_75
; %bb.70:
	s_andn2_b64 vcc, exec, s[26:27]
	s_cbranch_vccnz .LBB214_76
; %bb.71:
	s_add_i32 s30, s37, 1
	s_and_b32 s39, s30, 30
	s_add_u32 s30, s12, 0xffffffe8
	s_addc_u32 s31, s13, -1
	v_mov_b32_e32 v2, 0
	v_mov_b32_e32 v4, 0
	;; [unrolled: 1-line block ×4, first 2 shown]
.LBB214_72:                             ; =>This Inner Loop Header: Depth=1
	s_load_dwordx4 s[40:43], s[30:31], 0x1c
	s_load_dwordx2 s[48:49], s[30:31], 0x2c
	s_load_dwordx2 s[50:51], s[30:31], 0xec
	s_load_dwordx4 s[44:47], s[30:31], 0xdc
	s_add_u32 s30, s30, 24
	s_waitcnt lgkmcnt(0)
	v_mul_hi_u32 v3, s41, v1
	s_addc_u32 s31, s31, 0
	s_add_i32 s39, s39, -2
	s_cmp_eq_u32 s39, 0
	v_add_u32_e32 v3, v1, v3
	v_lshrrev_b32_e32 v3, s42, v3
	v_mul_lo_u32 v5, v3, s40
	v_mul_hi_u32 v6, s48, v3
	v_sub_u32_e32 v5, v1, v5
	v_add_u32_e32 v1, v3, v6
	v_lshrrev_b32_e32 v1, s49, v1
	v_mul_lo_u32 v8, v1, s43
	v_mul_lo_u32 v6, v5, s44
	;; [unrolled: 1-line block ×4, first 2 shown]
	v_sub_u32_e32 v3, v3, v8
	v_mul_lo_u32 v8, v3, s47
	v_mul_lo_u32 v9, v3, s50
	;; [unrolled: 1-line block ×3, first 2 shown]
	v_add3_u32 v0, v6, v0, v8
	v_add3_u32 v4, v7, v4, v9
	;; [unrolled: 1-line block ×3, first 2 shown]
	s_cbranch_scc0 .LBB214_72
; %bb.73:
	s_bitcmp1_b32 s37, 0
	s_cselect_b64 s[40:41], -1, 0
	s_and_b64 vcc, exec, s[40:41]
	s_cbranch_vccnz .LBB214_77
; %bb.74:
	s_load_dwordx2 s[40:41], s[30:31], 0x1c
	s_load_dword s39, s[30:31], 0x24
	s_load_dwordx2 s[42:43], s[30:31], 0xdc
	s_waitcnt lgkmcnt(0)
	v_mul_hi_u32 v3, s41, v1
	v_add_u32_e32 v3, v1, v3
	v_lshrrev_b32_e32 v3, s39, v3
	v_mul_lo_u32 v3, v3, s40
	s_load_dword s39, s[30:31], 0xe4
	v_sub_u32_e32 v3, v1, v3
	v_mad_u64_u32 v[0:1], s[30:31], v3, s42, v[0:1]
	v_mad_u64_u32 v[4:5], s[30:31], v3, s43, v[4:5]
	s_waitcnt lgkmcnt(0)
	v_mad_u64_u32 v[2:3], s[30:31], v3, s39, v[2:3]
	s_branch .LBB214_77
.LBB214_75:
                                        ; implicit-def: $vgpr0
                                        ; implicit-def: $vgpr4
                                        ; implicit-def: $vgpr2
	s_branch .LBB214_78
.LBB214_76:
	v_mov_b32_e32 v0, 0
	v_mov_b32_e32 v4, 0
	v_mov_b32_e32 v2, 0
.LBB214_77:
	s_cbranch_execnz .LBB214_80
.LBB214_78:
	v_mul_hi_u32 v0, s9, v31
	s_andn2_b64 vcc, exec, s[24:25]
	v_add_u32_e32 v0, v31, v0
	v_lshrrev_b32_e32 v1, s10, v0
	v_mul_lo_u32 v0, v1, s8
	v_sub_u32_e32 v2, v31, v0
	v_mul_lo_u32 v0, v2, s4
	v_mul_lo_u32 v4, v2, s5
	;; [unrolled: 1-line block ×3, first 2 shown]
	s_cbranch_vccnz .LBB214_80
; %bb.79:
	v_mul_hi_u32 v3, s22, v1
	v_add_u32_e32 v3, v1, v3
	v_lshrrev_b32_e32 v3, s23, v3
	v_mul_lo_u32 v3, v3, s11
	v_sub_u32_e32 v3, v1, v3
	v_mad_u64_u32 v[0:1], s[30:31], v3, s7, v[0:1]
	v_mad_u64_u32 v[4:5], s[30:31], v3, s20, v[4:5]
	;; [unrolled: 1-line block ×3, first 2 shown]
.LBB214_80:
	global_load_ushort v1, v4, s[2:3]
	global_load_ushort v3, v2, s[18:19]
	v_mov_b32_e32 v2, s36
	v_add_u32_e32 v31, 0x80, v31
	s_waitcnt vmcnt(1)
	v_cmp_ge_f16_e32 vcc, s35, v1
	s_waitcnt vmcnt(0)
	v_cndmask_b32_e32 v1, v3, v2, vcc
	global_store_short v0, v1, s[0:1]
	s_or_b64 exec, exec, s[28:29]
	v_cmp_gt_i32_e32 vcc, s38, v31
	s_and_saveexec_b64 s[28:29], vcc
	s_cbranch_execz .LBB214_8
.LBB214_81:
	s_andn2_b64 vcc, exec, s[14:15]
	s_cbranch_vccnz .LBB214_87
; %bb.82:
	s_andn2_b64 vcc, exec, s[26:27]
	s_cbranch_vccnz .LBB214_88
; %bb.83:
	s_add_i32 s30, s37, 1
	s_and_b32 s39, s30, 30
	s_add_u32 s30, s12, 0xffffffe8
	s_addc_u32 s31, s13, -1
	v_mov_b32_e32 v2, 0
	v_mov_b32_e32 v4, 0
	;; [unrolled: 1-line block ×4, first 2 shown]
.LBB214_84:                             ; =>This Inner Loop Header: Depth=1
	s_load_dwordx4 s[40:43], s[30:31], 0x1c
	s_load_dwordx2 s[48:49], s[30:31], 0x2c
	s_load_dwordx2 s[50:51], s[30:31], 0xec
	s_load_dwordx4 s[44:47], s[30:31], 0xdc
	s_add_u32 s30, s30, 24
	s_waitcnt lgkmcnt(0)
	v_mul_hi_u32 v3, s41, v1
	s_addc_u32 s31, s31, 0
	s_add_i32 s39, s39, -2
	s_cmp_eq_u32 s39, 0
	v_add_u32_e32 v3, v1, v3
	v_lshrrev_b32_e32 v3, s42, v3
	v_mul_lo_u32 v5, v3, s40
	v_mul_hi_u32 v6, s48, v3
	v_sub_u32_e32 v5, v1, v5
	v_add_u32_e32 v1, v3, v6
	v_lshrrev_b32_e32 v1, s49, v1
	v_mul_lo_u32 v8, v1, s43
	v_mul_lo_u32 v6, v5, s44
	;; [unrolled: 1-line block ×4, first 2 shown]
	v_sub_u32_e32 v3, v3, v8
	v_mul_lo_u32 v8, v3, s47
	v_mul_lo_u32 v9, v3, s50
	;; [unrolled: 1-line block ×3, first 2 shown]
	v_add3_u32 v0, v6, v0, v8
	v_add3_u32 v4, v7, v4, v9
	;; [unrolled: 1-line block ×3, first 2 shown]
	s_cbranch_scc0 .LBB214_84
; %bb.85:
	s_bitcmp1_b32 s37, 0
	s_cselect_b64 s[40:41], -1, 0
	s_and_b64 vcc, exec, s[40:41]
	s_cbranch_vccnz .LBB214_89
; %bb.86:
	s_load_dwordx2 s[40:41], s[30:31], 0x1c
	s_load_dword s39, s[30:31], 0x24
	s_load_dwordx2 s[42:43], s[30:31], 0xdc
	s_waitcnt lgkmcnt(0)
	v_mul_hi_u32 v3, s41, v1
	v_add_u32_e32 v3, v1, v3
	v_lshrrev_b32_e32 v3, s39, v3
	v_mul_lo_u32 v3, v3, s40
	s_load_dword s39, s[30:31], 0xe4
	v_sub_u32_e32 v3, v1, v3
	v_mad_u64_u32 v[0:1], s[30:31], v3, s42, v[0:1]
	v_mad_u64_u32 v[4:5], s[30:31], v3, s43, v[4:5]
	s_waitcnt lgkmcnt(0)
	v_mad_u64_u32 v[2:3], s[30:31], v3, s39, v[2:3]
	s_branch .LBB214_89
.LBB214_87:
                                        ; implicit-def: $vgpr0
                                        ; implicit-def: $vgpr4
                                        ; implicit-def: $vgpr2
	s_branch .LBB214_90
.LBB214_88:
	v_mov_b32_e32 v0, 0
	v_mov_b32_e32 v4, 0
	;; [unrolled: 1-line block ×3, first 2 shown]
.LBB214_89:
	s_cbranch_execnz .LBB214_92
.LBB214_90:
	v_mul_hi_u32 v0, s9, v31
	s_andn2_b64 vcc, exec, s[24:25]
	v_add_u32_e32 v0, v31, v0
	v_lshrrev_b32_e32 v1, s10, v0
	v_mul_lo_u32 v0, v1, s8
	v_sub_u32_e32 v2, v31, v0
	v_mul_lo_u32 v0, v2, s4
	v_mul_lo_u32 v4, v2, s5
	;; [unrolled: 1-line block ×3, first 2 shown]
	s_cbranch_vccnz .LBB214_92
; %bb.91:
	v_mul_hi_u32 v3, s22, v1
	v_add_u32_e32 v3, v1, v3
	v_lshrrev_b32_e32 v3, s23, v3
	v_mul_lo_u32 v3, v3, s11
	v_sub_u32_e32 v3, v1, v3
	v_mad_u64_u32 v[0:1], s[30:31], v3, s7, v[0:1]
	v_mad_u64_u32 v[4:5], s[30:31], v3, s20, v[4:5]
	;; [unrolled: 1-line block ×3, first 2 shown]
.LBB214_92:
	global_load_ushort v1, v4, s[2:3]
	global_load_ushort v3, v2, s[18:19]
	v_mov_b32_e32 v2, s36
	v_add_u32_e32 v31, 0x80, v31
	s_waitcnt vmcnt(1)
	v_cmp_ge_f16_e32 vcc, s35, v1
	s_waitcnt vmcnt(0)
	v_cndmask_b32_e32 v1, v3, v2, vcc
	global_store_short v0, v1, s[0:1]
	s_or_b64 exec, exec, s[28:29]
	v_cmp_gt_i32_e32 vcc, s38, v31
	s_and_saveexec_b64 s[28:29], vcc
	s_cbranch_execz .LBB214_105
.LBB214_93:
	s_andn2_b64 vcc, exec, s[14:15]
	s_cbranch_vccnz .LBB214_99
; %bb.94:
	s_andn2_b64 vcc, exec, s[26:27]
	s_cbranch_vccnz .LBB214_100
; %bb.95:
	s_add_i32 s26, s37, 1
	s_and_b32 s30, s26, 30
	s_add_u32 s26, s12, 0xffffffe8
	s_addc_u32 s27, s13, -1
	v_mov_b32_e32 v2, 0
	v_mov_b32_e32 v4, 0
	;; [unrolled: 1-line block ×4, first 2 shown]
.LBB214_96:                             ; =>This Inner Loop Header: Depth=1
	s_load_dwordx4 s[40:43], s[26:27], 0x1c
	s_load_dwordx2 s[38:39], s[26:27], 0x2c
	s_load_dwordx2 s[48:49], s[26:27], 0xec
	s_load_dwordx4 s[44:47], s[26:27], 0xdc
	s_add_u32 s26, s26, 24
	s_waitcnt lgkmcnt(0)
	v_mul_hi_u32 v3, s41, v1
	s_addc_u32 s27, s27, 0
	s_add_i32 s30, s30, -2
	s_cmp_eq_u32 s30, 0
	v_add_u32_e32 v3, v1, v3
	v_lshrrev_b32_e32 v3, s42, v3
	v_mul_lo_u32 v5, v3, s40
	v_mul_hi_u32 v6, s38, v3
	v_sub_u32_e32 v5, v1, v5
	v_add_u32_e32 v1, v3, v6
	v_lshrrev_b32_e32 v1, s39, v1
	v_mul_lo_u32 v8, v1, s43
	v_mul_lo_u32 v6, v5, s44
	;; [unrolled: 1-line block ×4, first 2 shown]
	v_sub_u32_e32 v3, v3, v8
	v_mul_lo_u32 v8, v3, s47
	v_mul_lo_u32 v9, v3, s48
	;; [unrolled: 1-line block ×3, first 2 shown]
	v_add3_u32 v0, v6, v0, v8
	v_add3_u32 v4, v7, v4, v9
	;; [unrolled: 1-line block ×3, first 2 shown]
	s_cbranch_scc0 .LBB214_96
; %bb.97:
	s_bitcmp1_b32 s37, 0
	s_cselect_b64 s[30:31], -1, 0
	s_and_b64 vcc, exec, s[30:31]
	s_cbranch_vccnz .LBB214_101
; %bb.98:
	s_load_dwordx2 s[30:31], s[26:27], 0x1c
	s_load_dword s37, s[26:27], 0x24
	s_load_dwordx2 s[38:39], s[26:27], 0xdc
	s_waitcnt lgkmcnt(0)
	v_mul_hi_u32 v3, s31, v1
	v_add_u32_e32 v3, v1, v3
	v_lshrrev_b32_e32 v3, s37, v3
	v_mul_lo_u32 v3, v3, s30
	s_load_dword s30, s[26:27], 0xe4
	v_sub_u32_e32 v3, v1, v3
	v_mad_u64_u32 v[0:1], s[26:27], v3, s38, v[0:1]
	v_mad_u64_u32 v[4:5], s[26:27], v3, s39, v[4:5]
	s_waitcnt lgkmcnt(0)
	v_mad_u64_u32 v[2:3], s[26:27], v3, s30, v[2:3]
	s_branch .LBB214_101
.LBB214_99:
                                        ; implicit-def: $vgpr0
                                        ; implicit-def: $vgpr4
                                        ; implicit-def: $vgpr2
	s_branch .LBB214_102
.LBB214_100:
	v_mov_b32_e32 v0, 0
	v_mov_b32_e32 v4, 0
	;; [unrolled: 1-line block ×3, first 2 shown]
.LBB214_101:
	s_cbranch_execnz .LBB214_104
.LBB214_102:
	v_mul_hi_u32 v0, s9, v31
	s_andn2_b64 vcc, exec, s[24:25]
	v_add_u32_e32 v0, v31, v0
	v_lshrrev_b32_e32 v1, s10, v0
	v_mul_lo_u32 v0, v1, s8
	v_sub_u32_e32 v2, v31, v0
	v_mul_lo_u32 v0, v2, s4
	v_mul_lo_u32 v4, v2, s5
	;; [unrolled: 1-line block ×3, first 2 shown]
	s_cbranch_vccnz .LBB214_104
; %bb.103:
	v_mul_hi_u32 v3, s22, v1
	v_add_u32_e32 v3, v1, v3
	v_lshrrev_b32_e32 v3, s23, v3
	v_mul_lo_u32 v3, v3, s11
	v_sub_u32_e32 v3, v1, v3
	v_mad_u64_u32 v[0:1], s[4:5], v3, s7, v[0:1]
	v_mad_u64_u32 v[4:5], s[4:5], v3, s20, v[4:5]
	;; [unrolled: 1-line block ×3, first 2 shown]
.LBB214_104:
	global_load_ushort v1, v4, s[2:3]
	global_load_ushort v3, v2, s[18:19]
	v_mov_b32_e32 v2, s36
	s_waitcnt vmcnt(1)
	v_cmp_ge_f16_e32 vcc, s35, v1
	s_waitcnt vmcnt(0)
	v_cndmask_b32_e32 v1, v3, v2, vcc
	global_store_short v0, v1, s[0:1]
.LBB214_105:
	s_or_b64 exec, exec, s[28:29]
                                        ; implicit-def: $vgpr41
                                        ; implicit-def: $vgpr31
.LBB214_106:
	s_andn2_saveexec_b64 s[0:1], s[16:17]
	s_cbranch_execz .LBB214_113
; %bb.107:
	v_cndmask_b32_e64 v0, 0, 1, s[14:15]
	v_cmp_ne_u32_e64 s[0:1], 1, v0
	s_andn2_b64 vcc, exec, s[14:15]
	s_cbranch_vccnz .LBB214_114
; %bb.108:
	s_cmp_lg_u32 s33, 0
	s_cbranch_scc0 .LBB214_115
; %bb.109:
	s_min_u32 s4, s34, 15
	s_add_i32 s2, s4, 1
	s_and_b32 s5, s2, 30
	s_add_u32 s2, s12, 0xffffffe8
	s_addc_u32 s3, s13, -1
	v_mov_b32_e32 v4, 0
	v_mov_b32_e32 v2, 0
	;; [unrolled: 1-line block ×4, first 2 shown]
.LBB214_110:                            ; =>This Inner Loop Header: Depth=1
	s_load_dwordx4 s[8:11], s[2:3], 0x1c
	s_load_dwordx2 s[6:7], s[2:3], 0x2c
	s_load_dwordx2 s[14:15], s[2:3], 0xec
	s_load_dwordx4 s[16:19], s[2:3], 0xdc
	s_add_u32 s2, s2, 24
	s_waitcnt lgkmcnt(0)
	v_mul_hi_u32 v3, s9, v1
	s_addc_u32 s3, s3, 0
	s_add_i32 s5, s5, -2
	s_cmp_lg_u32 s5, 0
	v_add_u32_e32 v3, v1, v3
	v_lshrrev_b32_e32 v3, s10, v3
	v_mul_lo_u32 v5, v3, s8
	v_mul_hi_u32 v6, s6, v3
	v_sub_u32_e32 v5, v1, v5
	v_add_u32_e32 v1, v3, v6
	v_lshrrev_b32_e32 v1, s7, v1
	v_mul_lo_u32 v8, v1, s11
	v_mul_lo_u32 v6, v5, s16
	;; [unrolled: 1-line block ×4, first 2 shown]
	v_sub_u32_e32 v3, v3, v8
	v_mul_lo_u32 v8, v3, s19
	v_mul_lo_u32 v9, v3, s14
	;; [unrolled: 1-line block ×3, first 2 shown]
	v_add3_u32 v0, v6, v0, v8
	v_add3_u32 v2, v7, v2, v9
	v_add3_u32 v4, v5, v4, v3
	s_cbranch_scc1 .LBB214_110
; %bb.111:
	s_bitcmp1_b32 s4, 0
	s_cselect_b64 s[4:5], -1, 0
	s_and_b64 vcc, exec, s[4:5]
	s_cbranch_vccnz .LBB214_116
; %bb.112:
	s_load_dwordx2 s[4:5], s[2:3], 0x1c
	s_load_dword s8, s[2:3], 0x24
	s_load_dwordx2 s[6:7], s[2:3], 0xdc
	s_waitcnt lgkmcnt(0)
	v_mul_hi_u32 v3, s5, v1
	v_add_u32_e32 v3, v1, v3
	v_lshrrev_b32_e32 v3, s8, v3
	v_mul_lo_u32 v3, v3, s4
	s_load_dword s4, s[2:3], 0xe4
	v_sub_u32_e32 v5, v1, v3
	v_mad_u64_u32 v[0:1], s[2:3], v5, s6, v[0:1]
	v_mad_u64_u32 v[2:3], s[2:3], v5, s7, v[2:3]
	s_waitcnt lgkmcnt(0)
	v_mad_u64_u32 v[4:5], s[2:3], v5, s4, v[4:5]
	s_cbranch_execz .LBB214_117
	s_branch .LBB214_119
.LBB214_113:
	s_endpgm
.LBB214_114:
                                        ; implicit-def: $vgpr0
                                        ; implicit-def: $vgpr2
                                        ; implicit-def: $vgpr4
	s_branch .LBB214_117
.LBB214_115:
	v_mov_b32_e32 v0, 0
	v_mov_b32_e32 v2, 0
	;; [unrolled: 1-line block ×3, first 2 shown]
.LBB214_116:
	s_cbranch_execnz .LBB214_119
.LBB214_117:
	s_load_dwordx4 s[4:7], s[12:13], 0x4
	s_load_dwordx4 s[8:11], s[12:13], 0xc4
	s_cmp_lt_u32 s33, 2
	s_waitcnt lgkmcnt(0)
	v_mul_hi_u32 v0, s5, v31
	v_add_u32_e32 v0, v31, v0
	v_lshrrev_b32_e32 v1, s6, v0
	v_mul_lo_u32 v0, v1, s4
	v_sub_u32_e32 v3, v31, v0
	v_mul_lo_u32 v0, v3, s8
	v_mul_lo_u32 v2, v3, s9
	;; [unrolled: 1-line block ×3, first 2 shown]
	s_cbranch_scc1 .LBB214_119
; %bb.118:
	s_load_dwordx4 s[4:7], s[12:13], 0x10
	s_load_dwordx4 s[8:11], s[12:13], 0xd0
	s_waitcnt lgkmcnt(0)
	v_mul_hi_u32 v3, s5, v1
	v_add_u32_e32 v3, v1, v3
	v_lshrrev_b32_e32 v3, s6, v3
	v_mul_lo_u32 v3, v3, s4
	v_sub_u32_e32 v5, v1, v3
	v_mad_u64_u32 v[0:1], s[2:3], v5, s8, v[0:1]
	v_mad_u64_u32 v[2:3], s[2:3], v5, s9, v[2:3]
	;; [unrolled: 1-line block ×3, first 2 shown]
.LBB214_119:
	s_and_b64 vcc, exec, s[0:1]
	v_add_u32_e32 v1, 0x80, v31
	s_cbranch_vccnz .LBB214_125
; %bb.120:
	s_cmp_lg_u32 s33, 0
	s_cbranch_scc0 .LBB214_126
; %bb.121:
	s_min_u32 s4, s34, 15
	s_add_i32 s2, s4, 1
	s_and_b32 s5, s2, 30
	s_add_u32 s2, s12, 0xffffffe8
	s_addc_u32 s3, s13, -1
	v_mov_b32_e32 v7, 0
	v_mov_b32_e32 v9, 0
	;; [unrolled: 1-line block ×4, first 2 shown]
.LBB214_122:                            ; =>This Inner Loop Header: Depth=1
	s_load_dwordx4 s[8:11], s[2:3], 0x1c
	s_load_dwordx2 s[6:7], s[2:3], 0x2c
	s_load_dwordx2 s[14:15], s[2:3], 0xec
	s_load_dwordx4 s[16:19], s[2:3], 0xdc
	s_add_u32 s2, s2, 24
	s_waitcnt lgkmcnt(0)
	v_mul_hi_u32 v6, s9, v3
	s_addc_u32 s3, s3, 0
	s_add_i32 s5, s5, -2
	s_cmp_lg_u32 s5, 0
	v_add_u32_e32 v6, v3, v6
	v_lshrrev_b32_e32 v6, s10, v6
	v_mul_lo_u32 v8, v6, s8
	v_mul_hi_u32 v10, s6, v6
	v_sub_u32_e32 v8, v3, v8
	v_add_u32_e32 v3, v6, v10
	v_lshrrev_b32_e32 v3, s7, v3
	v_mul_lo_u32 v12, v3, s11
	v_mul_lo_u32 v10, v8, s16
	;; [unrolled: 1-line block ×4, first 2 shown]
	v_sub_u32_e32 v6, v6, v12
	v_mul_lo_u32 v12, v6, s19
	v_mul_lo_u32 v13, v6, s14
	;; [unrolled: 1-line block ×3, first 2 shown]
	v_add3_u32 v5, v10, v5, v12
	v_add3_u32 v9, v11, v9, v13
	;; [unrolled: 1-line block ×3, first 2 shown]
	s_cbranch_scc1 .LBB214_122
; %bb.123:
	s_bitcmp1_b32 s4, 0
	s_cselect_b64 s[4:5], -1, 0
	s_and_b64 vcc, exec, s[4:5]
	s_cbranch_vccnz .LBB214_127
; %bb.124:
	s_load_dwordx2 s[4:5], s[2:3], 0x1c
	s_load_dword s8, s[2:3], 0x24
	s_load_dwordx2 s[6:7], s[2:3], 0xdc
	s_waitcnt lgkmcnt(0)
	v_mul_hi_u32 v6, s5, v3
	v_add_u32_e32 v6, v3, v6
	v_lshrrev_b32_e32 v6, s8, v6
	v_mul_lo_u32 v6, v6, s4
	s_load_dword s4, s[2:3], 0xe4
	v_sub_u32_e32 v3, v3, v6
	v_mad_u64_u32 v[5:6], s[2:3], v3, s6, v[5:6]
	v_mad_u64_u32 v[9:10], s[2:3], v3, s7, v[9:10]
	s_waitcnt lgkmcnt(0)
	v_mad_u64_u32 v[7:8], s[2:3], v3, s4, v[7:8]
	s_cbranch_execz .LBB214_128
	s_branch .LBB214_130
.LBB214_125:
                                        ; implicit-def: $vgpr5
                                        ; implicit-def: $vgpr9
                                        ; implicit-def: $vgpr7
	s_branch .LBB214_128
.LBB214_126:
	v_mov_b32_e32 v5, 0
	v_mov_b32_e32 v9, 0
	;; [unrolled: 1-line block ×3, first 2 shown]
.LBB214_127:
	s_cbranch_execnz .LBB214_130
.LBB214_128:
	s_load_dwordx4 s[4:7], s[12:13], 0x4
	s_load_dwordx4 s[8:11], s[12:13], 0xc4
	s_cmp_lt_u32 s33, 2
	s_waitcnt lgkmcnt(0)
	v_mul_hi_u32 v3, s5, v1
	v_add_u32_e32 v3, v1, v3
	v_lshrrev_b32_e32 v3, s6, v3
	v_mul_lo_u32 v5, v3, s4
	v_sub_u32_e32 v1, v1, v5
	v_mul_lo_u32 v5, v1, s8
	v_mul_lo_u32 v9, v1, s9
	;; [unrolled: 1-line block ×3, first 2 shown]
	s_cbranch_scc1 .LBB214_130
; %bb.129:
	s_load_dwordx4 s[4:7], s[12:13], 0x10
	s_load_dwordx4 s[8:11], s[12:13], 0xd0
	s_waitcnt lgkmcnt(0)
	v_mul_hi_u32 v1, s5, v3
	v_add_u32_e32 v1, v3, v1
	v_lshrrev_b32_e32 v1, s6, v1
	v_mul_lo_u32 v1, v1, s4
	v_sub_u32_e32 v1, v3, v1
	v_mad_u64_u32 v[5:6], s[2:3], v1, s8, v[5:6]
	v_mad_u64_u32 v[9:10], s[2:3], v1, s9, v[9:10]
	;; [unrolled: 1-line block ×3, first 2 shown]
.LBB214_130:
	s_and_b64 vcc, exec, s[0:1]
	v_add_u32_e32 v1, 0x100, v31
	s_cbranch_vccnz .LBB214_136
; %bb.131:
	s_cmp_lg_u32 s33, 0
	s_cbranch_scc0 .LBB214_137
; %bb.132:
	s_min_u32 s4, s34, 15
	s_add_i32 s2, s4, 1
	s_and_b32 s5, s2, 30
	s_add_u32 s2, s12, 0xffffffe8
	s_addc_u32 s3, s13, -1
	v_mov_b32_e32 v12, 0
	v_mov_b32_e32 v14, 0
	;; [unrolled: 1-line block ×4, first 2 shown]
.LBB214_133:                            ; =>This Inner Loop Header: Depth=1
	s_load_dwordx4 s[8:11], s[2:3], 0x1c
	s_load_dwordx2 s[6:7], s[2:3], 0x2c
	s_load_dwordx2 s[14:15], s[2:3], 0xec
	s_load_dwordx4 s[16:19], s[2:3], 0xdc
	s_add_u32 s2, s2, 24
	s_waitcnt lgkmcnt(0)
	v_mul_hi_u32 v6, s9, v3
	s_addc_u32 s3, s3, 0
	s_add_i32 s5, s5, -2
	s_cmp_lg_u32 s5, 0
	v_add_u32_e32 v6, v3, v6
	v_lshrrev_b32_e32 v6, s10, v6
	v_mul_lo_u32 v8, v6, s8
	v_mul_hi_u32 v11, s6, v6
	v_sub_u32_e32 v8, v3, v8
	v_add_u32_e32 v3, v6, v11
	v_lshrrev_b32_e32 v3, s7, v3
	v_mul_lo_u32 v15, v3, s11
	v_mul_lo_u32 v11, v8, s16
	;; [unrolled: 1-line block ×4, first 2 shown]
	v_sub_u32_e32 v6, v6, v15
	v_mul_lo_u32 v15, v6, s19
	v_mul_lo_u32 v16, v6, s14
	v_mul_lo_u32 v6, v6, s15
	v_add3_u32 v10, v11, v10, v15
	v_add3_u32 v14, v13, v14, v16
	;; [unrolled: 1-line block ×3, first 2 shown]
	s_cbranch_scc1 .LBB214_133
; %bb.134:
	s_bitcmp1_b32 s4, 0
	s_cselect_b64 s[4:5], -1, 0
	s_and_b64 vcc, exec, s[4:5]
	s_cbranch_vccnz .LBB214_138
; %bb.135:
	s_load_dwordx2 s[4:5], s[2:3], 0x1c
	s_load_dword s8, s[2:3], 0x24
	s_load_dwordx2 s[6:7], s[2:3], 0xdc
	s_waitcnt lgkmcnt(0)
	v_mul_hi_u32 v6, s5, v3
	v_add_u32_e32 v6, v3, v6
	v_lshrrev_b32_e32 v6, s8, v6
	v_mul_lo_u32 v6, v6, s4
	s_load_dword s4, s[2:3], 0xe4
	v_sub_u32_e32 v3, v3, v6
	v_mad_u64_u32 v[10:11], s[2:3], v3, s6, v[10:11]
	v_mad_u64_u32 v[14:15], s[2:3], v3, s7, v[14:15]
	s_waitcnt lgkmcnt(0)
	v_mad_u64_u32 v[12:13], s[2:3], v3, s4, v[12:13]
	s_cbranch_execz .LBB214_139
	s_branch .LBB214_141
.LBB214_136:
                                        ; implicit-def: $vgpr10
                                        ; implicit-def: $vgpr14
                                        ; implicit-def: $vgpr12
	s_branch .LBB214_139
.LBB214_137:
	v_mov_b32_e32 v10, 0
	v_mov_b32_e32 v14, 0
	;; [unrolled: 1-line block ×3, first 2 shown]
.LBB214_138:
	s_cbranch_execnz .LBB214_141
.LBB214_139:
	s_load_dwordx4 s[4:7], s[12:13], 0x4
	s_load_dwordx4 s[8:11], s[12:13], 0xc4
	s_cmp_lt_u32 s33, 2
	s_waitcnt lgkmcnt(0)
	v_mul_hi_u32 v3, s5, v1
	v_add_u32_e32 v3, v1, v3
	v_lshrrev_b32_e32 v3, s6, v3
	v_mul_lo_u32 v6, v3, s4
	v_sub_u32_e32 v1, v1, v6
	v_mul_lo_u32 v10, v1, s8
	v_mul_lo_u32 v14, v1, s9
	;; [unrolled: 1-line block ×3, first 2 shown]
	s_cbranch_scc1 .LBB214_141
; %bb.140:
	s_load_dwordx4 s[4:7], s[12:13], 0x10
	s_load_dwordx4 s[8:11], s[12:13], 0xd0
	s_waitcnt lgkmcnt(0)
	v_mul_hi_u32 v1, s5, v3
	v_add_u32_e32 v1, v3, v1
	v_lshrrev_b32_e32 v1, s6, v1
	v_mul_lo_u32 v1, v1, s4
	v_sub_u32_e32 v1, v3, v1
	v_mad_u64_u32 v[10:11], s[2:3], v1, s8, v[10:11]
	v_mad_u64_u32 v[14:15], s[2:3], v1, s9, v[14:15]
	;; [unrolled: 1-line block ×3, first 2 shown]
.LBB214_141:
	s_and_b64 vcc, exec, s[0:1]
	v_add_u32_e32 v1, 0x180, v31
	s_cbranch_vccnz .LBB214_147
; %bb.142:
	s_cmp_lg_u32 s33, 0
	s_cbranch_scc0 .LBB214_148
; %bb.143:
	s_min_u32 s4, s34, 15
	s_add_i32 s2, s4, 1
	s_and_b32 s5, s2, 30
	s_add_u32 s2, s12, 0xffffffe8
	s_addc_u32 s3, s13, -1
	v_mov_b32_e32 v17, 0
	v_mov_b32_e32 v19, 0
	;; [unrolled: 1-line block ×4, first 2 shown]
.LBB214_144:                            ; =>This Inner Loop Header: Depth=1
	s_load_dwordx4 s[8:11], s[2:3], 0x1c
	s_load_dwordx2 s[6:7], s[2:3], 0x2c
	s_load_dwordx2 s[14:15], s[2:3], 0xec
	s_load_dwordx4 s[16:19], s[2:3], 0xdc
	s_add_u32 s2, s2, 24
	s_waitcnt lgkmcnt(0)
	v_mul_hi_u32 v6, s9, v3
	s_addc_u32 s3, s3, 0
	s_add_i32 s5, s5, -2
	s_cmp_lg_u32 s5, 0
	v_add_u32_e32 v6, v3, v6
	v_lshrrev_b32_e32 v6, s10, v6
	v_mul_lo_u32 v8, v6, s8
	v_mul_hi_u32 v11, s6, v6
	v_sub_u32_e32 v8, v3, v8
	v_add_u32_e32 v3, v6, v11
	v_lshrrev_b32_e32 v3, s7, v3
	v_mul_lo_u32 v16, v3, s11
	v_mul_lo_u32 v11, v8, s16
	;; [unrolled: 1-line block ×4, first 2 shown]
	v_sub_u32_e32 v6, v6, v16
	v_mul_lo_u32 v16, v6, s19
	v_mul_lo_u32 v18, v6, s14
	;; [unrolled: 1-line block ×3, first 2 shown]
	v_add3_u32 v15, v11, v15, v16
	v_add3_u32 v19, v13, v19, v18
	;; [unrolled: 1-line block ×3, first 2 shown]
	s_cbranch_scc1 .LBB214_144
; %bb.145:
	s_bitcmp1_b32 s4, 0
	s_cselect_b64 s[4:5], -1, 0
	s_and_b64 vcc, exec, s[4:5]
	s_cbranch_vccnz .LBB214_149
; %bb.146:
	s_load_dwordx2 s[4:5], s[2:3], 0x1c
	s_load_dword s8, s[2:3], 0x24
	s_load_dwordx2 s[6:7], s[2:3], 0xdc
	s_waitcnt lgkmcnt(0)
	v_mul_hi_u32 v6, s5, v3
	v_add_u32_e32 v6, v3, v6
	v_lshrrev_b32_e32 v6, s8, v6
	v_mul_lo_u32 v6, v6, s4
	s_load_dword s4, s[2:3], 0xe4
	v_sub_u32_e32 v3, v3, v6
	v_mad_u64_u32 v[15:16], s[2:3], v3, s6, v[15:16]
	v_mad_u64_u32 v[19:20], s[2:3], v3, s7, v[19:20]
	s_waitcnt lgkmcnt(0)
	v_mad_u64_u32 v[17:18], s[2:3], v3, s4, v[17:18]
	s_cbranch_execz .LBB214_150
	s_branch .LBB214_152
.LBB214_147:
                                        ; implicit-def: $vgpr15
                                        ; implicit-def: $vgpr19
                                        ; implicit-def: $vgpr17
	s_branch .LBB214_150
.LBB214_148:
	v_mov_b32_e32 v15, 0
	v_mov_b32_e32 v19, 0
	;; [unrolled: 1-line block ×3, first 2 shown]
.LBB214_149:
	s_cbranch_execnz .LBB214_152
.LBB214_150:
	s_load_dwordx4 s[4:7], s[12:13], 0x4
	s_load_dwordx4 s[8:11], s[12:13], 0xc4
	s_cmp_lt_u32 s33, 2
	s_waitcnt lgkmcnt(0)
	v_mul_hi_u32 v3, s5, v1
	v_add_u32_e32 v3, v1, v3
	v_lshrrev_b32_e32 v3, s6, v3
	v_mul_lo_u32 v6, v3, s4
	v_sub_u32_e32 v1, v1, v6
	v_mul_lo_u32 v15, v1, s8
	v_mul_lo_u32 v19, v1, s9
	v_mul_lo_u32 v17, v1, s10
	s_cbranch_scc1 .LBB214_152
; %bb.151:
	s_load_dwordx4 s[4:7], s[12:13], 0x10
	s_load_dwordx4 s[8:11], s[12:13], 0xd0
	s_waitcnt lgkmcnt(0)
	v_mul_hi_u32 v1, s5, v3
	v_add_u32_e32 v1, v3, v1
	v_lshrrev_b32_e32 v1, s6, v1
	v_mul_lo_u32 v1, v1, s4
	v_sub_u32_e32 v1, v3, v1
	v_mad_u64_u32 v[15:16], s[2:3], v1, s8, v[15:16]
	v_mad_u64_u32 v[19:20], s[2:3], v1, s9, v[19:20]
	;; [unrolled: 1-line block ×3, first 2 shown]
.LBB214_152:
	s_and_b64 vcc, exec, s[0:1]
	v_add_u32_e32 v1, 0x200, v31
	s_cbranch_vccnz .LBB214_158
; %bb.153:
	s_cmp_lg_u32 s33, 0
	s_cbranch_scc0 .LBB214_159
; %bb.154:
	s_min_u32 s4, s34, 15
	s_add_i32 s2, s4, 1
	s_and_b32 s5, s2, 30
	s_add_u32 s2, s12, 0xffffffe8
	s_addc_u32 s3, s13, -1
	v_mov_b32_e32 v22, 0
	v_mov_b32_e32 v24, 0
	;; [unrolled: 1-line block ×4, first 2 shown]
.LBB214_155:                            ; =>This Inner Loop Header: Depth=1
	s_load_dwordx4 s[8:11], s[2:3], 0x1c
	s_load_dwordx2 s[6:7], s[2:3], 0x2c
	s_load_dwordx2 s[14:15], s[2:3], 0xec
	s_load_dwordx4 s[16:19], s[2:3], 0xdc
	s_add_u32 s2, s2, 24
	s_waitcnt lgkmcnt(0)
	v_mul_hi_u32 v6, s9, v3
	s_addc_u32 s3, s3, 0
	s_add_i32 s5, s5, -2
	s_cmp_lg_u32 s5, 0
	v_add_u32_e32 v6, v3, v6
	v_lshrrev_b32_e32 v6, s10, v6
	v_mul_lo_u32 v8, v6, s8
	v_mul_hi_u32 v11, s6, v6
	v_sub_u32_e32 v8, v3, v8
	v_add_u32_e32 v3, v6, v11
	v_lshrrev_b32_e32 v3, s7, v3
	v_mul_lo_u32 v16, v3, s11
	v_mul_lo_u32 v11, v8, s16
	;; [unrolled: 1-line block ×4, first 2 shown]
	v_sub_u32_e32 v6, v6, v16
	v_mul_lo_u32 v16, v6, s19
	v_mul_lo_u32 v18, v6, s14
	;; [unrolled: 1-line block ×3, first 2 shown]
	v_add3_u32 v20, v11, v20, v16
	v_add3_u32 v24, v13, v24, v18
	;; [unrolled: 1-line block ×3, first 2 shown]
	s_cbranch_scc1 .LBB214_155
; %bb.156:
	s_bitcmp1_b32 s4, 0
	s_cselect_b64 s[4:5], -1, 0
	s_and_b64 vcc, exec, s[4:5]
	s_cbranch_vccnz .LBB214_160
; %bb.157:
	s_load_dwordx2 s[4:5], s[2:3], 0x1c
	s_load_dword s8, s[2:3], 0x24
	s_load_dwordx2 s[6:7], s[2:3], 0xdc
	s_waitcnt lgkmcnt(0)
	v_mul_hi_u32 v6, s5, v3
	v_add_u32_e32 v6, v3, v6
	v_lshrrev_b32_e32 v6, s8, v6
	v_mul_lo_u32 v6, v6, s4
	s_load_dword s4, s[2:3], 0xe4
	v_sub_u32_e32 v3, v3, v6
	v_mad_u64_u32 v[20:21], s[2:3], v3, s6, v[20:21]
	v_mad_u64_u32 v[24:25], s[2:3], v3, s7, v[24:25]
	s_waitcnt lgkmcnt(0)
	v_mad_u64_u32 v[22:23], s[2:3], v3, s4, v[22:23]
	s_cbranch_execz .LBB214_161
	s_branch .LBB214_163
.LBB214_158:
                                        ; implicit-def: $vgpr20
                                        ; implicit-def: $vgpr24
                                        ; implicit-def: $vgpr22
	s_branch .LBB214_161
.LBB214_159:
	v_mov_b32_e32 v20, 0
	v_mov_b32_e32 v24, 0
	;; [unrolled: 1-line block ×3, first 2 shown]
.LBB214_160:
	s_cbranch_execnz .LBB214_163
.LBB214_161:
	s_load_dwordx4 s[4:7], s[12:13], 0x4
	s_load_dwordx4 s[8:11], s[12:13], 0xc4
	s_cmp_lt_u32 s33, 2
	s_waitcnt lgkmcnt(0)
	v_mul_hi_u32 v3, s5, v1
	v_add_u32_e32 v3, v1, v3
	v_lshrrev_b32_e32 v3, s6, v3
	v_mul_lo_u32 v6, v3, s4
	v_sub_u32_e32 v1, v1, v6
	v_mul_lo_u32 v20, v1, s8
	v_mul_lo_u32 v24, v1, s9
	v_mul_lo_u32 v22, v1, s10
	s_cbranch_scc1 .LBB214_163
; %bb.162:
	s_load_dwordx4 s[4:7], s[12:13], 0x10
	s_load_dwordx4 s[8:11], s[12:13], 0xd0
	s_waitcnt lgkmcnt(0)
	v_mul_hi_u32 v1, s5, v3
	v_add_u32_e32 v1, v3, v1
	v_lshrrev_b32_e32 v1, s6, v1
	v_mul_lo_u32 v1, v1, s4
	v_sub_u32_e32 v1, v3, v1
	v_mad_u64_u32 v[20:21], s[2:3], v1, s8, v[20:21]
	v_mad_u64_u32 v[24:25], s[2:3], v1, s9, v[24:25]
	;; [unrolled: 1-line block ×3, first 2 shown]
.LBB214_163:
	s_and_b64 vcc, exec, s[0:1]
	v_add_u32_e32 v1, 0x280, v31
	s_cbranch_vccnz .LBB214_169
; %bb.164:
	s_cmp_lg_u32 s33, 0
	s_cbranch_scc0 .LBB214_170
; %bb.165:
	s_min_u32 s4, s34, 15
	s_add_i32 s2, s4, 1
	s_and_b32 s5, s2, 30
	s_add_u32 s2, s12, 0xffffffe8
	s_addc_u32 s3, s13, -1
	v_mov_b32_e32 v27, 0
	v_mov_b32_e32 v29, 0
	;; [unrolled: 1-line block ×4, first 2 shown]
.LBB214_166:                            ; =>This Inner Loop Header: Depth=1
	s_load_dwordx4 s[8:11], s[2:3], 0x1c
	s_load_dwordx2 s[6:7], s[2:3], 0x2c
	s_load_dwordx2 s[14:15], s[2:3], 0xec
	s_load_dwordx4 s[16:19], s[2:3], 0xdc
	s_add_u32 s2, s2, 24
	s_waitcnt lgkmcnt(0)
	v_mul_hi_u32 v6, s9, v3
	s_addc_u32 s3, s3, 0
	s_add_i32 s5, s5, -2
	s_cmp_lg_u32 s5, 0
	v_add_u32_e32 v6, v3, v6
	v_lshrrev_b32_e32 v6, s10, v6
	v_mul_lo_u32 v8, v6, s8
	v_mul_hi_u32 v11, s6, v6
	v_sub_u32_e32 v8, v3, v8
	v_add_u32_e32 v3, v6, v11
	v_lshrrev_b32_e32 v3, s7, v3
	v_mul_lo_u32 v16, v3, s11
	v_mul_lo_u32 v11, v8, s16
	;; [unrolled: 1-line block ×4, first 2 shown]
	v_sub_u32_e32 v6, v6, v16
	v_mul_lo_u32 v16, v6, s19
	v_mul_lo_u32 v18, v6, s14
	v_mul_lo_u32 v6, v6, s15
	v_add3_u32 v25, v11, v25, v16
	v_add3_u32 v29, v13, v29, v18
	;; [unrolled: 1-line block ×3, first 2 shown]
	s_cbranch_scc1 .LBB214_166
; %bb.167:
	s_bitcmp1_b32 s4, 0
	s_cselect_b64 s[4:5], -1, 0
	s_and_b64 vcc, exec, s[4:5]
	s_cbranch_vccnz .LBB214_171
; %bb.168:
	s_load_dwordx2 s[4:5], s[2:3], 0x1c
	s_load_dword s8, s[2:3], 0x24
	s_load_dwordx2 s[6:7], s[2:3], 0xdc
	s_waitcnt lgkmcnt(0)
	v_mul_hi_u32 v6, s5, v3
	v_add_u32_e32 v6, v3, v6
	v_lshrrev_b32_e32 v6, s8, v6
	v_mul_lo_u32 v6, v6, s4
	s_load_dword s4, s[2:3], 0xe4
	v_sub_u32_e32 v3, v3, v6
	v_mad_u64_u32 v[25:26], s[2:3], v3, s6, v[25:26]
	v_mad_u64_u32 v[29:30], s[2:3], v3, s7, v[29:30]
	s_waitcnt lgkmcnt(0)
	v_mad_u64_u32 v[27:28], s[2:3], v3, s4, v[27:28]
	s_cbranch_execz .LBB214_172
	s_branch .LBB214_174
.LBB214_169:
                                        ; implicit-def: $vgpr25
                                        ; implicit-def: $vgpr29
                                        ; implicit-def: $vgpr27
	s_branch .LBB214_172
.LBB214_170:
	v_mov_b32_e32 v25, 0
	v_mov_b32_e32 v29, 0
	;; [unrolled: 1-line block ×3, first 2 shown]
.LBB214_171:
	s_cbranch_execnz .LBB214_174
.LBB214_172:
	s_load_dwordx4 s[4:7], s[12:13], 0x4
	s_load_dwordx4 s[8:11], s[12:13], 0xc4
	s_cmp_lt_u32 s33, 2
	s_waitcnt lgkmcnt(0)
	v_mul_hi_u32 v3, s5, v1
	v_add_u32_e32 v3, v1, v3
	v_lshrrev_b32_e32 v3, s6, v3
	v_mul_lo_u32 v6, v3, s4
	v_sub_u32_e32 v1, v1, v6
	v_mul_lo_u32 v25, v1, s8
	v_mul_lo_u32 v29, v1, s9
	;; [unrolled: 1-line block ×3, first 2 shown]
	s_cbranch_scc1 .LBB214_174
; %bb.173:
	s_load_dwordx4 s[4:7], s[12:13], 0x10
	s_load_dwordx4 s[8:11], s[12:13], 0xd0
	s_waitcnt lgkmcnt(0)
	v_mul_hi_u32 v1, s5, v3
	v_add_u32_e32 v1, v3, v1
	v_lshrrev_b32_e32 v1, s6, v1
	v_mul_lo_u32 v1, v1, s4
	v_sub_u32_e32 v1, v3, v1
	v_mad_u64_u32 v[25:26], s[2:3], v1, s8, v[25:26]
	v_mad_u64_u32 v[29:30], s[2:3], v1, s9, v[29:30]
	;; [unrolled: 1-line block ×3, first 2 shown]
.LBB214_174:
	s_and_b64 vcc, exec, s[0:1]
	v_add_u32_e32 v1, 0x300, v31
	s_cbranch_vccnz .LBB214_180
; %bb.175:
	s_cmp_lg_u32 s33, 0
	s_cbranch_scc0 .LBB214_181
; %bb.176:
	s_min_u32 s4, s34, 15
	s_add_i32 s2, s4, 1
	s_and_b32 s5, s2, 30
	s_add_u32 s2, s12, 0xffffffe8
	s_addc_u32 s3, s13, -1
	v_mov_b32_e32 v32, 0
	v_mov_b32_e32 v34, 0
	;; [unrolled: 1-line block ×4, first 2 shown]
.LBB214_177:                            ; =>This Inner Loop Header: Depth=1
	s_load_dwordx4 s[8:11], s[2:3], 0x1c
	s_load_dwordx2 s[6:7], s[2:3], 0x2c
	s_load_dwordx2 s[14:15], s[2:3], 0xec
	s_load_dwordx4 s[16:19], s[2:3], 0xdc
	s_add_u32 s2, s2, 24
	s_waitcnt lgkmcnt(0)
	v_mul_hi_u32 v6, s9, v3
	s_addc_u32 s3, s3, 0
	s_add_i32 s5, s5, -2
	s_cmp_lg_u32 s5, 0
	v_add_u32_e32 v6, v3, v6
	v_lshrrev_b32_e32 v6, s10, v6
	v_mul_lo_u32 v8, v6, s8
	v_mul_hi_u32 v11, s6, v6
	v_sub_u32_e32 v8, v3, v8
	v_add_u32_e32 v3, v6, v11
	v_lshrrev_b32_e32 v3, s7, v3
	v_mul_lo_u32 v16, v3, s11
	v_mul_lo_u32 v11, v8, s16
	;; [unrolled: 1-line block ×4, first 2 shown]
	v_sub_u32_e32 v6, v6, v16
	v_mul_lo_u32 v16, v6, s19
	v_mul_lo_u32 v18, v6, s14
	v_mul_lo_u32 v6, v6, s15
	v_add3_u32 v30, v11, v30, v16
	v_add3_u32 v34, v13, v34, v18
	;; [unrolled: 1-line block ×3, first 2 shown]
	s_cbranch_scc1 .LBB214_177
; %bb.178:
	s_bitcmp1_b32 s4, 0
	s_cselect_b64 s[4:5], -1, 0
	s_and_b64 vcc, exec, s[4:5]
	s_cbranch_vccnz .LBB214_182
; %bb.179:
	s_load_dwordx2 s[4:5], s[2:3], 0x1c
	s_load_dword s8, s[2:3], 0x24
	s_load_dwordx2 s[6:7], s[2:3], 0xdc
	s_waitcnt lgkmcnt(0)
	v_mul_hi_u32 v6, s5, v3
	v_add_u32_e32 v6, v3, v6
	v_lshrrev_b32_e32 v6, s8, v6
	v_mul_lo_u32 v6, v6, s4
	s_load_dword s4, s[2:3], 0xe4
	v_sub_u32_e32 v3, v3, v6
	v_mad_u64_u32 v[30:31], s[2:3], v3, s6, v[30:31]
	v_mad_u64_u32 v[34:35], s[2:3], v3, s7, v[34:35]
	s_waitcnt lgkmcnt(0)
	v_mad_u64_u32 v[32:33], s[2:3], v3, s4, v[32:33]
	s_cbranch_execz .LBB214_183
	s_branch .LBB214_185
.LBB214_180:
                                        ; implicit-def: $vgpr30
                                        ; implicit-def: $vgpr34
                                        ; implicit-def: $vgpr32
	s_branch .LBB214_183
.LBB214_181:
	v_mov_b32_e32 v30, 0
	v_mov_b32_e32 v34, 0
	;; [unrolled: 1-line block ×3, first 2 shown]
.LBB214_182:
	s_cbranch_execnz .LBB214_185
.LBB214_183:
	s_load_dwordx4 s[4:7], s[12:13], 0x4
	s_load_dwordx4 s[8:11], s[12:13], 0xc4
	s_cmp_lt_u32 s33, 2
	s_waitcnt lgkmcnt(0)
	v_mul_hi_u32 v3, s5, v1
	v_add_u32_e32 v3, v1, v3
	v_lshrrev_b32_e32 v3, s6, v3
	v_mul_lo_u32 v6, v3, s4
	v_sub_u32_e32 v1, v1, v6
	v_mul_lo_u32 v30, v1, s8
	v_mul_lo_u32 v34, v1, s9
	;; [unrolled: 1-line block ×3, first 2 shown]
	s_cbranch_scc1 .LBB214_185
; %bb.184:
	s_load_dwordx4 s[4:7], s[12:13], 0x10
	s_load_dwordx4 s[8:11], s[12:13], 0xd0
	s_waitcnt lgkmcnt(0)
	v_mul_hi_u32 v1, s5, v3
	v_add_u32_e32 v1, v3, v1
	v_lshrrev_b32_e32 v1, s6, v1
	v_mul_lo_u32 v1, v1, s4
	v_sub_u32_e32 v1, v3, v1
	v_mad_u64_u32 v[30:31], s[2:3], v1, s8, v[30:31]
	v_mad_u64_u32 v[34:35], s[2:3], v1, s9, v[34:35]
	;; [unrolled: 1-line block ×3, first 2 shown]
.LBB214_185:
	s_and_b64 vcc, exec, s[0:1]
	s_cbranch_vccnz .LBB214_191
; %bb.186:
	s_cmp_lg_u32 s33, 0
	s_cbranch_scc0 .LBB214_192
; %bb.187:
	s_min_u32 s2, s34, 15
	s_add_i32 s0, s2, 1
	s_and_b32 s3, s0, 30
	s_add_u32 s0, s12, 0xffffffe8
	s_addc_u32 s1, s13, -1
	v_mov_b32_e32 v37, 0
	v_mov_b32_e32 v39, 0
	;; [unrolled: 1-line block ×4, first 2 shown]
.LBB214_188:                            ; =>This Inner Loop Header: Depth=1
	s_load_dwordx4 s[4:7], s[0:1], 0x1c
	s_load_dwordx2 s[14:15], s[0:1], 0x2c
	s_load_dwordx2 s[16:17], s[0:1], 0xec
	s_load_dwordx4 s[8:11], s[0:1], 0xdc
	s_add_u32 s0, s0, 24
	s_waitcnt lgkmcnt(0)
	v_mul_hi_u32 v3, s5, v1
	s_addc_u32 s1, s1, 0
	s_add_i32 s3, s3, -2
	s_cmp_lg_u32 s3, 0
	v_add_u32_e32 v3, v1, v3
	v_lshrrev_b32_e32 v3, s6, v3
	v_mul_lo_u32 v6, v3, s4
	v_mul_hi_u32 v8, s14, v3
	v_sub_u32_e32 v6, v1, v6
	v_add_u32_e32 v1, v3, v8
	v_lshrrev_b32_e32 v1, s15, v1
	v_mul_lo_u32 v13, v1, s7
	v_mul_lo_u32 v8, v6, s8
	;; [unrolled: 1-line block ×4, first 2 shown]
	v_sub_u32_e32 v3, v3, v13
	v_mul_lo_u32 v13, v3, s11
	v_mul_lo_u32 v16, v3, s16
	v_mul_lo_u32 v3, v3, s17
	v_add3_u32 v35, v8, v35, v13
	v_add3_u32 v39, v11, v39, v16
	;; [unrolled: 1-line block ×3, first 2 shown]
	s_cbranch_scc1 .LBB214_188
; %bb.189:
	s_bitcmp1_b32 s2, 0
	s_cselect_b64 s[2:3], -1, 0
	s_and_b64 vcc, exec, s[2:3]
	s_cbranch_vccnz .LBB214_193
; %bb.190:
	s_load_dwordx2 s[2:3], s[0:1], 0x1c
	s_load_dword s6, s[0:1], 0x24
	s_load_dwordx2 s[4:5], s[0:1], 0xdc
	s_waitcnt lgkmcnt(0)
	v_mul_hi_u32 v3, s3, v1
	v_add_u32_e32 v3, v1, v3
	v_lshrrev_b32_e32 v3, s6, v3
	v_mul_lo_u32 v3, v3, s2
	s_load_dword s2, s[0:1], 0xe4
	v_sub_u32_e32 v1, v1, v3
	v_mad_u64_u32 v[35:36], s[0:1], v1, s4, v[35:36]
	v_mad_u64_u32 v[39:40], s[0:1], v1, s5, v[39:40]
	s_waitcnt lgkmcnt(0)
	v_mad_u64_u32 v[37:38], s[0:1], v1, s2, v[37:38]
	s_cbranch_execz .LBB214_194
	s_branch .LBB214_196
.LBB214_191:
                                        ; implicit-def: $vgpr35
                                        ; implicit-def: $vgpr39
                                        ; implicit-def: $vgpr37
	s_branch .LBB214_194
.LBB214_192:
	v_mov_b32_e32 v35, 0
	v_mov_b32_e32 v39, 0
	;; [unrolled: 1-line block ×3, first 2 shown]
.LBB214_193:
	s_cbranch_execnz .LBB214_196
.LBB214_194:
	s_load_dwordx4 s[0:3], s[12:13], 0x4
	s_load_dwordx4 s[4:7], s[12:13], 0xc4
	s_cmp_lt_u32 s33, 2
	s_waitcnt lgkmcnt(0)
	v_mul_hi_u32 v1, s1, v41
	v_add_u32_e32 v1, v41, v1
	v_lshrrev_b32_e32 v1, s2, v1
	v_mul_lo_u32 v3, v1, s0
	v_sub_u32_e32 v3, v41, v3
	v_mul_lo_u32 v35, v3, s4
	v_mul_lo_u32 v39, v3, s5
	;; [unrolled: 1-line block ×3, first 2 shown]
	s_cbranch_scc1 .LBB214_196
; %bb.195:
	s_load_dwordx4 s[0:3], s[12:13], 0x10
	s_load_dwordx4 s[4:7], s[12:13], 0xd0
	s_waitcnt lgkmcnt(0)
	v_mul_hi_u32 v3, s1, v1
	v_add_u32_e32 v3, v1, v3
	v_lshrrev_b32_e32 v3, s2, v3
	v_mul_lo_u32 v3, v3, s0
	v_sub_u32_e32 v1, v1, v3
	v_mad_u64_u32 v[35:36], s[0:1], v1, s4, v[35:36]
	v_mad_u64_u32 v[39:40], s[0:1], v1, s5, v[39:40]
	;; [unrolled: 1-line block ×3, first 2 shown]
.LBB214_196:
	s_load_dwordx4 s[0:3], s[12:13], 0x188
	s_load_dwordx2 s[4:5], s[12:13], 0x198
	s_waitcnt lgkmcnt(0)
	global_load_ushort v1, v2, s[2:3]
	global_load_ushort v3, v4, s[4:5]
	;; [unrolled: 1-line block ×8, first 2 shown]
                                        ; kill: killed $vgpr9
                                        ; kill: killed $vgpr4
                                        ; kill: killed $vgpr14
                                        ; kill: killed $vgpr7
                                        ; kill: killed $vgpr19
                                        ; kill: killed $vgpr12
                                        ; kill: killed $vgpr17
                                        ; kill: killed $vgpr2
	global_load_ushort v2, v24, s[2:3]
	global_load_ushort v4, v22, s[4:5]
	;; [unrolled: 1-line block ×8, first 2 shown]
	s_load_dword s2, s[12:13], 0x1a0
	s_waitcnt lgkmcnt(0)
	s_lshr_b32 s3, s2, 16
	v_mov_b32_e32 v21, s3
	s_waitcnt vmcnt(15)
	v_cmp_ge_f16_e32 vcc, s2, v1
	s_waitcnt vmcnt(14)
	v_cndmask_b32_e32 v1, v3, v21, vcc
	s_waitcnt vmcnt(13)
	v_cmp_ge_f16_e32 vcc, s2, v6
	s_waitcnt vmcnt(12)
	v_cndmask_b32_e32 v3, v8, v21, vcc
	;; [unrolled: 4-line block ×8, first 2 shown]
	global_store_short v0, v1, s[0:1]
	global_store_short v5, v3, s[0:1]
	global_store_short v10, v6, s[0:1]
	global_store_short v15, v8, s[0:1]
	global_store_short v20, v2, s[0:1]
	global_store_short v25, v4, s[0:1]
	global_store_short v30, v7, s[0:1]
	global_store_short v35, v9, s[0:1]
	s_endpgm
	.section	.rodata,"a",@progbits
	.p2align	6, 0x0
	.amdhsa_kernel _ZN2at6native32elementwise_kernel_manual_unrollILi128ELi8EZNS0_22gpu_kernel_impl_nocastINS0_13BinaryFunctorIN3c104HalfES5_S5_ZNS0_12_GLOBAL__N_121threshold_kernel_implIS5_EEvRNS_18TensorIteratorBaseET_SA_EUlS5_S5_E_EEEEvS9_RKSA_EUlibE_EEviT1_
		.amdhsa_group_segment_fixed_size 0
		.amdhsa_private_segment_fixed_size 0
		.amdhsa_kernarg_size 432
		.amdhsa_user_sgpr_count 6
		.amdhsa_user_sgpr_private_segment_buffer 1
		.amdhsa_user_sgpr_dispatch_ptr 0
		.amdhsa_user_sgpr_queue_ptr 0
		.amdhsa_user_sgpr_kernarg_segment_ptr 1
		.amdhsa_user_sgpr_dispatch_id 0
		.amdhsa_user_sgpr_flat_scratch_init 0
		.amdhsa_user_sgpr_private_segment_size 0
		.amdhsa_uses_dynamic_stack 0
		.amdhsa_system_sgpr_private_segment_wavefront_offset 0
		.amdhsa_system_sgpr_workgroup_id_x 1
		.amdhsa_system_sgpr_workgroup_id_y 0
		.amdhsa_system_sgpr_workgroup_id_z 0
		.amdhsa_system_sgpr_workgroup_info 0
		.amdhsa_system_vgpr_workitem_id 0
		.amdhsa_next_free_vgpr 42
		.amdhsa_next_free_sgpr 52
		.amdhsa_reserve_vcc 1
		.amdhsa_reserve_flat_scratch 0
		.amdhsa_float_round_mode_32 0
		.amdhsa_float_round_mode_16_64 0
		.amdhsa_float_denorm_mode_32 3
		.amdhsa_float_denorm_mode_16_64 3
		.amdhsa_dx10_clamp 1
		.amdhsa_ieee_mode 1
		.amdhsa_fp16_overflow 0
		.amdhsa_exception_fp_ieee_invalid_op 0
		.amdhsa_exception_fp_denorm_src 0
		.amdhsa_exception_fp_ieee_div_zero 0
		.amdhsa_exception_fp_ieee_overflow 0
		.amdhsa_exception_fp_ieee_underflow 0
		.amdhsa_exception_fp_ieee_inexact 0
		.amdhsa_exception_int_div_zero 0
	.end_amdhsa_kernel
	.section	.text._ZN2at6native32elementwise_kernel_manual_unrollILi128ELi8EZNS0_22gpu_kernel_impl_nocastINS0_13BinaryFunctorIN3c104HalfES5_S5_ZNS0_12_GLOBAL__N_121threshold_kernel_implIS5_EEvRNS_18TensorIteratorBaseET_SA_EUlS5_S5_E_EEEEvS9_RKSA_EUlibE_EEviT1_,"axG",@progbits,_ZN2at6native32elementwise_kernel_manual_unrollILi128ELi8EZNS0_22gpu_kernel_impl_nocastINS0_13BinaryFunctorIN3c104HalfES5_S5_ZNS0_12_GLOBAL__N_121threshold_kernel_implIS5_EEvRNS_18TensorIteratorBaseET_SA_EUlS5_S5_E_EEEEvS9_RKSA_EUlibE_EEviT1_,comdat
.Lfunc_end214:
	.size	_ZN2at6native32elementwise_kernel_manual_unrollILi128ELi8EZNS0_22gpu_kernel_impl_nocastINS0_13BinaryFunctorIN3c104HalfES5_S5_ZNS0_12_GLOBAL__N_121threshold_kernel_implIS5_EEvRNS_18TensorIteratorBaseET_SA_EUlS5_S5_E_EEEEvS9_RKSA_EUlibE_EEviT1_, .Lfunc_end214-_ZN2at6native32elementwise_kernel_manual_unrollILi128ELi8EZNS0_22gpu_kernel_impl_nocastINS0_13BinaryFunctorIN3c104HalfES5_S5_ZNS0_12_GLOBAL__N_121threshold_kernel_implIS5_EEvRNS_18TensorIteratorBaseET_SA_EUlS5_S5_E_EEEEvS9_RKSA_EUlibE_EEviT1_
                                        ; -- End function
	.set _ZN2at6native32elementwise_kernel_manual_unrollILi128ELi8EZNS0_22gpu_kernel_impl_nocastINS0_13BinaryFunctorIN3c104HalfES5_S5_ZNS0_12_GLOBAL__N_121threshold_kernel_implIS5_EEvRNS_18TensorIteratorBaseET_SA_EUlS5_S5_E_EEEEvS9_RKSA_EUlibE_EEviT1_.num_vgpr, 42
	.set _ZN2at6native32elementwise_kernel_manual_unrollILi128ELi8EZNS0_22gpu_kernel_impl_nocastINS0_13BinaryFunctorIN3c104HalfES5_S5_ZNS0_12_GLOBAL__N_121threshold_kernel_implIS5_EEvRNS_18TensorIteratorBaseET_SA_EUlS5_S5_E_EEEEvS9_RKSA_EUlibE_EEviT1_.num_agpr, 0
	.set _ZN2at6native32elementwise_kernel_manual_unrollILi128ELi8EZNS0_22gpu_kernel_impl_nocastINS0_13BinaryFunctorIN3c104HalfES5_S5_ZNS0_12_GLOBAL__N_121threshold_kernel_implIS5_EEvRNS_18TensorIteratorBaseET_SA_EUlS5_S5_E_EEEEvS9_RKSA_EUlibE_EEviT1_.numbered_sgpr, 52
	.set _ZN2at6native32elementwise_kernel_manual_unrollILi128ELi8EZNS0_22gpu_kernel_impl_nocastINS0_13BinaryFunctorIN3c104HalfES5_S5_ZNS0_12_GLOBAL__N_121threshold_kernel_implIS5_EEvRNS_18TensorIteratorBaseET_SA_EUlS5_S5_E_EEEEvS9_RKSA_EUlibE_EEviT1_.num_named_barrier, 0
	.set _ZN2at6native32elementwise_kernel_manual_unrollILi128ELi8EZNS0_22gpu_kernel_impl_nocastINS0_13BinaryFunctorIN3c104HalfES5_S5_ZNS0_12_GLOBAL__N_121threshold_kernel_implIS5_EEvRNS_18TensorIteratorBaseET_SA_EUlS5_S5_E_EEEEvS9_RKSA_EUlibE_EEviT1_.private_seg_size, 0
	.set _ZN2at6native32elementwise_kernel_manual_unrollILi128ELi8EZNS0_22gpu_kernel_impl_nocastINS0_13BinaryFunctorIN3c104HalfES5_S5_ZNS0_12_GLOBAL__N_121threshold_kernel_implIS5_EEvRNS_18TensorIteratorBaseET_SA_EUlS5_S5_E_EEEEvS9_RKSA_EUlibE_EEviT1_.uses_vcc, 1
	.set _ZN2at6native32elementwise_kernel_manual_unrollILi128ELi8EZNS0_22gpu_kernel_impl_nocastINS0_13BinaryFunctorIN3c104HalfES5_S5_ZNS0_12_GLOBAL__N_121threshold_kernel_implIS5_EEvRNS_18TensorIteratorBaseET_SA_EUlS5_S5_E_EEEEvS9_RKSA_EUlibE_EEviT1_.uses_flat_scratch, 0
	.set _ZN2at6native32elementwise_kernel_manual_unrollILi128ELi8EZNS0_22gpu_kernel_impl_nocastINS0_13BinaryFunctorIN3c104HalfES5_S5_ZNS0_12_GLOBAL__N_121threshold_kernel_implIS5_EEvRNS_18TensorIteratorBaseET_SA_EUlS5_S5_E_EEEEvS9_RKSA_EUlibE_EEviT1_.has_dyn_sized_stack, 0
	.set _ZN2at6native32elementwise_kernel_manual_unrollILi128ELi8EZNS0_22gpu_kernel_impl_nocastINS0_13BinaryFunctorIN3c104HalfES5_S5_ZNS0_12_GLOBAL__N_121threshold_kernel_implIS5_EEvRNS_18TensorIteratorBaseET_SA_EUlS5_S5_E_EEEEvS9_RKSA_EUlibE_EEviT1_.has_recursion, 0
	.set _ZN2at6native32elementwise_kernel_manual_unrollILi128ELi8EZNS0_22gpu_kernel_impl_nocastINS0_13BinaryFunctorIN3c104HalfES5_S5_ZNS0_12_GLOBAL__N_121threshold_kernel_implIS5_EEvRNS_18TensorIteratorBaseET_SA_EUlS5_S5_E_EEEEvS9_RKSA_EUlibE_EEviT1_.has_indirect_call, 0
	.section	.AMDGPU.csdata,"",@progbits
; Kernel info:
; codeLenInByte = 9316
; TotalNumSgprs: 56
; NumVgprs: 42
; ScratchSize: 0
; MemoryBound: 0
; FloatMode: 240
; IeeeMode: 1
; LDSByteSize: 0 bytes/workgroup (compile time only)
; SGPRBlocks: 6
; VGPRBlocks: 10
; NumSGPRsForWavesPerEU: 56
; NumVGPRsForWavesPerEU: 42
; Occupancy: 5
; WaveLimiterHint : 1
; COMPUTE_PGM_RSRC2:SCRATCH_EN: 0
; COMPUTE_PGM_RSRC2:USER_SGPR: 6
; COMPUTE_PGM_RSRC2:TRAP_HANDLER: 0
; COMPUTE_PGM_RSRC2:TGID_X_EN: 1
; COMPUTE_PGM_RSRC2:TGID_Y_EN: 0
; COMPUTE_PGM_RSRC2:TGID_Z_EN: 0
; COMPUTE_PGM_RSRC2:TIDIG_COMP_CNT: 0
	.section	.text._ZN2at6native32elementwise_kernel_manual_unrollILi128ELi4EZNS0_15gpu_kernel_implINS0_13BinaryFunctorIN3c104HalfES5_S5_ZNS0_12_GLOBAL__N_121threshold_kernel_implIS5_EEvRNS_18TensorIteratorBaseET_SA_EUlS5_S5_E_EEEEvS9_RKSA_EUlibE_EEviT1_,"axG",@progbits,_ZN2at6native32elementwise_kernel_manual_unrollILi128ELi4EZNS0_15gpu_kernel_implINS0_13BinaryFunctorIN3c104HalfES5_S5_ZNS0_12_GLOBAL__N_121threshold_kernel_implIS5_EEvRNS_18TensorIteratorBaseET_SA_EUlS5_S5_E_EEEEvS9_RKSA_EUlibE_EEviT1_,comdat
	.globl	_ZN2at6native32elementwise_kernel_manual_unrollILi128ELi4EZNS0_15gpu_kernel_implINS0_13BinaryFunctorIN3c104HalfES5_S5_ZNS0_12_GLOBAL__N_121threshold_kernel_implIS5_EEvRNS_18TensorIteratorBaseET_SA_EUlS5_S5_E_EEEEvS9_RKSA_EUlibE_EEviT1_ ; -- Begin function _ZN2at6native32elementwise_kernel_manual_unrollILi128ELi4EZNS0_15gpu_kernel_implINS0_13BinaryFunctorIN3c104HalfES5_S5_ZNS0_12_GLOBAL__N_121threshold_kernel_implIS5_EEvRNS_18TensorIteratorBaseET_SA_EUlS5_S5_E_EEEEvS9_RKSA_EUlibE_EEviT1_
	.p2align	8
	.type	_ZN2at6native32elementwise_kernel_manual_unrollILi128ELi4EZNS0_15gpu_kernel_implINS0_13BinaryFunctorIN3c104HalfES5_S5_ZNS0_12_GLOBAL__N_121threshold_kernel_implIS5_EEvRNS_18TensorIteratorBaseET_SA_EUlS5_S5_E_EEEEvS9_RKSA_EUlibE_EEviT1_,@function
_ZN2at6native32elementwise_kernel_manual_unrollILi128ELi4EZNS0_15gpu_kernel_implINS0_13BinaryFunctorIN3c104HalfES5_S5_ZNS0_12_GLOBAL__N_121threshold_kernel_implIS5_EEvRNS_18TensorIteratorBaseET_SA_EUlS5_S5_E_EEEEvS9_RKSA_EUlibE_EEviT1_: ; @_ZN2at6native32elementwise_kernel_manual_unrollILi128ELi4EZNS0_15gpu_kernel_implINS0_13BinaryFunctorIN3c104HalfES5_S5_ZNS0_12_GLOBAL__N_121threshold_kernel_implIS5_EEvRNS_18TensorIteratorBaseET_SA_EUlS5_S5_E_EEEEvS9_RKSA_EUlibE_EEviT1_
; %bb.0:
	s_load_dwordx2 s[2:3], s[4:5], 0x2c
	s_load_dword s50, s[4:5], 0x0
	s_load_dwordx4 s[8:11], s[4:5], 0x8
	s_load_dwordx2 s[16:17], s[4:5], 0x18
	s_load_dwordx4 s[12:15], s[4:5], 0x20
	v_lshl_or_b32 v2, s6, 9, v0
	v_or_b32_e32 v0, 0x180, v2
	s_waitcnt lgkmcnt(0)
	s_lshr_b32 s33, s2, 16
	s_lshr_b32 s56, s3, 8
	;; [unrolled: 1-line block ×3, first 2 shown]
	v_cmp_le_i32_e32 vcc, s50, v0
	s_mov_b64 s[4:5], 0
	s_mov_b64 s[18:19], 0
	s_and_saveexec_b64 s[0:1], vcc
	s_xor_b64 s[6:7], exec, s[0:1]
	s_cbranch_execz .LBB215_1544
; %bb.1:
	v_cmp_gt_i32_e32 vcc, s50, v2
	s_mov_b64 s[0:1], -1
	s_mov_b64 s[28:29], 0
	s_mov_b64 s[22:23], 0
	;; [unrolled: 1-line block ×3, first 2 shown]
	s_and_saveexec_b64 s[24:25], vcc
	s_cbranch_execz .LBB215_383
; %bb.2:
	v_mul_lo_u32 v0, v2, s13
	v_mov_b32_e32 v1, s11
	s_and_b32 s26, s56, 0xff
	s_cmp_lt_i32 s26, 11
	v_ashrrev_i32_e32 v3, 31, v0
	v_add_co_u32_e32 v0, vcc, s10, v0
	v_addc_co_u32_e32 v1, vcc, v1, v3, vcc
	s_cbranch_scc1 .LBB215_9
; %bb.3:
	s_and_b32 s27, 0xffff, s26
	s_cmp_gt_i32 s27, 25
	s_cbranch_scc0 .LBB215_18
; %bb.4:
	s_cmp_gt_i32 s27, 28
	s_cbranch_scc0 .LBB215_28
; %bb.5:
	s_cmp_gt_i32 s27, 43
	s_cbranch_scc0 .LBB215_31
; %bb.6:
	s_cmp_gt_i32 s27, 45
	s_cbranch_scc0 .LBB215_34
; %bb.7:
	s_cmp_eq_u32 s27, 46
	s_cbranch_scc0 .LBB215_37
; %bb.8:
	global_load_dword v3, v[0:1], off
	s_waitcnt vmcnt(0)
	v_lshlrev_b32_e32 v3, 16, v3
	v_cvt_f16_f32_e32 v3, v3
	s_branch .LBB215_39
.LBB215_9:
                                        ; implicit-def: $vgpr3
	s_mov_b64 s[0:1], 0
	s_cbranch_execnz .LBB215_105
.LBB215_10:
	s_andn2_b64 vcc, exec, s[0:1]
	s_cbranch_vccnz .LBB215_152
.LBB215_11:
	v_mul_lo_u32 v0, v2, s14
	v_mov_b32_e32 v1, s17
	s_and_b32 s30, s15, 0xff
	s_cmp_lt_i32 s30, 11
	v_ashrrev_i32_e32 v4, 31, v0
	v_add_co_u32_e32 v0, vcc, s16, v0
	v_addc_co_u32_e32 v1, vcc, v1, v4, vcc
	s_cbranch_scc1 .LBB215_19
; %bb.12:
	s_and_b32 s31, 0xffff, s30
	s_cmp_gt_i32 s31, 25
	s_cbranch_scc0 .LBB215_29
; %bb.13:
	s_cmp_gt_i32 s31, 28
	s_cbranch_scc0 .LBB215_32
; %bb.14:
	;; [unrolled: 3-line block ×4, first 2 shown]
	s_cmp_eq_u32 s31, 46
	s_mov_b64 s[18:19], 0
	s_cbranch_scc0 .LBB215_153
; %bb.17:
	global_load_dword v4, v[0:1], off
	s_mov_b64 s[0:1], -1
	s_mov_b64 s[20:21], 0
	s_waitcnt vmcnt(0)
	v_lshlrev_b32_e32 v4, 16, v4
	v_cvt_f16_f32_e32 v4, v4
	s_branch .LBB215_155
.LBB215_18:
	s_mov_b64 s[0:1], 0
                                        ; implicit-def: $vgpr3
	s_cbranch_execnz .LBB215_70
	s_branch .LBB215_104
.LBB215_19:
	s_mov_b64 s[20:21], 0
                                        ; implicit-def: $vgpr4
	s_mov_b64 s[0:1], 0
	s_cbranch_execnz .LBB215_332
.LBB215_20:
	s_andn2_b64 vcc, exec, s[0:1]
	s_cbranch_vccnz .LBB215_380
.LBB215_21:
	v_mul_lo_u32 v0, v2, s12
	v_mov_b32_e32 v1, s33
	s_waitcnt vmcnt(0)
	v_cmp_ge_f16_e32 vcc, s2, v3
	v_cndmask_b32_e32 v3, v4, v1, vcc
	v_ashrrev_i32_e32 v1, 31, v0
	v_mov_b32_e32 v4, s9
	s_and_b32 s34, s3, 0xff
	v_add_co_u32_e32 v0, vcc, s8, v0
	s_cmp_lt_i32 s34, 11
	v_addc_co_u32_e32 v1, vcc, v4, v1, vcc
	s_cbranch_scc1 .LBB215_30
; %bb.22:
	s_and_b32 s35, 0xffff, s34
	s_cmp_gt_i32 s35, 25
	s_cbranch_scc0 .LBB215_33
; %bb.23:
	s_cmp_gt_i32 s35, 28
	s_cbranch_scc0 .LBB215_36
; %bb.24:
	;; [unrolled: 3-line block ×4, first 2 shown]
	s_mov_b64 s[26:27], 0
	s_mov_b64 s[0:1], -1
	s_cmp_eq_u32 s35, 46
	s_mov_b64 s[18:19], 0
	s_cbranch_scc0 .LBB215_159
; %bb.27:
	v_cvt_f32_f16_e32 v4, v3
	s_movk_i32 s0, 0x7fff
	v_cmp_o_f16_e32 vcc, v3, v3
	v_mov_b32_e32 v5, 0x7fc0
	v_bfe_u32 v6, v4, 16, 1
	v_add3_u32 v4, v4, v6, s0
	v_cndmask_b32_sdwa v4, v5, v4, vcc dst_sel:DWORD dst_unused:UNUSED_PAD src0_sel:DWORD src1_sel:WORD_1
	global_store_dword v[0:1], v4, off
	s_mov_b64 s[18:19], -1
	s_mov_b64 s[0:1], 0
	s_branch .LBB215_159
.LBB215_28:
	s_mov_b64 s[18:19], -1
	s_mov_b64 s[0:1], 0
                                        ; implicit-def: $vgpr3
	s_branch .LBB215_51
.LBB215_29:
	s_mov_b64 s[18:19], -1
	s_mov_b64 s[20:21], 0
	s_mov_b64 s[0:1], 0
                                        ; implicit-def: $vgpr4
	s_branch .LBB215_296
.LBB215_30:
	s_mov_b64 s[26:27], -1
	s_mov_b64 s[0:1], 0
	s_mov_b64 s[18:19], 0
	s_branch .LBB215_228
.LBB215_31:
	s_mov_b64 s[18:19], -1
	s_mov_b64 s[0:1], 0
                                        ; implicit-def: $vgpr3
	s_branch .LBB215_46
.LBB215_32:
	s_mov_b64 s[18:19], -1
	s_mov_b64 s[20:21], 0
	s_mov_b64 s[0:1], 0
                                        ; implicit-def: $vgpr4
	s_branch .LBB215_277
.LBB215_33:
	s_mov_b64 s[26:27], -1
	s_mov_b64 s[0:1], 0
	s_mov_b64 s[18:19], 0
	s_branch .LBB215_186
.LBB215_34:
	s_mov_b64 s[18:19], -1
	s_branch .LBB215_38
.LBB215_35:
	s_mov_b64 s[18:19], -1
	s_mov_b64 s[20:21], 0
	s_mov_b64 s[0:1], 0
                                        ; implicit-def: $vgpr4
	s_branch .LBB215_272
.LBB215_36:
	s_mov_b64 s[26:27], -1
	s_mov_b64 s[0:1], 0
	s_mov_b64 s[18:19], 0
	s_branch .LBB215_169
.LBB215_37:
	s_mov_b64 s[22:23], -1
.LBB215_38:
	s_mov_b64 s[0:1], 0
                                        ; implicit-def: $vgpr3
.LBB215_39:
	s_and_b64 vcc, exec, s[18:19]
	s_cbranch_vccz .LBB215_45
; %bb.40:
	s_cmp_eq_u32 s27, 44
	s_cbranch_scc0 .LBB215_44
; %bb.41:
	global_load_ubyte v3, v[0:1], off
	s_movk_i32 s18, 0xff
	v_mov_b32_e32 v5, 0x7e00
	s_mov_b64 s[0:1], -1
	s_mov_b64 s[22:23], 0
	s_waitcnt vmcnt(0)
	v_lshlrev_b32_e32 v4, 23, v3
	v_cvt_f16_f32_e32 v4, v4
	v_cmp_ne_u32_e32 vcc, s18, v3
	v_cndmask_b32_e32 v4, v5, v4, vcc
	v_cmp_ne_u32_e32 vcc, 0, v3
	v_cndmask_b32_e32 v3, 0, v4, vcc
	s_branch .LBB215_45
.LBB215_42:
	s_mov_b64 s[18:19], -1
	s_mov_b64 s[20:21], 0
	s_branch .LBB215_154
.LBB215_43:
	s_mov_b64 s[26:27], -1
	s_mov_b64 s[0:1], 0
	s_mov_b64 s[18:19], 0
	s_branch .LBB215_165
.LBB215_44:
	s_mov_b64 s[22:23], -1
                                        ; implicit-def: $vgpr3
.LBB215_45:
	s_mov_b64 s[18:19], 0
.LBB215_46:
	s_and_b64 vcc, exec, s[18:19]
	s_cbranch_vccz .LBB215_50
; %bb.47:
	s_cmp_eq_u32 s27, 29
	s_cbranch_scc0 .LBB215_49
; %bb.48:
	global_load_dwordx2 v[3:4], v[0:1], off
	s_mov_b64 s[0:1], -1
	s_mov_b64 s[22:23], 0
	s_mov_b64 s[18:19], 0
	s_waitcnt vmcnt(0)
	v_ffbh_u32_e32 v5, v4
	v_min_u32_e32 v5, 32, v5
	v_lshlrev_b64 v[3:4], v5, v[3:4]
	v_min_u32_e32 v3, 1, v3
	v_or_b32_e32 v3, v4, v3
	v_cvt_f32_u32_e32 v3, v3
	v_sub_u32_e32 v4, 32, v5
	v_ldexp_f32 v3, v3, v4
	v_cvt_f16_f32_e32 v3, v3
	s_branch .LBB215_51
.LBB215_49:
	s_mov_b64 s[22:23], -1
                                        ; implicit-def: $vgpr3
.LBB215_50:
	s_mov_b64 s[18:19], 0
.LBB215_51:
	s_and_b64 vcc, exec, s[18:19]
	s_cbranch_vccz .LBB215_69
; %bb.52:
	s_cmp_lt_i32 s27, 27
	s_cbranch_scc1 .LBB215_55
; %bb.53:
	s_cmp_gt_i32 s27, 27
	s_cbranch_scc0 .LBB215_56
; %bb.54:
	global_load_dword v3, v[0:1], off
	s_mov_b64 s[0:1], 0
	s_waitcnt vmcnt(0)
	v_cvt_f32_u32_e32 v3, v3
	v_cvt_f16_f32_e32 v3, v3
	s_branch .LBB215_57
.LBB215_55:
	s_mov_b64 s[0:1], -1
                                        ; implicit-def: $vgpr3
	s_branch .LBB215_60
.LBB215_56:
	s_mov_b64 s[0:1], -1
                                        ; implicit-def: $vgpr3
.LBB215_57:
	s_andn2_b64 vcc, exec, s[0:1]
	s_cbranch_vccnz .LBB215_59
; %bb.58:
	global_load_ushort v3, v[0:1], off
	s_waitcnt vmcnt(0)
	v_cvt_f16_u16_e32 v3, v3
.LBB215_59:
	s_mov_b64 s[0:1], 0
.LBB215_60:
	s_andn2_b64 vcc, exec, s[0:1]
	s_cbranch_vccnz .LBB215_68
; %bb.61:
	global_load_ubyte v4, v[0:1], off
	s_movk_i32 s0, 0x7f
	s_waitcnt vmcnt(0)
	v_cmp_lt_i16_e32 vcc, s0, v4
	s_mov_b64 s[0:1], 0
	s_and_saveexec_b64 s[18:19], vcc
	s_xor_b64 s[18:19], exec, s[18:19]
	s_cbranch_execz .LBB215_81
; %bb.62:
	s_movk_i32 s0, 0x80
	v_cmp_eq_u16_e32 vcc, s0, v4
	s_mov_b64 s[0:1], -1
	s_and_saveexec_b64 s[20:21], vcc
; %bb.63:
	s_xor_b64 s[0:1], exec, -1
; %bb.64:
	s_or_b64 exec, exec, s[20:21]
	s_and_b64 s[0:1], s[0:1], exec
	s_or_saveexec_b64 s[18:19], s[18:19]
	v_mov_b32_e32 v3, 0x7e00
	s_xor_b64 exec, exec, s[18:19]
	s_cbranch_execnz .LBB215_82
.LBB215_65:
	s_or_b64 exec, exec, s[18:19]
	s_and_saveexec_b64 s[18:19], s[0:1]
	s_cbranch_execz .LBB215_67
.LBB215_66:
	v_lshlrev_b32_e32 v3, 24, v4
	v_and_b32_e32 v4, 0xffff, v4
	v_and_b32_e32 v5, 7, v4
	v_ffbh_u32_e32 v7, v5
	v_min_u32_e32 v7, 32, v7
	v_subrev_u32_e32 v8, 28, v7
	v_bfe_u32 v6, v4, 3, 4
	v_lshlrev_b32_e32 v4, v8, v4
	v_sub_u32_e32 v7, 29, v7
	v_and_b32_e32 v4, 7, v4
	v_cmp_eq_u32_e32 vcc, 0, v6
	v_cndmask_b32_e32 v6, v6, v7, vcc
	v_cndmask_b32_e32 v4, v5, v4, vcc
	v_mov_b32_e32 v5, 0x3b800000
	v_lshlrev_b32_e32 v4, 20, v4
	v_and_b32_e32 v3, 0x80000000, v3
	v_lshl_add_u32 v5, v6, 23, v5
	v_or3_b32 v3, v3, v5, v4
	v_cvt_f16_f32_e32 v3, v3
.LBB215_67:
	s_or_b64 exec, exec, s[18:19]
.LBB215_68:
	s_mov_b64 s[0:1], -1
.LBB215_69:
	s_branch .LBB215_104
.LBB215_70:
	s_cmp_gt_i32 s27, 22
	s_cbranch_scc0 .LBB215_80
; %bb.71:
	s_cmp_lt_i32 s27, 24
	s_cbranch_scc1 .LBB215_83
; %bb.72:
	s_cmp_gt_i32 s27, 24
	s_cbranch_scc0 .LBB215_84
; %bb.73:
	global_load_ubyte v4, v[0:1], off
	s_movk_i32 s0, 0x7f
	s_waitcnt vmcnt(0)
	v_cmp_lt_i16_e32 vcc, s0, v4
	s_mov_b64 s[0:1], 0
	s_and_saveexec_b64 s[18:19], vcc
	s_xor_b64 s[18:19], exec, s[18:19]
	s_cbranch_execz .LBB215_96
; %bb.74:
	s_movk_i32 s0, 0x80
	v_cmp_eq_u16_e32 vcc, s0, v4
	s_mov_b64 s[0:1], -1
	s_and_saveexec_b64 s[20:21], vcc
; %bb.75:
	s_xor_b64 s[0:1], exec, -1
; %bb.76:
	s_or_b64 exec, exec, s[20:21]
	s_and_b64 s[0:1], s[0:1], exec
	s_or_saveexec_b64 s[18:19], s[18:19]
	v_mov_b32_e32 v3, 0x7e00
	s_xor_b64 exec, exec, s[18:19]
	s_cbranch_execnz .LBB215_97
.LBB215_77:
	s_or_b64 exec, exec, s[18:19]
	s_and_saveexec_b64 s[18:19], s[0:1]
	s_cbranch_execz .LBB215_79
.LBB215_78:
	v_lshlrev_b32_e32 v3, 24, v4
	v_and_b32_e32 v4, 0xffff, v4
	v_and_b32_e32 v5, 3, v4
	v_ffbh_u32_e32 v7, v5
	v_min_u32_e32 v7, 32, v7
	v_subrev_u32_e32 v8, 29, v7
	v_bfe_u32 v6, v4, 2, 5
	v_lshlrev_b32_e32 v4, v8, v4
	v_sub_u32_e32 v7, 30, v7
	v_and_b32_e32 v4, 3, v4
	v_cmp_eq_u32_e32 vcc, 0, v6
	v_cndmask_b32_e32 v6, v6, v7, vcc
	v_cndmask_b32_e32 v4, v5, v4, vcc
	v_mov_b32_e32 v5, 0x37800000
	v_lshlrev_b32_e32 v4, 21, v4
	v_and_b32_e32 v3, 0x80000000, v3
	v_lshl_add_u32 v5, v6, 23, v5
	v_or3_b32 v3, v3, v5, v4
	v_cvt_f16_f32_e32 v3, v3
.LBB215_79:
	s_or_b64 exec, exec, s[18:19]
	s_mov_b64 s[0:1], 0
	s_branch .LBB215_85
.LBB215_80:
	s_mov_b64 s[18:19], -1
                                        ; implicit-def: $vgpr3
	s_branch .LBB215_91
.LBB215_81:
	s_or_saveexec_b64 s[18:19], s[18:19]
	v_mov_b32_e32 v3, 0x7e00
	s_xor_b64 exec, exec, s[18:19]
	s_cbranch_execz .LBB215_65
.LBB215_82:
	v_cmp_ne_u16_e32 vcc, 0, v4
	s_andn2_b64 s[0:1], s[0:1], exec
	s_and_b64 s[20:21], vcc, exec
	s_or_b64 s[0:1], s[0:1], s[20:21]
	v_mov_b32_e32 v3, v4
	s_or_b64 exec, exec, s[18:19]
	s_and_saveexec_b64 s[18:19], s[0:1]
	s_cbranch_execnz .LBB215_66
	s_branch .LBB215_67
.LBB215_83:
	s_mov_b64 s[0:1], -1
                                        ; implicit-def: $vgpr3
	s_branch .LBB215_88
.LBB215_84:
	s_mov_b64 s[0:1], -1
                                        ; implicit-def: $vgpr3
.LBB215_85:
	s_and_b64 vcc, exec, s[0:1]
	s_cbranch_vccz .LBB215_87
; %bb.86:
	global_load_ubyte v3, v[0:1], off
	s_mov_b32 s0, 0x7f800000
	s_waitcnt vmcnt(0)
	v_lshlrev_b32_e32 v3, 24, v3
	v_and_b32_e32 v4, 0x7f000000, v3
	v_ffbh_u32_e32 v5, v4
	v_min_u32_e32 v5, 32, v5
	v_sub_u32_e64 v5, v5, 4 clamp
	v_lshlrev_b32_e32 v7, v5, v4
	v_lshlrev_b32_e32 v5, 23, v5
	v_lshrrev_b32_e32 v7, 4, v7
	v_add_u32_e32 v6, 0x1000000, v4
	v_sub_u32_e32 v5, v7, v5
	v_ashrrev_i32_e32 v6, 8, v6
	v_add_u32_e32 v5, 0x3c000000, v5
	v_and_or_b32 v5, v6, s0, v5
	v_cmp_ne_u32_e32 vcc, 0, v4
	v_cndmask_b32_e32 v4, 0, v5, vcc
	s_brev_b32 s0, 1
	v_and_or_b32 v3, v3, s0, v4
	v_cvt_f16_f32_e32 v3, v3
.LBB215_87:
	s_mov_b64 s[0:1], 0
.LBB215_88:
	s_andn2_b64 vcc, exec, s[0:1]
	s_cbranch_vccnz .LBB215_90
; %bb.89:
	global_load_ubyte v3, v[0:1], off
	s_movk_i32 s0, 0x7f00
	s_brev_b32 s1, 16
	s_waitcnt vmcnt(0)
	v_lshlrev_b16_e32 v4, 8, v3
	v_lshlrev_b32_e32 v3, 25, v3
	v_lshrrev_b32_e32 v5, 4, v3
	v_and_or_b32 v6, v4, s0, 0.5
	v_or_b32_e32 v5, 0x70000000, v5
	v_add_f32_e32 v6, -0.5, v6
	v_mul_f32_e32 v5, 0x7800000, v5
	v_cmp_gt_u32_e32 vcc, s1, v3
	v_bfe_i32 v4, v4, 0, 16
	v_cndmask_b32_e32 v3, v5, v6, vcc
	s_brev_b32 s0, 1
	v_and_or_b32 v3, v4, s0, v3
	v_cvt_f16_f32_e32 v3, v3
.LBB215_90:
	s_mov_b64 s[18:19], 0
	s_mov_b64 s[0:1], -1
.LBB215_91:
	s_andn2_b64 vcc, exec, s[18:19]
	s_cbranch_vccnz .LBB215_104
; %bb.92:
	s_cmp_gt_i32 s27, 14
	s_cbranch_scc0 .LBB215_95
; %bb.93:
	s_cmp_eq_u32 s27, 15
	s_cbranch_scc0 .LBB215_98
; %bb.94:
	global_load_ushort v3, v[0:1], off
	s_mov_b64 s[0:1], -1
	s_mov_b64 s[22:23], 0
	s_waitcnt vmcnt(0)
	v_lshlrev_b32_e32 v3, 16, v3
	v_cvt_f16_f32_e32 v3, v3
	s_branch .LBB215_99
.LBB215_95:
	s_mov_b64 s[18:19], -1
                                        ; implicit-def: $vgpr3
	s_branch .LBB215_100
.LBB215_96:
	s_or_saveexec_b64 s[18:19], s[18:19]
	v_mov_b32_e32 v3, 0x7e00
	s_xor_b64 exec, exec, s[18:19]
	s_cbranch_execz .LBB215_77
.LBB215_97:
	v_cmp_ne_u16_e32 vcc, 0, v4
	s_andn2_b64 s[0:1], s[0:1], exec
	s_and_b64 s[20:21], vcc, exec
	s_or_b64 s[0:1], s[0:1], s[20:21]
	v_mov_b32_e32 v3, v4
	s_or_b64 exec, exec, s[18:19]
	s_and_saveexec_b64 s[18:19], s[0:1]
	s_cbranch_execnz .LBB215_78
	s_branch .LBB215_79
.LBB215_98:
	s_mov_b64 s[22:23], -1
                                        ; implicit-def: $vgpr3
.LBB215_99:
	s_mov_b64 s[18:19], 0
.LBB215_100:
	s_and_b64 vcc, exec, s[18:19]
	s_cbranch_vccz .LBB215_104
; %bb.101:
	s_cmp_eq_u32 s27, 11
	s_cbranch_scc0 .LBB215_103
; %bb.102:
	global_load_ubyte v3, v[0:1], off
	v_mov_b32_e32 v4, 0x3c00
	s_mov_b64 s[0:1], -1
	s_mov_b64 s[22:23], 0
	s_waitcnt vmcnt(0)
	v_cmp_ne_u16_e32 vcc, 0, v3
	v_cndmask_b32_e32 v3, 0, v4, vcc
	s_branch .LBB215_104
.LBB215_103:
	s_mov_b64 s[22:23], -1
                                        ; implicit-def: $vgpr3
.LBB215_104:
	s_branch .LBB215_10
.LBB215_105:
	s_and_b32 s18, 0xffff, s26
	s_cmp_lt_i32 s18, 5
	s_cbranch_scc1 .LBB215_110
; %bb.106:
	s_cmp_lt_i32 s18, 8
	s_cbranch_scc1 .LBB215_111
; %bb.107:
	s_cmp_lt_i32 s18, 9
	s_cbranch_scc1 .LBB215_112
; %bb.108:
	s_cmp_gt_i32 s18, 9
	s_cbranch_scc0 .LBB215_113
; %bb.109:
	global_load_dwordx2 v[3:4], v[0:1], off
	s_movk_i32 s0, 0x1ff
	s_movk_i32 s1, 0xffe
	v_mov_b32_e32 v5, 0x7c00
	v_mov_b32_e32 v6, 0x7e00
	s_movk_i32 s19, 0x40f
	s_mov_b32 s20, 0x8000
	s_waitcnt vmcnt(0)
	v_and_or_b32 v3, v4, s0, v3
	v_cmp_ne_u32_e32 vcc, 0, v3
	v_lshrrev_b32_e32 v7, 8, v4
	v_bfe_u32 v8, v4, 20, 11
	v_cndmask_b32_e64 v3, 0, 1, vcc
	v_sub_u32_e32 v9, 0x3f1, v8
	v_and_or_b32 v3, v7, s1, v3
	v_add_u32_e32 v8, 0xfffffc10, v8
	v_med3_i32 v7, v9, 0, 13
	v_or_b32_e32 v9, 0x1000, v3
	v_cmp_ne_u32_e32 vcc, 0, v3
	v_lshl_or_b32 v10, v8, 12, v3
	v_cndmask_b32_e32 v3, v5, v6, vcc
	v_lshrrev_b32_e32 v6, v7, v9
	v_lshlrev_b32_e32 v7, v7, v6
	v_cmp_ne_u32_e32 vcc, v7, v9
	v_cndmask_b32_e64 v7, 0, 1, vcc
	v_or_b32_e32 v6, v6, v7
	v_cmp_gt_i32_e32 vcc, 1, v8
	v_cndmask_b32_e32 v6, v10, v6, vcc
	v_and_b32_e32 v7, 7, v6
	v_cmp_lt_i32_e32 vcc, 5, v7
	v_cndmask_b32_e64 v9, 0, 1, vcc
	v_cmp_eq_u32_e32 vcc, 3, v7
	v_cndmask_b32_e64 v7, 0, 1, vcc
	v_lshrrev_b32_e32 v6, 2, v6
	v_or_b32_e32 v7, v7, v9
	v_add_u32_e32 v6, v6, v7
	v_cmp_gt_i32_e32 vcc, 31, v8
	v_cndmask_b32_e32 v5, v5, v6, vcc
	v_cmp_eq_u32_e32 vcc, s19, v8
	v_lshrrev_b32_e32 v4, 16, v4
	v_cndmask_b32_e32 v3, v5, v3, vcc
	v_and_or_b32 v3, v4, s20, v3
	s_mov_b64 s[0:1], 0
	s_branch .LBB215_114
.LBB215_110:
                                        ; implicit-def: $vgpr3
	s_branch .LBB215_132
.LBB215_111:
	s_mov_b64 s[0:1], -1
                                        ; implicit-def: $vgpr3
	s_branch .LBB215_120
.LBB215_112:
	s_mov_b64 s[0:1], -1
                                        ; implicit-def: $vgpr3
	s_branch .LBB215_117
.LBB215_113:
	s_mov_b64 s[0:1], -1
                                        ; implicit-def: $vgpr3
.LBB215_114:
	s_andn2_b64 vcc, exec, s[0:1]
	s_cbranch_vccnz .LBB215_116
; %bb.115:
	global_load_dword v3, v[0:1], off
	s_waitcnt vmcnt(0)
	v_cvt_f16_f32_e32 v3, v3
.LBB215_116:
	s_mov_b64 s[0:1], 0
.LBB215_117:
	s_andn2_b64 vcc, exec, s[0:1]
	s_cbranch_vccnz .LBB215_119
; %bb.118:
	global_load_dword v3, v[0:1], off
.LBB215_119:
	s_mov_b64 s[0:1], 0
.LBB215_120:
	s_andn2_b64 vcc, exec, s[0:1]
	s_cbranch_vccnz .LBB215_131
; %bb.121:
	s_cmp_lt_i32 s18, 6
	s_cbranch_scc1 .LBB215_124
; %bb.122:
	s_cmp_gt_i32 s18, 6
	s_cbranch_scc0 .LBB215_125
; %bb.123:
	global_load_dwordx2 v[3:4], v[0:1], off
	s_movk_i32 s0, 0x1ff
	s_movk_i32 s1, 0xffe
	v_mov_b32_e32 v5, 0x7c00
	v_mov_b32_e32 v6, 0x7e00
	s_movk_i32 s19, 0x40f
	s_mov_b32 s20, 0x8000
	s_waitcnt vmcnt(0)
	v_and_or_b32 v3, v4, s0, v3
	v_cmp_ne_u32_e32 vcc, 0, v3
	v_lshrrev_b32_e32 v7, 8, v4
	v_bfe_u32 v8, v4, 20, 11
	v_cndmask_b32_e64 v3, 0, 1, vcc
	v_sub_u32_e32 v9, 0x3f1, v8
	v_and_or_b32 v3, v7, s1, v3
	v_add_u32_e32 v8, 0xfffffc10, v8
	v_med3_i32 v7, v9, 0, 13
	v_or_b32_e32 v9, 0x1000, v3
	v_cmp_ne_u32_e32 vcc, 0, v3
	v_lshl_or_b32 v10, v8, 12, v3
	v_cndmask_b32_e32 v3, v5, v6, vcc
	v_lshrrev_b32_e32 v6, v7, v9
	v_lshlrev_b32_e32 v7, v7, v6
	v_cmp_ne_u32_e32 vcc, v7, v9
	v_cndmask_b32_e64 v7, 0, 1, vcc
	v_or_b32_e32 v6, v6, v7
	v_cmp_gt_i32_e32 vcc, 1, v8
	v_cndmask_b32_e32 v6, v10, v6, vcc
	v_and_b32_e32 v7, 7, v6
	v_cmp_lt_i32_e32 vcc, 5, v7
	v_cndmask_b32_e64 v9, 0, 1, vcc
	v_cmp_eq_u32_e32 vcc, 3, v7
	v_cndmask_b32_e64 v7, 0, 1, vcc
	v_lshrrev_b32_e32 v6, 2, v6
	v_or_b32_e32 v7, v7, v9
	v_add_u32_e32 v6, v6, v7
	v_cmp_gt_i32_e32 vcc, 31, v8
	v_cndmask_b32_e32 v5, v5, v6, vcc
	v_cmp_eq_u32_e32 vcc, s19, v8
	v_lshrrev_b32_e32 v4, 16, v4
	v_cndmask_b32_e32 v3, v5, v3, vcc
	v_and_or_b32 v3, v4, s20, v3
	s_mov_b64 s[0:1], 0
	s_branch .LBB215_126
.LBB215_124:
	s_mov_b64 s[0:1], -1
                                        ; implicit-def: $vgpr3
	s_branch .LBB215_129
.LBB215_125:
	s_mov_b64 s[0:1], -1
                                        ; implicit-def: $vgpr3
.LBB215_126:
	s_andn2_b64 vcc, exec, s[0:1]
	s_cbranch_vccnz .LBB215_128
; %bb.127:
	global_load_dword v3, v[0:1], off
	s_waitcnt vmcnt(0)
	v_cvt_f16_f32_e32 v3, v3
.LBB215_128:
	s_mov_b64 s[0:1], 0
.LBB215_129:
	s_andn2_b64 vcc, exec, s[0:1]
	s_cbranch_vccnz .LBB215_131
; %bb.130:
	global_load_ushort v3, v[0:1], off
.LBB215_131:
	s_cbranch_execnz .LBB215_151
.LBB215_132:
	s_cmp_lt_i32 s18, 2
	s_cbranch_scc1 .LBB215_136
; %bb.133:
	s_cmp_lt_i32 s18, 3
	s_cbranch_scc1 .LBB215_137
; %bb.134:
	s_cmp_gt_i32 s18, 3
	s_cbranch_scc0 .LBB215_138
; %bb.135:
	global_load_dwordx2 v[3:4], v[0:1], off
	s_mov_b64 s[0:1], 0
	s_waitcnt vmcnt(0)
	v_xor_b32_e32 v6, v3, v4
	v_ffbh_i32_e32 v5, v4
	v_ashrrev_i32_e32 v6, 31, v6
	v_add_u32_e32 v5, -1, v5
	v_add_u32_e32 v6, 32, v6
	v_min_u32_e32 v5, v5, v6
	v_lshlrev_b64 v[3:4], v5, v[3:4]
	v_min_u32_e32 v3, 1, v3
	v_or_b32_e32 v3, v4, v3
	v_cvt_f32_i32_e32 v3, v3
	v_sub_u32_e32 v4, 32, v5
	v_ldexp_f32 v3, v3, v4
	v_cvt_f16_f32_e32 v3, v3
	s_branch .LBB215_139
.LBB215_136:
	s_mov_b64 s[0:1], -1
                                        ; implicit-def: $vgpr3
	s_branch .LBB215_145
.LBB215_137:
	s_mov_b64 s[0:1], -1
                                        ; implicit-def: $vgpr3
	s_branch .LBB215_142
.LBB215_138:
	s_mov_b64 s[0:1], -1
                                        ; implicit-def: $vgpr3
.LBB215_139:
	s_andn2_b64 vcc, exec, s[0:1]
	s_cbranch_vccnz .LBB215_141
; %bb.140:
	global_load_dword v3, v[0:1], off
	s_waitcnt vmcnt(0)
	v_cvt_f32_i32_e32 v3, v3
	v_cvt_f16_f32_e32 v3, v3
.LBB215_141:
	s_mov_b64 s[0:1], 0
.LBB215_142:
	s_andn2_b64 vcc, exec, s[0:1]
	s_cbranch_vccnz .LBB215_144
; %bb.143:
	global_load_ushort v3, v[0:1], off
	s_waitcnt vmcnt(0)
	v_cvt_f16_i16_e32 v3, v3
.LBB215_144:
	s_mov_b64 s[0:1], 0
.LBB215_145:
	s_andn2_b64 vcc, exec, s[0:1]
	s_cbranch_vccnz .LBB215_151
; %bb.146:
	s_cmp_gt_i32 s18, 0
	s_cbranch_scc0 .LBB215_148
; %bb.147:
	global_load_sbyte v3, v[0:1], off
	s_mov_b64 s[0:1], 0
	s_waitcnt vmcnt(0)
	v_cvt_f16_i16_e32 v3, v3
	s_branch .LBB215_149
.LBB215_148:
	s_mov_b64 s[0:1], -1
                                        ; implicit-def: $vgpr3
.LBB215_149:
	s_andn2_b64 vcc, exec, s[0:1]
	s_cbranch_vccnz .LBB215_151
; %bb.150:
	global_load_ubyte v0, v[0:1], off
	s_waitcnt vmcnt(0)
	v_cvt_f16_u16_e32 v3, v0
.LBB215_151:
	s_branch .LBB215_11
.LBB215_152:
	s_mov_b64 s[0:1], 0
	s_mov_b64 s[20:21], 0
	s_branch .LBB215_381
.LBB215_153:
	s_mov_b64 s[20:21], -1
.LBB215_154:
	s_mov_b64 s[0:1], 0
                                        ; implicit-def: $vgpr4
.LBB215_155:
	s_and_b64 vcc, exec, s[18:19]
	s_cbranch_vccz .LBB215_271
; %bb.156:
	s_cmp_eq_u32 s31, 44
	s_cbranch_scc0 .LBB215_270
; %bb.157:
	global_load_ubyte v4, v[0:1], off
	s_movk_i32 s18, 0xff
	v_mov_b32_e32 v6, 0x7e00
	s_mov_b64 s[0:1], -1
	s_mov_b64 s[20:21], 0
	s_waitcnt vmcnt(0)
	v_lshlrev_b32_e32 v5, 23, v4
	v_cvt_f16_f32_e32 v5, v5
	v_cmp_ne_u32_e32 vcc, s18, v4
	v_cndmask_b32_e32 v5, v6, v5, vcc
	v_cmp_ne_u32_e32 vcc, 0, v4
	v_cndmask_b32_e32 v4, 0, v5, vcc
	s_branch .LBB215_271
.LBB215_158:
	s_mov_b64 s[26:27], -1
	s_mov_b64 s[0:1], 0
	s_mov_b64 s[18:19], 0
.LBB215_159:
	s_and_b64 vcc, exec, s[26:27]
	s_cbranch_vccz .LBB215_164
; %bb.160:
	s_cmp_eq_u32 s35, 44
	s_mov_b64 s[0:1], -1
	s_cbranch_scc0 .LBB215_164
; %bb.161:
	v_cvt_f32_f16_e32 v4, v3
	s_movk_i32 s0, 0xff
	v_mov_b32_e32 v6, 0xff
	v_bfe_u32 v5, v4, 23, 8
	v_cmp_ne_u32_e32 vcc, s0, v5
	s_and_saveexec_b64 s[18:19], vcc
; %bb.162:
	s_mov_b32 s0, 0x3fffff
	v_lshrrev_b32_e32 v6, 23, v4
	v_and_b32_e32 v7, 0x400000, v4
	v_and_or_b32 v4, v4, s0, v5
	v_cmp_ne_u32_e32 vcc, 0, v7
	v_cmp_ne_u32_e64 s[0:1], 0, v4
	s_and_b64 s[0:1], vcc, s[0:1]
	v_cndmask_b32_e64 v4, 0, 1, s[0:1]
	v_add_u32_e32 v6, v6, v4
; %bb.163:
	s_or_b64 exec, exec, s[18:19]
	s_mov_b64 s[18:19], -1
	s_mov_b64 s[0:1], 0
	global_store_byte v[0:1], v6, off
.LBB215_164:
	s_mov_b64 s[26:27], 0
.LBB215_165:
	s_and_b64 vcc, exec, s[26:27]
	s_cbranch_vccz .LBB215_168
; %bb.166:
	s_cmp_eq_u32 s35, 29
	s_mov_b64 s[0:1], -1
	s_cbranch_scc0 .LBB215_168
; %bb.167:
	v_cvt_f32_f16_e32 v4, v3
	v_mov_b32_e32 v5, 0
	s_mov_b64 s[18:19], -1
	s_mov_b64 s[0:1], 0
	v_cvt_u32_f32_e32 v4, v4
	s_mov_b64 s[26:27], 0
	global_store_dwordx2 v[0:1], v[4:5], off
	s_branch .LBB215_169
.LBB215_168:
	s_mov_b64 s[26:27], 0
.LBB215_169:
	s_and_b64 vcc, exec, s[26:27]
	s_cbranch_vccz .LBB215_185
; %bb.170:
	s_cmp_lt_i32 s35, 27
	s_mov_b64 s[18:19], -1
	s_cbranch_scc1 .LBB215_176
; %bb.171:
	s_cmp_gt_i32 s35, 27
	s_cbranch_scc0 .LBB215_173
; %bb.172:
	v_cvt_f32_f16_e32 v4, v3
	s_mov_b64 s[18:19], 0
	v_cvt_u32_f32_e32 v4, v4
	global_store_dword v[0:1], v4, off
.LBB215_173:
	s_andn2_b64 vcc, exec, s[18:19]
	s_cbranch_vccnz .LBB215_175
; %bb.174:
	v_cvt_u16_f16_e32 v4, v3
	global_store_short v[0:1], v4, off
.LBB215_175:
	s_mov_b64 s[18:19], 0
.LBB215_176:
	s_andn2_b64 vcc, exec, s[18:19]
	s_cbranch_vccnz .LBB215_184
; %bb.177:
	v_cvt_f32_f16_e32 v4, v3
	s_mov_b32 s18, 0x43800000
	v_mov_b32_e32 v6, 0x80
	v_and_b32_e32 v5, 0x7fffffff, v4
	v_cmp_gt_u32_e32 vcc, s18, v5
	s_and_saveexec_b64 s[18:19], vcc
	s_cbranch_execz .LBB215_183
; %bb.178:
	s_mov_b32 s26, 0x3bffffff
	v_cmp_lt_u32_e32 vcc, s26, v5
	s_mov_b64 s[26:27], 0
                                        ; implicit-def: $vgpr5
	s_and_saveexec_b64 s[30:31], vcc
	s_xor_b64 s[30:31], exec, s[30:31]
	s_cbranch_execz .LBB215_412
; %bb.179:
	v_bfe_u32 v5, v4, 20, 1
	s_mov_b32 s36, 0x487ffff
	v_add3_u32 v5, v4, v5, s36
	s_mov_b64 s[26:27], exec
	v_lshrrev_b32_e32 v5, 20, v5
	s_andn2_saveexec_b64 s[30:31], s[30:31]
	s_cbranch_execnz .LBB215_413
.LBB215_180:
	s_or_b64 exec, exec, s[30:31]
	v_mov_b32_e32 v6, 0
	s_and_saveexec_b64 s[30:31], s[26:27]
.LBB215_181:
	v_lshrrev_b32_e32 v4, 24, v4
	s_movk_i32 s26, 0x80
	v_and_or_b32 v6, v4, s26, v5
.LBB215_182:
	s_or_b64 exec, exec, s[30:31]
.LBB215_183:
	s_or_b64 exec, exec, s[18:19]
	global_store_byte v[0:1], v6, off
.LBB215_184:
	s_mov_b64 s[18:19], -1
.LBB215_185:
	s_mov_b64 s[26:27], 0
.LBB215_186:
	s_and_b64 vcc, exec, s[26:27]
	s_cbranch_vccz .LBB215_227
; %bb.187:
	s_cmp_gt_i32 s35, 22
	s_mov_b64 s[26:27], -1
	s_cbranch_scc0 .LBB215_219
; %bb.188:
	s_cmp_lt_i32 s35, 24
	s_mov_b64 s[18:19], -1
	s_cbranch_scc1 .LBB215_208
; %bb.189:
	s_cmp_gt_i32 s35, 24
	s_cbranch_scc0 .LBB215_197
; %bb.190:
	v_cvt_f32_f16_e32 v4, v3
	s_mov_b32 s18, 0x47800000
	v_mov_b32_e32 v6, 0x80
	v_and_b32_e32 v5, 0x7fffffff, v4
	v_cmp_gt_u32_e32 vcc, s18, v5
	s_and_saveexec_b64 s[18:19], vcc
	s_cbranch_execz .LBB215_196
; %bb.191:
	s_mov_b32 s26, 0x37ffffff
	v_cmp_lt_u32_e32 vcc, s26, v5
	s_mov_b64 s[26:27], 0
                                        ; implicit-def: $vgpr5
	s_and_saveexec_b64 s[30:31], vcc
	s_xor_b64 s[30:31], exec, s[30:31]
	s_cbranch_execz .LBB215_531
; %bb.192:
	v_bfe_u32 v5, v4, 21, 1
	s_mov_b32 s36, 0x88fffff
	v_add3_u32 v5, v4, v5, s36
	s_mov_b64 s[26:27], exec
	v_lshrrev_b32_e32 v5, 21, v5
	s_andn2_saveexec_b64 s[30:31], s[30:31]
	s_cbranch_execnz .LBB215_532
.LBB215_193:
	s_or_b64 exec, exec, s[30:31]
	v_mov_b32_e32 v6, 0
	s_and_saveexec_b64 s[30:31], s[26:27]
.LBB215_194:
	v_lshrrev_b32_e32 v4, 24, v4
	s_movk_i32 s26, 0x80
	v_and_or_b32 v6, v4, s26, v5
.LBB215_195:
	s_or_b64 exec, exec, s[30:31]
.LBB215_196:
	s_or_b64 exec, exec, s[18:19]
	s_mov_b64 s[18:19], 0
	global_store_byte v[0:1], v6, off
.LBB215_197:
	s_and_b64 vcc, exec, s[18:19]
	s_cbranch_vccz .LBB215_207
; %bb.198:
	v_cvt_f32_f16_e32 v4, v3
	s_mov_b32 s18, 0x43f00000
                                        ; implicit-def: $vgpr5
	v_and_b32_e32 v6, 0x7fffffff, v4
	v_cmp_gt_u32_e32 vcc, s18, v6
	s_and_saveexec_b64 s[18:19], vcc
	s_xor_b64 s[18:19], exec, s[18:19]
	s_cbranch_execz .LBB215_204
; %bb.199:
	s_mov_b32 s26, 0x3c7fffff
	v_cmp_lt_u32_e32 vcc, s26, v6
                                        ; implicit-def: $vgpr5
	s_and_saveexec_b64 s[26:27], vcc
	s_xor_b64 s[26:27], exec, s[26:27]
; %bb.200:
	v_bfe_u32 v5, v4, 20, 1
	s_mov_b32 s30, 0x407ffff
	v_add3_u32 v5, v4, v5, s30
	v_lshrrev_b32_e32 v6, 20, v5
	v_and_b32_e32 v5, 0xff00000, v5
	s_mov_b32 s30, 0x7f00000
	v_mov_b32_e32 v7, 0x7e
	v_cmp_ne_u32_e32 vcc, s30, v5
	v_cndmask_b32_e32 v5, v7, v6, vcc
; %bb.201:
	s_andn2_saveexec_b64 s[26:27], s[26:27]
; %bb.202:
	s_mov_b32 s30, 0x46800000
	v_add_f32_e64 v5, |v4|, s30
; %bb.203:
	s_or_b64 exec, exec, s[26:27]
                                        ; implicit-def: $vgpr6
.LBB215_204:
	s_andn2_saveexec_b64 s[18:19], s[18:19]
; %bb.205:
	s_mov_b32 s26, 0x7f800000
	v_mov_b32_e32 v5, 0x7e
	v_mov_b32_e32 v7, 0x7f
	v_cmp_lt_u32_e32 vcc, s26, v6
	v_cndmask_b32_e32 v5, v5, v7, vcc
; %bb.206:
	s_or_b64 exec, exec, s[18:19]
	v_lshrrev_b32_e32 v4, 24, v4
	s_movk_i32 s18, 0x80
	v_and_or_b32 v4, v4, s18, v5
	global_store_byte v[0:1], v4, off
.LBB215_207:
	s_mov_b64 s[18:19], 0
.LBB215_208:
	s_andn2_b64 vcc, exec, s[18:19]
	s_cbranch_vccnz .LBB215_218
; %bb.209:
	v_cvt_f32_f16_e32 v4, v3
	s_mov_b32 s18, 0x47800000
                                        ; implicit-def: $vgpr5
	v_and_b32_e32 v6, 0x7fffffff, v4
	v_cmp_gt_u32_e32 vcc, s18, v6
	s_and_saveexec_b64 s[18:19], vcc
	s_xor_b64 s[18:19], exec, s[18:19]
	s_cbranch_execz .LBB215_215
; %bb.210:
	s_mov_b32 s26, 0x387fffff
	v_cmp_lt_u32_e32 vcc, s26, v6
                                        ; implicit-def: $vgpr5
	s_and_saveexec_b64 s[26:27], vcc
	s_xor_b64 s[26:27], exec, s[26:27]
; %bb.211:
	v_bfe_u32 v5, v4, 21, 1
	s_mov_b32 s30, 0x80fffff
	v_add3_u32 v5, v4, v5, s30
	v_lshrrev_b32_e32 v5, 21, v5
; %bb.212:
	s_andn2_saveexec_b64 s[26:27], s[26:27]
; %bb.213:
	s_mov_b32 s30, 0x43000000
	v_add_f32_e64 v5, |v4|, s30
; %bb.214:
	s_or_b64 exec, exec, s[26:27]
                                        ; implicit-def: $vgpr6
.LBB215_215:
	s_andn2_saveexec_b64 s[18:19], s[18:19]
; %bb.216:
	s_mov_b32 s26, 0x7f800000
	v_mov_b32_e32 v5, 0x7c
	v_mov_b32_e32 v7, 0x7f
	v_cmp_lt_u32_e32 vcc, s26, v6
	v_cndmask_b32_e32 v5, v5, v7, vcc
; %bb.217:
	s_or_b64 exec, exec, s[18:19]
	v_lshrrev_b32_e32 v4, 24, v4
	s_movk_i32 s18, 0x80
	v_and_or_b32 v4, v4, s18, v5
	global_store_byte v[0:1], v4, off
.LBB215_218:
	s_mov_b64 s[26:27], 0
	s_mov_b64 s[18:19], -1
.LBB215_219:
	s_andn2_b64 vcc, exec, s[26:27]
	s_cbranch_vccnz .LBB215_227
; %bb.220:
	s_cmp_gt_i32 s35, 14
	s_mov_b64 s[26:27], -1
	s_cbranch_scc0 .LBB215_224
; %bb.221:
	s_cmp_eq_u32 s35, 15
	s_mov_b64 s[0:1], -1
	s_cbranch_scc0 .LBB215_223
; %bb.222:
	v_cvt_f32_f16_e32 v4, v3
	s_movk_i32 s0, 0x7fff
	v_cmp_o_f16_e32 vcc, v3, v3
	v_mov_b32_e32 v5, 0x7fc0
	v_bfe_u32 v6, v4, 16, 1
	v_add3_u32 v4, v4, v6, s0
	v_cndmask_b32_sdwa v4, v5, v4, vcc dst_sel:DWORD dst_unused:UNUSED_PAD src0_sel:DWORD src1_sel:WORD_1
	global_store_short v[0:1], v4, off
	s_mov_b64 s[18:19], -1
	s_mov_b64 s[0:1], 0
.LBB215_223:
	s_mov_b64 s[26:27], 0
.LBB215_224:
	s_and_b64 vcc, exec, s[26:27]
	s_cbranch_vccz .LBB215_227
; %bb.225:
	s_cmp_eq_u32 s35, 11
	s_mov_b64 s[0:1], -1
	s_cbranch_scc0 .LBB215_227
; %bb.226:
	v_and_b32_e32 v4, 0x7fff, v3
	v_cmp_ne_u16_e32 vcc, 0, v4
	v_cndmask_b32_e64 v4, 0, 1, vcc
	s_mov_b64 s[18:19], -1
	s_mov_b64 s[0:1], 0
	global_store_byte v[0:1], v4, off
.LBB215_227:
	s_mov_b64 s[26:27], 0
.LBB215_228:
	s_and_b64 vcc, exec, s[26:27]
	s_cbranch_vccz .LBB215_267
; %bb.229:
	s_and_b32 s26, 0xffff, s34
	s_cmp_lt_i32 s26, 5
	s_mov_b64 s[18:19], -1
	s_cbranch_scc1 .LBB215_250
; %bb.230:
	s_cmp_lt_i32 s26, 8
	s_cbranch_scc1 .LBB215_240
; %bb.231:
	s_cmp_lt_i32 s26, 9
	s_cbranch_scc1 .LBB215_237
; %bb.232:
	s_cmp_gt_i32 s26, 9
	s_cbranch_scc0 .LBB215_234
; %bb.233:
	v_cvt_f32_f16_e32 v4, v3
	v_mov_b32_e32 v6, 0
	v_mov_b32_e32 v7, v6
	s_mov_b64 s[18:19], 0
	v_cvt_f64_f32_e32 v[4:5], v4
	global_store_dwordx4 v[0:1], v[4:7], off
.LBB215_234:
	s_andn2_b64 vcc, exec, s[18:19]
	s_cbranch_vccnz .LBB215_236
; %bb.235:
	v_cvt_f32_f16_e32 v4, v3
	v_mov_b32_e32 v5, 0
	global_store_dwordx2 v[0:1], v[4:5], off
.LBB215_236:
	s_mov_b64 s[18:19], 0
.LBB215_237:
	s_andn2_b64 vcc, exec, s[18:19]
	s_cbranch_vccnz .LBB215_239
; %bb.238:
	v_and_b32_e32 v4, 0xffff, v3
	global_store_dword v[0:1], v4, off
.LBB215_239:
	s_mov_b64 s[18:19], 0
.LBB215_240:
	s_andn2_b64 vcc, exec, s[18:19]
	s_cbranch_vccnz .LBB215_249
; %bb.241:
	s_cmp_lt_i32 s26, 6
	s_mov_b64 s[18:19], -1
	s_cbranch_scc1 .LBB215_247
; %bb.242:
	s_cmp_gt_i32 s26, 6
	s_cbranch_scc0 .LBB215_244
; %bb.243:
	v_cvt_f32_f16_e32 v4, v3
	s_mov_b64 s[18:19], 0
	v_cvt_f64_f32_e32 v[4:5], v4
	global_store_dwordx2 v[0:1], v[4:5], off
.LBB215_244:
	s_andn2_b64 vcc, exec, s[18:19]
	s_cbranch_vccnz .LBB215_246
; %bb.245:
	v_cvt_f32_f16_e32 v4, v3
	global_store_dword v[0:1], v4, off
.LBB215_246:
	s_mov_b64 s[18:19], 0
.LBB215_247:
	s_andn2_b64 vcc, exec, s[18:19]
	s_cbranch_vccnz .LBB215_249
; %bb.248:
	global_store_short v[0:1], v3, off
.LBB215_249:
	s_mov_b64 s[18:19], 0
.LBB215_250:
	s_andn2_b64 vcc, exec, s[18:19]
	s_cbranch_vccnz .LBB215_266
; %bb.251:
	s_cmp_lt_i32 s26, 2
	s_mov_b64 s[18:19], -1
	s_cbranch_scc1 .LBB215_261
; %bb.252:
	s_cmp_lt_i32 s26, 3
	s_cbranch_scc1 .LBB215_258
; %bb.253:
	s_cmp_gt_i32 s26, 3
	s_cbranch_scc0 .LBB215_255
; %bb.254:
	v_cvt_f32_f16_e32 v4, v3
	s_mov_b64 s[18:19], 0
	v_cvt_i32_f32_e32 v4, v4
	v_ashrrev_i32_e32 v5, 31, v4
	global_store_dwordx2 v[0:1], v[4:5], off
.LBB215_255:
	s_andn2_b64 vcc, exec, s[18:19]
	s_cbranch_vccnz .LBB215_257
; %bb.256:
	v_cvt_f32_f16_e32 v4, v3
	v_cvt_i32_f32_e32 v4, v4
	global_store_dword v[0:1], v4, off
.LBB215_257:
	s_mov_b64 s[18:19], 0
.LBB215_258:
	s_andn2_b64 vcc, exec, s[18:19]
	s_cbranch_vccnz .LBB215_260
; %bb.259:
	v_cvt_i16_f16_e32 v4, v3
	global_store_short v[0:1], v4, off
.LBB215_260:
	s_mov_b64 s[18:19], 0
.LBB215_261:
	s_andn2_b64 vcc, exec, s[18:19]
	s_cbranch_vccnz .LBB215_266
; %bb.262:
	s_cmp_gt_i32 s26, 0
	s_mov_b64 s[18:19], -1
	s_cbranch_scc0 .LBB215_264
; %bb.263:
	v_cvt_i16_f16_e32 v4, v3
	global_store_byte v[0:1], v4, off
	s_mov_b64 s[18:19], 0
.LBB215_264:
	s_andn2_b64 vcc, exec, s[18:19]
	s_cbranch_vccnz .LBB215_266
; %bb.265:
	v_cvt_f32_f16_e32 v3, v3
	v_cvt_i32_f32_e32 v3, v3
	global_store_byte v[0:1], v3, off
.LBB215_266:
	s_mov_b64 s[18:19], -1
.LBB215_267:
	s_andn2_b64 vcc, exec, s[18:19]
	s_cbranch_vccnz .LBB215_269
; %bb.268:
	v_add_u32_e32 v2, 0x80, v2
	s_mov_b64 s[26:27], -1
	s_branch .LBB215_382
.LBB215_269:
	s_mov_b64 s[26:27], 0
                                        ; implicit-def: $vgpr2
	s_branch .LBB215_382
.LBB215_270:
	s_mov_b64 s[20:21], -1
                                        ; implicit-def: $vgpr4
.LBB215_271:
	s_mov_b64 s[18:19], 0
.LBB215_272:
	s_and_b64 vcc, exec, s[18:19]
	s_cbranch_vccz .LBB215_276
; %bb.273:
	s_cmp_eq_u32 s31, 29
	s_cbranch_scc0 .LBB215_275
; %bb.274:
	global_load_dwordx2 v[4:5], v[0:1], off
	s_mov_b64 s[0:1], -1
	s_mov_b64 s[20:21], 0
	s_mov_b64 s[18:19], 0
	s_waitcnt vmcnt(0)
	v_ffbh_u32_e32 v6, v5
	v_min_u32_e32 v6, 32, v6
	v_lshlrev_b64 v[4:5], v6, v[4:5]
	v_min_u32_e32 v4, 1, v4
	v_or_b32_e32 v4, v5, v4
	v_cvt_f32_u32_e32 v4, v4
	v_sub_u32_e32 v5, 32, v6
	v_ldexp_f32 v4, v4, v5
	v_cvt_f16_f32_e32 v4, v4
	s_branch .LBB215_277
.LBB215_275:
	s_mov_b64 s[20:21], -1
                                        ; implicit-def: $vgpr4
.LBB215_276:
	s_mov_b64 s[18:19], 0
.LBB215_277:
	s_and_b64 vcc, exec, s[18:19]
	s_cbranch_vccz .LBB215_295
; %bb.278:
	s_cmp_lt_i32 s31, 27
	s_cbranch_scc1 .LBB215_281
; %bb.279:
	s_cmp_gt_i32 s31, 27
	s_cbranch_scc0 .LBB215_282
; %bb.280:
	global_load_dword v4, v[0:1], off
	s_mov_b64 s[0:1], 0
	s_waitcnt vmcnt(0)
	v_cvt_f32_u32_e32 v4, v4
	v_cvt_f16_f32_e32 v4, v4
	s_branch .LBB215_283
.LBB215_281:
	s_mov_b64 s[0:1], -1
                                        ; implicit-def: $vgpr4
	s_branch .LBB215_286
.LBB215_282:
	s_mov_b64 s[0:1], -1
                                        ; implicit-def: $vgpr4
.LBB215_283:
	s_andn2_b64 vcc, exec, s[0:1]
	s_cbranch_vccnz .LBB215_285
; %bb.284:
	global_load_ushort v4, v[0:1], off
	s_waitcnt vmcnt(0)
	v_cvt_f16_u16_e32 v4, v4
.LBB215_285:
	s_mov_b64 s[0:1], 0
.LBB215_286:
	s_andn2_b64 vcc, exec, s[0:1]
	s_cbranch_vccnz .LBB215_294
; %bb.287:
	global_load_ubyte v5, v[0:1], off
	s_movk_i32 s0, 0x7f
	s_waitcnt vmcnt(0)
	v_cmp_lt_i16_e32 vcc, s0, v5
	s_mov_b64 s[0:1], 0
	s_and_saveexec_b64 s[18:19], vcc
	s_xor_b64 s[18:19], exec, s[18:19]
	s_cbranch_execz .LBB215_308
; %bb.288:
	s_movk_i32 s0, 0x80
	v_cmp_eq_u16_e32 vcc, s0, v5
	s_mov_b64 s[0:1], -1
	s_and_saveexec_b64 s[26:27], vcc
; %bb.289:
	s_xor_b64 s[0:1], exec, -1
; %bb.290:
	s_or_b64 exec, exec, s[26:27]
	s_and_b64 s[0:1], s[0:1], exec
	s_or_saveexec_b64 s[18:19], s[18:19]
	v_mov_b32_e32 v4, 0x7e00
	s_xor_b64 exec, exec, s[18:19]
	s_cbranch_execnz .LBB215_309
.LBB215_291:
	s_or_b64 exec, exec, s[18:19]
	s_and_saveexec_b64 s[18:19], s[0:1]
	s_cbranch_execz .LBB215_293
.LBB215_292:
	v_lshlrev_b32_e32 v4, 24, v5
	v_and_b32_e32 v5, 0xffff, v5
	v_and_b32_e32 v6, 7, v5
	v_ffbh_u32_e32 v8, v6
	v_min_u32_e32 v8, 32, v8
	v_subrev_u32_e32 v9, 28, v8
	v_bfe_u32 v7, v5, 3, 4
	v_lshlrev_b32_e32 v5, v9, v5
	v_sub_u32_e32 v8, 29, v8
	v_and_b32_e32 v5, 7, v5
	v_cmp_eq_u32_e32 vcc, 0, v7
	v_cndmask_b32_e32 v7, v7, v8, vcc
	v_cndmask_b32_e32 v5, v6, v5, vcc
	v_mov_b32_e32 v6, 0x3b800000
	v_lshlrev_b32_e32 v5, 20, v5
	v_and_b32_e32 v4, 0x80000000, v4
	v_lshl_add_u32 v6, v7, 23, v6
	v_or3_b32 v4, v4, v6, v5
	v_cvt_f16_f32_e32 v4, v4
.LBB215_293:
	s_or_b64 exec, exec, s[18:19]
.LBB215_294:
	s_mov_b64 s[0:1], -1
.LBB215_295:
	s_mov_b64 s[18:19], 0
.LBB215_296:
	s_and_b64 vcc, exec, s[18:19]
	s_cbranch_vccz .LBB215_331
; %bb.297:
	s_cmp_gt_i32 s31, 22
	s_cbranch_scc0 .LBB215_307
; %bb.298:
	s_cmp_lt_i32 s31, 24
	s_cbranch_scc1 .LBB215_310
; %bb.299:
	s_cmp_gt_i32 s31, 24
	s_cbranch_scc0 .LBB215_311
; %bb.300:
	global_load_ubyte v5, v[0:1], off
	s_movk_i32 s0, 0x7f
	s_waitcnt vmcnt(0)
	v_cmp_lt_i16_e32 vcc, s0, v5
	s_mov_b64 s[0:1], 0
	s_and_saveexec_b64 s[18:19], vcc
	s_xor_b64 s[18:19], exec, s[18:19]
	s_cbranch_execz .LBB215_323
; %bb.301:
	s_movk_i32 s0, 0x80
	v_cmp_eq_u16_e32 vcc, s0, v5
	s_mov_b64 s[0:1], -1
	s_and_saveexec_b64 s[26:27], vcc
; %bb.302:
	s_xor_b64 s[0:1], exec, -1
; %bb.303:
	s_or_b64 exec, exec, s[26:27]
	s_and_b64 s[0:1], s[0:1], exec
	s_or_saveexec_b64 s[18:19], s[18:19]
	v_mov_b32_e32 v4, 0x7e00
	s_xor_b64 exec, exec, s[18:19]
	s_cbranch_execnz .LBB215_324
.LBB215_304:
	s_or_b64 exec, exec, s[18:19]
	s_and_saveexec_b64 s[18:19], s[0:1]
	s_cbranch_execz .LBB215_306
.LBB215_305:
	v_lshlrev_b32_e32 v4, 24, v5
	v_and_b32_e32 v5, 0xffff, v5
	v_and_b32_e32 v6, 3, v5
	v_ffbh_u32_e32 v8, v6
	v_min_u32_e32 v8, 32, v8
	v_subrev_u32_e32 v9, 29, v8
	v_bfe_u32 v7, v5, 2, 5
	v_lshlrev_b32_e32 v5, v9, v5
	v_sub_u32_e32 v8, 30, v8
	v_and_b32_e32 v5, 3, v5
	v_cmp_eq_u32_e32 vcc, 0, v7
	v_cndmask_b32_e32 v7, v7, v8, vcc
	v_cndmask_b32_e32 v5, v6, v5, vcc
	v_mov_b32_e32 v6, 0x37800000
	v_lshlrev_b32_e32 v5, 21, v5
	v_and_b32_e32 v4, 0x80000000, v4
	v_lshl_add_u32 v6, v7, 23, v6
	v_or3_b32 v4, v4, v6, v5
	v_cvt_f16_f32_e32 v4, v4
.LBB215_306:
	s_or_b64 exec, exec, s[18:19]
	s_mov_b64 s[0:1], 0
	s_branch .LBB215_312
.LBB215_307:
	s_mov_b64 s[18:19], -1
                                        ; implicit-def: $vgpr4
	s_branch .LBB215_318
.LBB215_308:
	s_or_saveexec_b64 s[18:19], s[18:19]
	v_mov_b32_e32 v4, 0x7e00
	s_xor_b64 exec, exec, s[18:19]
	s_cbranch_execz .LBB215_291
.LBB215_309:
	v_cmp_ne_u16_e32 vcc, 0, v5
	s_andn2_b64 s[0:1], s[0:1], exec
	s_and_b64 s[26:27], vcc, exec
	s_or_b64 s[0:1], s[0:1], s[26:27]
	v_mov_b32_e32 v4, v5
	s_or_b64 exec, exec, s[18:19]
	s_and_saveexec_b64 s[18:19], s[0:1]
	s_cbranch_execnz .LBB215_292
	s_branch .LBB215_293
.LBB215_310:
	s_mov_b64 s[0:1], -1
                                        ; implicit-def: $vgpr4
	s_branch .LBB215_315
.LBB215_311:
	s_mov_b64 s[0:1], -1
                                        ; implicit-def: $vgpr4
.LBB215_312:
	s_and_b64 vcc, exec, s[0:1]
	s_cbranch_vccz .LBB215_314
; %bb.313:
	global_load_ubyte v4, v[0:1], off
	s_mov_b32 s0, 0x7f800000
	s_waitcnt vmcnt(0)
	v_lshlrev_b32_e32 v4, 24, v4
	v_and_b32_e32 v5, 0x7f000000, v4
	v_ffbh_u32_e32 v6, v5
	v_min_u32_e32 v6, 32, v6
	v_sub_u32_e64 v6, v6, 4 clamp
	v_lshlrev_b32_e32 v8, v6, v5
	v_lshlrev_b32_e32 v6, 23, v6
	v_lshrrev_b32_e32 v8, 4, v8
	v_add_u32_e32 v7, 0x1000000, v5
	v_sub_u32_e32 v6, v8, v6
	v_ashrrev_i32_e32 v7, 8, v7
	v_add_u32_e32 v6, 0x3c000000, v6
	v_and_or_b32 v6, v7, s0, v6
	v_cmp_ne_u32_e32 vcc, 0, v5
	v_cndmask_b32_e32 v5, 0, v6, vcc
	s_brev_b32 s0, 1
	v_and_or_b32 v4, v4, s0, v5
	v_cvt_f16_f32_e32 v4, v4
.LBB215_314:
	s_mov_b64 s[0:1], 0
.LBB215_315:
	s_andn2_b64 vcc, exec, s[0:1]
	s_cbranch_vccnz .LBB215_317
; %bb.316:
	global_load_ubyte v4, v[0:1], off
	s_movk_i32 s0, 0x7f00
	s_brev_b32 s1, 16
	s_waitcnt vmcnt(0)
	v_lshlrev_b16_e32 v5, 8, v4
	v_lshlrev_b32_e32 v4, 25, v4
	v_lshrrev_b32_e32 v6, 4, v4
	v_and_or_b32 v7, v5, s0, 0.5
	v_or_b32_e32 v6, 0x70000000, v6
	v_add_f32_e32 v7, -0.5, v7
	v_mul_f32_e32 v6, 0x7800000, v6
	v_cmp_gt_u32_e32 vcc, s1, v4
	v_bfe_i32 v5, v5, 0, 16
	v_cndmask_b32_e32 v4, v6, v7, vcc
	s_brev_b32 s0, 1
	v_and_or_b32 v4, v5, s0, v4
	v_cvt_f16_f32_e32 v4, v4
.LBB215_317:
	s_mov_b64 s[18:19], 0
	s_mov_b64 s[0:1], -1
.LBB215_318:
	s_andn2_b64 vcc, exec, s[18:19]
	s_cbranch_vccnz .LBB215_331
; %bb.319:
	s_cmp_gt_i32 s31, 14
	s_cbranch_scc0 .LBB215_322
; %bb.320:
	s_cmp_eq_u32 s31, 15
	s_cbranch_scc0 .LBB215_325
; %bb.321:
	global_load_ushort v4, v[0:1], off
	s_mov_b64 s[0:1], -1
	s_mov_b64 s[20:21], 0
	s_waitcnt vmcnt(0)
	v_lshlrev_b32_e32 v4, 16, v4
	v_cvt_f16_f32_e32 v4, v4
	s_branch .LBB215_326
.LBB215_322:
	s_mov_b64 s[18:19], -1
                                        ; implicit-def: $vgpr4
	s_branch .LBB215_327
.LBB215_323:
	s_or_saveexec_b64 s[18:19], s[18:19]
	v_mov_b32_e32 v4, 0x7e00
	s_xor_b64 exec, exec, s[18:19]
	s_cbranch_execz .LBB215_304
.LBB215_324:
	v_cmp_ne_u16_e32 vcc, 0, v5
	s_andn2_b64 s[0:1], s[0:1], exec
	s_and_b64 s[26:27], vcc, exec
	s_or_b64 s[0:1], s[0:1], s[26:27]
	v_mov_b32_e32 v4, v5
	s_or_b64 exec, exec, s[18:19]
	s_and_saveexec_b64 s[18:19], s[0:1]
	s_cbranch_execnz .LBB215_305
	s_branch .LBB215_306
.LBB215_325:
	s_mov_b64 s[20:21], -1
                                        ; implicit-def: $vgpr4
.LBB215_326:
	s_mov_b64 s[18:19], 0
.LBB215_327:
	s_and_b64 vcc, exec, s[18:19]
	s_cbranch_vccz .LBB215_331
; %bb.328:
	s_cmp_eq_u32 s31, 11
	s_cbranch_scc0 .LBB215_330
; %bb.329:
	global_load_ubyte v4, v[0:1], off
	v_mov_b32_e32 v5, 0x3c00
	s_mov_b64 s[0:1], -1
	s_mov_b64 s[20:21], 0
	s_waitcnt vmcnt(0)
	v_cmp_ne_u16_e32 vcc, 0, v4
	v_cndmask_b32_e32 v4, 0, v5, vcc
	s_branch .LBB215_331
.LBB215_330:
	s_mov_b64 s[20:21], -1
                                        ; implicit-def: $vgpr4
.LBB215_331:
	s_branch .LBB215_20
.LBB215_332:
	s_and_b32 s18, 0xffff, s30
	s_cmp_lt_i32 s18, 5
	s_cbranch_scc1 .LBB215_337
; %bb.333:
	s_cmp_lt_i32 s18, 8
	s_cbranch_scc1 .LBB215_338
; %bb.334:
	;; [unrolled: 3-line block ×3, first 2 shown]
	s_cmp_gt_i32 s18, 9
	s_cbranch_scc0 .LBB215_340
; %bb.336:
	global_load_dwordx2 v[4:5], v[0:1], off
	s_movk_i32 s0, 0x1ff
	s_movk_i32 s1, 0xffe
	v_mov_b32_e32 v6, 0x7c00
	v_mov_b32_e32 v7, 0x7e00
	s_movk_i32 s19, 0x40f
	s_mov_b32 s26, 0x8000
	s_waitcnt vmcnt(0)
	v_and_or_b32 v4, v5, s0, v4
	v_cmp_ne_u32_e32 vcc, 0, v4
	v_lshrrev_b32_e32 v8, 8, v5
	v_bfe_u32 v9, v5, 20, 11
	v_cndmask_b32_e64 v4, 0, 1, vcc
	v_sub_u32_e32 v10, 0x3f1, v9
	v_and_or_b32 v4, v8, s1, v4
	v_add_u32_e32 v9, 0xfffffc10, v9
	v_med3_i32 v8, v10, 0, 13
	v_or_b32_e32 v10, 0x1000, v4
	v_cmp_ne_u32_e32 vcc, 0, v4
	v_lshl_or_b32 v11, v9, 12, v4
	v_cndmask_b32_e32 v4, v6, v7, vcc
	v_lshrrev_b32_e32 v7, v8, v10
	v_lshlrev_b32_e32 v8, v8, v7
	v_cmp_ne_u32_e32 vcc, v8, v10
	v_cndmask_b32_e64 v8, 0, 1, vcc
	v_or_b32_e32 v7, v7, v8
	v_cmp_gt_i32_e32 vcc, 1, v9
	v_cndmask_b32_e32 v7, v11, v7, vcc
	v_and_b32_e32 v8, 7, v7
	v_cmp_lt_i32_e32 vcc, 5, v8
	v_cndmask_b32_e64 v10, 0, 1, vcc
	v_cmp_eq_u32_e32 vcc, 3, v8
	v_cndmask_b32_e64 v8, 0, 1, vcc
	v_lshrrev_b32_e32 v7, 2, v7
	v_or_b32_e32 v8, v8, v10
	v_add_u32_e32 v7, v7, v8
	v_cmp_gt_i32_e32 vcc, 31, v9
	v_cndmask_b32_e32 v6, v6, v7, vcc
	v_cmp_eq_u32_e32 vcc, s19, v9
	v_lshrrev_b32_e32 v5, 16, v5
	v_cndmask_b32_e32 v4, v6, v4, vcc
	v_and_or_b32 v4, v5, s26, v4
	s_mov_b64 s[0:1], 0
	s_branch .LBB215_341
.LBB215_337:
	s_mov_b64 s[0:1], -1
                                        ; implicit-def: $vgpr4
	s_branch .LBB215_359
.LBB215_338:
	s_mov_b64 s[0:1], -1
                                        ; implicit-def: $vgpr4
	s_branch .LBB215_347
.LBB215_339:
	s_mov_b64 s[0:1], -1
                                        ; implicit-def: $vgpr4
	s_branch .LBB215_344
.LBB215_340:
	s_mov_b64 s[0:1], -1
                                        ; implicit-def: $vgpr4
.LBB215_341:
	s_andn2_b64 vcc, exec, s[0:1]
	s_cbranch_vccnz .LBB215_343
; %bb.342:
	global_load_dword v4, v[0:1], off
	s_waitcnt vmcnt(0)
	v_cvt_f16_f32_e32 v4, v4
.LBB215_343:
	s_mov_b64 s[0:1], 0
.LBB215_344:
	s_andn2_b64 vcc, exec, s[0:1]
	s_cbranch_vccnz .LBB215_346
; %bb.345:
	global_load_dword v4, v[0:1], off
.LBB215_346:
	s_mov_b64 s[0:1], 0
.LBB215_347:
	s_andn2_b64 vcc, exec, s[0:1]
	s_cbranch_vccnz .LBB215_358
; %bb.348:
	s_cmp_lt_i32 s18, 6
	s_cbranch_scc1 .LBB215_351
; %bb.349:
	s_cmp_gt_i32 s18, 6
	s_cbranch_scc0 .LBB215_352
; %bb.350:
	global_load_dwordx2 v[4:5], v[0:1], off
	s_movk_i32 s0, 0x1ff
	s_movk_i32 s1, 0xffe
	v_mov_b32_e32 v6, 0x7c00
	v_mov_b32_e32 v7, 0x7e00
	s_movk_i32 s19, 0x40f
	s_mov_b32 s26, 0x8000
	s_waitcnt vmcnt(0)
	v_and_or_b32 v4, v5, s0, v4
	v_cmp_ne_u32_e32 vcc, 0, v4
	v_lshrrev_b32_e32 v8, 8, v5
	v_bfe_u32 v9, v5, 20, 11
	v_cndmask_b32_e64 v4, 0, 1, vcc
	v_sub_u32_e32 v10, 0x3f1, v9
	v_and_or_b32 v4, v8, s1, v4
	v_add_u32_e32 v9, 0xfffffc10, v9
	v_med3_i32 v8, v10, 0, 13
	v_or_b32_e32 v10, 0x1000, v4
	v_cmp_ne_u32_e32 vcc, 0, v4
	v_lshl_or_b32 v11, v9, 12, v4
	v_cndmask_b32_e32 v4, v6, v7, vcc
	v_lshrrev_b32_e32 v7, v8, v10
	v_lshlrev_b32_e32 v8, v8, v7
	v_cmp_ne_u32_e32 vcc, v8, v10
	v_cndmask_b32_e64 v8, 0, 1, vcc
	v_or_b32_e32 v7, v7, v8
	v_cmp_gt_i32_e32 vcc, 1, v9
	v_cndmask_b32_e32 v7, v11, v7, vcc
	v_and_b32_e32 v8, 7, v7
	v_cmp_lt_i32_e32 vcc, 5, v8
	v_cndmask_b32_e64 v10, 0, 1, vcc
	v_cmp_eq_u32_e32 vcc, 3, v8
	v_cndmask_b32_e64 v8, 0, 1, vcc
	v_lshrrev_b32_e32 v7, 2, v7
	v_or_b32_e32 v8, v8, v10
	v_add_u32_e32 v7, v7, v8
	v_cmp_gt_i32_e32 vcc, 31, v9
	v_cndmask_b32_e32 v6, v6, v7, vcc
	v_cmp_eq_u32_e32 vcc, s19, v9
	v_lshrrev_b32_e32 v5, 16, v5
	v_cndmask_b32_e32 v4, v6, v4, vcc
	v_and_or_b32 v4, v5, s26, v4
	s_mov_b64 s[0:1], 0
	s_branch .LBB215_353
.LBB215_351:
	s_mov_b64 s[0:1], -1
                                        ; implicit-def: $vgpr4
	s_branch .LBB215_356
.LBB215_352:
	s_mov_b64 s[0:1], -1
                                        ; implicit-def: $vgpr4
.LBB215_353:
	s_andn2_b64 vcc, exec, s[0:1]
	s_cbranch_vccnz .LBB215_355
; %bb.354:
	global_load_dword v4, v[0:1], off
	s_waitcnt vmcnt(0)
	v_cvt_f16_f32_e32 v4, v4
.LBB215_355:
	s_mov_b64 s[0:1], 0
.LBB215_356:
	s_andn2_b64 vcc, exec, s[0:1]
	s_cbranch_vccnz .LBB215_358
; %bb.357:
	global_load_ushort v4, v[0:1], off
.LBB215_358:
	s_mov_b64 s[0:1], 0
.LBB215_359:
	s_andn2_b64 vcc, exec, s[0:1]
	s_cbranch_vccnz .LBB215_379
; %bb.360:
	s_cmp_lt_i32 s18, 2
	s_cbranch_scc1 .LBB215_364
; %bb.361:
	s_cmp_lt_i32 s18, 3
	s_cbranch_scc1 .LBB215_365
; %bb.362:
	s_cmp_gt_i32 s18, 3
	s_cbranch_scc0 .LBB215_366
; %bb.363:
	global_load_dwordx2 v[4:5], v[0:1], off
	s_mov_b64 s[0:1], 0
	s_waitcnt vmcnt(0)
	v_xor_b32_e32 v7, v4, v5
	v_ffbh_i32_e32 v6, v5
	v_ashrrev_i32_e32 v7, 31, v7
	v_add_u32_e32 v6, -1, v6
	v_add_u32_e32 v7, 32, v7
	v_min_u32_e32 v6, v6, v7
	v_lshlrev_b64 v[4:5], v6, v[4:5]
	v_min_u32_e32 v4, 1, v4
	v_or_b32_e32 v4, v5, v4
	v_cvt_f32_i32_e32 v4, v4
	v_sub_u32_e32 v5, 32, v6
	v_ldexp_f32 v4, v4, v5
	v_cvt_f16_f32_e32 v4, v4
	s_branch .LBB215_367
.LBB215_364:
	s_mov_b64 s[0:1], -1
                                        ; implicit-def: $vgpr4
	s_branch .LBB215_373
.LBB215_365:
	s_mov_b64 s[0:1], -1
                                        ; implicit-def: $vgpr4
	s_branch .LBB215_370
.LBB215_366:
	s_mov_b64 s[0:1], -1
                                        ; implicit-def: $vgpr4
.LBB215_367:
	s_andn2_b64 vcc, exec, s[0:1]
	s_cbranch_vccnz .LBB215_369
; %bb.368:
	global_load_dword v4, v[0:1], off
	s_waitcnt vmcnt(0)
	v_cvt_f32_i32_e32 v4, v4
	v_cvt_f16_f32_e32 v4, v4
.LBB215_369:
	s_mov_b64 s[0:1], 0
.LBB215_370:
	s_andn2_b64 vcc, exec, s[0:1]
	s_cbranch_vccnz .LBB215_372
; %bb.371:
	global_load_ushort v4, v[0:1], off
	s_waitcnt vmcnt(0)
	v_cvt_f16_i16_e32 v4, v4
.LBB215_372:
	s_mov_b64 s[0:1], 0
.LBB215_373:
	s_andn2_b64 vcc, exec, s[0:1]
	s_cbranch_vccnz .LBB215_379
; %bb.374:
	s_cmp_gt_i32 s18, 0
	s_cbranch_scc0 .LBB215_376
; %bb.375:
	global_load_sbyte v4, v[0:1], off
	s_mov_b64 s[0:1], 0
	s_waitcnt vmcnt(0)
	v_cvt_f16_i16_e32 v4, v4
	s_branch .LBB215_377
.LBB215_376:
	s_mov_b64 s[0:1], -1
                                        ; implicit-def: $vgpr4
.LBB215_377:
	s_andn2_b64 vcc, exec, s[0:1]
	s_cbranch_vccnz .LBB215_379
; %bb.378:
	global_load_ubyte v0, v[0:1], off
	s_waitcnt vmcnt(0)
	v_cvt_f16_u16_e32 v4, v0
.LBB215_379:
	s_branch .LBB215_21
.LBB215_380:
	s_mov_b64 s[0:1], 0
.LBB215_381:
                                        ; implicit-def: $vgpr2
	s_mov_b64 s[26:27], 0
.LBB215_382:
	s_and_b64 s[18:19], s[0:1], exec
	s_and_b64 s[20:21], s[20:21], exec
	;; [unrolled: 1-line block ×3, first 2 shown]
	s_orn2_b64 s[0:1], s[26:27], exec
.LBB215_383:
	s_or_b64 exec, exec, s[24:25]
	s_mov_b64 s[34:35], 0
	s_mov_b64 s[30:31], 0
                                        ; implicit-def: $sgpr57
                                        ; implicit-def: $vgpr0_vgpr1
                                        ; implicit-def: $vgpr3
	s_and_saveexec_b64 s[24:25], s[0:1]
	s_cbranch_execz .LBB215_392
; %bb.384:
	v_cmp_gt_i32_e32 vcc, s50, v2
	s_mov_b64 s[0:1], -1
	s_mov_b64 s[26:27], s[22:23]
	s_mov_b64 s[28:29], s[20:21]
	;; [unrolled: 1-line block ×3, first 2 shown]
	s_and_saveexec_b64 s[34:35], vcc
	s_cbranch_execz .LBB215_773
; %bb.385:
	v_mul_lo_u32 v0, v2, s13
	v_mov_b32_e32 v1, s11
	s_and_b32 s36, s56, 0xff
	s_cmp_lt_i32 s36, 11
	s_waitcnt vmcnt(0)
	v_ashrrev_i32_e32 v3, 31, v0
	v_add_co_u32_e32 v0, vcc, s10, v0
	v_addc_co_u32_e32 v1, vcc, v1, v3, vcc
	s_cbranch_scc1 .LBB215_395
; %bb.386:
	s_and_b32 s37, 0xffff, s36
	s_cmp_gt_i32 s37, 25
	s_cbranch_scc0 .LBB215_404
; %bb.387:
	s_cmp_gt_i32 s37, 28
	s_cbranch_scc0 .LBB215_406
; %bb.388:
	;; [unrolled: 3-line block ×4, first 2 shown]
	s_cmp_eq_u32 s37, 46
	s_mov_b64 s[28:29], 0
	s_cbranch_scc0 .LBB215_414
; %bb.391:
	global_load_dword v3, v[0:1], off
	s_mov_b64 s[26:27], 0
	s_waitcnt vmcnt(0)
	v_lshlrev_b32_e32 v3, 16, v3
	v_cvt_f16_f32_e32 v3, v3
	s_branch .LBB215_415
.LBB215_392:
	s_or_b64 exec, exec, s[24:25]
	s_mov_b64 s[24:25], 0
	s_and_saveexec_b64 s[0:1], s[22:23]
	s_cbranch_execnz .LBB215_1248
.LBB215_393:
	s_or_b64 exec, exec, s[0:1]
	s_and_saveexec_b64 s[0:1], s[28:29]
	s_xor_b64 s[0:1], exec, s[0:1]
	s_cbranch_execz .LBB215_1249
.LBB215_394:
	global_load_ubyte v3, v[0:1], off
	s_waitcnt vmcnt(1)
	v_mov_b32_e32 v4, 0x3c00
	s_or_b64 s[30:31], s[30:31], exec
	s_waitcnt vmcnt(0)
	v_cmp_ne_u16_e32 vcc, 0, v3
	v_cndmask_b32_e32 v3, 0, v4, vcc
	s_or_b64 exec, exec, s[0:1]
	s_and_saveexec_b64 s[0:1], s[34:35]
	s_cbranch_execz .LBB215_1295
	s_branch .LBB215_1250
.LBB215_395:
	s_mov_b64 s[0:1], 0
                                        ; implicit-def: $vgpr3
	s_mov_b64 s[26:27], s[22:23]
	s_cbranch_execnz .LBB215_481
.LBB215_396:
	s_andn2_b64 vcc, exec, s[0:1]
	s_cbranch_vccnz .LBB215_529
.LBB215_397:
	v_mul_lo_u32 v0, v2, s14
	v_mov_b32_e32 v1, s17
	s_and_b32 s38, s15, 0xff
	s_cmp_lt_i32 s38, 11
	v_ashrrev_i32_e32 v4, 31, v0
	v_add_co_u32_e32 v0, vcc, s16, v0
	v_addc_co_u32_e32 v1, vcc, v1, v4, vcc
	s_cbranch_scc1 .LBB215_405
; %bb.398:
	s_and_b32 s39, 0xffff, s38
	s_cmp_gt_i32 s39, 25
	s_cbranch_scc0 .LBB215_407
; %bb.399:
	s_cmp_gt_i32 s39, 28
	s_cbranch_scc0 .LBB215_409
; %bb.400:
	;; [unrolled: 3-line block ×4, first 2 shown]
	s_cmp_eq_u32 s39, 46
	s_mov_b64 s[30:31], 0
	s_cbranch_scc0 .LBB215_533
; %bb.403:
	global_load_dword v4, v[0:1], off
	s_mov_b64 s[0:1], -1
	s_mov_b64 s[28:29], 0
	s_waitcnt vmcnt(0)
	v_lshlrev_b32_e32 v4, 16, v4
	v_cvt_f16_f32_e32 v4, v4
	s_branch .LBB215_534
.LBB215_404:
	s_mov_b64 s[28:29], -1
	s_mov_b64 s[0:1], 0
	s_mov_b64 s[26:27], s[22:23]
                                        ; implicit-def: $vgpr3
	s_branch .LBB215_445
.LBB215_405:
	s_mov_b64 s[30:31], -1
	s_mov_b64 s[0:1], 0
                                        ; implicit-def: $vgpr4
	s_mov_b64 s[28:29], s[20:21]
	s_branch .LBB215_599
.LBB215_406:
	s_mov_b64 s[28:29], -1
	s_mov_b64 s[0:1], 0
	s_mov_b64 s[26:27], s[22:23]
                                        ; implicit-def: $vgpr3
	s_branch .LBB215_426
.LBB215_407:
	s_mov_b64 s[30:31], -1
	s_mov_b64 s[0:1], 0
	s_mov_b64 s[28:29], s[20:21]
                                        ; implicit-def: $vgpr4
	s_branch .LBB215_563
.LBB215_408:
	s_mov_b64 s[28:29], -1
	s_mov_b64 s[0:1], 0
	s_mov_b64 s[26:27], s[22:23]
                                        ; implicit-def: $vgpr3
	s_branch .LBB215_421
.LBB215_409:
	s_mov_b64 s[30:31], -1
	s_mov_b64 s[0:1], 0
	s_mov_b64 s[28:29], s[20:21]
                                        ; implicit-def: $vgpr4
	s_branch .LBB215_544
.LBB215_410:
	s_mov_b64 s[28:29], -1
	s_mov_b64 s[0:1], 0
	s_mov_b64 s[26:27], s[22:23]
                                        ; implicit-def: $vgpr3
	s_branch .LBB215_415
.LBB215_411:
	s_mov_b64 s[30:31], -1
	s_mov_b64 s[0:1], 0
	s_mov_b64 s[28:29], s[20:21]
                                        ; implicit-def: $vgpr4
	s_branch .LBB215_539
.LBB215_412:
	s_andn2_saveexec_b64 s[30:31], s[30:31]
	s_cbranch_execz .LBB215_180
.LBB215_413:
	s_mov_b32 s36, 0x46000000
	v_add_f32_e64 v5, |v4|, s36
	v_and_b32_e32 v5, 0xff, v5
	v_cmp_ne_u32_e32 vcc, 0, v5
	s_andn2_b64 s[26:27], s[26:27], exec
	s_and_b64 s[36:37], vcc, exec
	s_or_b64 s[26:27], s[26:27], s[36:37]
	s_or_b64 exec, exec, s[30:31]
	v_mov_b32_e32 v6, 0
	s_and_saveexec_b64 s[30:31], s[26:27]
	s_cbranch_execnz .LBB215_181
	s_branch .LBB215_182
.LBB215_414:
	s_mov_b64 s[26:27], -1
                                        ; implicit-def: $vgpr3
	s_mov_b64 s[0:1], 0
.LBB215_415:
	s_and_b64 vcc, exec, s[28:29]
	s_cbranch_vccz .LBB215_420
; %bb.416:
	s_cmp_eq_u32 s37, 44
	s_cbranch_scc0 .LBB215_419
; %bb.417:
	global_load_ubyte v3, v[0:1], off
	s_movk_i32 s26, 0xff
	v_mov_b32_e32 v5, 0x7e00
	s_mov_b64 s[0:1], -1
	s_waitcnt vmcnt(0)
	v_lshlrev_b32_e32 v4, 23, v3
	v_cvt_f16_f32_e32 v4, v4
	v_cmp_ne_u32_e32 vcc, s26, v3
	s_mov_b64 s[26:27], 0
	v_cndmask_b32_e32 v4, v5, v4, vcc
	v_cmp_ne_u32_e32 vcc, 0, v3
	v_cndmask_b32_e32 v3, 0, v4, vcc
	s_branch .LBB215_420
.LBB215_418:
	s_mov_b64 s[30:31], -1
	s_mov_b64 s[0:1], 0
	s_mov_b64 s[28:29], s[20:21]
                                        ; implicit-def: $vgpr4
	s_branch .LBB215_534
.LBB215_419:
	s_mov_b64 s[26:27], -1
                                        ; implicit-def: $vgpr3
.LBB215_420:
	s_mov_b64 s[28:29], 0
.LBB215_421:
	s_and_b64 vcc, exec, s[28:29]
	s_cbranch_vccz .LBB215_425
; %bb.422:
	s_cmp_eq_u32 s37, 29
	s_cbranch_scc0 .LBB215_424
; %bb.423:
	global_load_dwordx2 v[3:4], v[0:1], off
	s_mov_b64 s[0:1], -1
	s_mov_b64 s[26:27], 0
	s_mov_b64 s[28:29], 0
	s_waitcnt vmcnt(0)
	v_ffbh_u32_e32 v5, v4
	v_min_u32_e32 v5, 32, v5
	v_lshlrev_b64 v[3:4], v5, v[3:4]
	v_min_u32_e32 v3, 1, v3
	v_or_b32_e32 v3, v4, v3
	v_cvt_f32_u32_e32 v3, v3
	v_sub_u32_e32 v4, 32, v5
	v_ldexp_f32 v3, v3, v4
	v_cvt_f16_f32_e32 v3, v3
	s_branch .LBB215_426
.LBB215_424:
	s_mov_b64 s[26:27], -1
                                        ; implicit-def: $vgpr3
.LBB215_425:
	s_mov_b64 s[28:29], 0
.LBB215_426:
	s_and_b64 vcc, exec, s[28:29]
	s_cbranch_vccz .LBB215_444
; %bb.427:
	s_cmp_lt_i32 s37, 27
	s_cbranch_scc1 .LBB215_430
; %bb.428:
	s_cmp_gt_i32 s37, 27
	s_cbranch_scc0 .LBB215_431
; %bb.429:
	global_load_dword v3, v[0:1], off
	s_mov_b64 s[0:1], 0
	s_waitcnt vmcnt(0)
	v_cvt_f32_u32_e32 v3, v3
	v_cvt_f16_f32_e32 v3, v3
	s_branch .LBB215_432
.LBB215_430:
	s_mov_b64 s[0:1], -1
                                        ; implicit-def: $vgpr3
	s_branch .LBB215_435
.LBB215_431:
	s_mov_b64 s[0:1], -1
                                        ; implicit-def: $vgpr3
.LBB215_432:
	s_andn2_b64 vcc, exec, s[0:1]
	s_cbranch_vccnz .LBB215_434
; %bb.433:
	global_load_ushort v3, v[0:1], off
	s_waitcnt vmcnt(0)
	v_cvt_f16_u16_e32 v3, v3
.LBB215_434:
	s_mov_b64 s[0:1], 0
.LBB215_435:
	s_andn2_b64 vcc, exec, s[0:1]
	s_cbranch_vccnz .LBB215_443
; %bb.436:
	global_load_ubyte v4, v[0:1], off
	s_movk_i32 s0, 0x7f
	s_waitcnt vmcnt(0)
	v_cmp_lt_i16_e32 vcc, s0, v4
	s_mov_b64 s[0:1], 0
	s_and_saveexec_b64 s[28:29], vcc
	s_xor_b64 s[28:29], exec, s[28:29]
	s_cbranch_execz .LBB215_457
; %bb.437:
	s_movk_i32 s0, 0x80
	v_cmp_eq_u16_e32 vcc, s0, v4
	s_mov_b64 s[0:1], -1
	s_and_saveexec_b64 s[30:31], vcc
; %bb.438:
	s_xor_b64 s[0:1], exec, -1
; %bb.439:
	s_or_b64 exec, exec, s[30:31]
	s_and_b64 s[0:1], s[0:1], exec
	s_or_saveexec_b64 s[28:29], s[28:29]
	v_mov_b32_e32 v3, 0x7e00
	s_xor_b64 exec, exec, s[28:29]
	s_cbranch_execnz .LBB215_458
.LBB215_440:
	s_or_b64 exec, exec, s[28:29]
	s_and_saveexec_b64 s[28:29], s[0:1]
	s_cbranch_execz .LBB215_442
.LBB215_441:
	v_lshlrev_b32_e32 v3, 24, v4
	v_and_b32_e32 v4, 0xffff, v4
	v_and_b32_e32 v5, 7, v4
	v_ffbh_u32_e32 v7, v5
	v_min_u32_e32 v7, 32, v7
	v_subrev_u32_e32 v8, 28, v7
	v_bfe_u32 v6, v4, 3, 4
	v_lshlrev_b32_e32 v4, v8, v4
	v_sub_u32_e32 v7, 29, v7
	v_and_b32_e32 v4, 7, v4
	v_cmp_eq_u32_e32 vcc, 0, v6
	v_cndmask_b32_e32 v6, v6, v7, vcc
	v_cndmask_b32_e32 v4, v5, v4, vcc
	v_mov_b32_e32 v5, 0x3b800000
	v_lshlrev_b32_e32 v4, 20, v4
	v_and_b32_e32 v3, 0x80000000, v3
	v_lshl_add_u32 v5, v6, 23, v5
	v_or3_b32 v3, v3, v5, v4
	v_cvt_f16_f32_e32 v3, v3
.LBB215_442:
	s_or_b64 exec, exec, s[28:29]
.LBB215_443:
	s_mov_b64 s[0:1], -1
.LBB215_444:
	s_mov_b64 s[28:29], 0
.LBB215_445:
	s_and_b64 vcc, exec, s[28:29]
	s_cbranch_vccz .LBB215_480
; %bb.446:
	s_cmp_gt_i32 s37, 22
	s_cbranch_scc0 .LBB215_456
; %bb.447:
	s_cmp_lt_i32 s37, 24
	s_cbranch_scc1 .LBB215_459
; %bb.448:
	s_cmp_gt_i32 s37, 24
	s_cbranch_scc0 .LBB215_460
; %bb.449:
	global_load_ubyte v4, v[0:1], off
	s_movk_i32 s0, 0x7f
	s_waitcnt vmcnt(0)
	v_cmp_lt_i16_e32 vcc, s0, v4
	s_mov_b64 s[0:1], 0
	s_and_saveexec_b64 s[28:29], vcc
	s_xor_b64 s[28:29], exec, s[28:29]
	s_cbranch_execz .LBB215_472
; %bb.450:
	s_movk_i32 s0, 0x80
	v_cmp_eq_u16_e32 vcc, s0, v4
	s_mov_b64 s[0:1], -1
	s_and_saveexec_b64 s[30:31], vcc
; %bb.451:
	s_xor_b64 s[0:1], exec, -1
; %bb.452:
	s_or_b64 exec, exec, s[30:31]
	s_and_b64 s[0:1], s[0:1], exec
	s_or_saveexec_b64 s[28:29], s[28:29]
	v_mov_b32_e32 v3, 0x7e00
	s_xor_b64 exec, exec, s[28:29]
	s_cbranch_execnz .LBB215_473
.LBB215_453:
	s_or_b64 exec, exec, s[28:29]
	s_and_saveexec_b64 s[28:29], s[0:1]
	s_cbranch_execz .LBB215_455
.LBB215_454:
	v_lshlrev_b32_e32 v3, 24, v4
	v_and_b32_e32 v4, 0xffff, v4
	v_and_b32_e32 v5, 3, v4
	v_ffbh_u32_e32 v7, v5
	v_min_u32_e32 v7, 32, v7
	v_subrev_u32_e32 v8, 29, v7
	v_bfe_u32 v6, v4, 2, 5
	v_lshlrev_b32_e32 v4, v8, v4
	v_sub_u32_e32 v7, 30, v7
	v_and_b32_e32 v4, 3, v4
	v_cmp_eq_u32_e32 vcc, 0, v6
	v_cndmask_b32_e32 v6, v6, v7, vcc
	v_cndmask_b32_e32 v4, v5, v4, vcc
	v_mov_b32_e32 v5, 0x37800000
	v_lshlrev_b32_e32 v4, 21, v4
	v_and_b32_e32 v3, 0x80000000, v3
	v_lshl_add_u32 v5, v6, 23, v5
	v_or3_b32 v3, v3, v5, v4
	v_cvt_f16_f32_e32 v3, v3
.LBB215_455:
	s_or_b64 exec, exec, s[28:29]
	s_mov_b64 s[0:1], 0
	s_branch .LBB215_461
.LBB215_456:
	s_mov_b64 s[28:29], -1
                                        ; implicit-def: $vgpr3
	s_branch .LBB215_467
.LBB215_457:
	s_or_saveexec_b64 s[28:29], s[28:29]
	v_mov_b32_e32 v3, 0x7e00
	s_xor_b64 exec, exec, s[28:29]
	s_cbranch_execz .LBB215_440
.LBB215_458:
	v_cmp_ne_u16_e32 vcc, 0, v4
	s_andn2_b64 s[0:1], s[0:1], exec
	s_and_b64 s[30:31], vcc, exec
	s_or_b64 s[0:1], s[0:1], s[30:31]
	v_mov_b32_e32 v3, v4
	s_or_b64 exec, exec, s[28:29]
	s_and_saveexec_b64 s[28:29], s[0:1]
	s_cbranch_execnz .LBB215_441
	s_branch .LBB215_442
.LBB215_459:
	s_mov_b64 s[0:1], -1
                                        ; implicit-def: $vgpr3
	s_branch .LBB215_464
.LBB215_460:
	s_mov_b64 s[0:1], -1
                                        ; implicit-def: $vgpr3
.LBB215_461:
	s_and_b64 vcc, exec, s[0:1]
	s_cbranch_vccz .LBB215_463
; %bb.462:
	global_load_ubyte v3, v[0:1], off
	s_mov_b32 s0, 0x7f800000
	s_waitcnt vmcnt(0)
	v_lshlrev_b32_e32 v3, 24, v3
	v_and_b32_e32 v4, 0x7f000000, v3
	v_ffbh_u32_e32 v5, v4
	v_min_u32_e32 v5, 32, v5
	v_sub_u32_e64 v5, v5, 4 clamp
	v_lshlrev_b32_e32 v7, v5, v4
	v_lshlrev_b32_e32 v5, 23, v5
	v_lshrrev_b32_e32 v7, 4, v7
	v_add_u32_e32 v6, 0x1000000, v4
	v_sub_u32_e32 v5, v7, v5
	v_ashrrev_i32_e32 v6, 8, v6
	v_add_u32_e32 v5, 0x3c000000, v5
	v_and_or_b32 v5, v6, s0, v5
	v_cmp_ne_u32_e32 vcc, 0, v4
	v_cndmask_b32_e32 v4, 0, v5, vcc
	s_brev_b32 s0, 1
	v_and_or_b32 v3, v3, s0, v4
	v_cvt_f16_f32_e32 v3, v3
.LBB215_463:
	s_mov_b64 s[0:1], 0
.LBB215_464:
	s_andn2_b64 vcc, exec, s[0:1]
	s_cbranch_vccnz .LBB215_466
; %bb.465:
	global_load_ubyte v3, v[0:1], off
	s_movk_i32 s0, 0x7f00
	s_brev_b32 s1, 16
	s_waitcnt vmcnt(0)
	v_lshlrev_b16_e32 v4, 8, v3
	v_lshlrev_b32_e32 v3, 25, v3
	v_lshrrev_b32_e32 v5, 4, v3
	v_and_or_b32 v6, v4, s0, 0.5
	v_or_b32_e32 v5, 0x70000000, v5
	v_add_f32_e32 v6, -0.5, v6
	v_mul_f32_e32 v5, 0x7800000, v5
	v_cmp_gt_u32_e32 vcc, s1, v3
	v_bfe_i32 v4, v4, 0, 16
	v_cndmask_b32_e32 v3, v5, v6, vcc
	s_brev_b32 s0, 1
	v_and_or_b32 v3, v4, s0, v3
	v_cvt_f16_f32_e32 v3, v3
.LBB215_466:
	s_mov_b64 s[28:29], 0
	s_mov_b64 s[0:1], -1
.LBB215_467:
	s_andn2_b64 vcc, exec, s[28:29]
	s_cbranch_vccnz .LBB215_480
; %bb.468:
	s_cmp_gt_i32 s37, 14
	s_cbranch_scc0 .LBB215_471
; %bb.469:
	s_cmp_eq_u32 s37, 15
	s_cbranch_scc0 .LBB215_474
; %bb.470:
	global_load_ushort v3, v[0:1], off
	s_mov_b64 s[0:1], -1
	s_mov_b64 s[26:27], 0
	s_waitcnt vmcnt(0)
	v_lshlrev_b32_e32 v3, 16, v3
	v_cvt_f16_f32_e32 v3, v3
	s_branch .LBB215_475
.LBB215_471:
	s_mov_b64 s[28:29], -1
                                        ; implicit-def: $vgpr3
	s_branch .LBB215_476
.LBB215_472:
	s_or_saveexec_b64 s[28:29], s[28:29]
	v_mov_b32_e32 v3, 0x7e00
	s_xor_b64 exec, exec, s[28:29]
	s_cbranch_execz .LBB215_453
.LBB215_473:
	v_cmp_ne_u16_e32 vcc, 0, v4
	s_andn2_b64 s[0:1], s[0:1], exec
	s_and_b64 s[30:31], vcc, exec
	s_or_b64 s[0:1], s[0:1], s[30:31]
	v_mov_b32_e32 v3, v4
	s_or_b64 exec, exec, s[28:29]
	s_and_saveexec_b64 s[28:29], s[0:1]
	s_cbranch_execnz .LBB215_454
	s_branch .LBB215_455
.LBB215_474:
	s_mov_b64 s[26:27], -1
                                        ; implicit-def: $vgpr3
.LBB215_475:
	s_mov_b64 s[28:29], 0
.LBB215_476:
	s_and_b64 vcc, exec, s[28:29]
	s_cbranch_vccz .LBB215_480
; %bb.477:
	s_cmp_eq_u32 s37, 11
	s_cbranch_scc0 .LBB215_479
; %bb.478:
	global_load_ubyte v3, v[0:1], off
	v_mov_b32_e32 v4, 0x3c00
	s_mov_b64 s[0:1], -1
	s_mov_b64 s[26:27], 0
	s_waitcnt vmcnt(0)
	v_cmp_ne_u16_e32 vcc, 0, v3
	v_cndmask_b32_e32 v3, 0, v4, vcc
	s_branch .LBB215_480
.LBB215_479:
	s_mov_b64 s[26:27], -1
                                        ; implicit-def: $vgpr3
.LBB215_480:
	s_branch .LBB215_396
.LBB215_481:
	s_and_b32 s28, 0xffff, s36
	s_cmp_lt_i32 s28, 5
	s_cbranch_scc1 .LBB215_486
; %bb.482:
	s_cmp_lt_i32 s28, 8
	s_cbranch_scc1 .LBB215_487
; %bb.483:
	;; [unrolled: 3-line block ×3, first 2 shown]
	s_cmp_gt_i32 s28, 9
	s_cbranch_scc0 .LBB215_489
; %bb.485:
	global_load_dwordx2 v[3:4], v[0:1], off
	s_movk_i32 s0, 0x1ff
	s_movk_i32 s1, 0xffe
	v_mov_b32_e32 v5, 0x7c00
	v_mov_b32_e32 v6, 0x7e00
	s_movk_i32 s29, 0x40f
	s_mov_b32 s30, 0x8000
	s_waitcnt vmcnt(0)
	v_and_or_b32 v3, v4, s0, v3
	v_cmp_ne_u32_e32 vcc, 0, v3
	v_lshrrev_b32_e32 v7, 8, v4
	v_bfe_u32 v8, v4, 20, 11
	v_cndmask_b32_e64 v3, 0, 1, vcc
	v_sub_u32_e32 v9, 0x3f1, v8
	v_and_or_b32 v3, v7, s1, v3
	v_add_u32_e32 v8, 0xfffffc10, v8
	v_med3_i32 v7, v9, 0, 13
	v_or_b32_e32 v9, 0x1000, v3
	v_cmp_ne_u32_e32 vcc, 0, v3
	v_lshl_or_b32 v10, v8, 12, v3
	v_cndmask_b32_e32 v3, v5, v6, vcc
	v_lshrrev_b32_e32 v6, v7, v9
	v_lshlrev_b32_e32 v7, v7, v6
	v_cmp_ne_u32_e32 vcc, v7, v9
	v_cndmask_b32_e64 v7, 0, 1, vcc
	v_or_b32_e32 v6, v6, v7
	v_cmp_gt_i32_e32 vcc, 1, v8
	v_cndmask_b32_e32 v6, v10, v6, vcc
	v_and_b32_e32 v7, 7, v6
	v_cmp_lt_i32_e32 vcc, 5, v7
	v_cndmask_b32_e64 v9, 0, 1, vcc
	v_cmp_eq_u32_e32 vcc, 3, v7
	v_cndmask_b32_e64 v7, 0, 1, vcc
	v_lshrrev_b32_e32 v6, 2, v6
	v_or_b32_e32 v7, v7, v9
	v_add_u32_e32 v6, v6, v7
	v_cmp_gt_i32_e32 vcc, 31, v8
	v_cndmask_b32_e32 v5, v5, v6, vcc
	v_cmp_eq_u32_e32 vcc, s29, v8
	v_lshrrev_b32_e32 v4, 16, v4
	v_cndmask_b32_e32 v3, v5, v3, vcc
	v_and_or_b32 v3, v4, s30, v3
	s_mov_b64 s[0:1], 0
	s_branch .LBB215_490
.LBB215_486:
	s_mov_b64 s[0:1], -1
                                        ; implicit-def: $vgpr3
	s_branch .LBB215_508
.LBB215_487:
	s_mov_b64 s[0:1], -1
                                        ; implicit-def: $vgpr3
	s_branch .LBB215_496
.LBB215_488:
	s_mov_b64 s[0:1], -1
                                        ; implicit-def: $vgpr3
	s_branch .LBB215_493
.LBB215_489:
	s_mov_b64 s[0:1], -1
                                        ; implicit-def: $vgpr3
.LBB215_490:
	s_andn2_b64 vcc, exec, s[0:1]
	s_cbranch_vccnz .LBB215_492
; %bb.491:
	global_load_dword v3, v[0:1], off
	s_waitcnt vmcnt(0)
	v_cvt_f16_f32_e32 v3, v3
.LBB215_492:
	s_mov_b64 s[0:1], 0
.LBB215_493:
	s_andn2_b64 vcc, exec, s[0:1]
	s_cbranch_vccnz .LBB215_495
; %bb.494:
	global_load_dword v3, v[0:1], off
.LBB215_495:
	s_mov_b64 s[0:1], 0
.LBB215_496:
	s_andn2_b64 vcc, exec, s[0:1]
	s_cbranch_vccnz .LBB215_507
; %bb.497:
	s_cmp_lt_i32 s28, 6
	s_cbranch_scc1 .LBB215_500
; %bb.498:
	s_cmp_gt_i32 s28, 6
	s_cbranch_scc0 .LBB215_501
; %bb.499:
	global_load_dwordx2 v[3:4], v[0:1], off
	s_movk_i32 s0, 0x1ff
	s_movk_i32 s1, 0xffe
	v_mov_b32_e32 v5, 0x7c00
	v_mov_b32_e32 v6, 0x7e00
	s_movk_i32 s29, 0x40f
	s_mov_b32 s30, 0x8000
	s_waitcnt vmcnt(0)
	v_and_or_b32 v3, v4, s0, v3
	v_cmp_ne_u32_e32 vcc, 0, v3
	v_lshrrev_b32_e32 v7, 8, v4
	v_bfe_u32 v8, v4, 20, 11
	v_cndmask_b32_e64 v3, 0, 1, vcc
	v_sub_u32_e32 v9, 0x3f1, v8
	v_and_or_b32 v3, v7, s1, v3
	v_add_u32_e32 v8, 0xfffffc10, v8
	v_med3_i32 v7, v9, 0, 13
	v_or_b32_e32 v9, 0x1000, v3
	v_cmp_ne_u32_e32 vcc, 0, v3
	v_lshl_or_b32 v10, v8, 12, v3
	v_cndmask_b32_e32 v3, v5, v6, vcc
	v_lshrrev_b32_e32 v6, v7, v9
	v_lshlrev_b32_e32 v7, v7, v6
	v_cmp_ne_u32_e32 vcc, v7, v9
	v_cndmask_b32_e64 v7, 0, 1, vcc
	v_or_b32_e32 v6, v6, v7
	v_cmp_gt_i32_e32 vcc, 1, v8
	v_cndmask_b32_e32 v6, v10, v6, vcc
	v_and_b32_e32 v7, 7, v6
	v_cmp_lt_i32_e32 vcc, 5, v7
	v_cndmask_b32_e64 v9, 0, 1, vcc
	v_cmp_eq_u32_e32 vcc, 3, v7
	v_cndmask_b32_e64 v7, 0, 1, vcc
	v_lshrrev_b32_e32 v6, 2, v6
	v_or_b32_e32 v7, v7, v9
	v_add_u32_e32 v6, v6, v7
	v_cmp_gt_i32_e32 vcc, 31, v8
	v_cndmask_b32_e32 v5, v5, v6, vcc
	v_cmp_eq_u32_e32 vcc, s29, v8
	v_lshrrev_b32_e32 v4, 16, v4
	v_cndmask_b32_e32 v3, v5, v3, vcc
	v_and_or_b32 v3, v4, s30, v3
	s_mov_b64 s[0:1], 0
	s_branch .LBB215_502
.LBB215_500:
	s_mov_b64 s[0:1], -1
                                        ; implicit-def: $vgpr3
	s_branch .LBB215_505
.LBB215_501:
	s_mov_b64 s[0:1], -1
                                        ; implicit-def: $vgpr3
.LBB215_502:
	s_andn2_b64 vcc, exec, s[0:1]
	s_cbranch_vccnz .LBB215_504
; %bb.503:
	global_load_dword v3, v[0:1], off
	s_waitcnt vmcnt(0)
	v_cvt_f16_f32_e32 v3, v3
.LBB215_504:
	s_mov_b64 s[0:1], 0
.LBB215_505:
	s_andn2_b64 vcc, exec, s[0:1]
	s_cbranch_vccnz .LBB215_507
; %bb.506:
	global_load_ushort v3, v[0:1], off
.LBB215_507:
	s_mov_b64 s[0:1], 0
.LBB215_508:
	s_andn2_b64 vcc, exec, s[0:1]
	s_cbranch_vccnz .LBB215_528
; %bb.509:
	s_cmp_lt_i32 s28, 2
	s_cbranch_scc1 .LBB215_513
; %bb.510:
	s_cmp_lt_i32 s28, 3
	s_cbranch_scc1 .LBB215_514
; %bb.511:
	s_cmp_gt_i32 s28, 3
	s_cbranch_scc0 .LBB215_515
; %bb.512:
	global_load_dwordx2 v[3:4], v[0:1], off
	s_mov_b64 s[0:1], 0
	s_waitcnt vmcnt(0)
	v_xor_b32_e32 v6, v3, v4
	v_ffbh_i32_e32 v5, v4
	v_ashrrev_i32_e32 v6, 31, v6
	v_add_u32_e32 v5, -1, v5
	v_add_u32_e32 v6, 32, v6
	v_min_u32_e32 v5, v5, v6
	v_lshlrev_b64 v[3:4], v5, v[3:4]
	v_min_u32_e32 v3, 1, v3
	v_or_b32_e32 v3, v4, v3
	v_cvt_f32_i32_e32 v3, v3
	v_sub_u32_e32 v4, 32, v5
	v_ldexp_f32 v3, v3, v4
	v_cvt_f16_f32_e32 v3, v3
	s_branch .LBB215_516
.LBB215_513:
	s_mov_b64 s[0:1], -1
                                        ; implicit-def: $vgpr3
	s_branch .LBB215_522
.LBB215_514:
	s_mov_b64 s[0:1], -1
                                        ; implicit-def: $vgpr3
	s_branch .LBB215_519
.LBB215_515:
	s_mov_b64 s[0:1], -1
                                        ; implicit-def: $vgpr3
.LBB215_516:
	s_andn2_b64 vcc, exec, s[0:1]
	s_cbranch_vccnz .LBB215_518
; %bb.517:
	global_load_dword v3, v[0:1], off
	s_waitcnt vmcnt(0)
	v_cvt_f32_i32_e32 v3, v3
	v_cvt_f16_f32_e32 v3, v3
.LBB215_518:
	s_mov_b64 s[0:1], 0
.LBB215_519:
	s_andn2_b64 vcc, exec, s[0:1]
	s_cbranch_vccnz .LBB215_521
; %bb.520:
	global_load_ushort v3, v[0:1], off
	s_waitcnt vmcnt(0)
	v_cvt_f16_i16_e32 v3, v3
.LBB215_521:
	s_mov_b64 s[0:1], 0
.LBB215_522:
	s_andn2_b64 vcc, exec, s[0:1]
	s_cbranch_vccnz .LBB215_528
; %bb.523:
	s_cmp_gt_i32 s28, 0
	s_cbranch_scc0 .LBB215_525
; %bb.524:
	global_load_sbyte v3, v[0:1], off
	s_mov_b64 s[0:1], 0
	s_waitcnt vmcnt(0)
	v_cvt_f16_i16_e32 v3, v3
	s_branch .LBB215_526
.LBB215_525:
	s_mov_b64 s[0:1], -1
                                        ; implicit-def: $vgpr3
.LBB215_526:
	s_andn2_b64 vcc, exec, s[0:1]
	s_cbranch_vccnz .LBB215_528
; %bb.527:
	global_load_ubyte v0, v[0:1], off
	s_waitcnt vmcnt(0)
	v_cvt_f16_u16_e32 v3, v0
.LBB215_528:
	s_branch .LBB215_397
.LBB215_529:
	s_mov_b64 s[36:37], 0
	s_mov_b64 s[0:1], s[18:19]
	;; [unrolled: 1-line block ×3, first 2 shown]
.LBB215_530:
                                        ; implicit-def: $vgpr2
	s_branch .LBB215_772
.LBB215_531:
	s_andn2_saveexec_b64 s[30:31], s[30:31]
	s_cbranch_execz .LBB215_193
.LBB215_532:
	s_mov_b32 s36, 0x42800000
	v_add_f32_e64 v5, |v4|, s36
	v_and_b32_e32 v5, 0xff, v5
	v_cmp_ne_u32_e32 vcc, 0, v5
	s_andn2_b64 s[26:27], s[26:27], exec
	s_and_b64 s[36:37], vcc, exec
	s_or_b64 s[26:27], s[26:27], s[36:37]
	s_or_b64 exec, exec, s[30:31]
	v_mov_b32_e32 v6, 0
	s_and_saveexec_b64 s[30:31], s[26:27]
	s_cbranch_execnz .LBB215_194
	s_branch .LBB215_195
.LBB215_533:
	s_mov_b64 s[28:29], -1
                                        ; implicit-def: $vgpr4
	s_mov_b64 s[0:1], 0
.LBB215_534:
	s_and_b64 vcc, exec, s[30:31]
	s_cbranch_vccz .LBB215_538
; %bb.535:
	s_cmp_eq_u32 s39, 44
	s_cbranch_scc0 .LBB215_537
; %bb.536:
	global_load_ubyte v4, v[0:1], off
	s_movk_i32 s28, 0xff
	v_mov_b32_e32 v6, 0x7e00
	s_mov_b64 s[0:1], -1
	s_waitcnt vmcnt(0)
	v_lshlrev_b32_e32 v5, 23, v4
	v_cvt_f16_f32_e32 v5, v5
	v_cmp_ne_u32_e32 vcc, s28, v4
	s_mov_b64 s[28:29], 0
	v_cndmask_b32_e32 v5, v6, v5, vcc
	v_cmp_ne_u32_e32 vcc, 0, v4
	v_cndmask_b32_e32 v4, 0, v5, vcc
	s_branch .LBB215_538
.LBB215_537:
	s_mov_b64 s[28:29], -1
                                        ; implicit-def: $vgpr4
.LBB215_538:
	s_mov_b64 s[30:31], 0
.LBB215_539:
	s_and_b64 vcc, exec, s[30:31]
	s_cbranch_vccz .LBB215_543
; %bb.540:
	s_cmp_eq_u32 s39, 29
	s_cbranch_scc0 .LBB215_542
; %bb.541:
	global_load_dwordx2 v[4:5], v[0:1], off
	s_mov_b64 s[0:1], -1
	s_mov_b64 s[28:29], 0
	s_mov_b64 s[30:31], 0
	s_waitcnt vmcnt(0)
	v_ffbh_u32_e32 v6, v5
	v_min_u32_e32 v6, 32, v6
	v_lshlrev_b64 v[4:5], v6, v[4:5]
	v_min_u32_e32 v4, 1, v4
	v_or_b32_e32 v4, v5, v4
	v_cvt_f32_u32_e32 v4, v4
	v_sub_u32_e32 v5, 32, v6
	v_ldexp_f32 v4, v4, v5
	v_cvt_f16_f32_e32 v4, v4
	s_branch .LBB215_544
.LBB215_542:
	s_mov_b64 s[28:29], -1
                                        ; implicit-def: $vgpr4
.LBB215_543:
	s_mov_b64 s[30:31], 0
.LBB215_544:
	s_and_b64 vcc, exec, s[30:31]
	s_cbranch_vccz .LBB215_562
; %bb.545:
	s_cmp_lt_i32 s39, 27
	s_cbranch_scc1 .LBB215_548
; %bb.546:
	s_cmp_gt_i32 s39, 27
	s_cbranch_scc0 .LBB215_549
; %bb.547:
	global_load_dword v4, v[0:1], off
	s_mov_b64 s[0:1], 0
	s_waitcnt vmcnt(0)
	v_cvt_f32_u32_e32 v4, v4
	v_cvt_f16_f32_e32 v4, v4
	s_branch .LBB215_550
.LBB215_548:
	s_mov_b64 s[0:1], -1
                                        ; implicit-def: $vgpr4
	s_branch .LBB215_553
.LBB215_549:
	s_mov_b64 s[0:1], -1
                                        ; implicit-def: $vgpr4
.LBB215_550:
	s_andn2_b64 vcc, exec, s[0:1]
	s_cbranch_vccnz .LBB215_552
; %bb.551:
	global_load_ushort v4, v[0:1], off
	s_waitcnt vmcnt(0)
	v_cvt_f16_u16_e32 v4, v4
.LBB215_552:
	s_mov_b64 s[0:1], 0
.LBB215_553:
	s_andn2_b64 vcc, exec, s[0:1]
	s_cbranch_vccnz .LBB215_561
; %bb.554:
	global_load_ubyte v5, v[0:1], off
	s_movk_i32 s0, 0x7f
	s_waitcnt vmcnt(0)
	v_cmp_lt_i16_e32 vcc, s0, v5
	s_mov_b64 s[0:1], 0
	s_and_saveexec_b64 s[30:31], vcc
	s_xor_b64 s[30:31], exec, s[30:31]
	s_cbranch_execz .LBB215_575
; %bb.555:
	s_movk_i32 s0, 0x80
	v_cmp_eq_u16_e32 vcc, s0, v5
	s_mov_b64 s[0:1], -1
	s_and_saveexec_b64 s[36:37], vcc
; %bb.556:
	s_xor_b64 s[0:1], exec, -1
; %bb.557:
	s_or_b64 exec, exec, s[36:37]
	s_and_b64 s[0:1], s[0:1], exec
	s_or_saveexec_b64 s[30:31], s[30:31]
	v_mov_b32_e32 v4, 0x7e00
	s_xor_b64 exec, exec, s[30:31]
	s_cbranch_execnz .LBB215_576
.LBB215_558:
	s_or_b64 exec, exec, s[30:31]
	s_and_saveexec_b64 s[30:31], s[0:1]
	s_cbranch_execz .LBB215_560
.LBB215_559:
	v_lshlrev_b32_e32 v4, 24, v5
	v_and_b32_e32 v5, 0xffff, v5
	v_and_b32_e32 v6, 7, v5
	v_ffbh_u32_e32 v8, v6
	v_min_u32_e32 v8, 32, v8
	v_subrev_u32_e32 v9, 28, v8
	v_bfe_u32 v7, v5, 3, 4
	v_lshlrev_b32_e32 v5, v9, v5
	v_sub_u32_e32 v8, 29, v8
	v_and_b32_e32 v5, 7, v5
	v_cmp_eq_u32_e32 vcc, 0, v7
	v_cndmask_b32_e32 v7, v7, v8, vcc
	v_cndmask_b32_e32 v5, v6, v5, vcc
	v_mov_b32_e32 v6, 0x3b800000
	v_lshlrev_b32_e32 v5, 20, v5
	v_and_b32_e32 v4, 0x80000000, v4
	v_lshl_add_u32 v6, v7, 23, v6
	v_or3_b32 v4, v4, v6, v5
	v_cvt_f16_f32_e32 v4, v4
.LBB215_560:
	s_or_b64 exec, exec, s[30:31]
.LBB215_561:
	s_mov_b64 s[0:1], -1
.LBB215_562:
	s_mov_b64 s[30:31], 0
.LBB215_563:
	s_and_b64 vcc, exec, s[30:31]
	s_cbranch_vccz .LBB215_598
; %bb.564:
	s_cmp_gt_i32 s39, 22
	s_cbranch_scc0 .LBB215_574
; %bb.565:
	s_cmp_lt_i32 s39, 24
	s_cbranch_scc1 .LBB215_577
; %bb.566:
	s_cmp_gt_i32 s39, 24
	s_cbranch_scc0 .LBB215_578
; %bb.567:
	global_load_ubyte v5, v[0:1], off
	s_movk_i32 s0, 0x7f
	s_waitcnt vmcnt(0)
	v_cmp_lt_i16_e32 vcc, s0, v5
	s_mov_b64 s[0:1], 0
	s_and_saveexec_b64 s[30:31], vcc
	s_xor_b64 s[30:31], exec, s[30:31]
	s_cbranch_execz .LBB215_590
; %bb.568:
	s_movk_i32 s0, 0x80
	v_cmp_eq_u16_e32 vcc, s0, v5
	s_mov_b64 s[0:1], -1
	s_and_saveexec_b64 s[36:37], vcc
; %bb.569:
	s_xor_b64 s[0:1], exec, -1
; %bb.570:
	s_or_b64 exec, exec, s[36:37]
	s_and_b64 s[0:1], s[0:1], exec
	s_or_saveexec_b64 s[30:31], s[30:31]
	v_mov_b32_e32 v4, 0x7e00
	s_xor_b64 exec, exec, s[30:31]
	s_cbranch_execnz .LBB215_591
.LBB215_571:
	s_or_b64 exec, exec, s[30:31]
	s_and_saveexec_b64 s[30:31], s[0:1]
	s_cbranch_execz .LBB215_573
.LBB215_572:
	v_lshlrev_b32_e32 v4, 24, v5
	v_and_b32_e32 v5, 0xffff, v5
	v_and_b32_e32 v6, 3, v5
	v_ffbh_u32_e32 v8, v6
	v_min_u32_e32 v8, 32, v8
	v_subrev_u32_e32 v9, 29, v8
	v_bfe_u32 v7, v5, 2, 5
	v_lshlrev_b32_e32 v5, v9, v5
	v_sub_u32_e32 v8, 30, v8
	v_and_b32_e32 v5, 3, v5
	v_cmp_eq_u32_e32 vcc, 0, v7
	v_cndmask_b32_e32 v7, v7, v8, vcc
	v_cndmask_b32_e32 v5, v6, v5, vcc
	v_mov_b32_e32 v6, 0x37800000
	v_lshlrev_b32_e32 v5, 21, v5
	v_and_b32_e32 v4, 0x80000000, v4
	v_lshl_add_u32 v6, v7, 23, v6
	v_or3_b32 v4, v4, v6, v5
	v_cvt_f16_f32_e32 v4, v4
.LBB215_573:
	s_or_b64 exec, exec, s[30:31]
	s_mov_b64 s[0:1], 0
	s_branch .LBB215_579
.LBB215_574:
	s_mov_b64 s[30:31], -1
                                        ; implicit-def: $vgpr4
	s_branch .LBB215_585
.LBB215_575:
	s_or_saveexec_b64 s[30:31], s[30:31]
	v_mov_b32_e32 v4, 0x7e00
	s_xor_b64 exec, exec, s[30:31]
	s_cbranch_execz .LBB215_558
.LBB215_576:
	v_cmp_ne_u16_e32 vcc, 0, v5
	s_andn2_b64 s[0:1], s[0:1], exec
	s_and_b64 s[36:37], vcc, exec
	s_or_b64 s[0:1], s[0:1], s[36:37]
	v_mov_b32_e32 v4, v5
	s_or_b64 exec, exec, s[30:31]
	s_and_saveexec_b64 s[30:31], s[0:1]
	s_cbranch_execnz .LBB215_559
	s_branch .LBB215_560
.LBB215_577:
	s_mov_b64 s[0:1], -1
                                        ; implicit-def: $vgpr4
	s_branch .LBB215_582
.LBB215_578:
	s_mov_b64 s[0:1], -1
                                        ; implicit-def: $vgpr4
.LBB215_579:
	s_and_b64 vcc, exec, s[0:1]
	s_cbranch_vccz .LBB215_581
; %bb.580:
	global_load_ubyte v4, v[0:1], off
	s_mov_b32 s0, 0x7f800000
	s_waitcnt vmcnt(0)
	v_lshlrev_b32_e32 v4, 24, v4
	v_and_b32_e32 v5, 0x7f000000, v4
	v_ffbh_u32_e32 v6, v5
	v_min_u32_e32 v6, 32, v6
	v_sub_u32_e64 v6, v6, 4 clamp
	v_lshlrev_b32_e32 v8, v6, v5
	v_lshlrev_b32_e32 v6, 23, v6
	v_lshrrev_b32_e32 v8, 4, v8
	v_add_u32_e32 v7, 0x1000000, v5
	v_sub_u32_e32 v6, v8, v6
	v_ashrrev_i32_e32 v7, 8, v7
	v_add_u32_e32 v6, 0x3c000000, v6
	v_and_or_b32 v6, v7, s0, v6
	v_cmp_ne_u32_e32 vcc, 0, v5
	v_cndmask_b32_e32 v5, 0, v6, vcc
	s_brev_b32 s0, 1
	v_and_or_b32 v4, v4, s0, v5
	v_cvt_f16_f32_e32 v4, v4
.LBB215_581:
	s_mov_b64 s[0:1], 0
.LBB215_582:
	s_andn2_b64 vcc, exec, s[0:1]
	s_cbranch_vccnz .LBB215_584
; %bb.583:
	global_load_ubyte v4, v[0:1], off
	s_movk_i32 s0, 0x7f00
	s_brev_b32 s1, 16
	s_waitcnt vmcnt(0)
	v_lshlrev_b16_e32 v5, 8, v4
	v_lshlrev_b32_e32 v4, 25, v4
	v_lshrrev_b32_e32 v6, 4, v4
	v_and_or_b32 v7, v5, s0, 0.5
	v_or_b32_e32 v6, 0x70000000, v6
	v_add_f32_e32 v7, -0.5, v7
	v_mul_f32_e32 v6, 0x7800000, v6
	v_cmp_gt_u32_e32 vcc, s1, v4
	v_bfe_i32 v5, v5, 0, 16
	v_cndmask_b32_e32 v4, v6, v7, vcc
	s_brev_b32 s0, 1
	v_and_or_b32 v4, v5, s0, v4
	v_cvt_f16_f32_e32 v4, v4
.LBB215_584:
	s_mov_b64 s[30:31], 0
	s_mov_b64 s[0:1], -1
.LBB215_585:
	s_andn2_b64 vcc, exec, s[30:31]
	s_cbranch_vccnz .LBB215_598
; %bb.586:
	s_cmp_gt_i32 s39, 14
	s_cbranch_scc0 .LBB215_589
; %bb.587:
	s_cmp_eq_u32 s39, 15
	s_cbranch_scc0 .LBB215_592
; %bb.588:
	global_load_ushort v4, v[0:1], off
	s_mov_b64 s[0:1], -1
	s_mov_b64 s[28:29], 0
	s_waitcnt vmcnt(0)
	v_lshlrev_b32_e32 v4, 16, v4
	v_cvt_f16_f32_e32 v4, v4
	s_branch .LBB215_593
.LBB215_589:
	s_mov_b64 s[30:31], -1
                                        ; implicit-def: $vgpr4
	s_branch .LBB215_594
.LBB215_590:
	s_or_saveexec_b64 s[30:31], s[30:31]
	v_mov_b32_e32 v4, 0x7e00
	s_xor_b64 exec, exec, s[30:31]
	s_cbranch_execz .LBB215_571
.LBB215_591:
	v_cmp_ne_u16_e32 vcc, 0, v5
	s_andn2_b64 s[0:1], s[0:1], exec
	s_and_b64 s[36:37], vcc, exec
	s_or_b64 s[0:1], s[0:1], s[36:37]
	v_mov_b32_e32 v4, v5
	s_or_b64 exec, exec, s[30:31]
	s_and_saveexec_b64 s[30:31], s[0:1]
	s_cbranch_execnz .LBB215_572
	s_branch .LBB215_573
.LBB215_592:
	s_mov_b64 s[28:29], -1
                                        ; implicit-def: $vgpr4
.LBB215_593:
	s_mov_b64 s[30:31], 0
.LBB215_594:
	s_and_b64 vcc, exec, s[30:31]
	s_cbranch_vccz .LBB215_598
; %bb.595:
	s_cmp_eq_u32 s39, 11
	s_cbranch_scc0 .LBB215_597
; %bb.596:
	global_load_ubyte v4, v[0:1], off
	v_mov_b32_e32 v5, 0x3c00
	s_mov_b64 s[0:1], -1
	s_mov_b64 s[28:29], 0
	s_waitcnt vmcnt(0)
	v_cmp_ne_u16_e32 vcc, 0, v4
	v_cndmask_b32_e32 v4, 0, v5, vcc
	s_branch .LBB215_598
.LBB215_597:
	s_mov_b64 s[28:29], -1
                                        ; implicit-def: $vgpr4
.LBB215_598:
	s_mov_b64 s[30:31], 0
.LBB215_599:
	s_and_b64 vcc, exec, s[30:31]
	s_cbranch_vccz .LBB215_648
; %bb.600:
	s_and_b32 s30, 0xffff, s38
	s_cmp_lt_i32 s30, 5
	s_cbranch_scc1 .LBB215_605
; %bb.601:
	s_cmp_lt_i32 s30, 8
	s_cbranch_scc1 .LBB215_606
; %bb.602:
	;; [unrolled: 3-line block ×3, first 2 shown]
	s_cmp_gt_i32 s30, 9
	s_cbranch_scc0 .LBB215_608
; %bb.604:
	global_load_dwordx2 v[4:5], v[0:1], off
	s_movk_i32 s0, 0x1ff
	s_movk_i32 s1, 0xffe
	v_mov_b32_e32 v6, 0x7c00
	v_mov_b32_e32 v7, 0x7e00
	s_movk_i32 s31, 0x40f
	s_mov_b32 s36, 0x8000
	s_waitcnt vmcnt(0)
	v_and_or_b32 v4, v5, s0, v4
	v_cmp_ne_u32_e32 vcc, 0, v4
	v_lshrrev_b32_e32 v8, 8, v5
	v_bfe_u32 v9, v5, 20, 11
	v_cndmask_b32_e64 v4, 0, 1, vcc
	v_sub_u32_e32 v10, 0x3f1, v9
	v_and_or_b32 v4, v8, s1, v4
	v_add_u32_e32 v9, 0xfffffc10, v9
	v_med3_i32 v8, v10, 0, 13
	v_or_b32_e32 v10, 0x1000, v4
	v_cmp_ne_u32_e32 vcc, 0, v4
	v_lshl_or_b32 v11, v9, 12, v4
	v_cndmask_b32_e32 v4, v6, v7, vcc
	v_lshrrev_b32_e32 v7, v8, v10
	v_lshlrev_b32_e32 v8, v8, v7
	v_cmp_ne_u32_e32 vcc, v8, v10
	v_cndmask_b32_e64 v8, 0, 1, vcc
	v_or_b32_e32 v7, v7, v8
	v_cmp_gt_i32_e32 vcc, 1, v9
	v_cndmask_b32_e32 v7, v11, v7, vcc
	v_and_b32_e32 v8, 7, v7
	v_cmp_lt_i32_e32 vcc, 5, v8
	v_cndmask_b32_e64 v10, 0, 1, vcc
	v_cmp_eq_u32_e32 vcc, 3, v8
	v_cndmask_b32_e64 v8, 0, 1, vcc
	v_lshrrev_b32_e32 v7, 2, v7
	v_or_b32_e32 v8, v8, v10
	v_add_u32_e32 v7, v7, v8
	v_cmp_gt_i32_e32 vcc, 31, v9
	v_cndmask_b32_e32 v6, v6, v7, vcc
	v_cmp_eq_u32_e32 vcc, s31, v9
	v_lshrrev_b32_e32 v5, 16, v5
	v_cndmask_b32_e32 v4, v6, v4, vcc
	v_and_or_b32 v4, v5, s36, v4
	s_mov_b64 s[0:1], 0
	s_branch .LBB215_609
.LBB215_605:
	s_mov_b64 s[0:1], -1
                                        ; implicit-def: $vgpr4
	s_branch .LBB215_627
.LBB215_606:
	s_mov_b64 s[0:1], -1
                                        ; implicit-def: $vgpr4
	s_branch .LBB215_615
.LBB215_607:
	s_mov_b64 s[0:1], -1
                                        ; implicit-def: $vgpr4
	s_branch .LBB215_612
.LBB215_608:
	s_mov_b64 s[0:1], -1
                                        ; implicit-def: $vgpr4
.LBB215_609:
	s_andn2_b64 vcc, exec, s[0:1]
	s_cbranch_vccnz .LBB215_611
; %bb.610:
	global_load_dword v4, v[0:1], off
	s_waitcnt vmcnt(0)
	v_cvt_f16_f32_e32 v4, v4
.LBB215_611:
	s_mov_b64 s[0:1], 0
.LBB215_612:
	s_andn2_b64 vcc, exec, s[0:1]
	s_cbranch_vccnz .LBB215_614
; %bb.613:
	global_load_dword v4, v[0:1], off
.LBB215_614:
	s_mov_b64 s[0:1], 0
.LBB215_615:
	s_andn2_b64 vcc, exec, s[0:1]
	s_cbranch_vccnz .LBB215_626
; %bb.616:
	s_cmp_lt_i32 s30, 6
	s_cbranch_scc1 .LBB215_619
; %bb.617:
	s_cmp_gt_i32 s30, 6
	s_cbranch_scc0 .LBB215_620
; %bb.618:
	global_load_dwordx2 v[4:5], v[0:1], off
	s_movk_i32 s0, 0x1ff
	s_movk_i32 s1, 0xffe
	v_mov_b32_e32 v6, 0x7c00
	v_mov_b32_e32 v7, 0x7e00
	s_movk_i32 s31, 0x40f
	s_mov_b32 s36, 0x8000
	s_waitcnt vmcnt(0)
	v_and_or_b32 v4, v5, s0, v4
	v_cmp_ne_u32_e32 vcc, 0, v4
	v_lshrrev_b32_e32 v8, 8, v5
	v_bfe_u32 v9, v5, 20, 11
	v_cndmask_b32_e64 v4, 0, 1, vcc
	v_sub_u32_e32 v10, 0x3f1, v9
	v_and_or_b32 v4, v8, s1, v4
	v_add_u32_e32 v9, 0xfffffc10, v9
	v_med3_i32 v8, v10, 0, 13
	v_or_b32_e32 v10, 0x1000, v4
	v_cmp_ne_u32_e32 vcc, 0, v4
	v_lshl_or_b32 v11, v9, 12, v4
	v_cndmask_b32_e32 v4, v6, v7, vcc
	v_lshrrev_b32_e32 v7, v8, v10
	v_lshlrev_b32_e32 v8, v8, v7
	v_cmp_ne_u32_e32 vcc, v8, v10
	v_cndmask_b32_e64 v8, 0, 1, vcc
	v_or_b32_e32 v7, v7, v8
	v_cmp_gt_i32_e32 vcc, 1, v9
	v_cndmask_b32_e32 v7, v11, v7, vcc
	v_and_b32_e32 v8, 7, v7
	v_cmp_lt_i32_e32 vcc, 5, v8
	v_cndmask_b32_e64 v10, 0, 1, vcc
	v_cmp_eq_u32_e32 vcc, 3, v8
	v_cndmask_b32_e64 v8, 0, 1, vcc
	v_lshrrev_b32_e32 v7, 2, v7
	v_or_b32_e32 v8, v8, v10
	v_add_u32_e32 v7, v7, v8
	v_cmp_gt_i32_e32 vcc, 31, v9
	v_cndmask_b32_e32 v6, v6, v7, vcc
	v_cmp_eq_u32_e32 vcc, s31, v9
	v_lshrrev_b32_e32 v5, 16, v5
	v_cndmask_b32_e32 v4, v6, v4, vcc
	v_and_or_b32 v4, v5, s36, v4
	s_mov_b64 s[0:1], 0
	s_branch .LBB215_621
.LBB215_619:
	s_mov_b64 s[0:1], -1
                                        ; implicit-def: $vgpr4
	s_branch .LBB215_624
.LBB215_620:
	s_mov_b64 s[0:1], -1
                                        ; implicit-def: $vgpr4
.LBB215_621:
	s_andn2_b64 vcc, exec, s[0:1]
	s_cbranch_vccnz .LBB215_623
; %bb.622:
	global_load_dword v4, v[0:1], off
	s_waitcnt vmcnt(0)
	v_cvt_f16_f32_e32 v4, v4
.LBB215_623:
	s_mov_b64 s[0:1], 0
.LBB215_624:
	s_andn2_b64 vcc, exec, s[0:1]
	s_cbranch_vccnz .LBB215_626
; %bb.625:
	global_load_ushort v4, v[0:1], off
.LBB215_626:
	s_mov_b64 s[0:1], 0
.LBB215_627:
	s_andn2_b64 vcc, exec, s[0:1]
	s_cbranch_vccnz .LBB215_647
; %bb.628:
	s_cmp_lt_i32 s30, 2
	s_cbranch_scc1 .LBB215_632
; %bb.629:
	s_cmp_lt_i32 s30, 3
	s_cbranch_scc1 .LBB215_633
; %bb.630:
	s_cmp_gt_i32 s30, 3
	s_cbranch_scc0 .LBB215_634
; %bb.631:
	global_load_dwordx2 v[4:5], v[0:1], off
	s_mov_b64 s[0:1], 0
	s_waitcnt vmcnt(0)
	v_xor_b32_e32 v7, v4, v5
	v_ffbh_i32_e32 v6, v5
	v_ashrrev_i32_e32 v7, 31, v7
	v_add_u32_e32 v6, -1, v6
	v_add_u32_e32 v7, 32, v7
	v_min_u32_e32 v6, v6, v7
	v_lshlrev_b64 v[4:5], v6, v[4:5]
	v_min_u32_e32 v4, 1, v4
	v_or_b32_e32 v4, v5, v4
	v_cvt_f32_i32_e32 v4, v4
	v_sub_u32_e32 v5, 32, v6
	v_ldexp_f32 v4, v4, v5
	v_cvt_f16_f32_e32 v4, v4
	s_branch .LBB215_635
.LBB215_632:
	s_mov_b64 s[0:1], -1
                                        ; implicit-def: $vgpr4
	s_branch .LBB215_641
.LBB215_633:
	s_mov_b64 s[0:1], -1
                                        ; implicit-def: $vgpr4
	s_branch .LBB215_638
.LBB215_634:
	s_mov_b64 s[0:1], -1
                                        ; implicit-def: $vgpr4
.LBB215_635:
	s_andn2_b64 vcc, exec, s[0:1]
	s_cbranch_vccnz .LBB215_637
; %bb.636:
	global_load_dword v4, v[0:1], off
	s_waitcnt vmcnt(0)
	v_cvt_f32_i32_e32 v4, v4
	v_cvt_f16_f32_e32 v4, v4
.LBB215_637:
	s_mov_b64 s[0:1], 0
.LBB215_638:
	s_andn2_b64 vcc, exec, s[0:1]
	s_cbranch_vccnz .LBB215_640
; %bb.639:
	global_load_ushort v4, v[0:1], off
	s_waitcnt vmcnt(0)
	v_cvt_f16_i16_e32 v4, v4
.LBB215_640:
	s_mov_b64 s[0:1], 0
.LBB215_641:
	s_andn2_b64 vcc, exec, s[0:1]
	s_cbranch_vccnz .LBB215_647
; %bb.642:
	s_cmp_gt_i32 s30, 0
	s_cbranch_scc0 .LBB215_644
; %bb.643:
	global_load_sbyte v4, v[0:1], off
	s_mov_b64 s[0:1], 0
	s_waitcnt vmcnt(0)
	v_cvt_f16_i16_e32 v4, v4
	s_branch .LBB215_645
.LBB215_644:
	s_mov_b64 s[0:1], -1
                                        ; implicit-def: $vgpr4
.LBB215_645:
	s_andn2_b64 vcc, exec, s[0:1]
	s_cbranch_vccnz .LBB215_647
; %bb.646:
	global_load_ubyte v0, v[0:1], off
	s_waitcnt vmcnt(0)
	v_cvt_f16_u16_e32 v4, v0
.LBB215_647:
	s_mov_b64 s[0:1], -1
.LBB215_648:
	s_andn2_b64 vcc, exec, s[0:1]
	s_cbranch_vccnz .LBB215_656
; %bb.649:
	v_mul_lo_u32 v0, v2, s12
	v_mov_b32_e32 v1, s33
	s_waitcnt vmcnt(0)
	v_cmp_ge_f16_e32 vcc, s2, v3
	v_cndmask_b32_e32 v3, v4, v1, vcc
	v_ashrrev_i32_e32 v1, 31, v0
	v_mov_b32_e32 v4, s9
	s_and_b32 s40, s3, 0xff
	v_add_co_u32_e32 v0, vcc, s8, v0
	s_cmp_lt_i32 s40, 11
	v_addc_co_u32_e32 v1, vcc, v4, v1, vcc
	s_cbranch_scc1 .LBB215_657
; %bb.650:
	s_and_b32 s41, 0xffff, s40
	s_cmp_gt_i32 s41, 25
	s_cbranch_scc0 .LBB215_658
; %bb.651:
	s_cmp_gt_i32 s41, 28
	s_cbranch_scc0 .LBB215_659
; %bb.652:
	;; [unrolled: 3-line block ×4, first 2 shown]
	s_mov_b64 s[36:37], 0
	s_mov_b64 s[0:1], -1
	s_cmp_eq_u32 s41, 46
	s_mov_b64 s[30:31], 0
	s_cbranch_scc0 .LBB215_662
; %bb.655:
	v_cvt_f32_f16_e32 v4, v3
	s_movk_i32 s0, 0x7fff
	v_cmp_o_f16_e32 vcc, v3, v3
	v_mov_b32_e32 v5, 0x7fc0
	v_bfe_u32 v6, v4, 16, 1
	v_add3_u32 v4, v4, v6, s0
	v_cndmask_b32_sdwa v4, v5, v4, vcc dst_sel:DWORD dst_unused:UNUSED_PAD src0_sel:DWORD src1_sel:WORD_1
	global_store_dword v[0:1], v4, off
	s_mov_b64 s[30:31], -1
	s_mov_b64 s[0:1], 0
	s_branch .LBB215_662
.LBB215_656:
	s_mov_b64 s[36:37], 0
                                        ; implicit-def: $vgpr2
	s_mov_b64 s[0:1], s[18:19]
	s_branch .LBB215_772
.LBB215_657:
	s_mov_b64 s[36:37], -1
	s_mov_b64 s[30:31], 0
	s_mov_b64 s[0:1], s[18:19]
	s_branch .LBB215_731
.LBB215_658:
	s_mov_b64 s[36:37], -1
	s_mov_b64 s[30:31], 0
	s_mov_b64 s[0:1], s[18:19]
	s_branch .LBB215_689
.LBB215_659:
	s_mov_b64 s[36:37], -1
	s_mov_b64 s[30:31], 0
	s_mov_b64 s[0:1], s[18:19]
	s_branch .LBB215_672
.LBB215_660:
	s_mov_b64 s[36:37], -1
	s_mov_b64 s[30:31], 0
	s_mov_b64 s[0:1], s[18:19]
	s_branch .LBB215_668
.LBB215_661:
	s_mov_b64 s[36:37], -1
	s_mov_b64 s[30:31], 0
	s_mov_b64 s[0:1], s[18:19]
.LBB215_662:
	s_and_b64 vcc, exec, s[36:37]
	s_cbranch_vccz .LBB215_667
; %bb.663:
	s_cmp_eq_u32 s41, 44
	s_mov_b64 s[0:1], -1
	s_cbranch_scc0 .LBB215_667
; %bb.664:
	v_cvt_f32_f16_e32 v4, v3
	s_movk_i32 s0, 0xff
	v_mov_b32_e32 v6, 0xff
	v_bfe_u32 v5, v4, 23, 8
	v_cmp_ne_u32_e32 vcc, s0, v5
	s_and_saveexec_b64 s[30:31], vcc
; %bb.665:
	s_mov_b32 s0, 0x3fffff
	v_lshrrev_b32_e32 v6, 23, v4
	v_and_b32_e32 v7, 0x400000, v4
	v_and_or_b32 v4, v4, s0, v5
	v_cmp_ne_u32_e32 vcc, 0, v7
	v_cmp_ne_u32_e64 s[0:1], 0, v4
	s_and_b64 s[0:1], vcc, s[0:1]
	v_cndmask_b32_e64 v4, 0, 1, s[0:1]
	v_add_u32_e32 v6, v6, v4
; %bb.666:
	s_or_b64 exec, exec, s[30:31]
	s_mov_b64 s[30:31], -1
	s_mov_b64 s[0:1], 0
	global_store_byte v[0:1], v6, off
.LBB215_667:
	s_mov_b64 s[36:37], 0
.LBB215_668:
	s_and_b64 vcc, exec, s[36:37]
	s_cbranch_vccz .LBB215_671
; %bb.669:
	s_cmp_eq_u32 s41, 29
	s_mov_b64 s[0:1], -1
	s_cbranch_scc0 .LBB215_671
; %bb.670:
	v_cvt_f32_f16_e32 v4, v3
	v_mov_b32_e32 v5, 0
	s_mov_b64 s[30:31], -1
	s_mov_b64 s[0:1], 0
	v_cvt_u32_f32_e32 v4, v4
	s_mov_b64 s[36:37], 0
	global_store_dwordx2 v[0:1], v[4:5], off
	s_branch .LBB215_672
.LBB215_671:
	s_mov_b64 s[36:37], 0
.LBB215_672:
	s_and_b64 vcc, exec, s[36:37]
	s_cbranch_vccz .LBB215_688
; %bb.673:
	s_cmp_lt_i32 s41, 27
	s_mov_b64 s[30:31], -1
	s_cbranch_scc1 .LBB215_679
; %bb.674:
	s_cmp_gt_i32 s41, 27
	s_cbranch_scc0 .LBB215_676
; %bb.675:
	v_cvt_f32_f16_e32 v4, v3
	s_mov_b64 s[30:31], 0
	v_cvt_u32_f32_e32 v4, v4
	global_store_dword v[0:1], v4, off
.LBB215_676:
	s_andn2_b64 vcc, exec, s[30:31]
	s_cbranch_vccnz .LBB215_678
; %bb.677:
	v_cvt_u16_f16_e32 v4, v3
	global_store_short v[0:1], v4, off
.LBB215_678:
	s_mov_b64 s[30:31], 0
.LBB215_679:
	s_andn2_b64 vcc, exec, s[30:31]
	s_cbranch_vccnz .LBB215_687
; %bb.680:
	v_cvt_f32_f16_e32 v4, v3
	s_mov_b32 s30, 0x43800000
	v_mov_b32_e32 v6, 0x80
	v_and_b32_e32 v5, 0x7fffffff, v4
	v_cmp_gt_u32_e32 vcc, s30, v5
	s_and_saveexec_b64 s[30:31], vcc
	s_cbranch_execz .LBB215_686
; %bb.681:
	s_mov_b32 s36, 0x3bffffff
	v_cmp_lt_u32_e32 vcc, s36, v5
	s_mov_b64 s[36:37], 0
                                        ; implicit-def: $vgpr5
	s_and_saveexec_b64 s[38:39], vcc
	s_xor_b64 s[38:39], exec, s[38:39]
	s_cbranch_execz .LBB215_788
; %bb.682:
	v_bfe_u32 v5, v4, 20, 1
	s_mov_b32 s42, 0x487ffff
	v_add3_u32 v5, v4, v5, s42
	s_mov_b64 s[36:37], exec
	v_lshrrev_b32_e32 v5, 20, v5
	s_andn2_saveexec_b64 s[38:39], s[38:39]
	s_cbranch_execnz .LBB215_789
.LBB215_683:
	s_or_b64 exec, exec, s[38:39]
	v_mov_b32_e32 v6, 0
	s_and_saveexec_b64 s[38:39], s[36:37]
.LBB215_684:
	v_lshrrev_b32_e32 v4, 24, v4
	s_movk_i32 s36, 0x80
	v_and_or_b32 v6, v4, s36, v5
.LBB215_685:
	s_or_b64 exec, exec, s[38:39]
.LBB215_686:
	s_or_b64 exec, exec, s[30:31]
	global_store_byte v[0:1], v6, off
.LBB215_687:
	s_mov_b64 s[30:31], -1
.LBB215_688:
	s_mov_b64 s[36:37], 0
.LBB215_689:
	s_and_b64 vcc, exec, s[36:37]
	s_cbranch_vccz .LBB215_730
; %bb.690:
	s_cmp_gt_i32 s41, 22
	s_mov_b64 s[36:37], -1
	s_cbranch_scc0 .LBB215_722
; %bb.691:
	s_cmp_lt_i32 s41, 24
	s_mov_b64 s[30:31], -1
	s_cbranch_scc1 .LBB215_711
; %bb.692:
	s_cmp_gt_i32 s41, 24
	s_cbranch_scc0 .LBB215_700
; %bb.693:
	v_cvt_f32_f16_e32 v4, v3
	s_mov_b32 s30, 0x47800000
	v_mov_b32_e32 v6, 0x80
	v_and_b32_e32 v5, 0x7fffffff, v4
	v_cmp_gt_u32_e32 vcc, s30, v5
	s_and_saveexec_b64 s[30:31], vcc
	s_cbranch_execz .LBB215_699
; %bb.694:
	s_mov_b32 s36, 0x37ffffff
	v_cmp_lt_u32_e32 vcc, s36, v5
	s_mov_b64 s[36:37], 0
                                        ; implicit-def: $vgpr5
	s_and_saveexec_b64 s[38:39], vcc
	s_xor_b64 s[38:39], exec, s[38:39]
	s_cbranch_execz .LBB215_920
; %bb.695:
	v_bfe_u32 v5, v4, 21, 1
	s_mov_b32 s42, 0x88fffff
	v_add3_u32 v5, v4, v5, s42
	s_mov_b64 s[36:37], exec
	v_lshrrev_b32_e32 v5, 21, v5
	s_andn2_saveexec_b64 s[38:39], s[38:39]
	s_cbranch_execnz .LBB215_921
.LBB215_696:
	s_or_b64 exec, exec, s[38:39]
	v_mov_b32_e32 v6, 0
	s_and_saveexec_b64 s[38:39], s[36:37]
.LBB215_697:
	v_lshrrev_b32_e32 v4, 24, v4
	s_movk_i32 s36, 0x80
	v_and_or_b32 v6, v4, s36, v5
.LBB215_698:
	s_or_b64 exec, exec, s[38:39]
.LBB215_699:
	s_or_b64 exec, exec, s[30:31]
	s_mov_b64 s[30:31], 0
	global_store_byte v[0:1], v6, off
.LBB215_700:
	s_and_b64 vcc, exec, s[30:31]
	s_cbranch_vccz .LBB215_710
; %bb.701:
	v_cvt_f32_f16_e32 v4, v3
	s_mov_b32 s30, 0x43f00000
                                        ; implicit-def: $vgpr5
	v_and_b32_e32 v6, 0x7fffffff, v4
	v_cmp_gt_u32_e32 vcc, s30, v6
	s_and_saveexec_b64 s[30:31], vcc
	s_xor_b64 s[30:31], exec, s[30:31]
	s_cbranch_execz .LBB215_707
; %bb.702:
	s_mov_b32 s36, 0x3c7fffff
	v_cmp_lt_u32_e32 vcc, s36, v6
                                        ; implicit-def: $vgpr5
	s_and_saveexec_b64 s[36:37], vcc
	s_xor_b64 s[36:37], exec, s[36:37]
; %bb.703:
	v_bfe_u32 v5, v4, 20, 1
	s_mov_b32 s38, 0x407ffff
	v_add3_u32 v5, v4, v5, s38
	v_lshrrev_b32_e32 v6, 20, v5
	v_and_b32_e32 v5, 0xff00000, v5
	s_mov_b32 s38, 0x7f00000
	v_mov_b32_e32 v7, 0x7e
	v_cmp_ne_u32_e32 vcc, s38, v5
	v_cndmask_b32_e32 v5, v7, v6, vcc
; %bb.704:
	s_andn2_saveexec_b64 s[36:37], s[36:37]
; %bb.705:
	s_mov_b32 s38, 0x46800000
	v_add_f32_e64 v5, |v4|, s38
; %bb.706:
	s_or_b64 exec, exec, s[36:37]
                                        ; implicit-def: $vgpr6
.LBB215_707:
	s_andn2_saveexec_b64 s[30:31], s[30:31]
; %bb.708:
	s_mov_b32 s36, 0x7f800000
	v_mov_b32_e32 v5, 0x7e
	v_mov_b32_e32 v7, 0x7f
	v_cmp_lt_u32_e32 vcc, s36, v6
	v_cndmask_b32_e32 v5, v5, v7, vcc
; %bb.709:
	s_or_b64 exec, exec, s[30:31]
	v_lshrrev_b32_e32 v4, 24, v4
	s_movk_i32 s30, 0x80
	v_and_or_b32 v4, v4, s30, v5
	global_store_byte v[0:1], v4, off
.LBB215_710:
	s_mov_b64 s[30:31], 0
.LBB215_711:
	s_andn2_b64 vcc, exec, s[30:31]
	s_cbranch_vccnz .LBB215_721
; %bb.712:
	v_cvt_f32_f16_e32 v4, v3
	s_mov_b32 s30, 0x47800000
                                        ; implicit-def: $vgpr5
	v_and_b32_e32 v6, 0x7fffffff, v4
	v_cmp_gt_u32_e32 vcc, s30, v6
	s_and_saveexec_b64 s[30:31], vcc
	s_xor_b64 s[30:31], exec, s[30:31]
	s_cbranch_execz .LBB215_718
; %bb.713:
	s_mov_b32 s36, 0x387fffff
	v_cmp_lt_u32_e32 vcc, s36, v6
                                        ; implicit-def: $vgpr5
	s_and_saveexec_b64 s[36:37], vcc
	s_xor_b64 s[36:37], exec, s[36:37]
; %bb.714:
	v_bfe_u32 v5, v4, 21, 1
	s_mov_b32 s38, 0x80fffff
	v_add3_u32 v5, v4, v5, s38
	v_lshrrev_b32_e32 v5, 21, v5
; %bb.715:
	s_andn2_saveexec_b64 s[36:37], s[36:37]
; %bb.716:
	s_mov_b32 s38, 0x43000000
	v_add_f32_e64 v5, |v4|, s38
; %bb.717:
	s_or_b64 exec, exec, s[36:37]
                                        ; implicit-def: $vgpr6
.LBB215_718:
	s_andn2_saveexec_b64 s[30:31], s[30:31]
; %bb.719:
	s_mov_b32 s36, 0x7f800000
	v_mov_b32_e32 v5, 0x7c
	v_mov_b32_e32 v7, 0x7f
	v_cmp_lt_u32_e32 vcc, s36, v6
	v_cndmask_b32_e32 v5, v5, v7, vcc
; %bb.720:
	s_or_b64 exec, exec, s[30:31]
	v_lshrrev_b32_e32 v4, 24, v4
	s_movk_i32 s30, 0x80
	v_and_or_b32 v4, v4, s30, v5
	global_store_byte v[0:1], v4, off
.LBB215_721:
	s_mov_b64 s[36:37], 0
	s_mov_b64 s[30:31], -1
.LBB215_722:
	s_andn2_b64 vcc, exec, s[36:37]
	s_cbranch_vccnz .LBB215_730
; %bb.723:
	s_cmp_gt_i32 s41, 14
	s_mov_b64 s[36:37], -1
	s_cbranch_scc0 .LBB215_727
; %bb.724:
	s_cmp_eq_u32 s41, 15
	s_mov_b64 s[0:1], -1
	s_cbranch_scc0 .LBB215_726
; %bb.725:
	v_cvt_f32_f16_e32 v4, v3
	s_movk_i32 s0, 0x7fff
	v_cmp_o_f16_e32 vcc, v3, v3
	v_mov_b32_e32 v5, 0x7fc0
	v_bfe_u32 v6, v4, 16, 1
	v_add3_u32 v4, v4, v6, s0
	v_cndmask_b32_sdwa v4, v5, v4, vcc dst_sel:DWORD dst_unused:UNUSED_PAD src0_sel:DWORD src1_sel:WORD_1
	global_store_short v[0:1], v4, off
	s_mov_b64 s[30:31], -1
	s_mov_b64 s[0:1], 0
.LBB215_726:
	s_mov_b64 s[36:37], 0
.LBB215_727:
	s_and_b64 vcc, exec, s[36:37]
	s_cbranch_vccz .LBB215_730
; %bb.728:
	s_cmp_eq_u32 s41, 11
	s_mov_b64 s[0:1], -1
	s_cbranch_scc0 .LBB215_730
; %bb.729:
	v_and_b32_e32 v4, 0x7fff, v3
	v_cmp_ne_u16_e32 vcc, 0, v4
	v_cndmask_b32_e64 v4, 0, 1, vcc
	s_mov_b64 s[30:31], -1
	s_mov_b64 s[0:1], 0
	global_store_byte v[0:1], v4, off
.LBB215_730:
	s_mov_b64 s[36:37], 0
.LBB215_731:
	s_and_b64 vcc, exec, s[36:37]
	s_cbranch_vccz .LBB215_770
; %bb.732:
	s_and_b32 s36, 0xffff, s40
	s_cmp_lt_i32 s36, 5
	s_mov_b64 s[30:31], -1
	s_cbranch_scc1 .LBB215_753
; %bb.733:
	s_cmp_lt_i32 s36, 8
	s_cbranch_scc1 .LBB215_743
; %bb.734:
	s_cmp_lt_i32 s36, 9
	s_cbranch_scc1 .LBB215_740
; %bb.735:
	s_cmp_gt_i32 s36, 9
	s_cbranch_scc0 .LBB215_737
; %bb.736:
	v_cvt_f32_f16_e32 v4, v3
	v_mov_b32_e32 v6, 0
	v_mov_b32_e32 v7, v6
	s_mov_b64 s[30:31], 0
	v_cvt_f64_f32_e32 v[4:5], v4
	global_store_dwordx4 v[0:1], v[4:7], off
.LBB215_737:
	s_andn2_b64 vcc, exec, s[30:31]
	s_cbranch_vccnz .LBB215_739
; %bb.738:
	v_cvt_f32_f16_e32 v4, v3
	v_mov_b32_e32 v5, 0
	global_store_dwordx2 v[0:1], v[4:5], off
.LBB215_739:
	s_mov_b64 s[30:31], 0
.LBB215_740:
	s_andn2_b64 vcc, exec, s[30:31]
	s_cbranch_vccnz .LBB215_742
; %bb.741:
	v_and_b32_e32 v4, 0xffff, v3
	global_store_dword v[0:1], v4, off
.LBB215_742:
	s_mov_b64 s[30:31], 0
.LBB215_743:
	s_andn2_b64 vcc, exec, s[30:31]
	s_cbranch_vccnz .LBB215_752
; %bb.744:
	s_cmp_lt_i32 s36, 6
	s_mov_b64 s[30:31], -1
	s_cbranch_scc1 .LBB215_750
; %bb.745:
	s_cmp_gt_i32 s36, 6
	s_cbranch_scc0 .LBB215_747
; %bb.746:
	v_cvt_f32_f16_e32 v4, v3
	s_mov_b64 s[30:31], 0
	v_cvt_f64_f32_e32 v[4:5], v4
	global_store_dwordx2 v[0:1], v[4:5], off
.LBB215_747:
	s_andn2_b64 vcc, exec, s[30:31]
	s_cbranch_vccnz .LBB215_749
; %bb.748:
	v_cvt_f32_f16_e32 v4, v3
	global_store_dword v[0:1], v4, off
.LBB215_749:
	s_mov_b64 s[30:31], 0
.LBB215_750:
	s_andn2_b64 vcc, exec, s[30:31]
	s_cbranch_vccnz .LBB215_752
; %bb.751:
	global_store_short v[0:1], v3, off
.LBB215_752:
	s_mov_b64 s[30:31], 0
.LBB215_753:
	s_andn2_b64 vcc, exec, s[30:31]
	s_cbranch_vccnz .LBB215_769
; %bb.754:
	s_cmp_lt_i32 s36, 2
	s_mov_b64 s[30:31], -1
	s_cbranch_scc1 .LBB215_764
; %bb.755:
	s_cmp_lt_i32 s36, 3
	s_cbranch_scc1 .LBB215_761
; %bb.756:
	s_cmp_gt_i32 s36, 3
	s_cbranch_scc0 .LBB215_758
; %bb.757:
	v_cvt_f32_f16_e32 v4, v3
	s_mov_b64 s[30:31], 0
	v_cvt_i32_f32_e32 v4, v4
	v_ashrrev_i32_e32 v5, 31, v4
	global_store_dwordx2 v[0:1], v[4:5], off
.LBB215_758:
	s_andn2_b64 vcc, exec, s[30:31]
	s_cbranch_vccnz .LBB215_760
; %bb.759:
	v_cvt_f32_f16_e32 v4, v3
	v_cvt_i32_f32_e32 v4, v4
	global_store_dword v[0:1], v4, off
.LBB215_760:
	s_mov_b64 s[30:31], 0
.LBB215_761:
	s_andn2_b64 vcc, exec, s[30:31]
	s_cbranch_vccnz .LBB215_763
; %bb.762:
	v_cvt_i16_f16_e32 v4, v3
	global_store_short v[0:1], v4, off
.LBB215_763:
	s_mov_b64 s[30:31], 0
.LBB215_764:
	s_andn2_b64 vcc, exec, s[30:31]
	s_cbranch_vccnz .LBB215_769
; %bb.765:
	s_cmp_gt_i32 s36, 0
	s_mov_b64 s[30:31], -1
	s_cbranch_scc0 .LBB215_767
; %bb.766:
	v_cvt_i16_f16_e32 v4, v3
	s_mov_b64 s[30:31], 0
	global_store_byte v[0:1], v4, off
.LBB215_767:
	s_andn2_b64 vcc, exec, s[30:31]
	s_cbranch_vccnz .LBB215_769
; %bb.768:
	v_cvt_f32_f16_e32 v3, v3
	v_cvt_i32_f32_e32 v3, v3
	global_store_byte v[0:1], v3, off
.LBB215_769:
	s_mov_b64 s[30:31], -1
.LBB215_770:
	s_andn2_b64 vcc, exec, s[30:31]
	s_cbranch_vccnz .LBB215_783
; %bb.771:
	v_add_u32_e32 v2, 0x80, v2
	s_mov_b64 s[36:37], -1
.LBB215_772:
	s_andn2_b64 s[30:31], s[18:19], exec
	s_and_b64 s[0:1], s[0:1], exec
	s_or_b64 s[30:31], s[30:31], s[0:1]
	s_andn2_b64 s[0:1], s[20:21], exec
	s_and_b64 s[28:29], s[28:29], exec
	s_or_b64 s[28:29], s[0:1], s[28:29]
	;; [unrolled: 3-line block ×3, first 2 shown]
	s_orn2_b64 s[0:1], s[36:37], exec
.LBB215_773:
	s_or_b64 exec, exec, s[34:35]
	s_mov_b64 s[36:37], 0
	s_mov_b64 s[38:39], 0
	;; [unrolled: 1-line block ×3, first 2 shown]
                                        ; implicit-def: $sgpr57
                                        ; implicit-def: $vgpr0_vgpr1
                                        ; implicit-def: $vgpr3
	s_and_saveexec_b64 s[34:35], s[0:1]
	s_cbranch_execz .LBB215_1247
; %bb.774:
	v_cmp_gt_i32_e32 vcc, s50, v2
	s_mov_b64 s[48:49], -1
	s_mov_b64 s[0:1], s[26:27]
	s_mov_b64 s[40:41], s[28:29]
	;; [unrolled: 1-line block ×3, first 2 shown]
	s_and_saveexec_b64 s[36:37], vcc
	s_cbranch_execz .LBB215_1162
; %bb.775:
	v_mul_lo_u32 v0, v2, s13
	v_mov_b32_e32 v1, s11
	s_and_b32 s44, s56, 0xff
	s_cmp_lt_i32 s44, 11
	s_waitcnt vmcnt(0)
	v_ashrrev_i32_e32 v3, 31, v0
	v_add_co_u32_e32 v0, vcc, s10, v0
	v_addc_co_u32_e32 v1, vcc, v1, v3, vcc
	s_cbranch_scc1 .LBB215_782
; %bb.776:
	s_and_b32 s45, 0xffff, s44
	s_cmp_gt_i32 s45, 25
	s_cbranch_scc0 .LBB215_784
; %bb.777:
	s_cmp_gt_i32 s45, 28
	s_cbranch_scc0 .LBB215_785
; %bb.778:
	s_cmp_gt_i32 s45, 43
	s_cbranch_scc0 .LBB215_786
; %bb.779:
	s_cmp_gt_i32 s45, 45
	s_cbranch_scc0 .LBB215_787
; %bb.780:
	s_cmp_eq_u32 s45, 46
	s_mov_b64 s[40:41], 0
	s_cbranch_scc0 .LBB215_790
; %bb.781:
	global_load_dword v3, v[0:1], off
	s_mov_b64 s[0:1], -1
	s_waitcnt vmcnt(0)
	v_lshlrev_b32_e32 v3, 16, v3
	v_cvt_f16_f32_e32 v3, v3
	s_branch .LBB215_791
.LBB215_782:
	s_mov_b64 s[40:41], -1
	s_mov_b64 s[0:1], 0
                                        ; implicit-def: $vgpr3
	s_mov_b64 s[38:39], s[26:27]
	s_branch .LBB215_856
.LBB215_783:
	s_mov_b64 s[36:37], 0
	s_branch .LBB215_530
.LBB215_784:
	s_mov_b64 s[40:41], -1
	s_mov_b64 s[0:1], 0
	s_mov_b64 s[38:39], s[26:27]
                                        ; implicit-def: $vgpr3
	s_branch .LBB215_820
.LBB215_785:
	s_mov_b64 s[40:41], -1
	s_mov_b64 s[0:1], 0
	s_mov_b64 s[38:39], s[26:27]
                                        ; implicit-def: $vgpr3
	s_branch .LBB215_801
.LBB215_786:
	s_mov_b64 s[40:41], -1
	s_mov_b64 s[0:1], 0
	s_mov_b64 s[38:39], s[26:27]
                                        ; implicit-def: $vgpr3
	s_branch .LBB215_796
.LBB215_787:
	s_mov_b64 s[40:41], -1
	s_mov_b64 s[0:1], 0
	s_mov_b64 s[38:39], s[26:27]
                                        ; implicit-def: $vgpr3
	s_branch .LBB215_791
.LBB215_788:
	s_andn2_saveexec_b64 s[38:39], s[38:39]
	s_cbranch_execz .LBB215_683
.LBB215_789:
	s_mov_b32 s42, 0x46000000
	v_add_f32_e64 v5, |v4|, s42
	v_and_b32_e32 v5, 0xff, v5
	v_cmp_ne_u32_e32 vcc, 0, v5
	s_andn2_b64 s[36:37], s[36:37], exec
	s_and_b64 s[42:43], vcc, exec
	s_or_b64 s[36:37], s[36:37], s[42:43]
	s_or_b64 exec, exec, s[38:39]
	v_mov_b32_e32 v6, 0
	s_and_saveexec_b64 s[38:39], s[36:37]
	s_cbranch_execnz .LBB215_684
	s_branch .LBB215_685
.LBB215_790:
	s_mov_b64 s[38:39], -1
                                        ; implicit-def: $vgpr3
	s_mov_b64 s[0:1], 0
.LBB215_791:
	s_and_b64 vcc, exec, s[40:41]
	s_cbranch_vccz .LBB215_795
; %bb.792:
	s_cmp_eq_u32 s45, 44
	s_cbranch_scc0 .LBB215_794
; %bb.793:
	global_load_ubyte v3, v[0:1], off
	s_movk_i32 s38, 0xff
	v_mov_b32_e32 v5, 0x7e00
	s_mov_b64 s[0:1], -1
	s_waitcnt vmcnt(0)
	v_lshlrev_b32_e32 v4, 23, v3
	v_cvt_f16_f32_e32 v4, v4
	v_cmp_ne_u32_e32 vcc, s38, v3
	s_mov_b64 s[38:39], 0
	v_cndmask_b32_e32 v4, v5, v4, vcc
	v_cmp_ne_u32_e32 vcc, 0, v3
	v_cndmask_b32_e32 v3, 0, v4, vcc
	s_branch .LBB215_795
.LBB215_794:
	s_mov_b64 s[38:39], -1
                                        ; implicit-def: $vgpr3
.LBB215_795:
	s_mov_b64 s[40:41], 0
.LBB215_796:
	s_and_b64 vcc, exec, s[40:41]
	s_cbranch_vccz .LBB215_800
; %bb.797:
	s_cmp_eq_u32 s45, 29
	s_cbranch_scc0 .LBB215_799
; %bb.798:
	global_load_dwordx2 v[3:4], v[0:1], off
	s_mov_b64 s[0:1], -1
	s_mov_b64 s[38:39], 0
	s_mov_b64 s[40:41], 0
	s_waitcnt vmcnt(0)
	v_ffbh_u32_e32 v5, v4
	v_min_u32_e32 v5, 32, v5
	v_lshlrev_b64 v[3:4], v5, v[3:4]
	v_min_u32_e32 v3, 1, v3
	v_or_b32_e32 v3, v4, v3
	v_cvt_f32_u32_e32 v3, v3
	v_sub_u32_e32 v4, 32, v5
	v_ldexp_f32 v3, v3, v4
	v_cvt_f16_f32_e32 v3, v3
	s_branch .LBB215_801
.LBB215_799:
	s_mov_b64 s[38:39], -1
                                        ; implicit-def: $vgpr3
.LBB215_800:
	s_mov_b64 s[40:41], 0
.LBB215_801:
	s_and_b64 vcc, exec, s[40:41]
	s_cbranch_vccz .LBB215_819
; %bb.802:
	s_cmp_lt_i32 s45, 27
	s_cbranch_scc1 .LBB215_805
; %bb.803:
	s_cmp_gt_i32 s45, 27
	s_cbranch_scc0 .LBB215_806
; %bb.804:
	global_load_dword v3, v[0:1], off
	s_mov_b64 s[0:1], 0
	s_waitcnt vmcnt(0)
	v_cvt_f32_u32_e32 v3, v3
	v_cvt_f16_f32_e32 v3, v3
	s_branch .LBB215_807
.LBB215_805:
	s_mov_b64 s[0:1], -1
                                        ; implicit-def: $vgpr3
	s_branch .LBB215_810
.LBB215_806:
	s_mov_b64 s[0:1], -1
                                        ; implicit-def: $vgpr3
.LBB215_807:
	s_andn2_b64 vcc, exec, s[0:1]
	s_cbranch_vccnz .LBB215_809
; %bb.808:
	global_load_ushort v3, v[0:1], off
	s_waitcnt vmcnt(0)
	v_cvt_f16_u16_e32 v3, v3
.LBB215_809:
	s_mov_b64 s[0:1], 0
.LBB215_810:
	s_andn2_b64 vcc, exec, s[0:1]
	s_cbranch_vccnz .LBB215_818
; %bb.811:
	global_load_ubyte v4, v[0:1], off
	s_movk_i32 s0, 0x7f
	s_waitcnt vmcnt(0)
	v_cmp_lt_i16_e32 vcc, s0, v4
	s_mov_b64 s[0:1], 0
	s_and_saveexec_b64 s[40:41], vcc
	s_xor_b64 s[40:41], exec, s[40:41]
	s_cbranch_execz .LBB215_832
; %bb.812:
	s_movk_i32 s0, 0x80
	v_cmp_eq_u16_e32 vcc, s0, v4
	s_mov_b64 s[0:1], -1
	s_and_saveexec_b64 s[42:43], vcc
; %bb.813:
	s_xor_b64 s[0:1], exec, -1
; %bb.814:
	s_or_b64 exec, exec, s[42:43]
	s_and_b64 s[0:1], s[0:1], exec
	s_or_saveexec_b64 s[40:41], s[40:41]
	v_mov_b32_e32 v3, 0x7e00
	s_xor_b64 exec, exec, s[40:41]
	s_cbranch_execnz .LBB215_833
.LBB215_815:
	s_or_b64 exec, exec, s[40:41]
	s_and_saveexec_b64 s[40:41], s[0:1]
	s_cbranch_execz .LBB215_817
.LBB215_816:
	v_lshlrev_b32_e32 v3, 24, v4
	v_and_b32_e32 v4, 0xffff, v4
	v_and_b32_e32 v5, 7, v4
	v_ffbh_u32_e32 v7, v5
	v_min_u32_e32 v7, 32, v7
	v_subrev_u32_e32 v8, 28, v7
	v_bfe_u32 v6, v4, 3, 4
	v_lshlrev_b32_e32 v4, v8, v4
	v_sub_u32_e32 v7, 29, v7
	v_and_b32_e32 v4, 7, v4
	v_cmp_eq_u32_e32 vcc, 0, v6
	v_cndmask_b32_e32 v6, v6, v7, vcc
	v_cndmask_b32_e32 v4, v5, v4, vcc
	v_mov_b32_e32 v5, 0x3b800000
	v_lshlrev_b32_e32 v4, 20, v4
	v_and_b32_e32 v3, 0x80000000, v3
	v_lshl_add_u32 v5, v6, 23, v5
	v_or3_b32 v3, v3, v5, v4
	v_cvt_f16_f32_e32 v3, v3
.LBB215_817:
	s_or_b64 exec, exec, s[40:41]
.LBB215_818:
	s_mov_b64 s[0:1], -1
.LBB215_819:
	s_mov_b64 s[40:41], 0
.LBB215_820:
	s_and_b64 vcc, exec, s[40:41]
	s_cbranch_vccz .LBB215_855
; %bb.821:
	s_cmp_gt_i32 s45, 22
	s_cbranch_scc0 .LBB215_831
; %bb.822:
	s_cmp_lt_i32 s45, 24
	s_cbranch_scc1 .LBB215_834
; %bb.823:
	s_cmp_gt_i32 s45, 24
	s_cbranch_scc0 .LBB215_835
; %bb.824:
	global_load_ubyte v4, v[0:1], off
	s_movk_i32 s0, 0x7f
	s_waitcnt vmcnt(0)
	v_cmp_lt_i16_e32 vcc, s0, v4
	s_mov_b64 s[0:1], 0
	s_and_saveexec_b64 s[40:41], vcc
	s_xor_b64 s[40:41], exec, s[40:41]
	s_cbranch_execz .LBB215_847
; %bb.825:
	s_movk_i32 s0, 0x80
	v_cmp_eq_u16_e32 vcc, s0, v4
	s_mov_b64 s[0:1], -1
	s_and_saveexec_b64 s[42:43], vcc
; %bb.826:
	s_xor_b64 s[0:1], exec, -1
; %bb.827:
	s_or_b64 exec, exec, s[42:43]
	s_and_b64 s[0:1], s[0:1], exec
	s_or_saveexec_b64 s[40:41], s[40:41]
	v_mov_b32_e32 v3, 0x7e00
	s_xor_b64 exec, exec, s[40:41]
	s_cbranch_execnz .LBB215_848
.LBB215_828:
	s_or_b64 exec, exec, s[40:41]
	s_and_saveexec_b64 s[40:41], s[0:1]
	s_cbranch_execz .LBB215_830
.LBB215_829:
	v_lshlrev_b32_e32 v3, 24, v4
	v_and_b32_e32 v4, 0xffff, v4
	v_and_b32_e32 v5, 3, v4
	v_ffbh_u32_e32 v7, v5
	v_min_u32_e32 v7, 32, v7
	v_subrev_u32_e32 v8, 29, v7
	v_bfe_u32 v6, v4, 2, 5
	v_lshlrev_b32_e32 v4, v8, v4
	v_sub_u32_e32 v7, 30, v7
	v_and_b32_e32 v4, 3, v4
	v_cmp_eq_u32_e32 vcc, 0, v6
	v_cndmask_b32_e32 v6, v6, v7, vcc
	v_cndmask_b32_e32 v4, v5, v4, vcc
	v_mov_b32_e32 v5, 0x37800000
	v_lshlrev_b32_e32 v4, 21, v4
	v_and_b32_e32 v3, 0x80000000, v3
	v_lshl_add_u32 v5, v6, 23, v5
	v_or3_b32 v3, v3, v5, v4
	v_cvt_f16_f32_e32 v3, v3
.LBB215_830:
	s_or_b64 exec, exec, s[40:41]
	s_mov_b64 s[0:1], 0
	s_branch .LBB215_836
.LBB215_831:
	s_mov_b64 s[40:41], -1
                                        ; implicit-def: $vgpr3
	s_branch .LBB215_842
.LBB215_832:
	s_or_saveexec_b64 s[40:41], s[40:41]
	v_mov_b32_e32 v3, 0x7e00
	s_xor_b64 exec, exec, s[40:41]
	s_cbranch_execz .LBB215_815
.LBB215_833:
	v_cmp_ne_u16_e32 vcc, 0, v4
	s_andn2_b64 s[0:1], s[0:1], exec
	s_and_b64 s[42:43], vcc, exec
	s_or_b64 s[0:1], s[0:1], s[42:43]
	v_mov_b32_e32 v3, v4
	s_or_b64 exec, exec, s[40:41]
	s_and_saveexec_b64 s[40:41], s[0:1]
	s_cbranch_execnz .LBB215_816
	s_branch .LBB215_817
.LBB215_834:
	s_mov_b64 s[0:1], -1
                                        ; implicit-def: $vgpr3
	s_branch .LBB215_839
.LBB215_835:
	s_mov_b64 s[0:1], -1
                                        ; implicit-def: $vgpr3
.LBB215_836:
	s_and_b64 vcc, exec, s[0:1]
	s_cbranch_vccz .LBB215_838
; %bb.837:
	global_load_ubyte v3, v[0:1], off
	s_mov_b32 s0, 0x7f800000
	s_waitcnt vmcnt(0)
	v_lshlrev_b32_e32 v3, 24, v3
	v_and_b32_e32 v4, 0x7f000000, v3
	v_ffbh_u32_e32 v5, v4
	v_min_u32_e32 v5, 32, v5
	v_sub_u32_e64 v5, v5, 4 clamp
	v_lshlrev_b32_e32 v7, v5, v4
	v_lshlrev_b32_e32 v5, 23, v5
	v_lshrrev_b32_e32 v7, 4, v7
	v_add_u32_e32 v6, 0x1000000, v4
	v_sub_u32_e32 v5, v7, v5
	v_ashrrev_i32_e32 v6, 8, v6
	v_add_u32_e32 v5, 0x3c000000, v5
	v_and_or_b32 v5, v6, s0, v5
	v_cmp_ne_u32_e32 vcc, 0, v4
	v_cndmask_b32_e32 v4, 0, v5, vcc
	s_brev_b32 s0, 1
	v_and_or_b32 v3, v3, s0, v4
	v_cvt_f16_f32_e32 v3, v3
.LBB215_838:
	s_mov_b64 s[0:1], 0
.LBB215_839:
	s_andn2_b64 vcc, exec, s[0:1]
	s_cbranch_vccnz .LBB215_841
; %bb.840:
	global_load_ubyte v3, v[0:1], off
	s_movk_i32 s0, 0x7f00
	s_brev_b32 s1, 16
	s_waitcnt vmcnt(0)
	v_lshlrev_b16_e32 v4, 8, v3
	v_lshlrev_b32_e32 v3, 25, v3
	v_lshrrev_b32_e32 v5, 4, v3
	v_and_or_b32 v6, v4, s0, 0.5
	v_or_b32_e32 v5, 0x70000000, v5
	v_add_f32_e32 v6, -0.5, v6
	v_mul_f32_e32 v5, 0x7800000, v5
	v_cmp_gt_u32_e32 vcc, s1, v3
	v_bfe_i32 v4, v4, 0, 16
	v_cndmask_b32_e32 v3, v5, v6, vcc
	s_brev_b32 s0, 1
	v_and_or_b32 v3, v4, s0, v3
	v_cvt_f16_f32_e32 v3, v3
.LBB215_841:
	s_mov_b64 s[40:41], 0
	s_mov_b64 s[0:1], -1
.LBB215_842:
	s_andn2_b64 vcc, exec, s[40:41]
	s_cbranch_vccnz .LBB215_855
; %bb.843:
	s_cmp_gt_i32 s45, 14
	s_cbranch_scc0 .LBB215_846
; %bb.844:
	s_cmp_eq_u32 s45, 15
	s_cbranch_scc0 .LBB215_849
; %bb.845:
	global_load_ushort v3, v[0:1], off
	s_mov_b64 s[0:1], -1
	s_mov_b64 s[38:39], 0
	s_waitcnt vmcnt(0)
	v_lshlrev_b32_e32 v3, 16, v3
	v_cvt_f16_f32_e32 v3, v3
	s_branch .LBB215_850
.LBB215_846:
	s_mov_b64 s[40:41], -1
                                        ; implicit-def: $vgpr3
	s_branch .LBB215_851
.LBB215_847:
	s_or_saveexec_b64 s[40:41], s[40:41]
	v_mov_b32_e32 v3, 0x7e00
	s_xor_b64 exec, exec, s[40:41]
	s_cbranch_execz .LBB215_828
.LBB215_848:
	v_cmp_ne_u16_e32 vcc, 0, v4
	s_andn2_b64 s[0:1], s[0:1], exec
	s_and_b64 s[42:43], vcc, exec
	s_or_b64 s[0:1], s[0:1], s[42:43]
	v_mov_b32_e32 v3, v4
	s_or_b64 exec, exec, s[40:41]
	s_and_saveexec_b64 s[40:41], s[0:1]
	s_cbranch_execnz .LBB215_829
	s_branch .LBB215_830
.LBB215_849:
	s_mov_b64 s[38:39], -1
                                        ; implicit-def: $vgpr3
.LBB215_850:
	s_mov_b64 s[40:41], 0
.LBB215_851:
	s_and_b64 vcc, exec, s[40:41]
	s_cbranch_vccz .LBB215_855
; %bb.852:
	s_cmp_eq_u32 s45, 11
	s_cbranch_scc0 .LBB215_854
; %bb.853:
	global_load_ubyte v3, v[0:1], off
	v_mov_b32_e32 v4, 0x3c00
	s_mov_b64 s[0:1], -1
	s_mov_b64 s[38:39], 0
	s_waitcnt vmcnt(0)
	v_cmp_ne_u16_e32 vcc, 0, v3
	v_cndmask_b32_e32 v3, 0, v4, vcc
	s_branch .LBB215_855
.LBB215_854:
	s_mov_b64 s[38:39], -1
                                        ; implicit-def: $vgpr3
.LBB215_855:
	s_mov_b64 s[40:41], 0
.LBB215_856:
	s_and_b64 vcc, exec, s[40:41]
	s_cbranch_vccz .LBB215_905
; %bb.857:
	s_and_b32 s40, 0xffff, s44
	s_cmp_lt_i32 s40, 5
	s_cbranch_scc1 .LBB215_862
; %bb.858:
	s_cmp_lt_i32 s40, 8
	s_cbranch_scc1 .LBB215_863
; %bb.859:
	;; [unrolled: 3-line block ×3, first 2 shown]
	s_cmp_gt_i32 s40, 9
	s_cbranch_scc0 .LBB215_865
; %bb.861:
	global_load_dwordx2 v[3:4], v[0:1], off
	s_movk_i32 s0, 0x1ff
	s_movk_i32 s1, 0xffe
	v_mov_b32_e32 v5, 0x7c00
	v_mov_b32_e32 v6, 0x7e00
	s_movk_i32 s41, 0x40f
	s_mov_b32 s42, 0x8000
	s_waitcnt vmcnt(0)
	v_and_or_b32 v3, v4, s0, v3
	v_cmp_ne_u32_e32 vcc, 0, v3
	v_lshrrev_b32_e32 v7, 8, v4
	v_bfe_u32 v8, v4, 20, 11
	v_cndmask_b32_e64 v3, 0, 1, vcc
	v_sub_u32_e32 v9, 0x3f1, v8
	v_and_or_b32 v3, v7, s1, v3
	v_add_u32_e32 v8, 0xfffffc10, v8
	v_med3_i32 v7, v9, 0, 13
	v_or_b32_e32 v9, 0x1000, v3
	v_cmp_ne_u32_e32 vcc, 0, v3
	v_lshl_or_b32 v10, v8, 12, v3
	v_cndmask_b32_e32 v3, v5, v6, vcc
	v_lshrrev_b32_e32 v6, v7, v9
	v_lshlrev_b32_e32 v7, v7, v6
	v_cmp_ne_u32_e32 vcc, v7, v9
	v_cndmask_b32_e64 v7, 0, 1, vcc
	v_or_b32_e32 v6, v6, v7
	v_cmp_gt_i32_e32 vcc, 1, v8
	v_cndmask_b32_e32 v6, v10, v6, vcc
	v_and_b32_e32 v7, 7, v6
	v_cmp_lt_i32_e32 vcc, 5, v7
	v_cndmask_b32_e64 v9, 0, 1, vcc
	v_cmp_eq_u32_e32 vcc, 3, v7
	v_cndmask_b32_e64 v7, 0, 1, vcc
	v_lshrrev_b32_e32 v6, 2, v6
	v_or_b32_e32 v7, v7, v9
	v_add_u32_e32 v6, v6, v7
	v_cmp_gt_i32_e32 vcc, 31, v8
	v_cndmask_b32_e32 v5, v5, v6, vcc
	v_cmp_eq_u32_e32 vcc, s41, v8
	v_lshrrev_b32_e32 v4, 16, v4
	v_cndmask_b32_e32 v3, v5, v3, vcc
	v_and_or_b32 v3, v4, s42, v3
	s_mov_b64 s[0:1], 0
	s_branch .LBB215_866
.LBB215_862:
	s_mov_b64 s[0:1], -1
                                        ; implicit-def: $vgpr3
	s_branch .LBB215_884
.LBB215_863:
	s_mov_b64 s[0:1], -1
                                        ; implicit-def: $vgpr3
	s_branch .LBB215_872
.LBB215_864:
	s_mov_b64 s[0:1], -1
                                        ; implicit-def: $vgpr3
	s_branch .LBB215_869
.LBB215_865:
	s_mov_b64 s[0:1], -1
                                        ; implicit-def: $vgpr3
.LBB215_866:
	s_andn2_b64 vcc, exec, s[0:1]
	s_cbranch_vccnz .LBB215_868
; %bb.867:
	global_load_dword v3, v[0:1], off
	s_waitcnt vmcnt(0)
	v_cvt_f16_f32_e32 v3, v3
.LBB215_868:
	s_mov_b64 s[0:1], 0
.LBB215_869:
	s_andn2_b64 vcc, exec, s[0:1]
	s_cbranch_vccnz .LBB215_871
; %bb.870:
	global_load_dword v3, v[0:1], off
.LBB215_871:
	s_mov_b64 s[0:1], 0
.LBB215_872:
	s_andn2_b64 vcc, exec, s[0:1]
	s_cbranch_vccnz .LBB215_883
; %bb.873:
	s_cmp_lt_i32 s40, 6
	s_cbranch_scc1 .LBB215_876
; %bb.874:
	s_cmp_gt_i32 s40, 6
	s_cbranch_scc0 .LBB215_877
; %bb.875:
	global_load_dwordx2 v[3:4], v[0:1], off
	s_movk_i32 s0, 0x1ff
	s_movk_i32 s1, 0xffe
	v_mov_b32_e32 v5, 0x7c00
	v_mov_b32_e32 v6, 0x7e00
	s_movk_i32 s41, 0x40f
	s_mov_b32 s42, 0x8000
	s_waitcnt vmcnt(0)
	v_and_or_b32 v3, v4, s0, v3
	v_cmp_ne_u32_e32 vcc, 0, v3
	v_lshrrev_b32_e32 v7, 8, v4
	v_bfe_u32 v8, v4, 20, 11
	v_cndmask_b32_e64 v3, 0, 1, vcc
	v_sub_u32_e32 v9, 0x3f1, v8
	v_and_or_b32 v3, v7, s1, v3
	v_add_u32_e32 v8, 0xfffffc10, v8
	v_med3_i32 v7, v9, 0, 13
	v_or_b32_e32 v9, 0x1000, v3
	v_cmp_ne_u32_e32 vcc, 0, v3
	v_lshl_or_b32 v10, v8, 12, v3
	v_cndmask_b32_e32 v3, v5, v6, vcc
	v_lshrrev_b32_e32 v6, v7, v9
	v_lshlrev_b32_e32 v7, v7, v6
	v_cmp_ne_u32_e32 vcc, v7, v9
	v_cndmask_b32_e64 v7, 0, 1, vcc
	v_or_b32_e32 v6, v6, v7
	v_cmp_gt_i32_e32 vcc, 1, v8
	v_cndmask_b32_e32 v6, v10, v6, vcc
	v_and_b32_e32 v7, 7, v6
	v_cmp_lt_i32_e32 vcc, 5, v7
	v_cndmask_b32_e64 v9, 0, 1, vcc
	v_cmp_eq_u32_e32 vcc, 3, v7
	v_cndmask_b32_e64 v7, 0, 1, vcc
	v_lshrrev_b32_e32 v6, 2, v6
	v_or_b32_e32 v7, v7, v9
	v_add_u32_e32 v6, v6, v7
	v_cmp_gt_i32_e32 vcc, 31, v8
	v_cndmask_b32_e32 v5, v5, v6, vcc
	v_cmp_eq_u32_e32 vcc, s41, v8
	v_lshrrev_b32_e32 v4, 16, v4
	v_cndmask_b32_e32 v3, v5, v3, vcc
	v_and_or_b32 v3, v4, s42, v3
	s_mov_b64 s[0:1], 0
	s_branch .LBB215_878
.LBB215_876:
	s_mov_b64 s[0:1], -1
                                        ; implicit-def: $vgpr3
	s_branch .LBB215_881
.LBB215_877:
	s_mov_b64 s[0:1], -1
                                        ; implicit-def: $vgpr3
.LBB215_878:
	s_andn2_b64 vcc, exec, s[0:1]
	s_cbranch_vccnz .LBB215_880
; %bb.879:
	global_load_dword v3, v[0:1], off
	s_waitcnt vmcnt(0)
	v_cvt_f16_f32_e32 v3, v3
.LBB215_880:
	s_mov_b64 s[0:1], 0
.LBB215_881:
	s_andn2_b64 vcc, exec, s[0:1]
	s_cbranch_vccnz .LBB215_883
; %bb.882:
	global_load_ushort v3, v[0:1], off
.LBB215_883:
	s_mov_b64 s[0:1], 0
.LBB215_884:
	s_andn2_b64 vcc, exec, s[0:1]
	s_cbranch_vccnz .LBB215_904
; %bb.885:
	s_cmp_lt_i32 s40, 2
	s_cbranch_scc1 .LBB215_889
; %bb.886:
	s_cmp_lt_i32 s40, 3
	s_cbranch_scc1 .LBB215_890
; %bb.887:
	s_cmp_gt_i32 s40, 3
	s_cbranch_scc0 .LBB215_891
; %bb.888:
	global_load_dwordx2 v[3:4], v[0:1], off
	s_mov_b64 s[0:1], 0
	s_waitcnt vmcnt(0)
	v_xor_b32_e32 v6, v3, v4
	v_ffbh_i32_e32 v5, v4
	v_ashrrev_i32_e32 v6, 31, v6
	v_add_u32_e32 v5, -1, v5
	v_add_u32_e32 v6, 32, v6
	v_min_u32_e32 v5, v5, v6
	v_lshlrev_b64 v[3:4], v5, v[3:4]
	v_min_u32_e32 v3, 1, v3
	v_or_b32_e32 v3, v4, v3
	v_cvt_f32_i32_e32 v3, v3
	v_sub_u32_e32 v4, 32, v5
	v_ldexp_f32 v3, v3, v4
	v_cvt_f16_f32_e32 v3, v3
	s_branch .LBB215_892
.LBB215_889:
	s_mov_b64 s[0:1], -1
                                        ; implicit-def: $vgpr3
	s_branch .LBB215_898
.LBB215_890:
	s_mov_b64 s[0:1], -1
                                        ; implicit-def: $vgpr3
	s_branch .LBB215_895
.LBB215_891:
	s_mov_b64 s[0:1], -1
                                        ; implicit-def: $vgpr3
.LBB215_892:
	s_andn2_b64 vcc, exec, s[0:1]
	s_cbranch_vccnz .LBB215_894
; %bb.893:
	global_load_dword v3, v[0:1], off
	s_waitcnt vmcnt(0)
	v_cvt_f32_i32_e32 v3, v3
	v_cvt_f16_f32_e32 v3, v3
.LBB215_894:
	s_mov_b64 s[0:1], 0
.LBB215_895:
	s_andn2_b64 vcc, exec, s[0:1]
	s_cbranch_vccnz .LBB215_897
; %bb.896:
	global_load_ushort v3, v[0:1], off
	s_waitcnt vmcnt(0)
	v_cvt_f16_i16_e32 v3, v3
.LBB215_897:
	s_mov_b64 s[0:1], 0
.LBB215_898:
	s_andn2_b64 vcc, exec, s[0:1]
	s_cbranch_vccnz .LBB215_904
; %bb.899:
	s_cmp_gt_i32 s40, 0
	s_cbranch_scc0 .LBB215_901
; %bb.900:
	global_load_sbyte v3, v[0:1], off
	s_mov_b64 s[0:1], 0
	s_waitcnt vmcnt(0)
	v_cvt_f16_i16_e32 v3, v3
	s_branch .LBB215_902
.LBB215_901:
	s_mov_b64 s[0:1], -1
                                        ; implicit-def: $vgpr3
.LBB215_902:
	s_andn2_b64 vcc, exec, s[0:1]
	s_cbranch_vccnz .LBB215_904
; %bb.903:
	global_load_ubyte v0, v[0:1], off
	s_waitcnt vmcnt(0)
	v_cvt_f16_u16_e32 v3, v0
.LBB215_904:
	s_mov_b64 s[0:1], -1
.LBB215_905:
	s_andn2_b64 vcc, exec, s[0:1]
	s_cbranch_vccnz .LBB215_913
; %bb.906:
	v_mul_lo_u32 v0, v2, s14
	v_mov_b32_e32 v1, s17
	s_and_b32 s46, s15, 0xff
	s_cmp_lt_i32 s46, 11
	v_ashrrev_i32_e32 v4, 31, v0
	v_add_co_u32_e32 v0, vcc, s16, v0
	v_addc_co_u32_e32 v1, vcc, v1, v4, vcc
	s_cbranch_scc1 .LBB215_915
; %bb.907:
	s_and_b32 s47, 0xffff, s46
	s_cmp_gt_i32 s47, 25
	s_cbranch_scc0 .LBB215_916
; %bb.908:
	s_cmp_gt_i32 s47, 28
	s_cbranch_scc0 .LBB215_917
; %bb.909:
	;; [unrolled: 3-line block ×4, first 2 shown]
	s_cmp_eq_u32 s47, 46
	s_mov_b64 s[42:43], 0
	s_cbranch_scc0 .LBB215_922
; %bb.912:
	global_load_dword v4, v[0:1], off
	s_mov_b64 s[0:1], -1
	s_mov_b64 s[40:41], 0
	s_waitcnt vmcnt(0)
	v_lshlrev_b32_e32 v4, 16, v4
	v_cvt_f16_f32_e32 v4, v4
	s_branch .LBB215_923
.LBB215_913:
	s_mov_b64 s[44:45], 0
	s_mov_b64 s[0:1], s[30:31]
	;; [unrolled: 1-line block ×3, first 2 shown]
.LBB215_914:
                                        ; implicit-def: $vgpr2
	s_branch .LBB215_1161
.LBB215_915:
	s_mov_b64 s[42:43], -1
	s_mov_b64 s[0:1], 0
                                        ; implicit-def: $vgpr4
	s_mov_b64 s[40:41], s[28:29]
	s_branch .LBB215_988
.LBB215_916:
	s_mov_b64 s[42:43], -1
	s_mov_b64 s[0:1], 0
	s_mov_b64 s[40:41], s[28:29]
                                        ; implicit-def: $vgpr4
	s_branch .LBB215_952
.LBB215_917:
	s_mov_b64 s[42:43], -1
	s_mov_b64 s[0:1], 0
	s_mov_b64 s[40:41], s[28:29]
                                        ; implicit-def: $vgpr4
	s_branch .LBB215_933
.LBB215_918:
	s_mov_b64 s[42:43], -1
	s_mov_b64 s[0:1], 0
	s_mov_b64 s[40:41], s[28:29]
                                        ; implicit-def: $vgpr4
	s_branch .LBB215_928
.LBB215_919:
	s_mov_b64 s[42:43], -1
	s_mov_b64 s[0:1], 0
	s_mov_b64 s[40:41], s[28:29]
                                        ; implicit-def: $vgpr4
	s_branch .LBB215_923
.LBB215_920:
	s_andn2_saveexec_b64 s[38:39], s[38:39]
	s_cbranch_execz .LBB215_696
.LBB215_921:
	s_mov_b32 s42, 0x42800000
	v_add_f32_e64 v5, |v4|, s42
	v_and_b32_e32 v5, 0xff, v5
	v_cmp_ne_u32_e32 vcc, 0, v5
	s_andn2_b64 s[36:37], s[36:37], exec
	s_and_b64 s[42:43], vcc, exec
	s_or_b64 s[36:37], s[36:37], s[42:43]
	s_or_b64 exec, exec, s[38:39]
	v_mov_b32_e32 v6, 0
	s_and_saveexec_b64 s[38:39], s[36:37]
	s_cbranch_execnz .LBB215_697
	s_branch .LBB215_698
.LBB215_922:
	s_mov_b64 s[40:41], -1
                                        ; implicit-def: $vgpr4
	s_mov_b64 s[0:1], 0
.LBB215_923:
	s_and_b64 vcc, exec, s[42:43]
	s_cbranch_vccz .LBB215_927
; %bb.924:
	s_cmp_eq_u32 s47, 44
	s_cbranch_scc0 .LBB215_926
; %bb.925:
	global_load_ubyte v4, v[0:1], off
	s_movk_i32 s40, 0xff
	v_mov_b32_e32 v6, 0x7e00
	s_mov_b64 s[0:1], -1
	s_waitcnt vmcnt(0)
	v_lshlrev_b32_e32 v5, 23, v4
	v_cvt_f16_f32_e32 v5, v5
	v_cmp_ne_u32_e32 vcc, s40, v4
	s_mov_b64 s[40:41], 0
	v_cndmask_b32_e32 v5, v6, v5, vcc
	v_cmp_ne_u32_e32 vcc, 0, v4
	v_cndmask_b32_e32 v4, 0, v5, vcc
	s_branch .LBB215_927
.LBB215_926:
	s_mov_b64 s[40:41], -1
                                        ; implicit-def: $vgpr4
.LBB215_927:
	s_mov_b64 s[42:43], 0
.LBB215_928:
	s_and_b64 vcc, exec, s[42:43]
	s_cbranch_vccz .LBB215_932
; %bb.929:
	s_cmp_eq_u32 s47, 29
	s_cbranch_scc0 .LBB215_931
; %bb.930:
	global_load_dwordx2 v[4:5], v[0:1], off
	s_mov_b64 s[0:1], -1
	s_mov_b64 s[40:41], 0
	s_mov_b64 s[42:43], 0
	s_waitcnt vmcnt(0)
	v_ffbh_u32_e32 v6, v5
	v_min_u32_e32 v6, 32, v6
	v_lshlrev_b64 v[4:5], v6, v[4:5]
	v_min_u32_e32 v4, 1, v4
	v_or_b32_e32 v4, v5, v4
	v_cvt_f32_u32_e32 v4, v4
	v_sub_u32_e32 v5, 32, v6
	v_ldexp_f32 v4, v4, v5
	v_cvt_f16_f32_e32 v4, v4
	s_branch .LBB215_933
.LBB215_931:
	s_mov_b64 s[40:41], -1
                                        ; implicit-def: $vgpr4
.LBB215_932:
	s_mov_b64 s[42:43], 0
.LBB215_933:
	s_and_b64 vcc, exec, s[42:43]
	s_cbranch_vccz .LBB215_951
; %bb.934:
	s_cmp_lt_i32 s47, 27
	s_cbranch_scc1 .LBB215_937
; %bb.935:
	s_cmp_gt_i32 s47, 27
	s_cbranch_scc0 .LBB215_938
; %bb.936:
	global_load_dword v4, v[0:1], off
	s_mov_b64 s[0:1], 0
	s_waitcnt vmcnt(0)
	v_cvt_f32_u32_e32 v4, v4
	v_cvt_f16_f32_e32 v4, v4
	s_branch .LBB215_939
.LBB215_937:
	s_mov_b64 s[0:1], -1
                                        ; implicit-def: $vgpr4
	s_branch .LBB215_942
.LBB215_938:
	s_mov_b64 s[0:1], -1
                                        ; implicit-def: $vgpr4
.LBB215_939:
	s_andn2_b64 vcc, exec, s[0:1]
	s_cbranch_vccnz .LBB215_941
; %bb.940:
	global_load_ushort v4, v[0:1], off
	s_waitcnt vmcnt(0)
	v_cvt_f16_u16_e32 v4, v4
.LBB215_941:
	s_mov_b64 s[0:1], 0
.LBB215_942:
	s_andn2_b64 vcc, exec, s[0:1]
	s_cbranch_vccnz .LBB215_950
; %bb.943:
	global_load_ubyte v5, v[0:1], off
	s_movk_i32 s0, 0x7f
	s_waitcnt vmcnt(0)
	v_cmp_lt_i16_e32 vcc, s0, v5
	s_mov_b64 s[0:1], 0
	s_and_saveexec_b64 s[42:43], vcc
	s_xor_b64 s[42:43], exec, s[42:43]
	s_cbranch_execz .LBB215_964
; %bb.944:
	s_movk_i32 s0, 0x80
	v_cmp_eq_u16_e32 vcc, s0, v5
	s_mov_b64 s[0:1], -1
	s_and_saveexec_b64 s[44:45], vcc
; %bb.945:
	s_xor_b64 s[0:1], exec, -1
; %bb.946:
	s_or_b64 exec, exec, s[44:45]
	s_and_b64 s[0:1], s[0:1], exec
	s_or_saveexec_b64 s[42:43], s[42:43]
	v_mov_b32_e32 v4, 0x7e00
	s_xor_b64 exec, exec, s[42:43]
	s_cbranch_execnz .LBB215_965
.LBB215_947:
	s_or_b64 exec, exec, s[42:43]
	s_and_saveexec_b64 s[42:43], s[0:1]
	s_cbranch_execz .LBB215_949
.LBB215_948:
	v_lshlrev_b32_e32 v4, 24, v5
	v_and_b32_e32 v5, 0xffff, v5
	v_and_b32_e32 v6, 7, v5
	v_ffbh_u32_e32 v8, v6
	v_min_u32_e32 v8, 32, v8
	v_subrev_u32_e32 v9, 28, v8
	v_bfe_u32 v7, v5, 3, 4
	v_lshlrev_b32_e32 v5, v9, v5
	v_sub_u32_e32 v8, 29, v8
	v_and_b32_e32 v5, 7, v5
	v_cmp_eq_u32_e32 vcc, 0, v7
	v_cndmask_b32_e32 v7, v7, v8, vcc
	v_cndmask_b32_e32 v5, v6, v5, vcc
	v_mov_b32_e32 v6, 0x3b800000
	v_lshlrev_b32_e32 v5, 20, v5
	v_and_b32_e32 v4, 0x80000000, v4
	v_lshl_add_u32 v6, v7, 23, v6
	v_or3_b32 v4, v4, v6, v5
	v_cvt_f16_f32_e32 v4, v4
.LBB215_949:
	s_or_b64 exec, exec, s[42:43]
.LBB215_950:
	s_mov_b64 s[0:1], -1
.LBB215_951:
	s_mov_b64 s[42:43], 0
.LBB215_952:
	s_and_b64 vcc, exec, s[42:43]
	s_cbranch_vccz .LBB215_987
; %bb.953:
	s_cmp_gt_i32 s47, 22
	s_cbranch_scc0 .LBB215_963
; %bb.954:
	s_cmp_lt_i32 s47, 24
	s_cbranch_scc1 .LBB215_966
; %bb.955:
	s_cmp_gt_i32 s47, 24
	s_cbranch_scc0 .LBB215_967
; %bb.956:
	global_load_ubyte v5, v[0:1], off
	s_movk_i32 s0, 0x7f
	s_waitcnt vmcnt(0)
	v_cmp_lt_i16_e32 vcc, s0, v5
	s_mov_b64 s[0:1], 0
	s_and_saveexec_b64 s[42:43], vcc
	s_xor_b64 s[42:43], exec, s[42:43]
	s_cbranch_execz .LBB215_979
; %bb.957:
	s_movk_i32 s0, 0x80
	v_cmp_eq_u16_e32 vcc, s0, v5
	s_mov_b64 s[0:1], -1
	s_and_saveexec_b64 s[44:45], vcc
; %bb.958:
	s_xor_b64 s[0:1], exec, -1
; %bb.959:
	s_or_b64 exec, exec, s[44:45]
	s_and_b64 s[0:1], s[0:1], exec
	s_or_saveexec_b64 s[42:43], s[42:43]
	v_mov_b32_e32 v4, 0x7e00
	s_xor_b64 exec, exec, s[42:43]
	s_cbranch_execnz .LBB215_980
.LBB215_960:
	s_or_b64 exec, exec, s[42:43]
	s_and_saveexec_b64 s[42:43], s[0:1]
	s_cbranch_execz .LBB215_962
.LBB215_961:
	v_lshlrev_b32_e32 v4, 24, v5
	v_and_b32_e32 v5, 0xffff, v5
	v_and_b32_e32 v6, 3, v5
	v_ffbh_u32_e32 v8, v6
	v_min_u32_e32 v8, 32, v8
	v_subrev_u32_e32 v9, 29, v8
	v_bfe_u32 v7, v5, 2, 5
	v_lshlrev_b32_e32 v5, v9, v5
	v_sub_u32_e32 v8, 30, v8
	v_and_b32_e32 v5, 3, v5
	v_cmp_eq_u32_e32 vcc, 0, v7
	v_cndmask_b32_e32 v7, v7, v8, vcc
	v_cndmask_b32_e32 v5, v6, v5, vcc
	v_mov_b32_e32 v6, 0x37800000
	v_lshlrev_b32_e32 v5, 21, v5
	v_and_b32_e32 v4, 0x80000000, v4
	v_lshl_add_u32 v6, v7, 23, v6
	v_or3_b32 v4, v4, v6, v5
	v_cvt_f16_f32_e32 v4, v4
.LBB215_962:
	s_or_b64 exec, exec, s[42:43]
	s_mov_b64 s[0:1], 0
	s_branch .LBB215_968
.LBB215_963:
	s_mov_b64 s[42:43], -1
                                        ; implicit-def: $vgpr4
	s_branch .LBB215_974
.LBB215_964:
	s_or_saveexec_b64 s[42:43], s[42:43]
	v_mov_b32_e32 v4, 0x7e00
	s_xor_b64 exec, exec, s[42:43]
	s_cbranch_execz .LBB215_947
.LBB215_965:
	v_cmp_ne_u16_e32 vcc, 0, v5
	s_andn2_b64 s[0:1], s[0:1], exec
	s_and_b64 s[44:45], vcc, exec
	s_or_b64 s[0:1], s[0:1], s[44:45]
	v_mov_b32_e32 v4, v5
	s_or_b64 exec, exec, s[42:43]
	s_and_saveexec_b64 s[42:43], s[0:1]
	s_cbranch_execnz .LBB215_948
	s_branch .LBB215_949
.LBB215_966:
	s_mov_b64 s[0:1], -1
                                        ; implicit-def: $vgpr4
	s_branch .LBB215_971
.LBB215_967:
	s_mov_b64 s[0:1], -1
                                        ; implicit-def: $vgpr4
.LBB215_968:
	s_and_b64 vcc, exec, s[0:1]
	s_cbranch_vccz .LBB215_970
; %bb.969:
	global_load_ubyte v4, v[0:1], off
	s_mov_b32 s0, 0x7f800000
	s_waitcnt vmcnt(0)
	v_lshlrev_b32_e32 v4, 24, v4
	v_and_b32_e32 v5, 0x7f000000, v4
	v_ffbh_u32_e32 v6, v5
	v_min_u32_e32 v6, 32, v6
	v_sub_u32_e64 v6, v6, 4 clamp
	v_lshlrev_b32_e32 v8, v6, v5
	v_lshlrev_b32_e32 v6, 23, v6
	v_lshrrev_b32_e32 v8, 4, v8
	v_add_u32_e32 v7, 0x1000000, v5
	v_sub_u32_e32 v6, v8, v6
	v_ashrrev_i32_e32 v7, 8, v7
	v_add_u32_e32 v6, 0x3c000000, v6
	v_and_or_b32 v6, v7, s0, v6
	v_cmp_ne_u32_e32 vcc, 0, v5
	v_cndmask_b32_e32 v5, 0, v6, vcc
	s_brev_b32 s0, 1
	v_and_or_b32 v4, v4, s0, v5
	v_cvt_f16_f32_e32 v4, v4
.LBB215_970:
	s_mov_b64 s[0:1], 0
.LBB215_971:
	s_andn2_b64 vcc, exec, s[0:1]
	s_cbranch_vccnz .LBB215_973
; %bb.972:
	global_load_ubyte v4, v[0:1], off
	s_movk_i32 s0, 0x7f00
	s_brev_b32 s1, 16
	s_waitcnt vmcnt(0)
	v_lshlrev_b16_e32 v5, 8, v4
	v_lshlrev_b32_e32 v4, 25, v4
	v_lshrrev_b32_e32 v6, 4, v4
	v_and_or_b32 v7, v5, s0, 0.5
	v_or_b32_e32 v6, 0x70000000, v6
	v_add_f32_e32 v7, -0.5, v7
	v_mul_f32_e32 v6, 0x7800000, v6
	v_cmp_gt_u32_e32 vcc, s1, v4
	v_bfe_i32 v5, v5, 0, 16
	v_cndmask_b32_e32 v4, v6, v7, vcc
	s_brev_b32 s0, 1
	v_and_or_b32 v4, v5, s0, v4
	v_cvt_f16_f32_e32 v4, v4
.LBB215_973:
	s_mov_b64 s[42:43], 0
	s_mov_b64 s[0:1], -1
.LBB215_974:
	s_andn2_b64 vcc, exec, s[42:43]
	s_cbranch_vccnz .LBB215_987
; %bb.975:
	s_cmp_gt_i32 s47, 14
	s_cbranch_scc0 .LBB215_978
; %bb.976:
	s_cmp_eq_u32 s47, 15
	s_cbranch_scc0 .LBB215_981
; %bb.977:
	global_load_ushort v4, v[0:1], off
	s_mov_b64 s[0:1], -1
	s_mov_b64 s[40:41], 0
	s_waitcnt vmcnt(0)
	v_lshlrev_b32_e32 v4, 16, v4
	v_cvt_f16_f32_e32 v4, v4
	s_branch .LBB215_982
.LBB215_978:
	s_mov_b64 s[42:43], -1
                                        ; implicit-def: $vgpr4
	s_branch .LBB215_983
.LBB215_979:
	s_or_saveexec_b64 s[42:43], s[42:43]
	v_mov_b32_e32 v4, 0x7e00
	s_xor_b64 exec, exec, s[42:43]
	s_cbranch_execz .LBB215_960
.LBB215_980:
	v_cmp_ne_u16_e32 vcc, 0, v5
	s_andn2_b64 s[0:1], s[0:1], exec
	s_and_b64 s[44:45], vcc, exec
	s_or_b64 s[0:1], s[0:1], s[44:45]
	v_mov_b32_e32 v4, v5
	s_or_b64 exec, exec, s[42:43]
	s_and_saveexec_b64 s[42:43], s[0:1]
	s_cbranch_execnz .LBB215_961
	s_branch .LBB215_962
.LBB215_981:
	s_mov_b64 s[40:41], -1
                                        ; implicit-def: $vgpr4
.LBB215_982:
	s_mov_b64 s[42:43], 0
.LBB215_983:
	s_and_b64 vcc, exec, s[42:43]
	s_cbranch_vccz .LBB215_987
; %bb.984:
	s_cmp_eq_u32 s47, 11
	s_cbranch_scc0 .LBB215_986
; %bb.985:
	global_load_ubyte v4, v[0:1], off
	v_mov_b32_e32 v5, 0x3c00
	s_mov_b64 s[0:1], -1
	s_mov_b64 s[40:41], 0
	s_waitcnt vmcnt(0)
	v_cmp_ne_u16_e32 vcc, 0, v4
	v_cndmask_b32_e32 v4, 0, v5, vcc
	s_branch .LBB215_987
.LBB215_986:
	s_mov_b64 s[40:41], -1
                                        ; implicit-def: $vgpr4
.LBB215_987:
	s_mov_b64 s[42:43], 0
.LBB215_988:
	s_and_b64 vcc, exec, s[42:43]
	s_cbranch_vccz .LBB215_1037
; %bb.989:
	s_and_b32 s42, 0xffff, s46
	s_cmp_lt_i32 s42, 5
	s_cbranch_scc1 .LBB215_994
; %bb.990:
	s_cmp_lt_i32 s42, 8
	s_cbranch_scc1 .LBB215_995
; %bb.991:
	;; [unrolled: 3-line block ×3, first 2 shown]
	s_cmp_gt_i32 s42, 9
	s_cbranch_scc0 .LBB215_997
; %bb.993:
	global_load_dwordx2 v[4:5], v[0:1], off
	s_movk_i32 s0, 0x1ff
	s_movk_i32 s1, 0xffe
	v_mov_b32_e32 v6, 0x7c00
	v_mov_b32_e32 v7, 0x7e00
	s_movk_i32 s43, 0x40f
	s_mov_b32 s44, 0x8000
	s_waitcnt vmcnt(0)
	v_and_or_b32 v4, v5, s0, v4
	v_cmp_ne_u32_e32 vcc, 0, v4
	v_lshrrev_b32_e32 v8, 8, v5
	v_bfe_u32 v9, v5, 20, 11
	v_cndmask_b32_e64 v4, 0, 1, vcc
	v_sub_u32_e32 v10, 0x3f1, v9
	v_and_or_b32 v4, v8, s1, v4
	v_add_u32_e32 v9, 0xfffffc10, v9
	v_med3_i32 v8, v10, 0, 13
	v_or_b32_e32 v10, 0x1000, v4
	v_cmp_ne_u32_e32 vcc, 0, v4
	v_lshl_or_b32 v11, v9, 12, v4
	v_cndmask_b32_e32 v4, v6, v7, vcc
	v_lshrrev_b32_e32 v7, v8, v10
	v_lshlrev_b32_e32 v8, v8, v7
	v_cmp_ne_u32_e32 vcc, v8, v10
	v_cndmask_b32_e64 v8, 0, 1, vcc
	v_or_b32_e32 v7, v7, v8
	v_cmp_gt_i32_e32 vcc, 1, v9
	v_cndmask_b32_e32 v7, v11, v7, vcc
	v_and_b32_e32 v8, 7, v7
	v_cmp_lt_i32_e32 vcc, 5, v8
	v_cndmask_b32_e64 v10, 0, 1, vcc
	v_cmp_eq_u32_e32 vcc, 3, v8
	v_cndmask_b32_e64 v8, 0, 1, vcc
	v_lshrrev_b32_e32 v7, 2, v7
	v_or_b32_e32 v8, v8, v10
	v_add_u32_e32 v7, v7, v8
	v_cmp_gt_i32_e32 vcc, 31, v9
	v_cndmask_b32_e32 v6, v6, v7, vcc
	v_cmp_eq_u32_e32 vcc, s43, v9
	v_lshrrev_b32_e32 v5, 16, v5
	v_cndmask_b32_e32 v4, v6, v4, vcc
	v_and_or_b32 v4, v5, s44, v4
	s_mov_b64 s[0:1], 0
	s_branch .LBB215_998
.LBB215_994:
	s_mov_b64 s[0:1], -1
                                        ; implicit-def: $vgpr4
	s_branch .LBB215_1016
.LBB215_995:
	s_mov_b64 s[0:1], -1
                                        ; implicit-def: $vgpr4
	s_branch .LBB215_1004
.LBB215_996:
	s_mov_b64 s[0:1], -1
                                        ; implicit-def: $vgpr4
	s_branch .LBB215_1001
.LBB215_997:
	s_mov_b64 s[0:1], -1
                                        ; implicit-def: $vgpr4
.LBB215_998:
	s_andn2_b64 vcc, exec, s[0:1]
	s_cbranch_vccnz .LBB215_1000
; %bb.999:
	global_load_dword v4, v[0:1], off
	s_waitcnt vmcnt(0)
	v_cvt_f16_f32_e32 v4, v4
.LBB215_1000:
	s_mov_b64 s[0:1], 0
.LBB215_1001:
	s_andn2_b64 vcc, exec, s[0:1]
	s_cbranch_vccnz .LBB215_1003
; %bb.1002:
	global_load_dword v4, v[0:1], off
.LBB215_1003:
	s_mov_b64 s[0:1], 0
.LBB215_1004:
	s_andn2_b64 vcc, exec, s[0:1]
	s_cbranch_vccnz .LBB215_1015
; %bb.1005:
	s_cmp_lt_i32 s42, 6
	s_cbranch_scc1 .LBB215_1008
; %bb.1006:
	s_cmp_gt_i32 s42, 6
	s_cbranch_scc0 .LBB215_1009
; %bb.1007:
	global_load_dwordx2 v[4:5], v[0:1], off
	s_movk_i32 s0, 0x1ff
	s_movk_i32 s1, 0xffe
	v_mov_b32_e32 v6, 0x7c00
	v_mov_b32_e32 v7, 0x7e00
	s_movk_i32 s43, 0x40f
	s_mov_b32 s44, 0x8000
	s_waitcnt vmcnt(0)
	v_and_or_b32 v4, v5, s0, v4
	v_cmp_ne_u32_e32 vcc, 0, v4
	v_lshrrev_b32_e32 v8, 8, v5
	v_bfe_u32 v9, v5, 20, 11
	v_cndmask_b32_e64 v4, 0, 1, vcc
	v_sub_u32_e32 v10, 0x3f1, v9
	v_and_or_b32 v4, v8, s1, v4
	v_add_u32_e32 v9, 0xfffffc10, v9
	v_med3_i32 v8, v10, 0, 13
	v_or_b32_e32 v10, 0x1000, v4
	v_cmp_ne_u32_e32 vcc, 0, v4
	v_lshl_or_b32 v11, v9, 12, v4
	v_cndmask_b32_e32 v4, v6, v7, vcc
	v_lshrrev_b32_e32 v7, v8, v10
	v_lshlrev_b32_e32 v8, v8, v7
	v_cmp_ne_u32_e32 vcc, v8, v10
	v_cndmask_b32_e64 v8, 0, 1, vcc
	v_or_b32_e32 v7, v7, v8
	v_cmp_gt_i32_e32 vcc, 1, v9
	v_cndmask_b32_e32 v7, v11, v7, vcc
	v_and_b32_e32 v8, 7, v7
	v_cmp_lt_i32_e32 vcc, 5, v8
	v_cndmask_b32_e64 v10, 0, 1, vcc
	v_cmp_eq_u32_e32 vcc, 3, v8
	v_cndmask_b32_e64 v8, 0, 1, vcc
	v_lshrrev_b32_e32 v7, 2, v7
	v_or_b32_e32 v8, v8, v10
	v_add_u32_e32 v7, v7, v8
	v_cmp_gt_i32_e32 vcc, 31, v9
	v_cndmask_b32_e32 v6, v6, v7, vcc
	v_cmp_eq_u32_e32 vcc, s43, v9
	v_lshrrev_b32_e32 v5, 16, v5
	v_cndmask_b32_e32 v4, v6, v4, vcc
	v_and_or_b32 v4, v5, s44, v4
	s_mov_b64 s[0:1], 0
	s_branch .LBB215_1010
.LBB215_1008:
	s_mov_b64 s[0:1], -1
                                        ; implicit-def: $vgpr4
	s_branch .LBB215_1013
.LBB215_1009:
	s_mov_b64 s[0:1], -1
                                        ; implicit-def: $vgpr4
.LBB215_1010:
	s_andn2_b64 vcc, exec, s[0:1]
	s_cbranch_vccnz .LBB215_1012
; %bb.1011:
	global_load_dword v4, v[0:1], off
	s_waitcnt vmcnt(0)
	v_cvt_f16_f32_e32 v4, v4
.LBB215_1012:
	s_mov_b64 s[0:1], 0
.LBB215_1013:
	s_andn2_b64 vcc, exec, s[0:1]
	s_cbranch_vccnz .LBB215_1015
; %bb.1014:
	global_load_ushort v4, v[0:1], off
.LBB215_1015:
	s_mov_b64 s[0:1], 0
.LBB215_1016:
	s_andn2_b64 vcc, exec, s[0:1]
	s_cbranch_vccnz .LBB215_1036
; %bb.1017:
	s_cmp_lt_i32 s42, 2
	s_cbranch_scc1 .LBB215_1021
; %bb.1018:
	s_cmp_lt_i32 s42, 3
	s_cbranch_scc1 .LBB215_1022
; %bb.1019:
	s_cmp_gt_i32 s42, 3
	s_cbranch_scc0 .LBB215_1023
; %bb.1020:
	global_load_dwordx2 v[4:5], v[0:1], off
	s_mov_b64 s[0:1], 0
	s_waitcnt vmcnt(0)
	v_xor_b32_e32 v7, v4, v5
	v_ffbh_i32_e32 v6, v5
	v_ashrrev_i32_e32 v7, 31, v7
	v_add_u32_e32 v6, -1, v6
	v_add_u32_e32 v7, 32, v7
	v_min_u32_e32 v6, v6, v7
	v_lshlrev_b64 v[4:5], v6, v[4:5]
	v_min_u32_e32 v4, 1, v4
	v_or_b32_e32 v4, v5, v4
	v_cvt_f32_i32_e32 v4, v4
	v_sub_u32_e32 v5, 32, v6
	v_ldexp_f32 v4, v4, v5
	v_cvt_f16_f32_e32 v4, v4
	s_branch .LBB215_1024
.LBB215_1021:
	s_mov_b64 s[0:1], -1
                                        ; implicit-def: $vgpr4
	s_branch .LBB215_1030
.LBB215_1022:
	s_mov_b64 s[0:1], -1
                                        ; implicit-def: $vgpr4
	s_branch .LBB215_1027
.LBB215_1023:
	s_mov_b64 s[0:1], -1
                                        ; implicit-def: $vgpr4
.LBB215_1024:
	s_andn2_b64 vcc, exec, s[0:1]
	s_cbranch_vccnz .LBB215_1026
; %bb.1025:
	global_load_dword v4, v[0:1], off
	s_waitcnt vmcnt(0)
	v_cvt_f32_i32_e32 v4, v4
	v_cvt_f16_f32_e32 v4, v4
.LBB215_1026:
	s_mov_b64 s[0:1], 0
.LBB215_1027:
	s_andn2_b64 vcc, exec, s[0:1]
	s_cbranch_vccnz .LBB215_1029
; %bb.1028:
	global_load_ushort v4, v[0:1], off
	s_waitcnt vmcnt(0)
	v_cvt_f16_i16_e32 v4, v4
.LBB215_1029:
	s_mov_b64 s[0:1], 0
.LBB215_1030:
	s_andn2_b64 vcc, exec, s[0:1]
	s_cbranch_vccnz .LBB215_1036
; %bb.1031:
	s_cmp_gt_i32 s42, 0
	s_cbranch_scc0 .LBB215_1033
; %bb.1032:
	global_load_sbyte v4, v[0:1], off
	s_mov_b64 s[0:1], 0
	s_waitcnt vmcnt(0)
	v_cvt_f16_i16_e32 v4, v4
	s_branch .LBB215_1034
.LBB215_1033:
	s_mov_b64 s[0:1], -1
                                        ; implicit-def: $vgpr4
.LBB215_1034:
	s_andn2_b64 vcc, exec, s[0:1]
	s_cbranch_vccnz .LBB215_1036
; %bb.1035:
	global_load_ubyte v0, v[0:1], off
	s_waitcnt vmcnt(0)
	v_cvt_f16_u16_e32 v4, v0
.LBB215_1036:
	s_mov_b64 s[0:1], -1
.LBB215_1037:
	s_andn2_b64 vcc, exec, s[0:1]
	s_cbranch_vccnz .LBB215_1045
; %bb.1038:
	v_mul_lo_u32 v0, v2, s12
	v_mov_b32_e32 v1, s33
	s_waitcnt vmcnt(0)
	v_cmp_ge_f16_e32 vcc, s2, v3
	v_cndmask_b32_e32 v3, v4, v1, vcc
	v_ashrrev_i32_e32 v1, 31, v0
	v_mov_b32_e32 v4, s9
	s_and_b32 s48, s3, 0xff
	v_add_co_u32_e32 v0, vcc, s8, v0
	s_cmp_lt_i32 s48, 11
	v_addc_co_u32_e32 v1, vcc, v4, v1, vcc
	s_cbranch_scc1 .LBB215_1046
; %bb.1039:
	s_and_b32 s49, 0xffff, s48
	s_cmp_gt_i32 s49, 25
	s_cbranch_scc0 .LBB215_1047
; %bb.1040:
	s_cmp_gt_i32 s49, 28
	s_cbranch_scc0 .LBB215_1048
; %bb.1041:
	;; [unrolled: 3-line block ×4, first 2 shown]
	s_mov_b64 s[44:45], 0
	s_mov_b64 s[0:1], -1
	s_cmp_eq_u32 s49, 46
	s_mov_b64 s[42:43], 0
	s_cbranch_scc0 .LBB215_1051
; %bb.1044:
	v_cvt_f32_f16_e32 v4, v3
	s_movk_i32 s0, 0x7fff
	v_cmp_o_f16_e32 vcc, v3, v3
	v_mov_b32_e32 v5, 0x7fc0
	v_bfe_u32 v6, v4, 16, 1
	v_add3_u32 v4, v4, v6, s0
	v_cndmask_b32_sdwa v4, v5, v4, vcc dst_sel:DWORD dst_unused:UNUSED_PAD src0_sel:DWORD src1_sel:WORD_1
	global_store_dword v[0:1], v4, off
	s_mov_b64 s[42:43], -1
	s_mov_b64 s[0:1], 0
	s_branch .LBB215_1051
.LBB215_1045:
	s_mov_b64 s[44:45], 0
                                        ; implicit-def: $vgpr2
	s_mov_b64 s[0:1], s[30:31]
	s_branch .LBB215_1161
.LBB215_1046:
	s_mov_b64 s[44:45], -1
	s_mov_b64 s[42:43], 0
	s_mov_b64 s[0:1], s[30:31]
	s_branch .LBB215_1120
.LBB215_1047:
	s_mov_b64 s[44:45], -1
	s_mov_b64 s[42:43], 0
	s_mov_b64 s[0:1], s[30:31]
	s_branch .LBB215_1078
.LBB215_1048:
	s_mov_b64 s[44:45], -1
	s_mov_b64 s[42:43], 0
	s_mov_b64 s[0:1], s[30:31]
	s_branch .LBB215_1061
.LBB215_1049:
	s_mov_b64 s[44:45], -1
	s_mov_b64 s[42:43], 0
	s_mov_b64 s[0:1], s[30:31]
	s_branch .LBB215_1057
.LBB215_1050:
	s_mov_b64 s[44:45], -1
	s_mov_b64 s[42:43], 0
	s_mov_b64 s[0:1], s[30:31]
.LBB215_1051:
	s_and_b64 vcc, exec, s[44:45]
	s_cbranch_vccz .LBB215_1056
; %bb.1052:
	s_cmp_eq_u32 s49, 44
	s_mov_b64 s[0:1], -1
	s_cbranch_scc0 .LBB215_1056
; %bb.1053:
	v_cvt_f32_f16_e32 v4, v3
	s_movk_i32 s0, 0xff
	v_mov_b32_e32 v6, 0xff
	v_bfe_u32 v5, v4, 23, 8
	v_cmp_ne_u32_e32 vcc, s0, v5
	s_and_saveexec_b64 s[42:43], vcc
; %bb.1054:
	s_mov_b32 s0, 0x3fffff
	v_lshrrev_b32_e32 v6, 23, v4
	v_and_b32_e32 v7, 0x400000, v4
	v_and_or_b32 v4, v4, s0, v5
	v_cmp_ne_u32_e32 vcc, 0, v7
	v_cmp_ne_u32_e64 s[0:1], 0, v4
	s_and_b64 s[0:1], vcc, s[0:1]
	v_cndmask_b32_e64 v4, 0, 1, s[0:1]
	v_add_u32_e32 v6, v6, v4
; %bb.1055:
	s_or_b64 exec, exec, s[42:43]
	s_mov_b64 s[42:43], -1
	s_mov_b64 s[0:1], 0
	global_store_byte v[0:1], v6, off
.LBB215_1056:
	s_mov_b64 s[44:45], 0
.LBB215_1057:
	s_and_b64 vcc, exec, s[44:45]
	s_cbranch_vccz .LBB215_1060
; %bb.1058:
	s_cmp_eq_u32 s49, 29
	s_mov_b64 s[0:1], -1
	s_cbranch_scc0 .LBB215_1060
; %bb.1059:
	v_cvt_f32_f16_e32 v4, v3
	v_mov_b32_e32 v5, 0
	s_mov_b64 s[42:43], -1
	s_mov_b64 s[0:1], 0
	v_cvt_u32_f32_e32 v4, v4
	s_mov_b64 s[44:45], 0
	global_store_dwordx2 v[0:1], v[4:5], off
	s_branch .LBB215_1061
.LBB215_1060:
	s_mov_b64 s[44:45], 0
.LBB215_1061:
	s_and_b64 vcc, exec, s[44:45]
	s_cbranch_vccz .LBB215_1077
; %bb.1062:
	s_cmp_lt_i32 s49, 27
	s_mov_b64 s[42:43], -1
	s_cbranch_scc1 .LBB215_1068
; %bb.1063:
	s_cmp_gt_i32 s49, 27
	s_cbranch_scc0 .LBB215_1065
; %bb.1064:
	v_cvt_f32_f16_e32 v4, v3
	s_mov_b64 s[42:43], 0
	v_cvt_u32_f32_e32 v4, v4
	global_store_dword v[0:1], v4, off
.LBB215_1065:
	s_andn2_b64 vcc, exec, s[42:43]
	s_cbranch_vccnz .LBB215_1067
; %bb.1066:
	v_cvt_u16_f16_e32 v4, v3
	global_store_short v[0:1], v4, off
.LBB215_1067:
	s_mov_b64 s[42:43], 0
.LBB215_1068:
	s_andn2_b64 vcc, exec, s[42:43]
	s_cbranch_vccnz .LBB215_1076
; %bb.1069:
	v_cvt_f32_f16_e32 v4, v3
	s_mov_b32 s42, 0x43800000
	v_mov_b32_e32 v6, 0x80
	v_and_b32_e32 v5, 0x7fffffff, v4
	v_cmp_gt_u32_e32 vcc, s42, v5
	s_and_saveexec_b64 s[42:43], vcc
	s_cbranch_execz .LBB215_1075
; %bb.1070:
	s_mov_b32 s44, 0x3bffffff
	v_cmp_lt_u32_e32 vcc, s44, v5
	s_mov_b64 s[44:45], 0
                                        ; implicit-def: $vgpr5
	s_and_saveexec_b64 s[46:47], vcc
	s_xor_b64 s[46:47], exec, s[46:47]
	s_cbranch_execz .LBB215_1177
; %bb.1071:
	v_bfe_u32 v5, v4, 20, 1
	s_mov_b32 s51, 0x487ffff
	v_add3_u32 v5, v4, v5, s51
	s_mov_b64 s[44:45], exec
	v_lshrrev_b32_e32 v5, 20, v5
	s_andn2_saveexec_b64 s[46:47], s[46:47]
	s_cbranch_execnz .LBB215_1178
.LBB215_1072:
	s_or_b64 exec, exec, s[46:47]
	v_mov_b32_e32 v6, 0
	s_and_saveexec_b64 s[46:47], s[44:45]
.LBB215_1073:
	v_lshrrev_b32_e32 v4, 24, v4
	s_movk_i32 s44, 0x80
	v_and_or_b32 v6, v4, s44, v5
.LBB215_1074:
	s_or_b64 exec, exec, s[46:47]
.LBB215_1075:
	s_or_b64 exec, exec, s[42:43]
	global_store_byte v[0:1], v6, off
.LBB215_1076:
	s_mov_b64 s[42:43], -1
.LBB215_1077:
	s_mov_b64 s[44:45], 0
.LBB215_1078:
	s_and_b64 vcc, exec, s[44:45]
	s_cbranch_vccz .LBB215_1119
; %bb.1079:
	s_cmp_gt_i32 s49, 22
	s_mov_b64 s[44:45], -1
	s_cbranch_scc0 .LBB215_1111
; %bb.1080:
	s_cmp_lt_i32 s49, 24
	s_mov_b64 s[42:43], -1
	s_cbranch_scc1 .LBB215_1100
; %bb.1081:
	s_cmp_gt_i32 s49, 24
	s_cbranch_scc0 .LBB215_1089
; %bb.1082:
	v_cvt_f32_f16_e32 v4, v3
	s_mov_b32 s42, 0x47800000
	v_mov_b32_e32 v6, 0x80
	v_and_b32_e32 v5, 0x7fffffff, v4
	v_cmp_gt_u32_e32 vcc, s42, v5
	s_and_saveexec_b64 s[42:43], vcc
	s_cbranch_execz .LBB215_1088
; %bb.1083:
	s_mov_b32 s44, 0x37ffffff
	v_cmp_lt_u32_e32 vcc, s44, v5
	s_mov_b64 s[44:45], 0
                                        ; implicit-def: $vgpr5
	s_and_saveexec_b64 s[46:47], vcc
	s_xor_b64 s[46:47], exec, s[46:47]
	s_cbranch_execz .LBB215_2200
; %bb.1084:
	v_bfe_u32 v5, v4, 21, 1
	s_mov_b32 s51, 0x88fffff
	v_add3_u32 v5, v4, v5, s51
	s_mov_b64 s[44:45], exec
	v_lshrrev_b32_e32 v5, 21, v5
	s_andn2_saveexec_b64 s[46:47], s[46:47]
	s_cbranch_execnz .LBB215_2201
.LBB215_1085:
	s_or_b64 exec, exec, s[46:47]
	v_mov_b32_e32 v6, 0
	s_and_saveexec_b64 s[46:47], s[44:45]
.LBB215_1086:
	v_lshrrev_b32_e32 v4, 24, v4
	s_movk_i32 s44, 0x80
	v_and_or_b32 v6, v4, s44, v5
.LBB215_1087:
	s_or_b64 exec, exec, s[46:47]
.LBB215_1088:
	s_or_b64 exec, exec, s[42:43]
	s_mov_b64 s[42:43], 0
	global_store_byte v[0:1], v6, off
.LBB215_1089:
	s_and_b64 vcc, exec, s[42:43]
	s_cbranch_vccz .LBB215_1099
; %bb.1090:
	v_cvt_f32_f16_e32 v4, v3
	s_mov_b32 s42, 0x43f00000
                                        ; implicit-def: $vgpr5
	v_and_b32_e32 v6, 0x7fffffff, v4
	v_cmp_gt_u32_e32 vcc, s42, v6
	s_and_saveexec_b64 s[42:43], vcc
	s_xor_b64 s[42:43], exec, s[42:43]
	s_cbranch_execz .LBB215_1096
; %bb.1091:
	s_mov_b32 s44, 0x3c7fffff
	v_cmp_lt_u32_e32 vcc, s44, v6
                                        ; implicit-def: $vgpr5
	s_and_saveexec_b64 s[44:45], vcc
	s_xor_b64 s[44:45], exec, s[44:45]
; %bb.1092:
	v_bfe_u32 v5, v4, 20, 1
	s_mov_b32 s46, 0x407ffff
	v_add3_u32 v5, v4, v5, s46
	v_lshrrev_b32_e32 v6, 20, v5
	v_and_b32_e32 v5, 0xff00000, v5
	s_mov_b32 s46, 0x7f00000
	v_mov_b32_e32 v7, 0x7e
	v_cmp_ne_u32_e32 vcc, s46, v5
	v_cndmask_b32_e32 v5, v7, v6, vcc
; %bb.1093:
	s_andn2_saveexec_b64 s[44:45], s[44:45]
; %bb.1094:
	s_mov_b32 s46, 0x46800000
	v_add_f32_e64 v5, |v4|, s46
; %bb.1095:
	s_or_b64 exec, exec, s[44:45]
                                        ; implicit-def: $vgpr6
.LBB215_1096:
	s_andn2_saveexec_b64 s[42:43], s[42:43]
; %bb.1097:
	s_mov_b32 s44, 0x7f800000
	v_mov_b32_e32 v5, 0x7e
	v_mov_b32_e32 v7, 0x7f
	v_cmp_lt_u32_e32 vcc, s44, v6
	v_cndmask_b32_e32 v5, v5, v7, vcc
; %bb.1098:
	s_or_b64 exec, exec, s[42:43]
	v_lshrrev_b32_e32 v4, 24, v4
	s_movk_i32 s42, 0x80
	v_and_or_b32 v4, v4, s42, v5
	global_store_byte v[0:1], v4, off
.LBB215_1099:
	s_mov_b64 s[42:43], 0
.LBB215_1100:
	s_andn2_b64 vcc, exec, s[42:43]
	s_cbranch_vccnz .LBB215_1110
; %bb.1101:
	v_cvt_f32_f16_e32 v4, v3
	s_mov_b32 s42, 0x47800000
                                        ; implicit-def: $vgpr5
	v_and_b32_e32 v6, 0x7fffffff, v4
	v_cmp_gt_u32_e32 vcc, s42, v6
	s_and_saveexec_b64 s[42:43], vcc
	s_xor_b64 s[42:43], exec, s[42:43]
	s_cbranch_execz .LBB215_1107
; %bb.1102:
	s_mov_b32 s44, 0x387fffff
	v_cmp_lt_u32_e32 vcc, s44, v6
                                        ; implicit-def: $vgpr5
	s_and_saveexec_b64 s[44:45], vcc
	s_xor_b64 s[44:45], exec, s[44:45]
; %bb.1103:
	v_bfe_u32 v5, v4, 21, 1
	s_mov_b32 s46, 0x80fffff
	v_add3_u32 v5, v4, v5, s46
	v_lshrrev_b32_e32 v5, 21, v5
; %bb.1104:
	s_andn2_saveexec_b64 s[44:45], s[44:45]
; %bb.1105:
	s_mov_b32 s46, 0x43000000
	v_add_f32_e64 v5, |v4|, s46
; %bb.1106:
	s_or_b64 exec, exec, s[44:45]
                                        ; implicit-def: $vgpr6
.LBB215_1107:
	s_andn2_saveexec_b64 s[42:43], s[42:43]
; %bb.1108:
	s_mov_b32 s44, 0x7f800000
	v_mov_b32_e32 v5, 0x7c
	v_mov_b32_e32 v7, 0x7f
	v_cmp_lt_u32_e32 vcc, s44, v6
	v_cndmask_b32_e32 v5, v5, v7, vcc
; %bb.1109:
	s_or_b64 exec, exec, s[42:43]
	v_lshrrev_b32_e32 v4, 24, v4
	s_movk_i32 s42, 0x80
	v_and_or_b32 v4, v4, s42, v5
	global_store_byte v[0:1], v4, off
.LBB215_1110:
	s_mov_b64 s[44:45], 0
	s_mov_b64 s[42:43], -1
.LBB215_1111:
	s_andn2_b64 vcc, exec, s[44:45]
	s_cbranch_vccnz .LBB215_1119
; %bb.1112:
	s_cmp_gt_i32 s49, 14
	s_mov_b64 s[44:45], -1
	s_cbranch_scc0 .LBB215_1116
; %bb.1113:
	s_cmp_eq_u32 s49, 15
	s_mov_b64 s[0:1], -1
	s_cbranch_scc0 .LBB215_1115
; %bb.1114:
	v_cvt_f32_f16_e32 v4, v3
	s_movk_i32 s0, 0x7fff
	v_cmp_o_f16_e32 vcc, v3, v3
	v_mov_b32_e32 v5, 0x7fc0
	v_bfe_u32 v6, v4, 16, 1
	v_add3_u32 v4, v4, v6, s0
	v_cndmask_b32_sdwa v4, v5, v4, vcc dst_sel:DWORD dst_unused:UNUSED_PAD src0_sel:DWORD src1_sel:WORD_1
	global_store_short v[0:1], v4, off
	s_mov_b64 s[42:43], -1
	s_mov_b64 s[0:1], 0
.LBB215_1115:
	s_mov_b64 s[44:45], 0
.LBB215_1116:
	s_and_b64 vcc, exec, s[44:45]
	s_cbranch_vccz .LBB215_1119
; %bb.1117:
	s_cmp_eq_u32 s49, 11
	s_mov_b64 s[0:1], -1
	s_cbranch_scc0 .LBB215_1119
; %bb.1118:
	v_and_b32_e32 v4, 0x7fff, v3
	v_cmp_ne_u16_e32 vcc, 0, v4
	v_cndmask_b32_e64 v4, 0, 1, vcc
	s_mov_b64 s[42:43], -1
	s_mov_b64 s[0:1], 0
	global_store_byte v[0:1], v4, off
.LBB215_1119:
	s_mov_b64 s[44:45], 0
.LBB215_1120:
	s_and_b64 vcc, exec, s[44:45]
	s_cbranch_vccz .LBB215_1159
; %bb.1121:
	s_and_b32 s44, 0xffff, s48
	s_cmp_lt_i32 s44, 5
	s_mov_b64 s[42:43], -1
	s_cbranch_scc1 .LBB215_1142
; %bb.1122:
	s_cmp_lt_i32 s44, 8
	s_cbranch_scc1 .LBB215_1132
; %bb.1123:
	s_cmp_lt_i32 s44, 9
	s_cbranch_scc1 .LBB215_1129
; %bb.1124:
	s_cmp_gt_i32 s44, 9
	s_cbranch_scc0 .LBB215_1126
; %bb.1125:
	v_cvt_f32_f16_e32 v4, v3
	v_mov_b32_e32 v6, 0
	v_mov_b32_e32 v7, v6
	s_mov_b64 s[42:43], 0
	v_cvt_f64_f32_e32 v[4:5], v4
	global_store_dwordx4 v[0:1], v[4:7], off
.LBB215_1126:
	s_andn2_b64 vcc, exec, s[42:43]
	s_cbranch_vccnz .LBB215_1128
; %bb.1127:
	v_cvt_f32_f16_e32 v4, v3
	v_mov_b32_e32 v5, 0
	global_store_dwordx2 v[0:1], v[4:5], off
.LBB215_1128:
	s_mov_b64 s[42:43], 0
.LBB215_1129:
	s_andn2_b64 vcc, exec, s[42:43]
	s_cbranch_vccnz .LBB215_1131
; %bb.1130:
	v_and_b32_e32 v4, 0xffff, v3
	global_store_dword v[0:1], v4, off
.LBB215_1131:
	s_mov_b64 s[42:43], 0
.LBB215_1132:
	s_andn2_b64 vcc, exec, s[42:43]
	s_cbranch_vccnz .LBB215_1141
; %bb.1133:
	s_cmp_lt_i32 s44, 6
	s_mov_b64 s[42:43], -1
	s_cbranch_scc1 .LBB215_1139
; %bb.1134:
	s_cmp_gt_i32 s44, 6
	s_cbranch_scc0 .LBB215_1136
; %bb.1135:
	v_cvt_f32_f16_e32 v4, v3
	s_mov_b64 s[42:43], 0
	v_cvt_f64_f32_e32 v[4:5], v4
	global_store_dwordx2 v[0:1], v[4:5], off
.LBB215_1136:
	s_andn2_b64 vcc, exec, s[42:43]
	s_cbranch_vccnz .LBB215_1138
; %bb.1137:
	v_cvt_f32_f16_e32 v4, v3
	global_store_dword v[0:1], v4, off
.LBB215_1138:
	s_mov_b64 s[42:43], 0
.LBB215_1139:
	s_andn2_b64 vcc, exec, s[42:43]
	s_cbranch_vccnz .LBB215_1141
; %bb.1140:
	global_store_short v[0:1], v3, off
.LBB215_1141:
	s_mov_b64 s[42:43], 0
.LBB215_1142:
	s_andn2_b64 vcc, exec, s[42:43]
	s_cbranch_vccnz .LBB215_1158
; %bb.1143:
	s_cmp_lt_i32 s44, 2
	s_mov_b64 s[42:43], -1
	s_cbranch_scc1 .LBB215_1153
; %bb.1144:
	s_cmp_lt_i32 s44, 3
	s_cbranch_scc1 .LBB215_1150
; %bb.1145:
	s_cmp_gt_i32 s44, 3
	s_cbranch_scc0 .LBB215_1147
; %bb.1146:
	v_cvt_f32_f16_e32 v4, v3
	s_mov_b64 s[42:43], 0
	v_cvt_i32_f32_e32 v4, v4
	v_ashrrev_i32_e32 v5, 31, v4
	global_store_dwordx2 v[0:1], v[4:5], off
.LBB215_1147:
	s_andn2_b64 vcc, exec, s[42:43]
	s_cbranch_vccnz .LBB215_1149
; %bb.1148:
	v_cvt_f32_f16_e32 v4, v3
	v_cvt_i32_f32_e32 v4, v4
	global_store_dword v[0:1], v4, off
.LBB215_1149:
	s_mov_b64 s[42:43], 0
.LBB215_1150:
	s_andn2_b64 vcc, exec, s[42:43]
	s_cbranch_vccnz .LBB215_1152
; %bb.1151:
	v_cvt_i16_f16_e32 v4, v3
	global_store_short v[0:1], v4, off
.LBB215_1152:
	s_mov_b64 s[42:43], 0
.LBB215_1153:
	s_andn2_b64 vcc, exec, s[42:43]
	s_cbranch_vccnz .LBB215_1158
; %bb.1154:
	s_cmp_gt_i32 s44, 0
	s_mov_b64 s[42:43], -1
	s_cbranch_scc0 .LBB215_1156
; %bb.1155:
	v_cvt_i16_f16_e32 v4, v3
	s_mov_b64 s[42:43], 0
	global_store_byte v[0:1], v4, off
.LBB215_1156:
	s_andn2_b64 vcc, exec, s[42:43]
	s_cbranch_vccnz .LBB215_1158
; %bb.1157:
	v_cvt_f32_f16_e32 v3, v3
	v_cvt_i32_f32_e32 v3, v3
	global_store_byte v[0:1], v3, off
.LBB215_1158:
	s_mov_b64 s[42:43], -1
.LBB215_1159:
	s_andn2_b64 vcc, exec, s[42:43]
	s_cbranch_vccnz .LBB215_1172
; %bb.1160:
	v_add_u32_e32 v2, 0x80, v2
	s_mov_b64 s[44:45], -1
.LBB215_1161:
	s_andn2_b64 s[42:43], s[30:31], exec
	s_and_b64 s[0:1], s[0:1], exec
	s_or_b64 s[42:43], s[42:43], s[0:1]
	s_andn2_b64 s[0:1], s[28:29], exec
	s_and_b64 s[40:41], s[40:41], exec
	s_or_b64 s[40:41], s[0:1], s[40:41]
	;; [unrolled: 3-line block ×3, first 2 shown]
	s_orn2_b64 s[48:49], s[44:45], exec
.LBB215_1162:
	s_or_b64 exec, exec, s[36:37]
	s_mov_b64 s[44:45], 0
	s_mov_b64 s[38:39], 0
	;; [unrolled: 1-line block ×3, first 2 shown]
                                        ; implicit-def: $sgpr57
                                        ; implicit-def: $vgpr0_vgpr1
                                        ; implicit-def: $vgpr3
	s_and_saveexec_b64 s[36:37], s[48:49]
	s_cbranch_execz .LBB215_1246
; %bb.1163:
	v_cmp_gt_i32_e32 vcc, s50, v2
	s_mov_b64 s[48:49], 0
	s_mov_b64 s[50:51], s[0:1]
	;; [unrolled: 1-line block ×4, first 2 shown]
                                        ; implicit-def: $sgpr57
                                        ; implicit-def: $vgpr0_vgpr1
                                        ; implicit-def: $vgpr3
	s_and_saveexec_b64 s[38:39], vcc
	s_cbranch_execz .LBB215_1245
; %bb.1164:
	v_mul_lo_u32 v0, v2, s13
	v_mov_b32_e32 v1, s11
	s_and_b32 s57, s56, 0xff
	s_cmp_lt_i32 s57, 11
	s_waitcnt vmcnt(0)
	v_ashrrev_i32_e32 v3, 31, v0
	v_add_co_u32_e32 v0, vcc, s10, v0
	v_addc_co_u32_e32 v1, vcc, v1, v3, vcc
	s_cbranch_scc1 .LBB215_1171
; %bb.1165:
	s_and_b32 s54, 0xffff, s57
	s_cmp_gt_i32 s54, 25
	s_cbranch_scc0 .LBB215_1173
; %bb.1166:
	s_cmp_gt_i32 s54, 28
	s_cbranch_scc0 .LBB215_1174
; %bb.1167:
	;; [unrolled: 3-line block ×4, first 2 shown]
	s_cmp_eq_u32 s54, 46
	s_mov_b64 s[50:51], 0
	s_cbranch_scc0 .LBB215_1179
; %bb.1170:
	global_load_dword v3, v[0:1], off
	s_mov_b64 s[48:49], -1
	s_waitcnt vmcnt(0)
	v_lshlrev_b32_e32 v3, 16, v3
	v_cvt_f16_f32_e32 v3, v3
	s_branch .LBB215_1181
.LBB215_1171:
	s_mov_b64 s[50:51], -1
                                        ; implicit-def: $vgpr3
	s_mov_b64 s[44:45], s[0:1]
	s_branch .LBB215_1244
.LBB215_1172:
	s_mov_b64 s[44:45], 0
	s_branch .LBB215_914
.LBB215_1173:
	s_mov_b64 s[50:51], -1
	s_mov_b64 s[44:45], s[0:1]
                                        ; implicit-def: $vgpr3
	s_branch .LBB215_1210
.LBB215_1174:
	s_mov_b64 s[50:51], -1
	s_mov_b64 s[44:45], s[0:1]
                                        ; implicit-def: $vgpr3
	s_branch .LBB215_1191
.LBB215_1175:
	s_mov_b64 s[50:51], -1
	s_mov_b64 s[44:45], s[0:1]
                                        ; implicit-def: $vgpr3
	s_branch .LBB215_1186
.LBB215_1176:
	s_mov_b64 s[50:51], -1
	s_mov_b64 s[44:45], s[0:1]
	s_branch .LBB215_1180
.LBB215_1177:
	s_andn2_saveexec_b64 s[46:47], s[46:47]
	s_cbranch_execz .LBB215_1072
.LBB215_1178:
	s_mov_b32 s51, 0x46000000
	v_add_f32_e64 v5, |v4|, s51
	v_and_b32_e32 v5, 0xff, v5
	v_cmp_ne_u32_e32 vcc, 0, v5
	s_andn2_b64 s[44:45], s[44:45], exec
	s_and_b64 s[52:53], vcc, exec
	s_or_b64 s[44:45], s[44:45], s[52:53]
	s_or_b64 exec, exec, s[46:47]
	v_mov_b32_e32 v6, 0
	s_and_saveexec_b64 s[46:47], s[44:45]
	s_cbranch_execnz .LBB215_1073
	s_branch .LBB215_1074
.LBB215_1179:
	s_mov_b64 s[44:45], -1
.LBB215_1180:
                                        ; implicit-def: $vgpr3
.LBB215_1181:
	s_and_b64 vcc, exec, s[50:51]
	s_cbranch_vccz .LBB215_1185
; %bb.1182:
	s_cmp_eq_u32 s54, 44
	s_cbranch_scc0 .LBB215_1184
; %bb.1183:
	global_load_ubyte v3, v[0:1], off
	s_movk_i32 s48, 0xff
	v_mov_b32_e32 v5, 0x7e00
	s_mov_b64 s[44:45], 0
	s_waitcnt vmcnt(0)
	v_lshlrev_b32_e32 v4, 23, v3
	v_cvt_f16_f32_e32 v4, v4
	v_cmp_ne_u32_e32 vcc, s48, v3
	s_mov_b64 s[48:49], -1
	v_cndmask_b32_e32 v4, v5, v4, vcc
	v_cmp_ne_u32_e32 vcc, 0, v3
	v_cndmask_b32_e32 v3, 0, v4, vcc
	s_branch .LBB215_1185
.LBB215_1184:
	s_mov_b64 s[44:45], -1
                                        ; implicit-def: $vgpr3
.LBB215_1185:
	s_mov_b64 s[50:51], 0
.LBB215_1186:
	s_and_b64 vcc, exec, s[50:51]
	s_cbranch_vccz .LBB215_1190
; %bb.1187:
	s_cmp_eq_u32 s54, 29
	s_cbranch_scc0 .LBB215_1189
; %bb.1188:
	global_load_dwordx2 v[3:4], v[0:1], off
	s_mov_b64 s[44:45], 0
	s_mov_b64 s[48:49], -1
	s_mov_b64 s[50:51], 0
	s_waitcnt vmcnt(0)
	v_ffbh_u32_e32 v5, v4
	v_min_u32_e32 v5, 32, v5
	v_lshlrev_b64 v[3:4], v5, v[3:4]
	v_min_u32_e32 v3, 1, v3
	v_or_b32_e32 v3, v4, v3
	v_cvt_f32_u32_e32 v3, v3
	v_sub_u32_e32 v4, 32, v5
	v_ldexp_f32 v3, v3, v4
	v_cvt_f16_f32_e32 v3, v3
	s_branch .LBB215_1191
.LBB215_1189:
	s_mov_b64 s[44:45], -1
                                        ; implicit-def: $vgpr3
.LBB215_1190:
	s_mov_b64 s[50:51], 0
.LBB215_1191:
	s_and_b64 vcc, exec, s[50:51]
	s_cbranch_vccz .LBB215_1209
; %bb.1192:
	s_cmp_lt_i32 s54, 27
	s_cbranch_scc1 .LBB215_1195
; %bb.1193:
	s_cmp_gt_i32 s54, 27
	s_cbranch_scc0 .LBB215_1196
; %bb.1194:
	global_load_dword v3, v[0:1], off
	s_mov_b64 s[48:49], 0
	s_waitcnt vmcnt(0)
	v_cvt_f32_u32_e32 v3, v3
	v_cvt_f16_f32_e32 v3, v3
	s_branch .LBB215_1197
.LBB215_1195:
	s_mov_b64 s[48:49], -1
                                        ; implicit-def: $vgpr3
	s_branch .LBB215_1200
.LBB215_1196:
	s_mov_b64 s[48:49], -1
                                        ; implicit-def: $vgpr3
.LBB215_1197:
	s_andn2_b64 vcc, exec, s[48:49]
	s_cbranch_vccnz .LBB215_1199
; %bb.1198:
	global_load_ushort v3, v[0:1], off
	s_waitcnt vmcnt(0)
	v_cvt_f16_u16_e32 v3, v3
.LBB215_1199:
	s_mov_b64 s[48:49], 0
.LBB215_1200:
	s_andn2_b64 vcc, exec, s[48:49]
	s_cbranch_vccnz .LBB215_1208
; %bb.1201:
	global_load_ubyte v4, v[0:1], off
	s_movk_i32 s48, 0x7f
	s_waitcnt vmcnt(0)
	v_cmp_lt_i16_e32 vcc, s48, v4
	s_mov_b64 s[48:49], 0
	s_and_saveexec_b64 s[50:51], vcc
	s_xor_b64 s[50:51], exec, s[50:51]
	s_cbranch_execz .LBB215_1222
; %bb.1202:
	s_movk_i32 s48, 0x80
	v_cmp_eq_u16_e32 vcc, s48, v4
	s_mov_b64 s[48:49], -1
	s_and_saveexec_b64 s[52:53], vcc
; %bb.1203:
	s_xor_b64 s[48:49], exec, -1
; %bb.1204:
	s_or_b64 exec, exec, s[52:53]
	s_and_b64 s[48:49], s[48:49], exec
	s_or_saveexec_b64 s[50:51], s[50:51]
	v_mov_b32_e32 v3, 0x7e00
	s_xor_b64 exec, exec, s[50:51]
	s_cbranch_execnz .LBB215_1223
.LBB215_1205:
	s_or_b64 exec, exec, s[50:51]
	s_and_saveexec_b64 s[50:51], s[48:49]
	s_cbranch_execz .LBB215_1207
.LBB215_1206:
	v_lshlrev_b32_e32 v3, 24, v4
	v_and_b32_e32 v4, 0xffff, v4
	v_and_b32_e32 v5, 7, v4
	v_ffbh_u32_e32 v7, v5
	v_min_u32_e32 v7, 32, v7
	v_subrev_u32_e32 v8, 28, v7
	v_bfe_u32 v6, v4, 3, 4
	v_lshlrev_b32_e32 v4, v8, v4
	v_sub_u32_e32 v7, 29, v7
	v_and_b32_e32 v4, 7, v4
	v_cmp_eq_u32_e32 vcc, 0, v6
	v_cndmask_b32_e32 v6, v6, v7, vcc
	v_cndmask_b32_e32 v4, v5, v4, vcc
	v_mov_b32_e32 v5, 0x3b800000
	v_lshlrev_b32_e32 v4, 20, v4
	v_and_b32_e32 v3, 0x80000000, v3
	v_lshl_add_u32 v5, v6, 23, v5
	v_or3_b32 v3, v3, v5, v4
	v_cvt_f16_f32_e32 v3, v3
.LBB215_1207:
	s_or_b64 exec, exec, s[50:51]
.LBB215_1208:
	s_mov_b64 s[48:49], -1
.LBB215_1209:
	s_mov_b64 s[50:51], 0
.LBB215_1210:
	s_and_b64 vcc, exec, s[50:51]
	s_cbranch_vccz .LBB215_1243
; %bb.1211:
	s_cmp_gt_i32 s54, 22
	s_cbranch_scc0 .LBB215_1221
; %bb.1212:
	s_cmp_lt_i32 s54, 24
	s_cbranch_scc1 .LBB215_1224
; %bb.1213:
	s_cmp_gt_i32 s54, 24
	s_cbranch_scc0 .LBB215_1225
; %bb.1214:
	global_load_ubyte v4, v[0:1], off
	s_movk_i32 s46, 0x7f
	s_waitcnt vmcnt(0)
	v_cmp_lt_i16_e32 vcc, s46, v4
	s_mov_b64 s[46:47], 0
	s_and_saveexec_b64 s[48:49], vcc
	s_xor_b64 s[48:49], exec, s[48:49]
	s_cbranch_execz .LBB215_1237
; %bb.1215:
	s_movk_i32 s46, 0x80
	v_cmp_eq_u16_e32 vcc, s46, v4
	s_mov_b64 s[46:47], -1
	s_and_saveexec_b64 s[50:51], vcc
; %bb.1216:
	s_xor_b64 s[46:47], exec, -1
; %bb.1217:
	s_or_b64 exec, exec, s[50:51]
	s_and_b64 s[46:47], s[46:47], exec
	s_or_saveexec_b64 s[48:49], s[48:49]
	v_mov_b32_e32 v3, 0x7e00
	s_xor_b64 exec, exec, s[48:49]
	s_cbranch_execnz .LBB215_1238
.LBB215_1218:
	s_or_b64 exec, exec, s[48:49]
	s_and_saveexec_b64 s[48:49], s[46:47]
	s_cbranch_execz .LBB215_1220
.LBB215_1219:
	v_lshlrev_b32_e32 v3, 24, v4
	v_and_b32_e32 v4, 0xffff, v4
	v_and_b32_e32 v5, 3, v4
	v_ffbh_u32_e32 v7, v5
	v_min_u32_e32 v7, 32, v7
	v_subrev_u32_e32 v8, 29, v7
	v_bfe_u32 v6, v4, 2, 5
	v_lshlrev_b32_e32 v4, v8, v4
	v_sub_u32_e32 v7, 30, v7
	v_and_b32_e32 v4, 3, v4
	v_cmp_eq_u32_e32 vcc, 0, v6
	v_cndmask_b32_e32 v6, v6, v7, vcc
	v_cndmask_b32_e32 v4, v5, v4, vcc
	v_mov_b32_e32 v5, 0x37800000
	v_lshlrev_b32_e32 v4, 21, v4
	v_and_b32_e32 v3, 0x80000000, v3
	v_lshl_add_u32 v5, v6, 23, v5
	v_or3_b32 v3, v3, v5, v4
	v_cvt_f16_f32_e32 v3, v3
.LBB215_1220:
	s_or_b64 exec, exec, s[48:49]
	s_mov_b64 s[46:47], 0
	s_branch .LBB215_1226
.LBB215_1221:
	s_mov_b64 s[46:47], -1
                                        ; implicit-def: $vgpr3
	s_branch .LBB215_1232
.LBB215_1222:
	s_or_saveexec_b64 s[50:51], s[50:51]
	v_mov_b32_e32 v3, 0x7e00
	s_xor_b64 exec, exec, s[50:51]
	s_cbranch_execz .LBB215_1205
.LBB215_1223:
	v_cmp_ne_u16_e32 vcc, 0, v4
	s_andn2_b64 s[48:49], s[48:49], exec
	s_and_b64 s[52:53], vcc, exec
	s_or_b64 s[48:49], s[48:49], s[52:53]
	v_mov_b32_e32 v3, v4
	s_or_b64 exec, exec, s[50:51]
	s_and_saveexec_b64 s[50:51], s[48:49]
	s_cbranch_execnz .LBB215_1206
	s_branch .LBB215_1207
.LBB215_1224:
	s_mov_b64 s[46:47], -1
                                        ; implicit-def: $vgpr3
	s_branch .LBB215_1229
.LBB215_1225:
	s_mov_b64 s[46:47], -1
                                        ; implicit-def: $vgpr3
.LBB215_1226:
	s_and_b64 vcc, exec, s[46:47]
	s_cbranch_vccz .LBB215_1228
; %bb.1227:
	global_load_ubyte v3, v[0:1], off
	s_mov_b32 s46, 0x7f800000
	s_waitcnt vmcnt(0)
	v_lshlrev_b32_e32 v3, 24, v3
	v_and_b32_e32 v4, 0x7f000000, v3
	v_ffbh_u32_e32 v5, v4
	v_min_u32_e32 v5, 32, v5
	v_sub_u32_e64 v5, v5, 4 clamp
	v_lshlrev_b32_e32 v7, v5, v4
	v_lshlrev_b32_e32 v5, 23, v5
	v_lshrrev_b32_e32 v7, 4, v7
	v_add_u32_e32 v6, 0x1000000, v4
	v_sub_u32_e32 v5, v7, v5
	v_ashrrev_i32_e32 v6, 8, v6
	v_add_u32_e32 v5, 0x3c000000, v5
	v_and_or_b32 v5, v6, s46, v5
	v_cmp_ne_u32_e32 vcc, 0, v4
	v_cndmask_b32_e32 v4, 0, v5, vcc
	s_brev_b32 s46, 1
	v_and_or_b32 v3, v3, s46, v4
	v_cvt_f16_f32_e32 v3, v3
.LBB215_1228:
	s_mov_b64 s[46:47], 0
.LBB215_1229:
	s_andn2_b64 vcc, exec, s[46:47]
	s_cbranch_vccnz .LBB215_1231
; %bb.1230:
	global_load_ubyte v3, v[0:1], off
	s_movk_i32 s46, 0x7f00
	s_brev_b32 s47, 16
	s_waitcnt vmcnt(0)
	v_lshlrev_b16_e32 v4, 8, v3
	v_lshlrev_b32_e32 v3, 25, v3
	v_lshrrev_b32_e32 v5, 4, v3
	v_and_or_b32 v6, v4, s46, 0.5
	v_or_b32_e32 v5, 0x70000000, v5
	v_add_f32_e32 v6, -0.5, v6
	v_mul_f32_e32 v5, 0x7800000, v5
	v_cmp_gt_u32_e32 vcc, s47, v3
	v_bfe_i32 v4, v4, 0, 16
	v_cndmask_b32_e32 v3, v5, v6, vcc
	s_brev_b32 s46, 1
	v_and_or_b32 v3, v4, s46, v3
	v_cvt_f16_f32_e32 v3, v3
.LBB215_1231:
	s_mov_b64 s[46:47], 0
	s_mov_b64 s[48:49], -1
.LBB215_1232:
	s_andn2_b64 vcc, exec, s[46:47]
	s_mov_b64 s[46:47], 0
	s_cbranch_vccnz .LBB215_1243
; %bb.1233:
	s_cmp_gt_i32 s54, 14
	s_cbranch_scc0 .LBB215_1236
; %bb.1234:
	s_cmp_eq_u32 s54, 15
	s_cbranch_scc0 .LBB215_1239
; %bb.1235:
	global_load_ushort v3, v[0:1], off
	s_mov_b64 s[44:45], 0
	s_mov_b64 s[48:49], -1
	s_waitcnt vmcnt(0)
	v_lshlrev_b32_e32 v3, 16, v3
	v_cvt_f16_f32_e32 v3, v3
	s_branch .LBB215_1240
.LBB215_1236:
	s_mov_b64 s[50:51], -1
                                        ; implicit-def: $vgpr3
	s_branch .LBB215_1241
.LBB215_1237:
	s_or_saveexec_b64 s[48:49], s[48:49]
	v_mov_b32_e32 v3, 0x7e00
	s_xor_b64 exec, exec, s[48:49]
	s_cbranch_execz .LBB215_1218
.LBB215_1238:
	v_cmp_ne_u16_e32 vcc, 0, v4
	s_andn2_b64 s[46:47], s[46:47], exec
	s_and_b64 s[50:51], vcc, exec
	s_or_b64 s[46:47], s[46:47], s[50:51]
	v_mov_b32_e32 v3, v4
	s_or_b64 exec, exec, s[48:49]
	s_and_saveexec_b64 s[48:49], s[46:47]
	s_cbranch_execnz .LBB215_1219
	s_branch .LBB215_1220
.LBB215_1239:
	s_mov_b64 s[44:45], -1
                                        ; implicit-def: $vgpr3
.LBB215_1240:
	s_mov_b64 s[50:51], 0
.LBB215_1241:
	s_and_b64 vcc, exec, s[50:51]
	s_cbranch_vccz .LBB215_1243
; %bb.1242:
	s_cmp_lg_u32 s54, 11
	s_cselect_b64 s[50:51], -1, 0
	s_andn2_b64 s[44:45], s[44:45], exec
	s_and_b64 s[50:51], s[50:51], exec
	s_mov_b64 s[46:47], -1
	s_or_b64 s[44:45], s[44:45], s[50:51]
.LBB215_1243:
	s_mov_b64 s[50:51], 0
.LBB215_1244:
	s_and_b64 s[54:55], s[48:49], exec
	s_and_b64 s[48:49], s[46:47], exec
	s_andn2_b64 s[46:47], s[0:1], exec
	s_and_b64 s[44:45], s[44:45], exec
	s_and_b64 s[52:53], s[50:51], exec
	s_or_b64 s[50:51], s[46:47], s[44:45]
.LBB215_1245:
	s_or_b64 exec, exec, s[38:39]
	s_and_b64 s[44:45], s[48:49], exec
	s_andn2_b64 s[0:1], s[0:1], exec
	s_and_b64 s[48:49], s[50:51], exec
	s_and_b64 s[46:47], s[54:55], exec
	;; [unrolled: 1-line block ×3, first 2 shown]
	s_or_b64 s[0:1], s[0:1], s[48:49]
.LBB215_1246:
	s_or_b64 exec, exec, s[36:37]
	s_andn2_b64 s[30:31], s[30:31], exec
	s_and_b64 s[36:37], s[42:43], exec
	s_or_b64 s[30:31], s[30:31], s[36:37]
	s_andn2_b64 s[28:29], s[28:29], exec
	s_and_b64 s[36:37], s[40:41], exec
	s_andn2_b64 s[26:27], s[26:27], exec
	s_and_b64 s[0:1], s[0:1], exec
	s_or_b64 s[28:29], s[28:29], s[36:37]
	s_and_b64 s[40:41], s[46:47], exec
	s_and_b64 s[38:39], s[38:39], exec
	;; [unrolled: 1-line block ×3, first 2 shown]
	s_or_b64 s[26:27], s[26:27], s[0:1]
.LBB215_1247:
	s_or_b64 exec, exec, s[34:35]
	s_andn2_b64 s[0:1], s[18:19], exec
	s_and_b64 s[18:19], s[30:31], exec
	s_or_b64 s[18:19], s[0:1], s[18:19]
	s_andn2_b64 s[0:1], s[20:21], exec
	s_and_b64 s[20:21], s[28:29], exec
	s_or_b64 s[20:21], s[0:1], s[20:21]
	s_andn2_b64 s[0:1], s[22:23], exec
	s_and_b64 s[22:23], s[26:27], exec
	s_and_b64 s[30:31], s[40:41], exec
	;; [unrolled: 1-line block ×4, first 2 shown]
	s_or_b64 s[22:23], s[0:1], s[22:23]
	s_or_b64 exec, exec, s[24:25]
	s_mov_b64 s[24:25], 0
	s_and_saveexec_b64 s[0:1], s[22:23]
	s_cbranch_execz .LBB215_393
.LBB215_1248:
	s_mov_b64 s[24:25], exec
	s_andn2_b64 s[28:29], s[28:29], exec
	s_trap 2
	s_or_b64 exec, exec, s[0:1]
	s_and_saveexec_b64 s[0:1], s[28:29]
	s_xor_b64 s[0:1], exec, s[0:1]
	s_cbranch_execnz .LBB215_394
.LBB215_1249:
	s_or_b64 exec, exec, s[0:1]
	s_and_saveexec_b64 s[0:1], s[34:35]
	s_cbranch_execz .LBB215_1295
.LBB215_1250:
	s_sext_i32_i16 s22, s57
	s_cmp_lt_i32 s22, 5
	s_cbranch_scc1 .LBB215_1255
; %bb.1251:
	s_cmp_lt_i32 s22, 8
	s_cbranch_scc1 .LBB215_1256
; %bb.1252:
	;; [unrolled: 3-line block ×3, first 2 shown]
	s_cmp_gt_i32 s22, 9
	s_cbranch_scc0 .LBB215_1258
; %bb.1254:
	global_load_dwordx2 v[3:4], v[0:1], off
	s_movk_i32 s22, 0x1ff
	s_movk_i32 s23, 0xffe
	v_mov_b32_e32 v5, 0x7c00
	v_mov_b32_e32 v6, 0x7e00
	s_movk_i32 s26, 0x40f
	s_mov_b32 s27, 0x8000
	s_waitcnt vmcnt(0)
	v_and_or_b32 v3, v4, s22, v3
	v_cmp_ne_u32_e32 vcc, 0, v3
	v_lshrrev_b32_e32 v7, 8, v4
	v_bfe_u32 v8, v4, 20, 11
	v_cndmask_b32_e64 v3, 0, 1, vcc
	v_sub_u32_e32 v9, 0x3f1, v8
	v_and_or_b32 v3, v7, s23, v3
	v_add_u32_e32 v8, 0xfffffc10, v8
	v_med3_i32 v7, v9, 0, 13
	v_or_b32_e32 v9, 0x1000, v3
	v_cmp_ne_u32_e32 vcc, 0, v3
	v_lshl_or_b32 v10, v8, 12, v3
	v_cndmask_b32_e32 v3, v5, v6, vcc
	v_lshrrev_b32_e32 v6, v7, v9
	v_lshlrev_b32_e32 v7, v7, v6
	v_cmp_ne_u32_e32 vcc, v7, v9
	v_cndmask_b32_e64 v7, 0, 1, vcc
	v_or_b32_e32 v6, v6, v7
	v_cmp_gt_i32_e32 vcc, 1, v8
	v_cndmask_b32_e32 v6, v10, v6, vcc
	v_and_b32_e32 v7, 7, v6
	v_cmp_lt_i32_e32 vcc, 5, v7
	v_cndmask_b32_e64 v9, 0, 1, vcc
	v_cmp_eq_u32_e32 vcc, 3, v7
	v_cndmask_b32_e64 v7, 0, 1, vcc
	v_lshrrev_b32_e32 v6, 2, v6
	v_or_b32_e32 v7, v7, v9
	v_add_u32_e32 v6, v6, v7
	v_cmp_gt_i32_e32 vcc, 31, v8
	v_cndmask_b32_e32 v5, v5, v6, vcc
	v_cmp_eq_u32_e32 vcc, s26, v8
	v_lshrrev_b32_e32 v4, 16, v4
	v_cndmask_b32_e32 v3, v5, v3, vcc
	v_and_or_b32 v3, v4, s27, v3
	s_mov_b64 s[22:23], 0
	s_branch .LBB215_1259
.LBB215_1255:
                                        ; implicit-def: $vgpr3
	s_branch .LBB215_1276
.LBB215_1256:
                                        ; implicit-def: $vgpr3
	s_branch .LBB215_1265
.LBB215_1257:
	s_mov_b64 s[22:23], -1
                                        ; implicit-def: $vgpr3
	s_branch .LBB215_1262
.LBB215_1258:
	s_mov_b64 s[22:23], -1
                                        ; implicit-def: $vgpr3
.LBB215_1259:
	s_andn2_b64 vcc, exec, s[22:23]
	s_cbranch_vccnz .LBB215_1261
; %bb.1260:
	global_load_dword v3, v[0:1], off
	s_waitcnt vmcnt(0)
	v_cvt_f16_f32_e32 v3, v3
.LBB215_1261:
	s_mov_b64 s[22:23], 0
.LBB215_1262:
	s_andn2_b64 vcc, exec, s[22:23]
	s_cbranch_vccnz .LBB215_1264
; %bb.1263:
	global_load_dword v3, v[0:1], off
.LBB215_1264:
	s_cbranch_execnz .LBB215_1275
.LBB215_1265:
	s_sext_i32_i16 s22, s57
	s_cmp_lt_i32 s22, 6
	s_cbranch_scc1 .LBB215_1268
; %bb.1266:
	s_cmp_gt_i32 s22, 6
	s_cbranch_scc0 .LBB215_1269
; %bb.1267:
	global_load_dwordx2 v[3:4], v[0:1], off
	s_movk_i32 s22, 0x1ff
	s_movk_i32 s23, 0xffe
	v_mov_b32_e32 v5, 0x7c00
	v_mov_b32_e32 v6, 0x7e00
	s_movk_i32 s26, 0x40f
	s_mov_b32 s27, 0x8000
	s_waitcnt vmcnt(0)
	v_and_or_b32 v3, v4, s22, v3
	v_cmp_ne_u32_e32 vcc, 0, v3
	v_lshrrev_b32_e32 v7, 8, v4
	v_bfe_u32 v8, v4, 20, 11
	v_cndmask_b32_e64 v3, 0, 1, vcc
	v_sub_u32_e32 v9, 0x3f1, v8
	v_and_or_b32 v3, v7, s23, v3
	v_add_u32_e32 v8, 0xfffffc10, v8
	v_med3_i32 v7, v9, 0, 13
	v_or_b32_e32 v9, 0x1000, v3
	v_cmp_ne_u32_e32 vcc, 0, v3
	v_lshl_or_b32 v10, v8, 12, v3
	v_cndmask_b32_e32 v3, v5, v6, vcc
	v_lshrrev_b32_e32 v6, v7, v9
	v_lshlrev_b32_e32 v7, v7, v6
	v_cmp_ne_u32_e32 vcc, v7, v9
	v_cndmask_b32_e64 v7, 0, 1, vcc
	v_or_b32_e32 v6, v6, v7
	v_cmp_gt_i32_e32 vcc, 1, v8
	v_cndmask_b32_e32 v6, v10, v6, vcc
	v_and_b32_e32 v7, 7, v6
	v_cmp_lt_i32_e32 vcc, 5, v7
	v_cndmask_b32_e64 v9, 0, 1, vcc
	v_cmp_eq_u32_e32 vcc, 3, v7
	v_cndmask_b32_e64 v7, 0, 1, vcc
	v_lshrrev_b32_e32 v6, 2, v6
	v_or_b32_e32 v7, v7, v9
	v_add_u32_e32 v6, v6, v7
	v_cmp_gt_i32_e32 vcc, 31, v8
	v_cndmask_b32_e32 v5, v5, v6, vcc
	v_cmp_eq_u32_e32 vcc, s26, v8
	v_lshrrev_b32_e32 v4, 16, v4
	v_cndmask_b32_e32 v3, v5, v3, vcc
	v_and_or_b32 v3, v4, s27, v3
	s_mov_b64 s[22:23], 0
	s_branch .LBB215_1270
.LBB215_1268:
	s_mov_b64 s[22:23], -1
                                        ; implicit-def: $vgpr3
	s_branch .LBB215_1273
.LBB215_1269:
	s_mov_b64 s[22:23], -1
                                        ; implicit-def: $vgpr3
.LBB215_1270:
	s_andn2_b64 vcc, exec, s[22:23]
	s_cbranch_vccnz .LBB215_1272
; %bb.1271:
	global_load_dword v3, v[0:1], off
	s_waitcnt vmcnt(0)
	v_cvt_f16_f32_e32 v3, v3
.LBB215_1272:
	s_mov_b64 s[22:23], 0
.LBB215_1273:
	s_andn2_b64 vcc, exec, s[22:23]
	s_cbranch_vccnz .LBB215_1275
; %bb.1274:
	global_load_ushort v3, v[0:1], off
.LBB215_1275:
	s_cbranch_execnz .LBB215_1294
.LBB215_1276:
	s_sext_i32_i16 s22, s57
	s_cmp_lt_i32 s22, 2
	s_cbranch_scc1 .LBB215_1280
; %bb.1277:
	s_cmp_lt_i32 s22, 3
	s_cbranch_scc1 .LBB215_1281
; %bb.1278:
	s_cmp_gt_i32 s22, 3
	s_cbranch_scc0 .LBB215_1282
; %bb.1279:
	global_load_dwordx2 v[3:4], v[0:1], off
	s_mov_b64 s[22:23], 0
	s_waitcnt vmcnt(0)
	v_xor_b32_e32 v6, v3, v4
	v_ffbh_i32_e32 v5, v4
	v_ashrrev_i32_e32 v6, 31, v6
	v_add_u32_e32 v5, -1, v5
	v_add_u32_e32 v6, 32, v6
	v_min_u32_e32 v5, v5, v6
	v_lshlrev_b64 v[3:4], v5, v[3:4]
	v_min_u32_e32 v3, 1, v3
	v_or_b32_e32 v3, v4, v3
	v_cvt_f32_i32_e32 v3, v3
	v_sub_u32_e32 v4, 32, v5
	v_ldexp_f32 v3, v3, v4
	v_cvt_f16_f32_e32 v3, v3
	s_branch .LBB215_1283
.LBB215_1280:
                                        ; implicit-def: $vgpr3
	s_branch .LBB215_1289
.LBB215_1281:
	s_mov_b64 s[22:23], -1
                                        ; implicit-def: $vgpr3
	s_branch .LBB215_1286
.LBB215_1282:
	s_mov_b64 s[22:23], -1
                                        ; implicit-def: $vgpr3
.LBB215_1283:
	s_andn2_b64 vcc, exec, s[22:23]
	s_cbranch_vccnz .LBB215_1285
; %bb.1284:
	global_load_dword v3, v[0:1], off
	s_waitcnt vmcnt(0)
	v_cvt_f32_i32_e32 v3, v3
	v_cvt_f16_f32_e32 v3, v3
.LBB215_1285:
	s_mov_b64 s[22:23], 0
.LBB215_1286:
	s_andn2_b64 vcc, exec, s[22:23]
	s_cbranch_vccnz .LBB215_1288
; %bb.1287:
	global_load_ushort v3, v[0:1], off
	s_waitcnt vmcnt(0)
	v_cvt_f16_i16_e32 v3, v3
.LBB215_1288:
	s_cbranch_execnz .LBB215_1294
.LBB215_1289:
	s_sext_i32_i16 s22, s57
	s_cmp_gt_i32 s22, 0
	s_cbranch_scc0 .LBB215_1291
; %bb.1290:
	global_load_sbyte v3, v[0:1], off
	s_mov_b64 s[22:23], 0
	s_waitcnt vmcnt(0)
	v_cvt_f16_i16_e32 v3, v3
	s_branch .LBB215_1292
.LBB215_1291:
	s_mov_b64 s[22:23], -1
                                        ; implicit-def: $vgpr3
.LBB215_1292:
	s_andn2_b64 vcc, exec, s[22:23]
	s_cbranch_vccnz .LBB215_1294
; %bb.1293:
	global_load_ubyte v0, v[0:1], off
	s_waitcnt vmcnt(0)
	v_cvt_f16_u16_e32 v3, v0
.LBB215_1294:
	s_or_b64 s[30:31], s[30:31], exec
.LBB215_1295:
	s_or_b64 exec, exec, s[0:1]
	s_mov_b64 s[28:29], 0
	s_mov_b64 s[34:35], 0
	;; [unrolled: 1-line block ×3, first 2 shown]
                                        ; implicit-def: $sgpr36
                                        ; implicit-def: $vgpr0_vgpr1
                                        ; implicit-def: $vgpr5
	s_and_saveexec_b64 s[0:1], s[30:31]
	s_cbranch_execz .LBB215_1303
; %bb.1296:
	v_mul_lo_u32 v0, v2, s14
	v_mov_b32_e32 v1, s17
	s_and_b32 s36, s15, 0xff
	s_cmp_lt_i32 s36, 11
	s_waitcnt vmcnt(0)
	v_ashrrev_i32_e32 v4, 31, v0
	v_add_co_u32_e32 v0, vcc, s16, v0
	v_addc_co_u32_e32 v1, vcc, v1, v4, vcc
	s_cbranch_scc1 .LBB215_1306
; %bb.1297:
	s_and_b32 s37, 0xffff, s36
	s_cmp_gt_i32 s37, 25
	s_cbranch_scc0 .LBB215_1307
; %bb.1298:
	s_cmp_gt_i32 s37, 28
	s_cbranch_scc0 .LBB215_1308
; %bb.1299:
	s_cmp_gt_i32 s37, 43
	s_cbranch_scc0 .LBB215_1309
; %bb.1300:
	s_cmp_gt_i32 s37, 45
	s_cbranch_scc0 .LBB215_1310
; %bb.1301:
	s_cmp_eq_u32 s37, 46
	s_mov_b64 s[30:31], 0
	s_cbranch_scc0 .LBB215_1311
; %bb.1302:
	global_load_dword v4, v[0:1], off
	s_mov_b64 s[22:23], 0
	s_mov_b64 s[26:27], -1
	s_waitcnt vmcnt(0)
	v_lshlrev_b32_e32 v4, 16, v4
	v_cvt_f16_f32_e32 v5, v4
	s_branch .LBB215_1313
.LBB215_1303:
	s_or_b64 exec, exec, s[0:1]
	s_and_saveexec_b64 s[0:1], s[20:21]
	s_cbranch_execnz .LBB215_1376
.LBB215_1304:
	s_or_b64 exec, exec, s[0:1]
	s_and_saveexec_b64 s[0:1], s[28:29]
	s_xor_b64 s[0:1], exec, s[0:1]
	s_cbranch_execz .LBB215_1377
.LBB215_1305:
	global_load_ubyte v4, v[0:1], off
	v_mov_b32_e32 v5, 0x3c00
	s_or_b64 s[26:27], s[26:27], exec
	s_waitcnt vmcnt(0)
	v_cmp_ne_u16_e32 vcc, 0, v4
	v_cndmask_b32_e32 v5, 0, v5, vcc
	s_or_b64 exec, exec, s[0:1]
	s_and_saveexec_b64 s[0:1], s[34:35]
	s_cbranch_execz .LBB215_1423
	s_branch .LBB215_1378
.LBB215_1306:
	s_mov_b64 s[30:31], -1
                                        ; implicit-def: $vgpr5
	s_mov_b64 s[22:23], s[20:21]
	s_branch .LBB215_1375
.LBB215_1307:
	s_mov_b64 s[22:23], s[20:21]
                                        ; implicit-def: $vgpr5
	s_cbranch_execnz .LBB215_1342
	s_branch .LBB215_1374
.LBB215_1308:
	s_mov_b64 s[30:31], -1
	s_mov_b64 s[22:23], s[20:21]
                                        ; implicit-def: $vgpr5
	s_branch .LBB215_1323
.LBB215_1309:
	s_mov_b64 s[30:31], -1
	s_mov_b64 s[22:23], s[20:21]
                                        ; implicit-def: $vgpr5
	s_branch .LBB215_1318
.LBB215_1310:
	s_mov_b64 s[30:31], -1
	s_mov_b64 s[22:23], s[20:21]
	s_branch .LBB215_1312
.LBB215_1311:
	s_mov_b64 s[22:23], -1
.LBB215_1312:
                                        ; implicit-def: $vgpr5
.LBB215_1313:
	s_and_b64 vcc, exec, s[30:31]
	s_cbranch_vccz .LBB215_1317
; %bb.1314:
	s_cmp_eq_u32 s37, 44
	s_cbranch_scc0 .LBB215_1316
; %bb.1315:
	global_load_ubyte v4, v[0:1], off
	s_movk_i32 s26, 0xff
	v_mov_b32_e32 v6, 0x7e00
	s_mov_b64 s[22:23], 0
	s_waitcnt vmcnt(0)
	v_lshlrev_b32_e32 v5, 23, v4
	v_cvt_f16_f32_e32 v5, v5
	v_cmp_ne_u32_e32 vcc, s26, v4
	s_mov_b64 s[26:27], -1
	v_cndmask_b32_e32 v5, v6, v5, vcc
	v_cmp_ne_u32_e32 vcc, 0, v4
	v_cndmask_b32_e32 v5, 0, v5, vcc
	s_branch .LBB215_1317
.LBB215_1316:
	s_mov_b64 s[22:23], -1
                                        ; implicit-def: $vgpr5
.LBB215_1317:
	s_mov_b64 s[30:31], 0
.LBB215_1318:
	s_and_b64 vcc, exec, s[30:31]
	s_cbranch_vccz .LBB215_1322
; %bb.1319:
	s_cmp_eq_u32 s37, 29
	s_cbranch_scc0 .LBB215_1321
; %bb.1320:
	global_load_dwordx2 v[4:5], v[0:1], off
	s_mov_b64 s[22:23], 0
	s_mov_b64 s[26:27], -1
	s_mov_b64 s[30:31], 0
	s_waitcnt vmcnt(0)
	v_ffbh_u32_e32 v6, v5
	v_min_u32_e32 v6, 32, v6
	v_lshlrev_b64 v[4:5], v6, v[4:5]
	v_min_u32_e32 v4, 1, v4
	v_or_b32_e32 v4, v5, v4
	v_cvt_f32_u32_e32 v4, v4
	v_sub_u32_e32 v5, 32, v6
	v_ldexp_f32 v4, v4, v5
	v_cvt_f16_f32_e32 v5, v4
	s_branch .LBB215_1323
.LBB215_1321:
	s_mov_b64 s[22:23], -1
                                        ; implicit-def: $vgpr5
.LBB215_1322:
	s_mov_b64 s[30:31], 0
.LBB215_1323:
	s_and_b64 vcc, exec, s[30:31]
	s_cbranch_vccz .LBB215_1341
; %bb.1324:
	s_cmp_lt_i32 s37, 27
	s_cbranch_scc1 .LBB215_1327
; %bb.1325:
	s_cmp_gt_i32 s37, 27
	s_cbranch_scc0 .LBB215_1328
; %bb.1326:
	global_load_dword v4, v[0:1], off
	s_mov_b64 s[26:27], 0
	s_waitcnt vmcnt(0)
	v_cvt_f32_u32_e32 v4, v4
	v_cvt_f16_f32_e32 v5, v4
	s_branch .LBB215_1329
.LBB215_1327:
	s_mov_b64 s[26:27], -1
                                        ; implicit-def: $vgpr5
	s_branch .LBB215_1332
.LBB215_1328:
	s_mov_b64 s[26:27], -1
                                        ; implicit-def: $vgpr5
.LBB215_1329:
	s_andn2_b64 vcc, exec, s[26:27]
	s_cbranch_vccnz .LBB215_1331
; %bb.1330:
	global_load_ushort v4, v[0:1], off
	s_waitcnt vmcnt(0)
	v_cvt_f16_u16_e32 v5, v4
.LBB215_1331:
	s_mov_b64 s[26:27], 0
.LBB215_1332:
	s_andn2_b64 vcc, exec, s[26:27]
	s_cbranch_vccnz .LBB215_1340
; %bb.1333:
	global_load_ubyte v4, v[0:1], off
	s_movk_i32 s26, 0x7f
	s_waitcnt vmcnt(0)
	v_cmp_lt_i16_e32 vcc, s26, v4
	s_mov_b64 s[26:27], 0
	s_and_saveexec_b64 s[30:31], vcc
	s_xor_b64 s[30:31], exec, s[30:31]
	s_cbranch_execz .LBB215_1353
; %bb.1334:
	s_movk_i32 s26, 0x80
	v_cmp_eq_u16_e32 vcc, s26, v4
	s_mov_b64 s[26:27], -1
	s_and_saveexec_b64 s[34:35], vcc
; %bb.1335:
	s_xor_b64 s[26:27], exec, -1
; %bb.1336:
	s_or_b64 exec, exec, s[34:35]
	s_and_b64 s[26:27], s[26:27], exec
	s_or_saveexec_b64 s[30:31], s[30:31]
	v_mov_b32_e32 v5, 0x7e00
	s_xor_b64 exec, exec, s[30:31]
	s_cbranch_execnz .LBB215_1354
.LBB215_1337:
	s_or_b64 exec, exec, s[30:31]
	s_and_saveexec_b64 s[30:31], s[26:27]
	s_cbranch_execz .LBB215_1339
.LBB215_1338:
	v_lshlrev_b32_e32 v5, 24, v4
	v_and_b32_e32 v4, 0xffff, v4
	v_and_b32_e32 v6, 7, v4
	v_ffbh_u32_e32 v8, v6
	v_min_u32_e32 v8, 32, v8
	v_subrev_u32_e32 v9, 28, v8
	v_bfe_u32 v7, v4, 3, 4
	v_lshlrev_b32_e32 v4, v9, v4
	v_sub_u32_e32 v8, 29, v8
	v_and_b32_e32 v4, 7, v4
	v_cmp_eq_u32_e32 vcc, 0, v7
	v_cndmask_b32_e32 v7, v7, v8, vcc
	v_cndmask_b32_e32 v4, v6, v4, vcc
	v_mov_b32_e32 v6, 0x3b800000
	v_lshlrev_b32_e32 v4, 20, v4
	v_and_b32_e32 v5, 0x80000000, v5
	v_lshl_add_u32 v6, v7, 23, v6
	v_or3_b32 v4, v5, v6, v4
	v_cvt_f16_f32_e32 v5, v4
.LBB215_1339:
	s_or_b64 exec, exec, s[30:31]
.LBB215_1340:
	s_mov_b64 s[26:27], -1
.LBB215_1341:
	s_branch .LBB215_1374
.LBB215_1342:
	s_cmp_gt_i32 s37, 22
	s_cbranch_scc0 .LBB215_1352
; %bb.1343:
	s_cmp_lt_i32 s37, 24
	s_cbranch_scc1 .LBB215_1355
; %bb.1344:
	s_cmp_gt_i32 s37, 24
	s_cbranch_scc0 .LBB215_1356
; %bb.1345:
	global_load_ubyte v4, v[0:1], off
	s_movk_i32 s26, 0x7f
	s_waitcnt vmcnt(0)
	v_cmp_lt_i16_e32 vcc, s26, v4
	s_mov_b64 s[26:27], 0
	s_and_saveexec_b64 s[28:29], vcc
	s_xor_b64 s[28:29], exec, s[28:29]
	s_cbranch_execz .LBB215_1368
; %bb.1346:
	s_movk_i32 s26, 0x80
	v_cmp_eq_u16_e32 vcc, s26, v4
	s_mov_b64 s[26:27], -1
	s_and_saveexec_b64 s[30:31], vcc
; %bb.1347:
	s_xor_b64 s[26:27], exec, -1
; %bb.1348:
	s_or_b64 exec, exec, s[30:31]
	s_and_b64 s[26:27], s[26:27], exec
	s_or_saveexec_b64 s[28:29], s[28:29]
	v_mov_b32_e32 v5, 0x7e00
	s_xor_b64 exec, exec, s[28:29]
	s_cbranch_execnz .LBB215_1369
.LBB215_1349:
	s_or_b64 exec, exec, s[28:29]
	s_and_saveexec_b64 s[28:29], s[26:27]
	s_cbranch_execz .LBB215_1351
.LBB215_1350:
	v_lshlrev_b32_e32 v5, 24, v4
	v_and_b32_e32 v4, 0xffff, v4
	v_and_b32_e32 v6, 3, v4
	v_ffbh_u32_e32 v8, v6
	v_min_u32_e32 v8, 32, v8
	v_subrev_u32_e32 v9, 29, v8
	v_bfe_u32 v7, v4, 2, 5
	v_lshlrev_b32_e32 v4, v9, v4
	v_sub_u32_e32 v8, 30, v8
	v_and_b32_e32 v4, 3, v4
	v_cmp_eq_u32_e32 vcc, 0, v7
	v_cndmask_b32_e32 v7, v7, v8, vcc
	v_cndmask_b32_e32 v4, v6, v4, vcc
	v_mov_b32_e32 v6, 0x37800000
	v_lshlrev_b32_e32 v4, 21, v4
	v_and_b32_e32 v5, 0x80000000, v5
	v_lshl_add_u32 v6, v7, 23, v6
	v_or3_b32 v4, v5, v6, v4
	v_cvt_f16_f32_e32 v5, v4
.LBB215_1351:
	s_or_b64 exec, exec, s[28:29]
	s_mov_b64 s[26:27], 0
	s_branch .LBB215_1357
.LBB215_1352:
	s_mov_b64 s[28:29], -1
                                        ; implicit-def: $vgpr5
	s_branch .LBB215_1363
.LBB215_1353:
	s_or_saveexec_b64 s[30:31], s[30:31]
	v_mov_b32_e32 v5, 0x7e00
	s_xor_b64 exec, exec, s[30:31]
	s_cbranch_execz .LBB215_1337
.LBB215_1354:
	v_cmp_ne_u16_e32 vcc, 0, v4
	s_andn2_b64 s[26:27], s[26:27], exec
	s_and_b64 s[34:35], vcc, exec
	s_or_b64 s[26:27], s[26:27], s[34:35]
	v_mov_b32_e32 v5, v4
	s_or_b64 exec, exec, s[30:31]
	s_and_saveexec_b64 s[30:31], s[26:27]
	s_cbranch_execnz .LBB215_1338
	s_branch .LBB215_1339
.LBB215_1355:
	s_mov_b64 s[26:27], -1
                                        ; implicit-def: $vgpr5
	s_branch .LBB215_1360
.LBB215_1356:
	s_mov_b64 s[26:27], -1
                                        ; implicit-def: $vgpr5
.LBB215_1357:
	s_and_b64 vcc, exec, s[26:27]
	s_cbranch_vccz .LBB215_1359
; %bb.1358:
	global_load_ubyte v4, v[0:1], off
	s_mov_b32 s26, 0x7f800000
	s_waitcnt vmcnt(0)
	v_lshlrev_b32_e32 v4, 24, v4
	v_and_b32_e32 v5, 0x7f000000, v4
	v_ffbh_u32_e32 v6, v5
	v_min_u32_e32 v6, 32, v6
	v_sub_u32_e64 v6, v6, 4 clamp
	v_lshlrev_b32_e32 v8, v6, v5
	v_lshlrev_b32_e32 v6, 23, v6
	v_lshrrev_b32_e32 v8, 4, v8
	v_add_u32_e32 v7, 0x1000000, v5
	v_sub_u32_e32 v6, v8, v6
	v_ashrrev_i32_e32 v7, 8, v7
	v_add_u32_e32 v6, 0x3c000000, v6
	v_and_or_b32 v6, v7, s26, v6
	v_cmp_ne_u32_e32 vcc, 0, v5
	v_cndmask_b32_e32 v5, 0, v6, vcc
	s_brev_b32 s26, 1
	v_and_or_b32 v4, v4, s26, v5
	v_cvt_f16_f32_e32 v5, v4
.LBB215_1359:
	s_mov_b64 s[26:27], 0
.LBB215_1360:
	s_andn2_b64 vcc, exec, s[26:27]
	s_cbranch_vccnz .LBB215_1362
; %bb.1361:
	global_load_ubyte v4, v[0:1], off
	s_movk_i32 s26, 0x7f00
	s_brev_b32 s27, 16
	s_waitcnt vmcnt(0)
	v_lshlrev_b16_e32 v5, 8, v4
	v_lshlrev_b32_e32 v4, 25, v4
	v_lshrrev_b32_e32 v6, 4, v4
	v_and_or_b32 v7, v5, s26, 0.5
	v_or_b32_e32 v6, 0x70000000, v6
	v_add_f32_e32 v7, -0.5, v7
	v_mul_f32_e32 v6, 0x7800000, v6
	v_cmp_gt_u32_e32 vcc, s27, v4
	v_bfe_i32 v5, v5, 0, 16
	v_cndmask_b32_e32 v4, v6, v7, vcc
	s_brev_b32 s26, 1
	v_and_or_b32 v4, v5, s26, v4
	v_cvt_f16_f32_e32 v5, v4
.LBB215_1362:
	s_mov_b64 s[28:29], 0
	s_mov_b64 s[26:27], -1
.LBB215_1363:
	s_andn2_b64 vcc, exec, s[28:29]
	s_mov_b64 s[28:29], 0
	s_cbranch_vccnz .LBB215_1374
; %bb.1364:
	s_cmp_gt_i32 s37, 14
	s_cbranch_scc0 .LBB215_1367
; %bb.1365:
	s_cmp_eq_u32 s37, 15
	s_cbranch_scc0 .LBB215_1370
; %bb.1366:
	global_load_ushort v4, v[0:1], off
	s_mov_b64 s[22:23], 0
	s_mov_b64 s[26:27], -1
	s_waitcnt vmcnt(0)
	v_lshlrev_b32_e32 v4, 16, v4
	v_cvt_f16_f32_e32 v5, v4
	s_branch .LBB215_1371
.LBB215_1367:
	s_mov_b64 s[30:31], -1
                                        ; implicit-def: $vgpr5
	s_branch .LBB215_1372
.LBB215_1368:
	s_or_saveexec_b64 s[28:29], s[28:29]
	v_mov_b32_e32 v5, 0x7e00
	s_xor_b64 exec, exec, s[28:29]
	s_cbranch_execz .LBB215_1349
.LBB215_1369:
	v_cmp_ne_u16_e32 vcc, 0, v4
	s_andn2_b64 s[26:27], s[26:27], exec
	s_and_b64 s[30:31], vcc, exec
	s_or_b64 s[26:27], s[26:27], s[30:31]
	v_mov_b32_e32 v5, v4
	s_or_b64 exec, exec, s[28:29]
	s_and_saveexec_b64 s[28:29], s[26:27]
	s_cbranch_execnz .LBB215_1350
	s_branch .LBB215_1351
.LBB215_1370:
	s_mov_b64 s[22:23], -1
                                        ; implicit-def: $vgpr5
.LBB215_1371:
	s_mov_b64 s[30:31], 0
.LBB215_1372:
	s_and_b64 vcc, exec, s[30:31]
	s_cbranch_vccz .LBB215_1374
; %bb.1373:
	s_cmp_lg_u32 s37, 11
	s_cselect_b64 s[30:31], -1, 0
	s_andn2_b64 s[22:23], s[22:23], exec
	s_and_b64 s[30:31], s[30:31], exec
	s_mov_b64 s[28:29], -1
	s_or_b64 s[22:23], s[22:23], s[30:31]
.LBB215_1374:
	s_mov_b64 s[30:31], 0
.LBB215_1375:
	s_andn2_b64 s[20:21], s[20:21], exec
	s_and_b64 s[22:23], s[22:23], exec
	s_and_b64 s[26:27], s[26:27], exec
	;; [unrolled: 1-line block ×4, first 2 shown]
	s_or_b64 s[20:21], s[20:21], s[22:23]
	s_or_b64 exec, exec, s[0:1]
	s_and_saveexec_b64 s[0:1], s[20:21]
	s_cbranch_execz .LBB215_1304
.LBB215_1376:
	s_or_b64 s[24:25], s[24:25], exec
	s_andn2_b64 s[28:29], s[28:29], exec
	s_trap 2
	s_or_b64 exec, exec, s[0:1]
	s_and_saveexec_b64 s[0:1], s[28:29]
	s_xor_b64 s[0:1], exec, s[0:1]
	s_cbranch_execnz .LBB215_1305
.LBB215_1377:
	s_or_b64 exec, exec, s[0:1]
	s_and_saveexec_b64 s[0:1], s[34:35]
	s_cbranch_execz .LBB215_1423
.LBB215_1378:
	s_sext_i32_i16 s20, s36
	s_cmp_lt_i32 s20, 5
	s_cbranch_scc1 .LBB215_1383
; %bb.1379:
	s_cmp_lt_i32 s20, 8
	s_cbranch_scc1 .LBB215_1384
; %bb.1380:
	;; [unrolled: 3-line block ×3, first 2 shown]
	s_cmp_gt_i32 s20, 9
	s_cbranch_scc0 .LBB215_1386
; %bb.1382:
	global_load_dwordx2 v[4:5], v[0:1], off
	s_movk_i32 s20, 0x1ff
	s_movk_i32 s21, 0xffe
	v_mov_b32_e32 v6, 0x7c00
	v_mov_b32_e32 v7, 0x7e00
	s_movk_i32 s22, 0x40f
	s_mov_b32 s23, 0x8000
	s_waitcnt vmcnt(0)
	v_and_or_b32 v4, v5, s20, v4
	v_cmp_ne_u32_e32 vcc, 0, v4
	v_lshrrev_b32_e32 v8, 8, v5
	v_bfe_u32 v9, v5, 20, 11
	v_cndmask_b32_e64 v4, 0, 1, vcc
	v_sub_u32_e32 v10, 0x3f1, v9
	v_and_or_b32 v4, v8, s21, v4
	v_add_u32_e32 v9, 0xfffffc10, v9
	v_med3_i32 v8, v10, 0, 13
	v_or_b32_e32 v10, 0x1000, v4
	v_cmp_ne_u32_e32 vcc, 0, v4
	v_lshl_or_b32 v11, v9, 12, v4
	v_cndmask_b32_e32 v4, v6, v7, vcc
	v_lshrrev_b32_e32 v7, v8, v10
	v_lshlrev_b32_e32 v8, v8, v7
	v_cmp_ne_u32_e32 vcc, v8, v10
	v_cndmask_b32_e64 v8, 0, 1, vcc
	v_or_b32_e32 v7, v7, v8
	v_cmp_gt_i32_e32 vcc, 1, v9
	v_cndmask_b32_e32 v7, v11, v7, vcc
	v_and_b32_e32 v8, 7, v7
	v_cmp_lt_i32_e32 vcc, 5, v8
	v_cndmask_b32_e64 v10, 0, 1, vcc
	v_cmp_eq_u32_e32 vcc, 3, v8
	v_cndmask_b32_e64 v8, 0, 1, vcc
	v_lshrrev_b32_e32 v7, 2, v7
	v_or_b32_e32 v8, v8, v10
	v_add_u32_e32 v7, v7, v8
	v_cmp_gt_i32_e32 vcc, 31, v9
	v_cndmask_b32_e32 v6, v6, v7, vcc
	v_cmp_eq_u32_e32 vcc, s22, v9
	v_lshrrev_b32_e32 v5, 16, v5
	v_cndmask_b32_e32 v4, v6, v4, vcc
	v_and_or_b32 v5, v5, s23, v4
	s_mov_b64 s[20:21], 0
	s_branch .LBB215_1387
.LBB215_1383:
                                        ; implicit-def: $vgpr5
	s_branch .LBB215_1404
.LBB215_1384:
                                        ; implicit-def: $vgpr5
	s_branch .LBB215_1393
.LBB215_1385:
	s_mov_b64 s[20:21], -1
                                        ; implicit-def: $vgpr5
	s_branch .LBB215_1390
.LBB215_1386:
	s_mov_b64 s[20:21], -1
                                        ; implicit-def: $vgpr5
.LBB215_1387:
	s_andn2_b64 vcc, exec, s[20:21]
	s_cbranch_vccnz .LBB215_1389
; %bb.1388:
	global_load_dword v4, v[0:1], off
	s_waitcnt vmcnt(0)
	v_cvt_f16_f32_e32 v5, v4
.LBB215_1389:
	s_mov_b64 s[20:21], 0
.LBB215_1390:
	s_andn2_b64 vcc, exec, s[20:21]
	s_cbranch_vccnz .LBB215_1392
; %bb.1391:
	global_load_dword v5, v[0:1], off
.LBB215_1392:
	s_cbranch_execnz .LBB215_1403
.LBB215_1393:
	s_sext_i32_i16 s20, s36
	s_cmp_lt_i32 s20, 6
	s_cbranch_scc1 .LBB215_1396
; %bb.1394:
	s_cmp_gt_i32 s20, 6
	s_cbranch_scc0 .LBB215_1397
; %bb.1395:
	global_load_dwordx2 v[4:5], v[0:1], off
	s_movk_i32 s20, 0x1ff
	s_movk_i32 s21, 0xffe
	v_mov_b32_e32 v6, 0x7c00
	v_mov_b32_e32 v7, 0x7e00
	s_movk_i32 s22, 0x40f
	s_mov_b32 s23, 0x8000
	s_waitcnt vmcnt(0)
	v_and_or_b32 v4, v5, s20, v4
	v_cmp_ne_u32_e32 vcc, 0, v4
	v_lshrrev_b32_e32 v8, 8, v5
	v_bfe_u32 v9, v5, 20, 11
	v_cndmask_b32_e64 v4, 0, 1, vcc
	v_sub_u32_e32 v10, 0x3f1, v9
	v_and_or_b32 v4, v8, s21, v4
	v_add_u32_e32 v9, 0xfffffc10, v9
	v_med3_i32 v8, v10, 0, 13
	v_or_b32_e32 v10, 0x1000, v4
	v_cmp_ne_u32_e32 vcc, 0, v4
	v_lshl_or_b32 v11, v9, 12, v4
	v_cndmask_b32_e32 v4, v6, v7, vcc
	v_lshrrev_b32_e32 v7, v8, v10
	v_lshlrev_b32_e32 v8, v8, v7
	v_cmp_ne_u32_e32 vcc, v8, v10
	v_cndmask_b32_e64 v8, 0, 1, vcc
	v_or_b32_e32 v7, v7, v8
	v_cmp_gt_i32_e32 vcc, 1, v9
	v_cndmask_b32_e32 v7, v11, v7, vcc
	v_and_b32_e32 v8, 7, v7
	v_cmp_lt_i32_e32 vcc, 5, v8
	v_cndmask_b32_e64 v10, 0, 1, vcc
	v_cmp_eq_u32_e32 vcc, 3, v8
	v_cndmask_b32_e64 v8, 0, 1, vcc
	v_lshrrev_b32_e32 v7, 2, v7
	v_or_b32_e32 v8, v8, v10
	v_add_u32_e32 v7, v7, v8
	v_cmp_gt_i32_e32 vcc, 31, v9
	v_cndmask_b32_e32 v6, v6, v7, vcc
	v_cmp_eq_u32_e32 vcc, s22, v9
	v_lshrrev_b32_e32 v5, 16, v5
	v_cndmask_b32_e32 v4, v6, v4, vcc
	v_and_or_b32 v5, v5, s23, v4
	s_mov_b64 s[20:21], 0
	s_branch .LBB215_1398
.LBB215_1396:
	s_mov_b64 s[20:21], -1
                                        ; implicit-def: $vgpr5
	s_branch .LBB215_1401
.LBB215_1397:
	s_mov_b64 s[20:21], -1
                                        ; implicit-def: $vgpr5
.LBB215_1398:
	s_andn2_b64 vcc, exec, s[20:21]
	s_cbranch_vccnz .LBB215_1400
; %bb.1399:
	global_load_dword v4, v[0:1], off
	s_waitcnt vmcnt(0)
	v_cvt_f16_f32_e32 v5, v4
.LBB215_1400:
	s_mov_b64 s[20:21], 0
.LBB215_1401:
	s_andn2_b64 vcc, exec, s[20:21]
	s_cbranch_vccnz .LBB215_1403
; %bb.1402:
	global_load_ushort v5, v[0:1], off
.LBB215_1403:
	s_cbranch_execnz .LBB215_1422
.LBB215_1404:
	s_sext_i32_i16 s20, s36
	s_cmp_lt_i32 s20, 2
	s_cbranch_scc1 .LBB215_1408
; %bb.1405:
	s_cmp_lt_i32 s20, 3
	s_cbranch_scc1 .LBB215_1409
; %bb.1406:
	s_cmp_gt_i32 s20, 3
	s_cbranch_scc0 .LBB215_1410
; %bb.1407:
	global_load_dwordx2 v[4:5], v[0:1], off
	s_mov_b64 s[20:21], 0
	s_waitcnt vmcnt(0)
	v_xor_b32_e32 v7, v4, v5
	v_ffbh_i32_e32 v6, v5
	v_ashrrev_i32_e32 v7, 31, v7
	v_add_u32_e32 v6, -1, v6
	v_add_u32_e32 v7, 32, v7
	v_min_u32_e32 v6, v6, v7
	v_lshlrev_b64 v[4:5], v6, v[4:5]
	v_min_u32_e32 v4, 1, v4
	v_or_b32_e32 v4, v5, v4
	v_cvt_f32_i32_e32 v4, v4
	v_sub_u32_e32 v5, 32, v6
	v_ldexp_f32 v4, v4, v5
	v_cvt_f16_f32_e32 v5, v4
	s_branch .LBB215_1411
.LBB215_1408:
                                        ; implicit-def: $vgpr5
	s_branch .LBB215_1417
.LBB215_1409:
	s_mov_b64 s[20:21], -1
                                        ; implicit-def: $vgpr5
	s_branch .LBB215_1414
.LBB215_1410:
	s_mov_b64 s[20:21], -1
                                        ; implicit-def: $vgpr5
.LBB215_1411:
	s_andn2_b64 vcc, exec, s[20:21]
	s_cbranch_vccnz .LBB215_1413
; %bb.1412:
	global_load_dword v4, v[0:1], off
	s_waitcnt vmcnt(0)
	v_cvt_f32_i32_e32 v4, v4
	v_cvt_f16_f32_e32 v5, v4
.LBB215_1413:
	s_mov_b64 s[20:21], 0
.LBB215_1414:
	s_andn2_b64 vcc, exec, s[20:21]
	s_cbranch_vccnz .LBB215_1416
; %bb.1415:
	global_load_ushort v4, v[0:1], off
	s_waitcnt vmcnt(0)
	v_cvt_f16_i16_e32 v5, v4
.LBB215_1416:
	s_cbranch_execnz .LBB215_1422
.LBB215_1417:
	s_sext_i32_i16 s20, s36
	s_cmp_gt_i32 s20, 0
	s_cbranch_scc0 .LBB215_1419
; %bb.1418:
	global_load_sbyte v4, v[0:1], off
	s_mov_b64 s[20:21], 0
	s_waitcnt vmcnt(0)
	v_cvt_f16_i16_e32 v5, v4
	s_branch .LBB215_1420
.LBB215_1419:
	s_mov_b64 s[20:21], -1
                                        ; implicit-def: $vgpr5
.LBB215_1420:
	s_andn2_b64 vcc, exec, s[20:21]
	s_cbranch_vccnz .LBB215_1422
; %bb.1421:
	global_load_ubyte v0, v[0:1], off
	s_waitcnt vmcnt(0)
	v_cvt_f16_u16_e32 v5, v0
.LBB215_1422:
	s_or_b64 s[26:27], s[26:27], exec
.LBB215_1423:
	s_or_b64 exec, exec, s[0:1]
	s_mov_b64 s[28:29], 0
	s_mov_b64 s[22:23], 0
                                        ; implicit-def: $sgpr34
                                        ; implicit-def: $vgpr0_vgpr1
                                        ; implicit-def: $vgpr4
	s_and_saveexec_b64 s[20:21], s[26:27]
	s_cbranch_execz .LBB215_1441
; %bb.1424:
	v_mul_lo_u32 v0, v2, s12
	v_mov_b32_e32 v1, s33
	s_waitcnt vmcnt(0)
	v_cmp_ge_f16_e32 vcc, s2, v3
	v_cndmask_b32_e32 v4, v5, v1, vcc
	v_ashrrev_i32_e32 v1, 31, v0
	v_mov_b32_e32 v2, s9
	s_and_b32 s34, s3, 0xff
	v_add_co_u32_e32 v0, vcc, s8, v0
	s_cmp_lt_i32 s34, 11
	v_addc_co_u32_e32 v1, vcc, v2, v1, vcc
	s_cbranch_scc1 .LBB215_1444
; %bb.1425:
	s_and_b32 s35, 0xffff, s34
	s_mov_b64 s[26:27], -1
	s_cmp_gt_i32 s35, 25
	s_mov_b64 s[0:1], s[18:19]
	s_cbranch_scc0 .LBB215_1462
; %bb.1426:
	s_mov_b64 s[22:23], -1
	s_cmp_gt_i32 s35, 28
	s_mov_b64 s[0:1], s[18:19]
	s_cbranch_scc0 .LBB215_1446
; %bb.1427:
	s_cmp_gt_i32 s35, 43
	s_mov_b64 s[0:1], s[18:19]
	s_cbranch_scc0 .LBB215_1438
; %bb.1428:
	;; [unrolled: 4-line block ×3, first 2 shown]
	s_cmp_eq_u32 s35, 46
	s_mov_b64 s[0:1], -1
	s_cbranch_scc0 .LBB215_1431
; %bb.1430:
	v_cvt_f32_f16_e32 v2, v4
	s_movk_i32 s0, 0x7fff
	v_cmp_o_f16_e32 vcc, v4, v4
	v_mov_b32_e32 v3, 0x7fc0
	v_bfe_u32 v5, v2, 16, 1
	v_add3_u32 v2, v2, v5, s0
	v_cndmask_b32_sdwa v2, v3, v2, vcc dst_sel:DWORD dst_unused:UNUSED_PAD src0_sel:DWORD src1_sel:WORD_1
	global_store_dword v[0:1], v2, off
	s_mov_b64 s[0:1], 0
.LBB215_1431:
	s_mov_b64 s[22:23], 0
.LBB215_1432:
	s_and_b64 vcc, exec, s[22:23]
	s_cbranch_vccz .LBB215_1437
; %bb.1433:
	s_cmp_eq_u32 s35, 44
	s_mov_b64 s[0:1], -1
	s_cbranch_scc0 .LBB215_1437
; %bb.1434:
	v_cvt_f32_f16_e32 v2, v4
	s_movk_i32 s0, 0xff
	v_mov_b32_e32 v5, 0xff
	v_bfe_u32 v3, v2, 23, 8
	v_cmp_ne_u32_e32 vcc, s0, v3
	s_and_saveexec_b64 s[22:23], vcc
; %bb.1435:
	s_mov_b32 s0, 0x3fffff
	v_lshrrev_b32_e32 v5, 23, v2
	v_and_b32_e32 v6, 0x400000, v2
	v_and_or_b32 v2, v2, s0, v3
	v_cmp_ne_u32_e32 vcc, 0, v6
	v_cmp_ne_u32_e64 s[0:1], 0, v2
	s_and_b64 s[0:1], vcc, s[0:1]
	v_cndmask_b32_e64 v2, 0, 1, s[0:1]
	v_add_u32_e32 v5, v5, v2
; %bb.1436:
	s_or_b64 exec, exec, s[22:23]
	s_mov_b64 s[0:1], 0
	global_store_byte v[0:1], v5, off
.LBB215_1437:
	s_mov_b64 s[22:23], 0
.LBB215_1438:
	s_and_b64 vcc, exec, s[22:23]
	s_cbranch_vccz .LBB215_1445
; %bb.1439:
	s_cmp_eq_u32 s35, 29
	s_mov_b64 s[0:1], -1
	s_cbranch_scc0 .LBB215_1445
; %bb.1440:
	v_cvt_f32_f16_e32 v2, v4
	v_mov_b32_e32 v3, 0
	s_mov_b64 s[0:1], 0
	s_mov_b64 s[22:23], 0
	v_cvt_u32_f32_e32 v2, v2
	global_store_dwordx2 v[0:1], v[2:3], off
	s_branch .LBB215_1446
.LBB215_1441:
	s_or_b64 exec, exec, s[20:21]
	s_and_saveexec_b64 s[0:1], s[18:19]
	s_cbranch_execnz .LBB215_1504
.LBB215_1442:
	s_or_b64 exec, exec, s[0:1]
	s_and_saveexec_b64 s[0:1], s[28:29]
	s_xor_b64 s[0:1], exec, s[0:1]
	s_cbranch_execz .LBB215_1505
.LBB215_1443:
	s_waitcnt vmcnt(0)
	v_and_b32_e32 v2, 0x7fff, v4
	v_cmp_ne_u16_e32 vcc, 0, v2
	v_cndmask_b32_e64 v2, 0, 1, vcc
	global_store_byte v[0:1], v2, off
	s_or_b64 exec, exec, s[0:1]
	s_and_saveexec_b64 s[0:1], s[22:23]
	s_xor_b64 s[0:1], exec, s[0:1]
	s_cbranch_execz .LBB215_1543
	s_branch .LBB215_1506
.LBB215_1444:
	s_mov_b64 s[26:27], 0
	s_mov_b64 s[22:23], -1
	s_mov_b64 s[0:1], s[18:19]
	s_branch .LBB215_1503
.LBB215_1445:
	s_mov_b64 s[22:23], 0
.LBB215_1446:
	s_and_b64 vcc, exec, s[22:23]
	s_cbranch_vccz .LBB215_1461
; %bb.1447:
	s_cmp_lt_i32 s35, 27
	s_mov_b64 s[22:23], -1
	s_cbranch_scc1 .LBB215_1453
; %bb.1448:
	s_cmp_gt_i32 s35, 27
	s_cbranch_scc0 .LBB215_1450
; %bb.1449:
	v_cvt_f32_f16_e32 v2, v4
	s_mov_b64 s[22:23], 0
	v_cvt_u32_f32_e32 v2, v2
	global_store_dword v[0:1], v2, off
.LBB215_1450:
	s_andn2_b64 vcc, exec, s[22:23]
	s_cbranch_vccnz .LBB215_1452
; %bb.1451:
	v_cvt_u16_f16_e32 v2, v4
	global_store_short v[0:1], v2, off
.LBB215_1452:
	s_mov_b64 s[22:23], 0
.LBB215_1453:
	s_andn2_b64 vcc, exec, s[22:23]
	s_cbranch_vccnz .LBB215_1461
; %bb.1454:
	v_cvt_f32_f16_e32 v2, v4
	s_mov_b32 s22, 0x43800000
	v_mov_b32_e32 v5, 0x80
	v_and_b32_e32 v3, 0x7fffffff, v2
	v_cmp_gt_u32_e32 vcc, s22, v3
	s_and_saveexec_b64 s[22:23], vcc
	s_cbranch_execz .LBB215_1460
; %bb.1455:
	s_mov_b32 s26, 0x3bffffff
	v_cmp_lt_u32_e32 vcc, s26, v3
	s_mov_b64 s[26:27], 0
                                        ; implicit-def: $vgpr3
	s_and_saveexec_b64 s[28:29], vcc
	s_xor_b64 s[28:29], exec, s[28:29]
	s_cbranch_execz .LBB215_1558
; %bb.1456:
	v_bfe_u32 v3, v2, 20, 1
	s_mov_b32 s30, 0x487ffff
	v_add3_u32 v3, v2, v3, s30
	s_mov_b64 s[26:27], exec
	v_lshrrev_b32_e32 v3, 20, v3
	s_andn2_saveexec_b64 s[28:29], s[28:29]
	s_cbranch_execnz .LBB215_1559
.LBB215_1457:
	s_or_b64 exec, exec, s[28:29]
	v_mov_b32_e32 v5, 0
	s_and_saveexec_b64 s[28:29], s[26:27]
.LBB215_1458:
	v_lshrrev_b32_e32 v2, 24, v2
	s_movk_i32 s26, 0x80
	v_and_or_b32 v5, v2, s26, v3
.LBB215_1459:
	s_or_b64 exec, exec, s[28:29]
.LBB215_1460:
	s_or_b64 exec, exec, s[22:23]
	global_store_byte v[0:1], v5, off
.LBB215_1461:
	s_mov_b64 s[26:27], 0
.LBB215_1462:
	s_mov_b64 s[22:23], 0
	s_and_b64 vcc, exec, s[26:27]
	s_cbranch_vccz .LBB215_1502
; %bb.1463:
	s_cmp_gt_i32 s35, 22
	s_mov_b64 s[26:27], -1
	s_cbranch_scc0 .LBB215_1495
; %bb.1464:
	s_cmp_lt_i32 s35, 24
	s_cbranch_scc1 .LBB215_1484
; %bb.1465:
	s_cmp_gt_i32 s35, 24
	s_cbranch_scc0 .LBB215_1473
; %bb.1466:
	v_cvt_f32_f16_e32 v2, v4
	s_mov_b32 s26, 0x47800000
	v_mov_b32_e32 v5, 0x80
	v_and_b32_e32 v3, 0x7fffffff, v2
	v_cmp_gt_u32_e32 vcc, s26, v3
	s_and_saveexec_b64 s[26:27], vcc
	s_cbranch_execz .LBB215_1472
; %bb.1467:
	s_mov_b32 s28, 0x37ffffff
	v_cmp_lt_u32_e32 vcc, s28, v3
	s_mov_b64 s[28:29], 0
                                        ; implicit-def: $vgpr3
	s_and_saveexec_b64 s[30:31], vcc
	s_xor_b64 s[30:31], exec, s[30:31]
	s_cbranch_execz .LBB215_1683
; %bb.1468:
	v_bfe_u32 v3, v2, 21, 1
	s_mov_b32 s36, 0x88fffff
	v_add3_u32 v3, v2, v3, s36
	s_mov_b64 s[28:29], exec
	v_lshrrev_b32_e32 v3, 21, v3
	s_andn2_saveexec_b64 s[30:31], s[30:31]
	s_cbranch_execnz .LBB215_1684
.LBB215_1469:
	s_or_b64 exec, exec, s[30:31]
	v_mov_b32_e32 v5, 0
	s_and_saveexec_b64 s[30:31], s[28:29]
.LBB215_1470:
	v_lshrrev_b32_e32 v2, 24, v2
	s_movk_i32 s28, 0x80
	v_and_or_b32 v5, v2, s28, v3
.LBB215_1471:
	s_or_b64 exec, exec, s[30:31]
.LBB215_1472:
	s_or_b64 exec, exec, s[26:27]
	s_mov_b64 s[26:27], 0
	global_store_byte v[0:1], v5, off
.LBB215_1473:
	s_and_b64 vcc, exec, s[26:27]
	s_cbranch_vccz .LBB215_1483
; %bb.1474:
	v_cvt_f32_f16_e32 v2, v4
	s_mov_b32 s26, 0x43f00000
                                        ; implicit-def: $vgpr3
	v_and_b32_e32 v5, 0x7fffffff, v2
	v_cmp_gt_u32_e32 vcc, s26, v5
	s_and_saveexec_b64 s[26:27], vcc
	s_xor_b64 s[26:27], exec, s[26:27]
	s_cbranch_execz .LBB215_1480
; %bb.1475:
	s_mov_b32 s28, 0x3c7fffff
	v_cmp_lt_u32_e32 vcc, s28, v5
                                        ; implicit-def: $vgpr3
	s_and_saveexec_b64 s[28:29], vcc
	s_xor_b64 s[28:29], exec, s[28:29]
; %bb.1476:
	v_bfe_u32 v3, v2, 20, 1
	s_mov_b32 s30, 0x407ffff
	v_add3_u32 v3, v2, v3, s30
	v_lshrrev_b32_e32 v5, 20, v3
	v_and_b32_e32 v3, 0xff00000, v3
	s_mov_b32 s30, 0x7f00000
	v_mov_b32_e32 v6, 0x7e
	v_cmp_ne_u32_e32 vcc, s30, v3
	v_cndmask_b32_e32 v3, v6, v5, vcc
; %bb.1477:
	s_andn2_saveexec_b64 s[28:29], s[28:29]
; %bb.1478:
	s_mov_b32 s30, 0x46800000
	v_add_f32_e64 v3, |v2|, s30
; %bb.1479:
	s_or_b64 exec, exec, s[28:29]
                                        ; implicit-def: $vgpr5
.LBB215_1480:
	s_andn2_saveexec_b64 s[26:27], s[26:27]
; %bb.1481:
	s_mov_b32 s28, 0x7f800000
	v_mov_b32_e32 v3, 0x7e
	v_mov_b32_e32 v6, 0x7f
	v_cmp_lt_u32_e32 vcc, s28, v5
	v_cndmask_b32_e32 v3, v3, v6, vcc
; %bb.1482:
	s_or_b64 exec, exec, s[26:27]
	v_lshrrev_b32_e32 v2, 24, v2
	s_movk_i32 s26, 0x80
	v_and_or_b32 v2, v2, s26, v3
	global_store_byte v[0:1], v2, off
.LBB215_1483:
	s_mov_b64 s[26:27], 0
.LBB215_1484:
	s_andn2_b64 vcc, exec, s[26:27]
	s_cbranch_vccnz .LBB215_1494
; %bb.1485:
	v_cvt_f32_f16_e32 v2, v4
	s_mov_b32 s26, 0x47800000
                                        ; implicit-def: $vgpr3
	v_and_b32_e32 v5, 0x7fffffff, v2
	v_cmp_gt_u32_e32 vcc, s26, v5
	s_and_saveexec_b64 s[26:27], vcc
	s_xor_b64 s[26:27], exec, s[26:27]
	s_cbranch_execz .LBB215_1491
; %bb.1486:
	s_mov_b32 s28, 0x387fffff
	v_cmp_lt_u32_e32 vcc, s28, v5
                                        ; implicit-def: $vgpr3
	s_and_saveexec_b64 s[28:29], vcc
	s_xor_b64 s[28:29], exec, s[28:29]
; %bb.1487:
	v_bfe_u32 v3, v2, 21, 1
	s_mov_b32 s30, 0x80fffff
	v_add3_u32 v3, v2, v3, s30
	v_lshrrev_b32_e32 v3, 21, v3
; %bb.1488:
	s_andn2_saveexec_b64 s[28:29], s[28:29]
; %bb.1489:
	s_mov_b32 s30, 0x43000000
	v_add_f32_e64 v3, |v2|, s30
; %bb.1490:
	s_or_b64 exec, exec, s[28:29]
                                        ; implicit-def: $vgpr5
.LBB215_1491:
	s_andn2_saveexec_b64 s[26:27], s[26:27]
; %bb.1492:
	s_mov_b32 s28, 0x7f800000
	v_mov_b32_e32 v3, 0x7c
	v_mov_b32_e32 v6, 0x7f
	v_cmp_lt_u32_e32 vcc, s28, v5
	v_cndmask_b32_e32 v3, v3, v6, vcc
; %bb.1493:
	s_or_b64 exec, exec, s[26:27]
	v_lshrrev_b32_e32 v2, 24, v2
	s_movk_i32 s26, 0x80
	v_and_or_b32 v2, v2, s26, v3
	global_store_byte v[0:1], v2, off
.LBB215_1494:
	s_mov_b64 s[26:27], 0
.LBB215_1495:
	s_andn2_b64 vcc, exec, s[26:27]
	s_mov_b64 s[26:27], 0
	s_cbranch_vccnz .LBB215_1503
; %bb.1496:
	s_cmp_gt_i32 s35, 14
	s_mov_b64 s[28:29], -1
	s_cbranch_scc0 .LBB215_1500
; %bb.1497:
	s_cmp_eq_u32 s35, 15
	s_mov_b64 s[0:1], -1
	s_cbranch_scc0 .LBB215_1499
; %bb.1498:
	v_cvt_f32_f16_e32 v2, v4
	s_movk_i32 s0, 0x7fff
	v_cmp_o_f16_e32 vcc, v4, v4
	v_mov_b32_e32 v3, 0x7fc0
	v_bfe_u32 v5, v2, 16, 1
	v_add3_u32 v2, v2, v5, s0
	v_cndmask_b32_sdwa v2, v3, v2, vcc dst_sel:DWORD dst_unused:UNUSED_PAD src0_sel:DWORD src1_sel:WORD_1
	global_store_short v[0:1], v2, off
	s_mov_b64 s[0:1], 0
.LBB215_1499:
	s_mov_b64 s[28:29], 0
.LBB215_1500:
	s_and_b64 vcc, exec, s[28:29]
	s_cbranch_vccz .LBB215_1503
; %bb.1501:
	s_cmp_lg_u32 s35, 11
	s_cselect_b64 s[28:29], -1, 0
	s_andn2_b64 s[0:1], s[0:1], exec
	s_and_b64 s[28:29], s[28:29], exec
	s_mov_b64 s[26:27], -1
	s_or_b64 s[0:1], s[0:1], s[28:29]
	s_branch .LBB215_1503
.LBB215_1502:
	s_mov_b64 s[26:27], 0
.LBB215_1503:
	s_andn2_b64 s[18:19], s[18:19], exec
	s_and_b64 s[0:1], s[0:1], exec
	s_and_b64 s[22:23], s[22:23], exec
	;; [unrolled: 1-line block ×3, first 2 shown]
	s_or_b64 s[18:19], s[18:19], s[0:1]
	s_or_b64 exec, exec, s[20:21]
	s_and_saveexec_b64 s[0:1], s[18:19]
	s_cbranch_execz .LBB215_1442
.LBB215_1504:
	s_or_b64 s[24:25], s[24:25], exec
	s_andn2_b64 s[28:29], s[28:29], exec
	s_trap 2
	s_or_b64 exec, exec, s[0:1]
	s_and_saveexec_b64 s[0:1], s[28:29]
	s_xor_b64 s[0:1], exec, s[0:1]
	s_cbranch_execnz .LBB215_1443
.LBB215_1505:
	s_or_b64 exec, exec, s[0:1]
	s_and_saveexec_b64 s[0:1], s[22:23]
	s_xor_b64 s[0:1], exec, s[0:1]
	s_cbranch_execz .LBB215_1543
.LBB215_1506:
	s_sext_i32_i16 s20, s34
	s_cmp_lt_i32 s20, 5
	s_mov_b64 s[18:19], -1
	s_cbranch_scc1 .LBB215_1527
; %bb.1507:
	s_cmp_lt_i32 s20, 8
	s_cbranch_scc1 .LBB215_1517
; %bb.1508:
	s_cmp_lt_i32 s20, 9
	s_cbranch_scc1 .LBB215_1514
; %bb.1509:
	s_cmp_gt_i32 s20, 9
	s_cbranch_scc0 .LBB215_1511
; %bb.1510:
	s_waitcnt vmcnt(0)
	v_cvt_f32_f16_e32 v2, v4
	v_mov_b32_e32 v7, 0
	v_mov_b32_e32 v8, v7
	s_mov_b64 s[18:19], 0
	v_cvt_f64_f32_e32 v[5:6], v2
	global_store_dwordx4 v[0:1], v[5:8], off
.LBB215_1511:
	s_andn2_b64 vcc, exec, s[18:19]
	s_cbranch_vccnz .LBB215_1513
; %bb.1512:
	s_waitcnt vmcnt(0)
	v_cvt_f32_f16_e32 v2, v4
	v_mov_b32_e32 v3, 0
	global_store_dwordx2 v[0:1], v[2:3], off
.LBB215_1513:
	s_mov_b64 s[18:19], 0
.LBB215_1514:
	s_andn2_b64 vcc, exec, s[18:19]
	s_cbranch_vccnz .LBB215_1516
; %bb.1515:
	s_waitcnt vmcnt(0)
	v_and_b32_e32 v2, 0xffff, v4
	global_store_dword v[0:1], v2, off
.LBB215_1516:
	s_mov_b64 s[18:19], 0
.LBB215_1517:
	s_andn2_b64 vcc, exec, s[18:19]
	s_cbranch_vccnz .LBB215_1526
; %bb.1518:
	s_sext_i32_i16 s20, s34
	s_cmp_lt_i32 s20, 6
	s_mov_b64 s[18:19], -1
	s_cbranch_scc1 .LBB215_1524
; %bb.1519:
	s_cmp_gt_i32 s20, 6
	s_cbranch_scc0 .LBB215_1521
; %bb.1520:
	s_waitcnt vmcnt(0)
	v_cvt_f32_f16_e32 v2, v4
	s_mov_b64 s[18:19], 0
	v_cvt_f64_f32_e32 v[2:3], v2
	global_store_dwordx2 v[0:1], v[2:3], off
.LBB215_1521:
	s_andn2_b64 vcc, exec, s[18:19]
	s_cbranch_vccnz .LBB215_1523
; %bb.1522:
	s_waitcnt vmcnt(0)
	v_cvt_f32_f16_e32 v2, v4
	global_store_dword v[0:1], v2, off
.LBB215_1523:
	s_mov_b64 s[18:19], 0
.LBB215_1524:
	s_andn2_b64 vcc, exec, s[18:19]
	s_cbranch_vccnz .LBB215_1526
; %bb.1525:
	s_waitcnt vmcnt(0)
	global_store_short v[0:1], v4, off
.LBB215_1526:
	s_mov_b64 s[18:19], 0
.LBB215_1527:
	s_andn2_b64 vcc, exec, s[18:19]
	s_cbranch_vccnz .LBB215_1543
; %bb.1528:
	s_sext_i32_i16 s20, s34
	s_cmp_lt_i32 s20, 2
	s_mov_b64 s[18:19], -1
	s_cbranch_scc1 .LBB215_1538
; %bb.1529:
	s_cmp_lt_i32 s20, 3
	s_cbranch_scc1 .LBB215_1535
; %bb.1530:
	s_cmp_gt_i32 s20, 3
	s_cbranch_scc0 .LBB215_1532
; %bb.1531:
	s_waitcnt vmcnt(0)
	v_cvt_f32_f16_e32 v2, v4
	s_mov_b64 s[18:19], 0
	v_cvt_i32_f32_e32 v2, v2
	v_ashrrev_i32_e32 v3, 31, v2
	global_store_dwordx2 v[0:1], v[2:3], off
.LBB215_1532:
	s_andn2_b64 vcc, exec, s[18:19]
	s_cbranch_vccnz .LBB215_1534
; %bb.1533:
	s_waitcnt vmcnt(0)
	v_cvt_f32_f16_e32 v2, v4
	v_cvt_i32_f32_e32 v2, v2
	global_store_dword v[0:1], v2, off
.LBB215_1534:
	s_mov_b64 s[18:19], 0
.LBB215_1535:
	s_andn2_b64 vcc, exec, s[18:19]
	s_cbranch_vccnz .LBB215_1537
; %bb.1536:
	s_waitcnt vmcnt(0)
	v_cvt_i16_f16_e32 v2, v4
	global_store_short v[0:1], v2, off
.LBB215_1537:
	s_mov_b64 s[18:19], 0
.LBB215_1538:
	s_andn2_b64 vcc, exec, s[18:19]
	s_cbranch_vccnz .LBB215_1543
; %bb.1539:
	s_sext_i32_i16 s18, s34
	s_cmp_gt_i32 s18, 0
	s_mov_b64 s[18:19], -1
	s_cbranch_scc0 .LBB215_1541
; %bb.1540:
	s_waitcnt vmcnt(0)
	v_cvt_i16_f16_e32 v2, v4
	s_mov_b64 s[18:19], 0
	global_store_byte v[0:1], v2, off
.LBB215_1541:
	s_andn2_b64 vcc, exec, s[18:19]
	s_cbranch_vccnz .LBB215_1543
; %bb.1542:
	s_waitcnt vmcnt(0)
	v_cvt_f32_f16_e32 v2, v4
	v_cvt_i32_f32_e32 v2, v2
	global_store_byte v[0:1], v2, off
.LBB215_1543:
	s_or_b64 exec, exec, s[0:1]
	s_and_b64 s[18:19], s[24:25], exec
                                        ; implicit-def: $vgpr2
.LBB215_1544:
	s_or_saveexec_b64 s[6:7], s[6:7]
	s_mov_b64 s[0:1], 0
                                        ; implicit-def: $sgpr22
                                        ; implicit-def: $vgpr0_vgpr1
                                        ; implicit-def: $vgpr3
	s_xor_b64 exec, exec, s[6:7]
	s_cbranch_execz .LBB215_3014
; %bb.1545:
	s_waitcnt vmcnt(0)
	v_mul_lo_u32 v5, s13, v2
	v_mov_b32_e32 v1, s11
	s_and_b32 s28, s56, 0xff
	s_cmp_lt_i32 s28, 11
	v_ashrrev_i32_e32 v3, 31, v5
	v_add_co_u32_e32 v0, vcc, s10, v5
	v_addc_co_u32_e32 v1, vcc, v1, v3, vcc
	s_cbranch_scc1 .LBB215_1552
; %bb.1546:
	s_and_b32 s26, 0xffff, s28
	s_cmp_gt_i32 s26, 25
	s_cbranch_scc0 .LBB215_1554
; %bb.1547:
	s_cmp_gt_i32 s26, 28
	s_cbranch_scc0 .LBB215_1555
; %bb.1548:
	;; [unrolled: 3-line block ×4, first 2 shown]
	s_cmp_eq_u32 s26, 46
	s_mov_b64 s[20:21], 0
	s_cbranch_scc0 .LBB215_1560
; %bb.1551:
	global_load_dword v3, v[0:1], off
	s_mov_b64 s[22:23], -1
	s_waitcnt vmcnt(0)
	v_lshlrev_b32_e32 v3, 16, v3
	v_cvt_f16_f32_e32 v3, v3
	s_branch .LBB215_1561
.LBB215_1552:
	s_mov_b64 s[22:23], 0
                                        ; implicit-def: $vgpr3
	s_mov_b64 s[20:21], s[18:19]
	s_cbranch_execnz .LBB215_1624
.LBB215_1553:
	s_andn2_b64 vcc, exec, s[22:23]
	s_cbranch_vccz .LBB215_1669
	s_branch .LBB215_3012
.LBB215_1554:
	s_mov_b64 s[22:23], 0
                                        ; implicit-def: $vgpr3
	s_cbranch_execnz .LBB215_1589
	s_branch .LBB215_1620
.LBB215_1555:
	s_mov_b64 s[20:21], -1
	s_mov_b64 s[22:23], 0
                                        ; implicit-def: $vgpr3
	s_branch .LBB215_1570
.LBB215_1556:
	s_mov_b64 s[22:23], 0
                                        ; implicit-def: $vgpr3
	s_cbranch_execnz .LBB215_1566
	s_branch .LBB215_1569
.LBB215_1557:
	s_mov_b64 s[20:21], -1
	s_mov_b64 s[22:23], 0
                                        ; implicit-def: $vgpr3
	s_branch .LBB215_1561
.LBB215_1558:
	s_andn2_saveexec_b64 s[28:29], s[28:29]
	s_cbranch_execz .LBB215_1457
.LBB215_1559:
	s_mov_b32 s30, 0x46000000
	v_add_f32_e64 v3, |v2|, s30
	v_and_b32_e32 v3, 0xff, v3
	v_cmp_ne_u32_e32 vcc, 0, v3
	s_andn2_b64 s[26:27], s[26:27], exec
	s_and_b64 s[30:31], vcc, exec
	s_or_b64 s[26:27], s[26:27], s[30:31]
	s_or_b64 exec, exec, s[28:29]
	v_mov_b32_e32 v5, 0
	s_and_saveexec_b64 s[28:29], s[26:27]
	s_cbranch_execnz .LBB215_1458
	s_branch .LBB215_1459
.LBB215_1560:
	s_mov_b64 s[0:1], -1
                                        ; implicit-def: $vgpr3
	s_mov_b64 s[22:23], 0
.LBB215_1561:
	s_and_b64 vcc, exec, s[20:21]
	s_cbranch_vccz .LBB215_1564
; %bb.1562:
	s_cmp_eq_u32 s26, 44
	s_cbranch_scc0 .LBB215_1565
; %bb.1563:
	global_load_ubyte v3, v[0:1], off
	s_movk_i32 s20, 0xff
	v_mov_b32_e32 v6, 0x7e00
	s_mov_b64 s[0:1], 0
	s_mov_b64 s[22:23], -1
	s_waitcnt vmcnt(0)
	v_lshlrev_b32_e32 v4, 23, v3
	v_cvt_f16_f32_e32 v4, v4
	v_cmp_ne_u32_e32 vcc, s20, v3
	v_cndmask_b32_e32 v4, v6, v4, vcc
	v_cmp_ne_u32_e32 vcc, 0, v3
	v_cndmask_b32_e32 v3, 0, v4, vcc
.LBB215_1564:
	s_branch .LBB215_1569
.LBB215_1565:
	s_mov_b64 s[0:1], -1
                                        ; implicit-def: $vgpr3
	s_branch .LBB215_1569
.LBB215_1566:
	s_cmp_eq_u32 s26, 29
	s_cbranch_scc0 .LBB215_1568
; %bb.1567:
	global_load_dwordx2 v[3:4], v[0:1], off
	s_mov_b64 s[0:1], 0
	s_mov_b64 s[22:23], -1
	s_mov_b64 s[20:21], 0
	s_waitcnt vmcnt(0)
	v_ffbh_u32_e32 v6, v4
	v_min_u32_e32 v6, 32, v6
	v_lshlrev_b64 v[3:4], v6, v[3:4]
	v_min_u32_e32 v3, 1, v3
	v_or_b32_e32 v3, v4, v3
	v_cvt_f32_u32_e32 v3, v3
	v_sub_u32_e32 v4, 32, v6
	v_ldexp_f32 v3, v3, v4
	v_cvt_f16_f32_e32 v3, v3
	s_branch .LBB215_1570
.LBB215_1568:
	s_mov_b64 s[0:1], -1
                                        ; implicit-def: $vgpr3
.LBB215_1569:
	s_mov_b64 s[20:21], 0
.LBB215_1570:
	s_and_b64 vcc, exec, s[20:21]
	s_cbranch_vccz .LBB215_1588
; %bb.1571:
	s_cmp_lt_i32 s26, 27
	s_cbranch_scc1 .LBB215_1574
; %bb.1572:
	s_cmp_gt_i32 s26, 27
	s_cbranch_scc0 .LBB215_1575
; %bb.1573:
	global_load_dword v3, v[0:1], off
	s_mov_b64 s[20:21], 0
	s_waitcnt vmcnt(0)
	v_cvt_f32_u32_e32 v3, v3
	v_cvt_f16_f32_e32 v3, v3
	s_branch .LBB215_1576
.LBB215_1574:
	s_mov_b64 s[20:21], -1
                                        ; implicit-def: $vgpr3
	s_branch .LBB215_1579
.LBB215_1575:
	s_mov_b64 s[20:21], -1
                                        ; implicit-def: $vgpr3
.LBB215_1576:
	s_andn2_b64 vcc, exec, s[20:21]
	s_cbranch_vccnz .LBB215_1578
; %bb.1577:
	global_load_ushort v3, v[0:1], off
	s_waitcnt vmcnt(0)
	v_cvt_f16_u16_e32 v3, v3
.LBB215_1578:
	s_mov_b64 s[20:21], 0
.LBB215_1579:
	s_andn2_b64 vcc, exec, s[20:21]
	s_cbranch_vccnz .LBB215_1587
; %bb.1580:
	global_load_ubyte v4, v[0:1], off
	s_movk_i32 s20, 0x7f
	s_waitcnt vmcnt(0)
	v_cmp_lt_i16_e32 vcc, s20, v4
	s_mov_b64 s[20:21], 0
	s_and_saveexec_b64 s[22:23], vcc
	s_xor_b64 s[22:23], exec, s[22:23]
	s_cbranch_execz .LBB215_1600
; %bb.1581:
	s_movk_i32 s20, 0x80
	v_cmp_eq_u16_e32 vcc, s20, v4
	s_mov_b64 s[20:21], -1
	s_and_saveexec_b64 s[24:25], vcc
; %bb.1582:
	s_xor_b64 s[20:21], exec, -1
; %bb.1583:
	s_or_b64 exec, exec, s[24:25]
	s_and_b64 s[20:21], s[20:21], exec
	s_or_saveexec_b64 s[22:23], s[22:23]
	v_mov_b32_e32 v3, 0x7e00
	s_xor_b64 exec, exec, s[22:23]
	s_cbranch_execnz .LBB215_1601
.LBB215_1584:
	s_or_b64 exec, exec, s[22:23]
	s_and_saveexec_b64 s[22:23], s[20:21]
	s_cbranch_execz .LBB215_1586
.LBB215_1585:
	v_lshlrev_b32_e32 v3, 24, v4
	v_and_b32_e32 v4, 0xffff, v4
	v_and_b32_e32 v6, 7, v4
	v_ffbh_u32_e32 v8, v6
	v_min_u32_e32 v8, 32, v8
	v_subrev_u32_e32 v9, 28, v8
	v_bfe_u32 v7, v4, 3, 4
	v_lshlrev_b32_e32 v4, v9, v4
	v_sub_u32_e32 v8, 29, v8
	v_and_b32_e32 v4, 7, v4
	v_cmp_eq_u32_e32 vcc, 0, v7
	v_cndmask_b32_e32 v7, v7, v8, vcc
	v_cndmask_b32_e32 v4, v6, v4, vcc
	v_mov_b32_e32 v6, 0x3b800000
	v_lshlrev_b32_e32 v4, 20, v4
	v_and_b32_e32 v3, 0x80000000, v3
	v_lshl_add_u32 v6, v7, 23, v6
	v_or3_b32 v3, v3, v6, v4
	v_cvt_f16_f32_e32 v3, v3
.LBB215_1586:
	s_or_b64 exec, exec, s[22:23]
.LBB215_1587:
	s_mov_b64 s[22:23], -1
.LBB215_1588:
	s_branch .LBB215_1620
.LBB215_1589:
	s_cmp_gt_i32 s26, 22
	s_cbranch_scc0 .LBB215_1599
; %bb.1590:
	s_cmp_lt_i32 s26, 24
	s_cbranch_scc1 .LBB215_1602
; %bb.1591:
	s_cmp_gt_i32 s26, 24
	s_cbranch_scc0 .LBB215_1603
; %bb.1592:
	global_load_ubyte v4, v[0:1], off
	s_movk_i32 s4, 0x7f
	s_waitcnt vmcnt(0)
	v_cmp_lt_i16_e32 vcc, s4, v4
	s_mov_b64 s[4:5], 0
	s_and_saveexec_b64 s[20:21], vcc
	s_xor_b64 s[20:21], exec, s[20:21]
	s_cbranch_execz .LBB215_1614
; %bb.1593:
	s_movk_i32 s4, 0x80
	v_cmp_eq_u16_e32 vcc, s4, v4
	s_mov_b64 s[4:5], -1
	s_and_saveexec_b64 s[22:23], vcc
; %bb.1594:
	s_xor_b64 s[4:5], exec, -1
; %bb.1595:
	s_or_b64 exec, exec, s[22:23]
	s_and_b64 s[4:5], s[4:5], exec
	s_or_saveexec_b64 s[20:21], s[20:21]
	v_mov_b32_e32 v3, 0x7e00
	s_xor_b64 exec, exec, s[20:21]
	s_cbranch_execnz .LBB215_1615
.LBB215_1596:
	s_or_b64 exec, exec, s[20:21]
	s_and_saveexec_b64 s[20:21], s[4:5]
	s_cbranch_execz .LBB215_1598
.LBB215_1597:
	v_lshlrev_b32_e32 v3, 24, v4
	v_and_b32_e32 v4, 0xffff, v4
	v_and_b32_e32 v6, 3, v4
	v_ffbh_u32_e32 v8, v6
	v_min_u32_e32 v8, 32, v8
	v_subrev_u32_e32 v9, 29, v8
	v_bfe_u32 v7, v4, 2, 5
	v_lshlrev_b32_e32 v4, v9, v4
	v_sub_u32_e32 v8, 30, v8
	v_and_b32_e32 v4, 3, v4
	v_cmp_eq_u32_e32 vcc, 0, v7
	v_cndmask_b32_e32 v7, v7, v8, vcc
	v_cndmask_b32_e32 v4, v6, v4, vcc
	v_mov_b32_e32 v6, 0x37800000
	v_lshlrev_b32_e32 v4, 21, v4
	v_and_b32_e32 v3, 0x80000000, v3
	v_lshl_add_u32 v6, v7, 23, v6
	v_or3_b32 v3, v3, v6, v4
	v_cvt_f16_f32_e32 v3, v3
.LBB215_1598:
	s_or_b64 exec, exec, s[20:21]
	s_mov_b64 s[4:5], 0
	s_branch .LBB215_1604
.LBB215_1599:
                                        ; implicit-def: $vgpr3
	s_mov_b64 s[4:5], 0
	s_branch .LBB215_1610
.LBB215_1600:
	s_or_saveexec_b64 s[22:23], s[22:23]
	v_mov_b32_e32 v3, 0x7e00
	s_xor_b64 exec, exec, s[22:23]
	s_cbranch_execz .LBB215_1584
.LBB215_1601:
	v_cmp_ne_u16_e32 vcc, 0, v4
	s_andn2_b64 s[20:21], s[20:21], exec
	s_and_b64 s[24:25], vcc, exec
	s_or_b64 s[20:21], s[20:21], s[24:25]
	v_mov_b32_e32 v3, v4
	s_or_b64 exec, exec, s[22:23]
	s_and_saveexec_b64 s[22:23], s[20:21]
	s_cbranch_execnz .LBB215_1585
	s_branch .LBB215_1586
.LBB215_1602:
	s_mov_b64 s[4:5], -1
                                        ; implicit-def: $vgpr3
	s_branch .LBB215_1607
.LBB215_1603:
	s_mov_b64 s[4:5], -1
                                        ; implicit-def: $vgpr3
.LBB215_1604:
	s_and_b64 vcc, exec, s[4:5]
	s_cbranch_vccz .LBB215_1606
; %bb.1605:
	global_load_ubyte v3, v[0:1], off
	s_mov_b32 s4, 0x7f800000
	s_waitcnt vmcnt(0)
	v_lshlrev_b32_e32 v3, 24, v3
	v_and_b32_e32 v4, 0x7f000000, v3
	v_ffbh_u32_e32 v6, v4
	v_min_u32_e32 v6, 32, v6
	v_sub_u32_e64 v6, v6, 4 clamp
	v_lshlrev_b32_e32 v8, v6, v4
	v_lshlrev_b32_e32 v6, 23, v6
	v_lshrrev_b32_e32 v8, 4, v8
	v_add_u32_e32 v7, 0x1000000, v4
	v_sub_u32_e32 v6, v8, v6
	v_ashrrev_i32_e32 v7, 8, v7
	v_add_u32_e32 v6, 0x3c000000, v6
	v_and_or_b32 v6, v7, s4, v6
	v_cmp_ne_u32_e32 vcc, 0, v4
	v_cndmask_b32_e32 v4, 0, v6, vcc
	s_brev_b32 s4, 1
	v_and_or_b32 v3, v3, s4, v4
	v_cvt_f16_f32_e32 v3, v3
.LBB215_1606:
	s_mov_b64 s[4:5], 0
.LBB215_1607:
	s_andn2_b64 vcc, exec, s[4:5]
	s_cbranch_vccnz .LBB215_1609
; %bb.1608:
	global_load_ubyte v3, v[0:1], off
	s_movk_i32 s4, 0x7f00
	s_brev_b32 s5, 16
	s_waitcnt vmcnt(0)
	v_lshlrev_b16_e32 v4, 8, v3
	v_lshlrev_b32_e32 v3, 25, v3
	v_lshrrev_b32_e32 v6, 4, v3
	v_and_or_b32 v7, v4, s4, 0.5
	v_or_b32_e32 v6, 0x70000000, v6
	v_add_f32_e32 v7, -0.5, v7
	v_mul_f32_e32 v6, 0x7800000, v6
	v_cmp_gt_u32_e32 vcc, s5, v3
	v_bfe_i32 v4, v4, 0, 16
	v_cndmask_b32_e32 v3, v6, v7, vcc
	s_brev_b32 s4, 1
	v_and_or_b32 v3, v4, s4, v3
	v_cvt_f16_f32_e32 v3, v3
.LBB215_1609:
	s_mov_b64 s[22:23], -1
	s_mov_b64 s[4:5], 0
	s_cbranch_execnz .LBB215_1620
.LBB215_1610:
	s_cmp_gt_i32 s26, 14
	s_cbranch_scc0 .LBB215_1613
; %bb.1611:
	s_cmp_eq_u32 s26, 15
	s_cbranch_scc0 .LBB215_1616
; %bb.1612:
	global_load_ushort v3, v[0:1], off
	s_mov_b64 s[0:1], 0
	s_mov_b64 s[22:23], -1
	s_waitcnt vmcnt(0)
	v_lshlrev_b32_e32 v3, 16, v3
	v_cvt_f16_f32_e32 v3, v3
	s_branch .LBB215_1617
.LBB215_1613:
	s_mov_b64 s[20:21], -1
                                        ; implicit-def: $vgpr3
	s_branch .LBB215_1618
.LBB215_1614:
	s_or_saveexec_b64 s[20:21], s[20:21]
	v_mov_b32_e32 v3, 0x7e00
	s_xor_b64 exec, exec, s[20:21]
	s_cbranch_execz .LBB215_1596
.LBB215_1615:
	v_cmp_ne_u16_e32 vcc, 0, v4
	s_andn2_b64 s[4:5], s[4:5], exec
	s_and_b64 s[22:23], vcc, exec
	s_or_b64 s[4:5], s[4:5], s[22:23]
	v_mov_b32_e32 v3, v4
	s_or_b64 exec, exec, s[20:21]
	s_and_saveexec_b64 s[20:21], s[4:5]
	s_cbranch_execnz .LBB215_1597
	s_branch .LBB215_1598
.LBB215_1616:
	s_mov_b64 s[0:1], -1
                                        ; implicit-def: $vgpr3
.LBB215_1617:
	s_mov_b64 s[20:21], 0
.LBB215_1618:
	s_and_b64 vcc, exec, s[20:21]
	s_cbranch_vccz .LBB215_1620
; %bb.1619:
	s_cmp_lg_u32 s26, 11
	s_mov_b64 s[4:5], -1
	s_cselect_b64 s[0:1], -1, 0
.LBB215_1620:
	s_and_b64 vcc, exec, s[0:1]
	s_mov_b64 s[20:21], s[18:19]
	s_cbranch_vccnz .LBB215_1681
; %bb.1621:
	s_andn2_b64 vcc, exec, s[4:5]
	s_cbranch_vccnz .LBB215_1623
.LBB215_1622:
	global_load_ubyte v3, v[0:1], off
	v_mov_b32_e32 v4, 0x3c00
	s_mov_b64 s[22:23], -1
	s_waitcnt vmcnt(0)
	v_cmp_ne_u16_e32 vcc, 0, v3
	v_cndmask_b32_e32 v3, 0, v4, vcc
.LBB215_1623:
	s_branch .LBB215_1553
.LBB215_1624:
	s_and_b32 s4, 0xffff, s28
	s_cmp_lt_i32 s4, 5
	s_cbranch_scc1 .LBB215_1629
; %bb.1625:
	s_cmp_lt_i32 s4, 8
	s_cbranch_scc1 .LBB215_1630
; %bb.1626:
	;; [unrolled: 3-line block ×3, first 2 shown]
	s_cmp_gt_i32 s4, 9
	s_cbranch_scc0 .LBB215_1632
; %bb.1628:
	global_load_dwordx2 v[3:4], v[0:1], off
	s_movk_i32 s0, 0x1ff
	s_movk_i32 s1, 0xffe
	v_mov_b32_e32 v6, 0x7c00
	v_mov_b32_e32 v7, 0x7e00
	s_movk_i32 s5, 0x40f
	s_mov_b32 s22, 0x8000
	s_waitcnt vmcnt(0)
	v_and_or_b32 v3, v4, s0, v3
	v_cmp_ne_u32_e32 vcc, 0, v3
	v_lshrrev_b32_e32 v8, 8, v4
	v_bfe_u32 v9, v4, 20, 11
	v_cndmask_b32_e64 v3, 0, 1, vcc
	v_sub_u32_e32 v10, 0x3f1, v9
	v_and_or_b32 v3, v8, s1, v3
	v_add_u32_e32 v9, 0xfffffc10, v9
	v_med3_i32 v8, v10, 0, 13
	v_or_b32_e32 v10, 0x1000, v3
	v_cmp_ne_u32_e32 vcc, 0, v3
	v_lshl_or_b32 v11, v9, 12, v3
	v_cndmask_b32_e32 v3, v6, v7, vcc
	v_lshrrev_b32_e32 v7, v8, v10
	v_lshlrev_b32_e32 v8, v8, v7
	v_cmp_ne_u32_e32 vcc, v8, v10
	v_cndmask_b32_e64 v8, 0, 1, vcc
	v_or_b32_e32 v7, v7, v8
	v_cmp_gt_i32_e32 vcc, 1, v9
	v_cndmask_b32_e32 v7, v11, v7, vcc
	v_and_b32_e32 v8, 7, v7
	v_cmp_lt_i32_e32 vcc, 5, v8
	v_cndmask_b32_e64 v10, 0, 1, vcc
	v_cmp_eq_u32_e32 vcc, 3, v8
	v_cndmask_b32_e64 v8, 0, 1, vcc
	v_lshrrev_b32_e32 v7, 2, v7
	v_or_b32_e32 v8, v8, v10
	v_add_u32_e32 v7, v7, v8
	v_cmp_gt_i32_e32 vcc, 31, v9
	v_cndmask_b32_e32 v6, v6, v7, vcc
	v_cmp_eq_u32_e32 vcc, s5, v9
	v_lshrrev_b32_e32 v4, 16, v4
	v_cndmask_b32_e32 v3, v6, v3, vcc
	v_and_or_b32 v3, v4, s22, v3
	s_mov_b64 s[0:1], 0
	s_branch .LBB215_1633
.LBB215_1629:
                                        ; implicit-def: $vgpr3
	s_branch .LBB215_1650
.LBB215_1630:
                                        ; implicit-def: $vgpr3
	s_branch .LBB215_1639
.LBB215_1631:
	s_mov_b64 s[0:1], -1
                                        ; implicit-def: $vgpr3
	s_branch .LBB215_1636
.LBB215_1632:
	s_mov_b64 s[0:1], -1
                                        ; implicit-def: $vgpr3
.LBB215_1633:
	s_andn2_b64 vcc, exec, s[0:1]
	s_cbranch_vccnz .LBB215_1635
; %bb.1634:
	global_load_dword v3, v[0:1], off
	s_waitcnt vmcnt(0)
	v_cvt_f16_f32_e32 v3, v3
.LBB215_1635:
	s_mov_b64 s[0:1], 0
.LBB215_1636:
	s_andn2_b64 vcc, exec, s[0:1]
	s_cbranch_vccnz .LBB215_1638
; %bb.1637:
	global_load_dword v3, v[0:1], off
.LBB215_1638:
	s_cbranch_execnz .LBB215_1649
.LBB215_1639:
	s_cmp_lt_i32 s4, 6
	s_cbranch_scc1 .LBB215_1642
; %bb.1640:
	s_cmp_gt_i32 s4, 6
	s_cbranch_scc0 .LBB215_1643
; %bb.1641:
	global_load_dwordx2 v[3:4], v[0:1], off
	s_movk_i32 s0, 0x1ff
	s_movk_i32 s1, 0xffe
	v_mov_b32_e32 v6, 0x7c00
	v_mov_b32_e32 v7, 0x7e00
	s_movk_i32 s5, 0x40f
	s_mov_b32 s22, 0x8000
	s_waitcnt vmcnt(0)
	v_and_or_b32 v3, v4, s0, v3
	v_cmp_ne_u32_e32 vcc, 0, v3
	v_lshrrev_b32_e32 v8, 8, v4
	v_bfe_u32 v9, v4, 20, 11
	v_cndmask_b32_e64 v3, 0, 1, vcc
	v_sub_u32_e32 v10, 0x3f1, v9
	v_and_or_b32 v3, v8, s1, v3
	v_add_u32_e32 v9, 0xfffffc10, v9
	v_med3_i32 v8, v10, 0, 13
	v_or_b32_e32 v10, 0x1000, v3
	v_cmp_ne_u32_e32 vcc, 0, v3
	v_lshl_or_b32 v11, v9, 12, v3
	v_cndmask_b32_e32 v3, v6, v7, vcc
	v_lshrrev_b32_e32 v7, v8, v10
	v_lshlrev_b32_e32 v8, v8, v7
	v_cmp_ne_u32_e32 vcc, v8, v10
	v_cndmask_b32_e64 v8, 0, 1, vcc
	v_or_b32_e32 v7, v7, v8
	v_cmp_gt_i32_e32 vcc, 1, v9
	v_cndmask_b32_e32 v7, v11, v7, vcc
	v_and_b32_e32 v8, 7, v7
	v_cmp_lt_i32_e32 vcc, 5, v8
	v_cndmask_b32_e64 v10, 0, 1, vcc
	v_cmp_eq_u32_e32 vcc, 3, v8
	v_cndmask_b32_e64 v8, 0, 1, vcc
	v_lshrrev_b32_e32 v7, 2, v7
	v_or_b32_e32 v8, v8, v10
	v_add_u32_e32 v7, v7, v8
	v_cmp_gt_i32_e32 vcc, 31, v9
	v_cndmask_b32_e32 v6, v6, v7, vcc
	v_cmp_eq_u32_e32 vcc, s5, v9
	v_lshrrev_b32_e32 v4, 16, v4
	v_cndmask_b32_e32 v3, v6, v3, vcc
	v_and_or_b32 v3, v4, s22, v3
	s_mov_b64 s[0:1], 0
	s_branch .LBB215_1644
.LBB215_1642:
	s_mov_b64 s[0:1], -1
                                        ; implicit-def: $vgpr3
	s_branch .LBB215_1647
.LBB215_1643:
	s_mov_b64 s[0:1], -1
                                        ; implicit-def: $vgpr3
.LBB215_1644:
	s_andn2_b64 vcc, exec, s[0:1]
	s_cbranch_vccnz .LBB215_1646
; %bb.1645:
	global_load_dword v3, v[0:1], off
	s_waitcnt vmcnt(0)
	v_cvt_f16_f32_e32 v3, v3
.LBB215_1646:
	s_mov_b64 s[0:1], 0
.LBB215_1647:
	s_andn2_b64 vcc, exec, s[0:1]
	s_cbranch_vccnz .LBB215_1649
; %bb.1648:
	global_load_ushort v3, v[0:1], off
.LBB215_1649:
	s_cbranch_execnz .LBB215_1668
.LBB215_1650:
	s_cmp_lt_i32 s4, 2
	s_cbranch_scc1 .LBB215_1654
; %bb.1651:
	s_cmp_lt_i32 s4, 3
	s_cbranch_scc1 .LBB215_1655
; %bb.1652:
	s_cmp_gt_i32 s4, 3
	s_cbranch_scc0 .LBB215_1656
; %bb.1653:
	global_load_dwordx2 v[3:4], v[0:1], off
	s_mov_b64 s[0:1], 0
	s_waitcnt vmcnt(0)
	v_xor_b32_e32 v7, v3, v4
	v_ffbh_i32_e32 v6, v4
	v_ashrrev_i32_e32 v7, 31, v7
	v_add_u32_e32 v6, -1, v6
	v_add_u32_e32 v7, 32, v7
	v_min_u32_e32 v6, v6, v7
	v_lshlrev_b64 v[3:4], v6, v[3:4]
	v_min_u32_e32 v3, 1, v3
	v_or_b32_e32 v3, v4, v3
	v_cvt_f32_i32_e32 v3, v3
	v_sub_u32_e32 v4, 32, v6
	v_ldexp_f32 v3, v3, v4
	v_cvt_f16_f32_e32 v3, v3
	s_branch .LBB215_1657
.LBB215_1654:
                                        ; implicit-def: $vgpr3
	s_branch .LBB215_1663
.LBB215_1655:
	s_mov_b64 s[0:1], -1
                                        ; implicit-def: $vgpr3
	s_branch .LBB215_1660
.LBB215_1656:
	s_mov_b64 s[0:1], -1
                                        ; implicit-def: $vgpr3
.LBB215_1657:
	s_andn2_b64 vcc, exec, s[0:1]
	s_cbranch_vccnz .LBB215_1659
; %bb.1658:
	global_load_dword v3, v[0:1], off
	s_waitcnt vmcnt(0)
	v_cvt_f32_i32_e32 v3, v3
	v_cvt_f16_f32_e32 v3, v3
.LBB215_1659:
	s_mov_b64 s[0:1], 0
.LBB215_1660:
	s_andn2_b64 vcc, exec, s[0:1]
	s_cbranch_vccnz .LBB215_1662
; %bb.1661:
	global_load_ushort v3, v[0:1], off
	s_waitcnt vmcnt(0)
	v_cvt_f16_i16_e32 v3, v3
.LBB215_1662:
	s_cbranch_execnz .LBB215_1668
.LBB215_1663:
	s_cmp_gt_i32 s4, 0
	s_cbranch_scc0 .LBB215_1665
; %bb.1664:
	global_load_sbyte v3, v[0:1], off
	s_mov_b64 s[0:1], 0
	s_waitcnt vmcnt(0)
	v_cvt_f16_i16_e32 v3, v3
	s_branch .LBB215_1666
.LBB215_1665:
	s_mov_b64 s[0:1], -1
                                        ; implicit-def: $vgpr3
.LBB215_1666:
	s_andn2_b64 vcc, exec, s[0:1]
	s_cbranch_vccnz .LBB215_1668
; %bb.1667:
	global_load_ubyte v0, v[0:1], off
	s_waitcnt vmcnt(0)
	v_cvt_f16_u16_e32 v3, v0
.LBB215_1668:
.LBB215_1669:
	v_mul_lo_u32 v6, s14, v2
	v_mov_b32_e32 v1, s17
	s_and_b32 s29, s15, 0xff
	s_cmp_lt_i32 s29, 11
	v_ashrrev_i32_e32 v4, 31, v6
	v_add_co_u32_e32 v0, vcc, s16, v6
	v_addc_co_u32_e32 v1, vcc, v1, v4, vcc
	s_cbranch_scc1 .LBB215_1676
; %bb.1670:
	s_and_b32 s15, 0xffff, s29
	s_cmp_gt_i32 s15, 25
	s_mov_b64 s[4:5], 0
	s_cbranch_scc0 .LBB215_1678
; %bb.1671:
	s_cmp_gt_i32 s15, 28
	s_cbranch_scc0 .LBB215_1679
; %bb.1672:
	s_cmp_gt_i32 s15, 43
	;; [unrolled: 3-line block ×3, first 2 shown]
	s_cbranch_scc0 .LBB215_1682
; %bb.1674:
	s_cmp_eq_u32 s15, 46
	s_mov_b64 s[24:25], 0
	s_cbranch_scc0 .LBB215_1685
; %bb.1675:
	global_load_dword v4, v[0:1], off
	s_mov_b64 s[0:1], 0
	s_mov_b64 s[22:23], -1
	s_waitcnt vmcnt(0)
	v_lshlrev_b32_e32 v4, 16, v4
	v_cvt_f16_f32_e32 v4, v4
	s_branch .LBB215_1686
.LBB215_1676:
	s_mov_b64 s[22:23], 0
                                        ; implicit-def: $vgpr4
	s_cbranch_execnz .LBB215_1751
.LBB215_1677:
	s_andn2_b64 vcc, exec, s[22:23]
	s_cbranch_vccnz .LBB215_3012
	s_branch .LBB215_1798
.LBB215_1678:
	s_mov_b64 s[22:23], 0
	s_mov_b64 s[0:1], 0
                                        ; implicit-def: $vgpr4
	s_cbranch_execnz .LBB215_1715
	s_branch .LBB215_1747
.LBB215_1679:
	s_mov_b64 s[24:25], -1
	s_mov_b64 s[22:23], 0
	s_mov_b64 s[0:1], 0
                                        ; implicit-def: $vgpr4
	s_branch .LBB215_1696
.LBB215_1680:
	s_mov_b64 s[24:25], -1
	s_mov_b64 s[22:23], 0
	s_mov_b64 s[0:1], 0
                                        ; implicit-def: $vgpr4
	s_branch .LBB215_1691
.LBB215_1681:
	s_or_b64 s[20:21], s[18:19], exec
	s_trap 2
	s_cbranch_execz .LBB215_1622
	s_branch .LBB215_1623
.LBB215_1682:
	s_mov_b64 s[24:25], -1
	s_mov_b64 s[22:23], 0
	s_mov_b64 s[0:1], 0
                                        ; implicit-def: $vgpr4
	s_branch .LBB215_1686
.LBB215_1683:
	s_andn2_saveexec_b64 s[30:31], s[30:31]
	s_cbranch_execz .LBB215_1469
.LBB215_1684:
	s_mov_b32 s36, 0x42800000
	v_add_f32_e64 v3, |v2|, s36
	v_and_b32_e32 v3, 0xff, v3
	v_cmp_ne_u32_e32 vcc, 0, v3
	s_andn2_b64 s[28:29], s[28:29], exec
	s_and_b64 s[36:37], vcc, exec
	s_or_b64 s[28:29], s[28:29], s[36:37]
	s_or_b64 exec, exec, s[30:31]
	v_mov_b32_e32 v5, 0
	s_and_saveexec_b64 s[30:31], s[28:29]
	s_cbranch_execnz .LBB215_1470
	s_branch .LBB215_1471
.LBB215_1685:
	s_mov_b64 s[0:1], -1
                                        ; implicit-def: $vgpr4
	s_mov_b64 s[22:23], 0
.LBB215_1686:
	s_and_b64 vcc, exec, s[24:25]
	s_cbranch_vccz .LBB215_1690
; %bb.1687:
	s_cmp_eq_u32 s15, 44
	s_cbranch_scc0 .LBB215_1689
; %bb.1688:
	global_load_ubyte v4, v[0:1], off
	s_movk_i32 s22, 0xff
	v_mov_b32_e32 v8, 0x7e00
	s_mov_b64 s[0:1], 0
	s_waitcnt vmcnt(0)
	v_lshlrev_b32_e32 v7, 23, v4
	v_cvt_f16_f32_e32 v7, v7
	v_cmp_ne_u32_e32 vcc, s22, v4
	s_mov_b64 s[22:23], -1
	v_cndmask_b32_e32 v7, v8, v7, vcc
	v_cmp_ne_u32_e32 vcc, 0, v4
	v_cndmask_b32_e32 v4, 0, v7, vcc
	s_branch .LBB215_1690
.LBB215_1689:
	s_mov_b64 s[0:1], -1
                                        ; implicit-def: $vgpr4
.LBB215_1690:
	s_mov_b64 s[24:25], 0
.LBB215_1691:
	s_and_b64 vcc, exec, s[24:25]
	s_cbranch_vccz .LBB215_1695
; %bb.1692:
	s_cmp_eq_u32 s15, 29
	s_cbranch_scc0 .LBB215_1694
; %bb.1693:
	global_load_dwordx2 v[7:8], v[0:1], off
	s_mov_b64 s[0:1], 0
	s_mov_b64 s[22:23], -1
	s_mov_b64 s[24:25], 0
	s_waitcnt vmcnt(0)
	v_ffbh_u32_e32 v4, v8
	v_min_u32_e32 v4, 32, v4
	v_lshlrev_b64 v[7:8], v4, v[7:8]
	v_sub_u32_e32 v4, 32, v4
	v_min_u32_e32 v7, 1, v7
	v_or_b32_e32 v7, v8, v7
	v_cvt_f32_u32_e32 v7, v7
	v_ldexp_f32 v4, v7, v4
	v_cvt_f16_f32_e32 v4, v4
	s_branch .LBB215_1696
.LBB215_1694:
	s_mov_b64 s[0:1], -1
                                        ; implicit-def: $vgpr4
.LBB215_1695:
	s_mov_b64 s[24:25], 0
.LBB215_1696:
	s_and_b64 vcc, exec, s[24:25]
	s_cbranch_vccz .LBB215_1714
; %bb.1697:
	s_cmp_lt_i32 s15, 27
	s_cbranch_scc1 .LBB215_1700
; %bb.1698:
	s_cmp_gt_i32 s15, 27
	s_cbranch_scc0 .LBB215_1701
; %bb.1699:
	global_load_dword v4, v[0:1], off
	s_mov_b64 s[22:23], 0
	s_waitcnt vmcnt(0)
	v_cvt_f32_u32_e32 v4, v4
	v_cvt_f16_f32_e32 v4, v4
	s_branch .LBB215_1702
.LBB215_1700:
	s_mov_b64 s[22:23], -1
                                        ; implicit-def: $vgpr4
	s_branch .LBB215_1705
.LBB215_1701:
	s_mov_b64 s[22:23], -1
                                        ; implicit-def: $vgpr4
.LBB215_1702:
	s_andn2_b64 vcc, exec, s[22:23]
	s_cbranch_vccnz .LBB215_1704
; %bb.1703:
	global_load_ushort v4, v[0:1], off
	s_waitcnt vmcnt(0)
	v_cvt_f16_u16_e32 v4, v4
.LBB215_1704:
	s_mov_b64 s[22:23], 0
.LBB215_1705:
	s_andn2_b64 vcc, exec, s[22:23]
	s_cbranch_vccnz .LBB215_1713
; %bb.1706:
	global_load_ubyte v7, v[0:1], off
	s_movk_i32 s22, 0x7f
	s_waitcnt vmcnt(0)
	v_cmp_lt_i16_e32 vcc, s22, v7
	s_mov_b64 s[22:23], 0
	s_and_saveexec_b64 s[24:25], vcc
	s_xor_b64 s[24:25], exec, s[24:25]
	s_cbranch_execz .LBB215_1726
; %bb.1707:
	s_movk_i32 s22, 0x80
	v_cmp_eq_u16_e32 vcc, s22, v7
	s_mov_b64 s[22:23], -1
	s_and_saveexec_b64 s[26:27], vcc
; %bb.1708:
	s_xor_b64 s[22:23], exec, -1
; %bb.1709:
	s_or_b64 exec, exec, s[26:27]
	s_and_b64 s[22:23], s[22:23], exec
	s_or_saveexec_b64 s[24:25], s[24:25]
	v_mov_b32_e32 v4, 0x7e00
	s_xor_b64 exec, exec, s[24:25]
	s_cbranch_execnz .LBB215_1727
.LBB215_1710:
	s_or_b64 exec, exec, s[24:25]
	s_and_saveexec_b64 s[24:25], s[22:23]
	s_cbranch_execz .LBB215_1712
.LBB215_1711:
	v_lshlrev_b32_e32 v4, 24, v7
	v_and_b32_e32 v7, 0xffff, v7
	v_and_b32_e32 v8, 7, v7
	v_ffbh_u32_e32 v10, v8
	v_min_u32_e32 v10, 32, v10
	v_subrev_u32_e32 v11, 28, v10
	v_bfe_u32 v9, v7, 3, 4
	v_lshlrev_b32_e32 v7, v11, v7
	v_sub_u32_e32 v10, 29, v10
	v_and_b32_e32 v7, 7, v7
	v_cmp_eq_u32_e32 vcc, 0, v9
	v_cndmask_b32_e32 v9, v9, v10, vcc
	v_cndmask_b32_e32 v7, v8, v7, vcc
	v_mov_b32_e32 v8, 0x3b800000
	v_lshlrev_b32_e32 v7, 20, v7
	v_and_b32_e32 v4, 0x80000000, v4
	v_lshl_add_u32 v8, v9, 23, v8
	v_or3_b32 v4, v4, v8, v7
	v_cvt_f16_f32_e32 v4, v4
.LBB215_1712:
	s_or_b64 exec, exec, s[24:25]
.LBB215_1713:
	s_mov_b64 s[22:23], -1
.LBB215_1714:
	s_branch .LBB215_1747
.LBB215_1715:
	s_cmp_gt_i32 s15, 22
	s_cbranch_scc0 .LBB215_1725
; %bb.1716:
	s_cmp_lt_i32 s15, 24
	s_cbranch_scc1 .LBB215_1728
; %bb.1717:
	s_cmp_gt_i32 s15, 24
	s_cbranch_scc0 .LBB215_1729
; %bb.1718:
	global_load_ubyte v7, v[0:1], off
	s_movk_i32 s4, 0x7f
	s_waitcnt vmcnt(0)
	v_cmp_lt_i16_e32 vcc, s4, v7
	s_mov_b64 s[4:5], 0
	s_and_saveexec_b64 s[22:23], vcc
	s_xor_b64 s[22:23], exec, s[22:23]
	s_cbranch_execz .LBB215_1741
; %bb.1719:
	s_movk_i32 s4, 0x80
	v_cmp_eq_u16_e32 vcc, s4, v7
	s_mov_b64 s[4:5], -1
	s_and_saveexec_b64 s[24:25], vcc
; %bb.1720:
	s_xor_b64 s[4:5], exec, -1
; %bb.1721:
	s_or_b64 exec, exec, s[24:25]
	s_and_b64 s[4:5], s[4:5], exec
	s_or_saveexec_b64 s[22:23], s[22:23]
	v_mov_b32_e32 v4, 0x7e00
	s_xor_b64 exec, exec, s[22:23]
	s_cbranch_execnz .LBB215_1742
.LBB215_1722:
	s_or_b64 exec, exec, s[22:23]
	s_and_saveexec_b64 s[22:23], s[4:5]
	s_cbranch_execz .LBB215_1724
.LBB215_1723:
	v_lshlrev_b32_e32 v4, 24, v7
	v_and_b32_e32 v7, 0xffff, v7
	v_and_b32_e32 v8, 3, v7
	v_ffbh_u32_e32 v10, v8
	v_min_u32_e32 v10, 32, v10
	v_subrev_u32_e32 v11, 29, v10
	v_bfe_u32 v9, v7, 2, 5
	v_lshlrev_b32_e32 v7, v11, v7
	v_sub_u32_e32 v10, 30, v10
	v_and_b32_e32 v7, 3, v7
	v_cmp_eq_u32_e32 vcc, 0, v9
	v_cndmask_b32_e32 v9, v9, v10, vcc
	v_cndmask_b32_e32 v7, v8, v7, vcc
	v_mov_b32_e32 v8, 0x37800000
	v_lshlrev_b32_e32 v7, 21, v7
	v_and_b32_e32 v4, 0x80000000, v4
	v_lshl_add_u32 v8, v9, 23, v8
	v_or3_b32 v4, v4, v8, v7
	v_cvt_f16_f32_e32 v4, v4
.LBB215_1724:
	s_or_b64 exec, exec, s[22:23]
	s_mov_b64 s[4:5], 0
	s_branch .LBB215_1730
.LBB215_1725:
	s_mov_b64 s[4:5], -1
                                        ; implicit-def: $vgpr4
	s_branch .LBB215_1736
.LBB215_1726:
	s_or_saveexec_b64 s[24:25], s[24:25]
	v_mov_b32_e32 v4, 0x7e00
	s_xor_b64 exec, exec, s[24:25]
	s_cbranch_execz .LBB215_1710
.LBB215_1727:
	v_cmp_ne_u16_e32 vcc, 0, v7
	s_andn2_b64 s[22:23], s[22:23], exec
	s_and_b64 s[26:27], vcc, exec
	s_or_b64 s[22:23], s[22:23], s[26:27]
	v_mov_b32_e32 v4, v7
	s_or_b64 exec, exec, s[24:25]
	s_and_saveexec_b64 s[24:25], s[22:23]
	s_cbranch_execnz .LBB215_1711
	s_branch .LBB215_1712
.LBB215_1728:
	s_mov_b64 s[4:5], -1
                                        ; implicit-def: $vgpr4
	s_branch .LBB215_1733
.LBB215_1729:
	s_mov_b64 s[4:5], -1
                                        ; implicit-def: $vgpr4
.LBB215_1730:
	s_and_b64 vcc, exec, s[4:5]
	s_cbranch_vccz .LBB215_1732
; %bb.1731:
	global_load_ubyte v4, v[0:1], off
	s_mov_b32 s4, 0x7f800000
	s_waitcnt vmcnt(0)
	v_lshlrev_b32_e32 v4, 24, v4
	v_and_b32_e32 v7, 0x7f000000, v4
	v_ffbh_u32_e32 v8, v7
	v_min_u32_e32 v8, 32, v8
	v_sub_u32_e64 v8, v8, 4 clamp
	v_lshlrev_b32_e32 v10, v8, v7
	v_lshlrev_b32_e32 v8, 23, v8
	v_lshrrev_b32_e32 v10, 4, v10
	v_add_u32_e32 v9, 0x1000000, v7
	v_sub_u32_e32 v8, v10, v8
	v_ashrrev_i32_e32 v9, 8, v9
	v_add_u32_e32 v8, 0x3c000000, v8
	v_and_or_b32 v8, v9, s4, v8
	v_cmp_ne_u32_e32 vcc, 0, v7
	v_cndmask_b32_e32 v7, 0, v8, vcc
	s_brev_b32 s4, 1
	v_and_or_b32 v4, v4, s4, v7
	v_cvt_f16_f32_e32 v4, v4
.LBB215_1732:
	s_mov_b64 s[4:5], 0
.LBB215_1733:
	s_andn2_b64 vcc, exec, s[4:5]
	s_cbranch_vccnz .LBB215_1735
; %bb.1734:
	global_load_ubyte v4, v[0:1], off
	s_movk_i32 s4, 0x7f00
	s_brev_b32 s5, 16
	s_waitcnt vmcnt(0)
	v_lshlrev_b16_e32 v7, 8, v4
	v_lshlrev_b32_e32 v4, 25, v4
	v_lshrrev_b32_e32 v8, 4, v4
	v_and_or_b32 v9, v7, s4, 0.5
	v_or_b32_e32 v8, 0x70000000, v8
	v_add_f32_e32 v9, -0.5, v9
	v_mul_f32_e32 v8, 0x7800000, v8
	v_cmp_gt_u32_e32 vcc, s5, v4
	v_bfe_i32 v7, v7, 0, 16
	v_cndmask_b32_e32 v4, v8, v9, vcc
	s_brev_b32 s4, 1
	v_and_or_b32 v4, v7, s4, v4
	v_cvt_f16_f32_e32 v4, v4
.LBB215_1735:
	s_mov_b64 s[4:5], 0
	s_mov_b64 s[22:23], -1
.LBB215_1736:
	s_andn2_b64 vcc, exec, s[4:5]
	s_mov_b64 s[4:5], 0
	s_cbranch_vccnz .LBB215_1747
; %bb.1737:
	s_cmp_gt_i32 s15, 14
	s_cbranch_scc0 .LBB215_1740
; %bb.1738:
	s_cmp_eq_u32 s15, 15
	s_cbranch_scc0 .LBB215_1743
; %bb.1739:
	global_load_ushort v4, v[0:1], off
	s_mov_b64 s[0:1], 0
	s_mov_b64 s[22:23], -1
	s_waitcnt vmcnt(0)
	v_lshlrev_b32_e32 v4, 16, v4
	v_cvt_f16_f32_e32 v4, v4
	s_branch .LBB215_1744
.LBB215_1740:
	s_mov_b64 s[24:25], -1
                                        ; implicit-def: $vgpr4
	s_branch .LBB215_1745
.LBB215_1741:
	s_or_saveexec_b64 s[22:23], s[22:23]
	v_mov_b32_e32 v4, 0x7e00
	s_xor_b64 exec, exec, s[22:23]
	s_cbranch_execz .LBB215_1722
.LBB215_1742:
	v_cmp_ne_u16_e32 vcc, 0, v7
	s_andn2_b64 s[4:5], s[4:5], exec
	s_and_b64 s[24:25], vcc, exec
	s_or_b64 s[4:5], s[4:5], s[24:25]
	v_mov_b32_e32 v4, v7
	s_or_b64 exec, exec, s[22:23]
	s_and_saveexec_b64 s[22:23], s[4:5]
	s_cbranch_execnz .LBB215_1723
	s_branch .LBB215_1724
.LBB215_1743:
	s_mov_b64 s[0:1], -1
                                        ; implicit-def: $vgpr4
.LBB215_1744:
	s_mov_b64 s[24:25], 0
.LBB215_1745:
	s_and_b64 vcc, exec, s[24:25]
	s_cbranch_vccz .LBB215_1747
; %bb.1746:
	s_cmp_lg_u32 s15, 11
	s_mov_b64 s[4:5], -1
	s_cselect_b64 s[0:1], -1, 0
.LBB215_1747:
	s_and_b64 vcc, exec, s[0:1]
	s_cbranch_vccnz .LBB215_1810
; %bb.1748:
	s_andn2_b64 vcc, exec, s[4:5]
	s_cbranch_vccnz .LBB215_1750
.LBB215_1749:
	global_load_ubyte v4, v[0:1], off
	v_mov_b32_e32 v7, 0x3c00
	s_mov_b64 s[22:23], -1
	s_waitcnt vmcnt(0)
	v_cmp_ne_u16_e32 vcc, 0, v4
	v_cndmask_b32_e32 v4, 0, v7, vcc
.LBB215_1750:
	s_branch .LBB215_1677
.LBB215_1751:
	s_and_b32 s4, 0xffff, s29
	s_cmp_lt_i32 s4, 5
	s_cbranch_scc1 .LBB215_1756
; %bb.1752:
	s_cmp_lt_i32 s4, 8
	s_cbranch_scc1 .LBB215_1757
; %bb.1753:
	;; [unrolled: 3-line block ×3, first 2 shown]
	s_cmp_gt_i32 s4, 9
	s_cbranch_scc0 .LBB215_1759
; %bb.1755:
	global_load_dwordx2 v[7:8], v[0:1], off
	s_movk_i32 s0, 0x1ff
	s_movk_i32 s1, 0xffe
	v_mov_b32_e32 v4, 0x7c00
	v_mov_b32_e32 v9, 0x7e00
	s_movk_i32 s5, 0x40f
	s_mov_b32 s15, 0x8000
	s_waitcnt vmcnt(0)
	v_and_or_b32 v7, v8, s0, v7
	v_cmp_ne_u32_e32 vcc, 0, v7
	v_lshrrev_b32_e32 v10, 8, v8
	v_bfe_u32 v11, v8, 20, 11
	v_cndmask_b32_e64 v7, 0, 1, vcc
	v_sub_u32_e32 v12, 0x3f1, v11
	v_and_or_b32 v7, v10, s1, v7
	v_add_u32_e32 v11, 0xfffffc10, v11
	v_med3_i32 v10, v12, 0, 13
	v_or_b32_e32 v12, 0x1000, v7
	v_cmp_ne_u32_e32 vcc, 0, v7
	v_lshl_or_b32 v13, v11, 12, v7
	v_cndmask_b32_e32 v7, v4, v9, vcc
	v_lshrrev_b32_e32 v9, v10, v12
	v_lshlrev_b32_e32 v10, v10, v9
	v_cmp_ne_u32_e32 vcc, v10, v12
	v_cndmask_b32_e64 v10, 0, 1, vcc
	v_or_b32_e32 v9, v9, v10
	v_cmp_gt_i32_e32 vcc, 1, v11
	v_cndmask_b32_e32 v9, v13, v9, vcc
	v_and_b32_e32 v10, 7, v9
	v_cmp_lt_i32_e32 vcc, 5, v10
	v_cndmask_b32_e64 v12, 0, 1, vcc
	v_cmp_eq_u32_e32 vcc, 3, v10
	v_cndmask_b32_e64 v10, 0, 1, vcc
	v_lshrrev_b32_e32 v9, 2, v9
	v_or_b32_e32 v10, v10, v12
	v_add_u32_e32 v9, v9, v10
	v_cmp_gt_i32_e32 vcc, 31, v11
	v_cndmask_b32_e32 v4, v4, v9, vcc
	v_cmp_eq_u32_e32 vcc, s5, v11
	v_lshrrev_b32_e32 v8, 16, v8
	v_cndmask_b32_e32 v4, v4, v7, vcc
	v_and_or_b32 v4, v8, s15, v4
	s_mov_b64 s[0:1], 0
	s_branch .LBB215_1760
.LBB215_1756:
                                        ; implicit-def: $vgpr4
	s_branch .LBB215_1778
.LBB215_1757:
	s_mov_b64 s[0:1], -1
                                        ; implicit-def: $vgpr4
	s_branch .LBB215_1766
.LBB215_1758:
	s_mov_b64 s[0:1], -1
                                        ; implicit-def: $vgpr4
	s_branch .LBB215_1763
.LBB215_1759:
	s_mov_b64 s[0:1], -1
                                        ; implicit-def: $vgpr4
.LBB215_1760:
	s_andn2_b64 vcc, exec, s[0:1]
	s_cbranch_vccnz .LBB215_1762
; %bb.1761:
	global_load_dword v4, v[0:1], off
	s_waitcnt vmcnt(0)
	v_cvt_f16_f32_e32 v4, v4
.LBB215_1762:
	s_mov_b64 s[0:1], 0
.LBB215_1763:
	s_andn2_b64 vcc, exec, s[0:1]
	s_cbranch_vccnz .LBB215_1765
; %bb.1764:
	global_load_dword v4, v[0:1], off
.LBB215_1765:
	s_mov_b64 s[0:1], 0
.LBB215_1766:
	s_andn2_b64 vcc, exec, s[0:1]
	s_cbranch_vccnz .LBB215_1777
; %bb.1767:
	s_cmp_lt_i32 s4, 6
	s_cbranch_scc1 .LBB215_1770
; %bb.1768:
	s_cmp_gt_i32 s4, 6
	s_cbranch_scc0 .LBB215_1771
; %bb.1769:
	global_load_dwordx2 v[7:8], v[0:1], off
	s_movk_i32 s0, 0x1ff
	s_movk_i32 s1, 0xffe
	s_waitcnt vmcnt(1)
	v_mov_b32_e32 v4, 0x7c00
	v_mov_b32_e32 v9, 0x7e00
	s_movk_i32 s5, 0x40f
	s_mov_b32 s15, 0x8000
	s_waitcnt vmcnt(0)
	v_and_or_b32 v7, v8, s0, v7
	v_cmp_ne_u32_e32 vcc, 0, v7
	v_lshrrev_b32_e32 v10, 8, v8
	v_bfe_u32 v11, v8, 20, 11
	v_cndmask_b32_e64 v7, 0, 1, vcc
	v_sub_u32_e32 v12, 0x3f1, v11
	v_and_or_b32 v7, v10, s1, v7
	v_add_u32_e32 v11, 0xfffffc10, v11
	v_med3_i32 v10, v12, 0, 13
	v_or_b32_e32 v12, 0x1000, v7
	v_cmp_ne_u32_e32 vcc, 0, v7
	v_lshl_or_b32 v13, v11, 12, v7
	v_cndmask_b32_e32 v7, v4, v9, vcc
	v_lshrrev_b32_e32 v9, v10, v12
	v_lshlrev_b32_e32 v10, v10, v9
	v_cmp_ne_u32_e32 vcc, v10, v12
	v_cndmask_b32_e64 v10, 0, 1, vcc
	v_or_b32_e32 v9, v9, v10
	v_cmp_gt_i32_e32 vcc, 1, v11
	v_cndmask_b32_e32 v9, v13, v9, vcc
	v_and_b32_e32 v10, 7, v9
	v_cmp_lt_i32_e32 vcc, 5, v10
	v_cndmask_b32_e64 v12, 0, 1, vcc
	v_cmp_eq_u32_e32 vcc, 3, v10
	v_cndmask_b32_e64 v10, 0, 1, vcc
	v_lshrrev_b32_e32 v9, 2, v9
	v_or_b32_e32 v10, v10, v12
	v_add_u32_e32 v9, v9, v10
	v_cmp_gt_i32_e32 vcc, 31, v11
	v_cndmask_b32_e32 v4, v4, v9, vcc
	v_cmp_eq_u32_e32 vcc, s5, v11
	v_lshrrev_b32_e32 v8, 16, v8
	v_cndmask_b32_e32 v4, v4, v7, vcc
	v_and_or_b32 v4, v8, s15, v4
	s_mov_b64 s[0:1], 0
	s_branch .LBB215_1772
.LBB215_1770:
	s_mov_b64 s[0:1], -1
                                        ; implicit-def: $vgpr4
	s_branch .LBB215_1775
.LBB215_1771:
	s_mov_b64 s[0:1], -1
                                        ; implicit-def: $vgpr4
.LBB215_1772:
	s_andn2_b64 vcc, exec, s[0:1]
	s_cbranch_vccnz .LBB215_1774
; %bb.1773:
	global_load_dword v4, v[0:1], off
	s_waitcnt vmcnt(0)
	v_cvt_f16_f32_e32 v4, v4
.LBB215_1774:
	s_mov_b64 s[0:1], 0
.LBB215_1775:
	s_andn2_b64 vcc, exec, s[0:1]
	s_cbranch_vccnz .LBB215_1777
; %bb.1776:
	global_load_ushort v4, v[0:1], off
.LBB215_1777:
	s_cbranch_execnz .LBB215_1797
.LBB215_1778:
	s_cmp_lt_i32 s4, 2
	s_cbranch_scc1 .LBB215_1782
; %bb.1779:
	s_cmp_lt_i32 s4, 3
	s_cbranch_scc1 .LBB215_1783
; %bb.1780:
	s_cmp_gt_i32 s4, 3
	s_cbranch_scc0 .LBB215_1784
; %bb.1781:
	global_load_dwordx2 v[7:8], v[0:1], off
	s_mov_b64 s[0:1], 0
	s_waitcnt vmcnt(0)
	v_xor_b32_e32 v9, v7, v8
	v_ffbh_i32_e32 v4, v8
	v_ashrrev_i32_e32 v9, 31, v9
	v_add_u32_e32 v4, -1, v4
	v_add_u32_e32 v9, 32, v9
	v_min_u32_e32 v4, v4, v9
	v_lshlrev_b64 v[7:8], v4, v[7:8]
	v_sub_u32_e32 v4, 32, v4
	v_min_u32_e32 v7, 1, v7
	v_or_b32_e32 v7, v8, v7
	v_cvt_f32_i32_e32 v7, v7
	v_ldexp_f32 v4, v7, v4
	v_cvt_f16_f32_e32 v4, v4
	s_branch .LBB215_1785
.LBB215_1782:
	s_mov_b64 s[0:1], -1
                                        ; implicit-def: $vgpr4
	s_branch .LBB215_1791
.LBB215_1783:
	s_mov_b64 s[0:1], -1
                                        ; implicit-def: $vgpr4
	s_branch .LBB215_1788
.LBB215_1784:
	s_mov_b64 s[0:1], -1
                                        ; implicit-def: $vgpr4
.LBB215_1785:
	s_andn2_b64 vcc, exec, s[0:1]
	s_cbranch_vccnz .LBB215_1787
; %bb.1786:
	global_load_dword v4, v[0:1], off
	s_waitcnt vmcnt(0)
	v_cvt_f32_i32_e32 v4, v4
	v_cvt_f16_f32_e32 v4, v4
.LBB215_1787:
	s_mov_b64 s[0:1], 0
.LBB215_1788:
	s_andn2_b64 vcc, exec, s[0:1]
	s_cbranch_vccnz .LBB215_1790
; %bb.1789:
	global_load_ushort v4, v[0:1], off
	s_waitcnt vmcnt(0)
	v_cvt_f16_i16_e32 v4, v4
.LBB215_1790:
	s_mov_b64 s[0:1], 0
.LBB215_1791:
	s_andn2_b64 vcc, exec, s[0:1]
	s_cbranch_vccnz .LBB215_1797
; %bb.1792:
	s_cmp_gt_i32 s4, 0
	s_cbranch_scc0 .LBB215_1794
; %bb.1793:
	global_load_sbyte v4, v[0:1], off
	s_mov_b64 s[0:1], 0
	s_waitcnt vmcnt(0)
	v_cvt_f16_i16_e32 v4, v4
	s_branch .LBB215_1795
.LBB215_1794:
	s_mov_b64 s[0:1], -1
                                        ; implicit-def: $vgpr4
.LBB215_1795:
	s_andn2_b64 vcc, exec, s[0:1]
	s_cbranch_vccnz .LBB215_1797
; %bb.1796:
	global_load_ubyte v0, v[0:1], off
	s_waitcnt vmcnt(0)
	v_cvt_f16_u16_e32 v4, v0
.LBB215_1797:
.LBB215_1798:
	s_lshl_b32 s13, s13, 7
	v_add_u32_e32 v7, s13, v5
	v_ashrrev_i32_e32 v1, 31, v7
	v_mov_b32_e32 v5, s11
	v_add_co_u32_e32 v0, vcc, s10, v7
	s_cmp_lt_i32 s28, 11
	v_addc_co_u32_e32 v1, vcc, v5, v1, vcc
	s_cbranch_scc1 .LBB215_1805
; %bb.1799:
	s_and_b32 s15, 0xffff, s28
	s_cmp_gt_i32 s15, 25
	s_mov_b64 s[4:5], 0
	s_cbranch_scc0 .LBB215_1807
; %bb.1800:
	s_cmp_gt_i32 s15, 28
	s_cbranch_scc0 .LBB215_1808
; %bb.1801:
	s_cmp_gt_i32 s15, 43
	;; [unrolled: 3-line block ×3, first 2 shown]
	s_cbranch_scc0 .LBB215_1811
; %bb.1803:
	s_cmp_eq_u32 s15, 46
	s_mov_b64 s[24:25], 0
	s_cbranch_scc0 .LBB215_1812
; %bb.1804:
	global_load_dword v5, v[0:1], off
	s_mov_b64 s[0:1], 0
	s_mov_b64 s[22:23], -1
	s_waitcnt vmcnt(0)
	v_lshlrev_b32_e32 v5, 16, v5
	v_cvt_f16_f32_e32 v5, v5
	s_branch .LBB215_1813
.LBB215_1805:
	s_mov_b64 s[22:23], 0
                                        ; implicit-def: $vgpr5
	s_cbranch_execnz .LBB215_1879
.LBB215_1806:
	s_andn2_b64 vcc, exec, s[22:23]
	s_cbranch_vccnz .LBB215_3012
	s_branch .LBB215_1927
.LBB215_1807:
	s_mov_b64 s[24:25], -1
	s_mov_b64 s[22:23], 0
	s_mov_b64 s[0:1], 0
                                        ; implicit-def: $vgpr5
	s_branch .LBB215_1842
.LBB215_1808:
	s_mov_b64 s[24:25], -1
	s_mov_b64 s[22:23], 0
	s_mov_b64 s[0:1], 0
                                        ; implicit-def: $vgpr5
	s_branch .LBB215_1823
.LBB215_1809:
	s_mov_b64 s[24:25], -1
	s_mov_b64 s[22:23], 0
	s_mov_b64 s[0:1], 0
                                        ; implicit-def: $vgpr5
	s_branch .LBB215_1818
.LBB215_1810:
	s_trap 2
	s_or_b64 s[20:21], s[20:21], exec
	s_cbranch_execz .LBB215_1749
	s_branch .LBB215_1750
.LBB215_1811:
	s_mov_b64 s[24:25], -1
	s_mov_b64 s[22:23], 0
	s_mov_b64 s[0:1], 0
                                        ; implicit-def: $vgpr5
	s_branch .LBB215_1813
.LBB215_1812:
	s_mov_b64 s[0:1], -1
                                        ; implicit-def: $vgpr5
	s_mov_b64 s[22:23], 0
.LBB215_1813:
	s_and_b64 vcc, exec, s[24:25]
	s_cbranch_vccz .LBB215_1817
; %bb.1814:
	s_cmp_eq_u32 s15, 44
	s_cbranch_scc0 .LBB215_1816
; %bb.1815:
	global_load_ubyte v5, v[0:1], off
	s_movk_i32 s22, 0xff
	v_mov_b32_e32 v9, 0x7e00
	s_mov_b64 s[0:1], 0
	s_waitcnt vmcnt(0)
	v_lshlrev_b32_e32 v8, 23, v5
	v_cvt_f16_f32_e32 v8, v8
	v_cmp_ne_u32_e32 vcc, s22, v5
	s_mov_b64 s[22:23], -1
	v_cndmask_b32_e32 v8, v9, v8, vcc
	v_cmp_ne_u32_e32 vcc, 0, v5
	v_cndmask_b32_e32 v5, 0, v8, vcc
	s_branch .LBB215_1817
.LBB215_1816:
	s_mov_b64 s[0:1], -1
                                        ; implicit-def: $vgpr5
.LBB215_1817:
	s_mov_b64 s[24:25], 0
.LBB215_1818:
	s_and_b64 vcc, exec, s[24:25]
	s_cbranch_vccz .LBB215_1822
; %bb.1819:
	s_cmp_eq_u32 s15, 29
	s_cbranch_scc0 .LBB215_1821
; %bb.1820:
	global_load_dwordx2 v[8:9], v[0:1], off
	s_mov_b64 s[0:1], 0
	s_mov_b64 s[22:23], -1
	s_mov_b64 s[24:25], 0
	s_waitcnt vmcnt(0)
	v_ffbh_u32_e32 v5, v9
	v_min_u32_e32 v5, 32, v5
	v_lshlrev_b64 v[8:9], v5, v[8:9]
	v_sub_u32_e32 v5, 32, v5
	v_min_u32_e32 v8, 1, v8
	v_or_b32_e32 v8, v9, v8
	v_cvt_f32_u32_e32 v8, v8
	v_ldexp_f32 v5, v8, v5
	v_cvt_f16_f32_e32 v5, v5
	s_branch .LBB215_1823
.LBB215_1821:
	s_mov_b64 s[0:1], -1
                                        ; implicit-def: $vgpr5
.LBB215_1822:
	s_mov_b64 s[24:25], 0
.LBB215_1823:
	s_and_b64 vcc, exec, s[24:25]
	s_cbranch_vccz .LBB215_1841
; %bb.1824:
	s_cmp_lt_i32 s15, 27
	s_cbranch_scc1 .LBB215_1827
; %bb.1825:
	s_cmp_gt_i32 s15, 27
	s_cbranch_scc0 .LBB215_1828
; %bb.1826:
	global_load_dword v5, v[0:1], off
	s_mov_b64 s[22:23], 0
	s_waitcnt vmcnt(0)
	v_cvt_f32_u32_e32 v5, v5
	v_cvt_f16_f32_e32 v5, v5
	s_branch .LBB215_1829
.LBB215_1827:
	s_mov_b64 s[22:23], -1
                                        ; implicit-def: $vgpr5
	s_branch .LBB215_1832
.LBB215_1828:
	s_mov_b64 s[22:23], -1
                                        ; implicit-def: $vgpr5
.LBB215_1829:
	s_andn2_b64 vcc, exec, s[22:23]
	s_cbranch_vccnz .LBB215_1831
; %bb.1830:
	global_load_ushort v5, v[0:1], off
	s_waitcnt vmcnt(0)
	v_cvt_f16_u16_e32 v5, v5
.LBB215_1831:
	s_mov_b64 s[22:23], 0
.LBB215_1832:
	s_andn2_b64 vcc, exec, s[22:23]
	s_cbranch_vccnz .LBB215_1840
; %bb.1833:
	global_load_ubyte v8, v[0:1], off
	s_movk_i32 s22, 0x7f
	s_waitcnt vmcnt(0)
	v_cmp_lt_i16_e32 vcc, s22, v8
	s_mov_b64 s[22:23], 0
	s_and_saveexec_b64 s[24:25], vcc
	s_xor_b64 s[24:25], exec, s[24:25]
	s_cbranch_execz .LBB215_1854
; %bb.1834:
	s_movk_i32 s22, 0x80
	v_cmp_eq_u16_e32 vcc, s22, v8
	s_mov_b64 s[22:23], -1
	s_and_saveexec_b64 s[26:27], vcc
; %bb.1835:
	s_xor_b64 s[22:23], exec, -1
; %bb.1836:
	s_or_b64 exec, exec, s[26:27]
	s_and_b64 s[22:23], s[22:23], exec
	s_or_saveexec_b64 s[24:25], s[24:25]
	v_mov_b32_e32 v5, 0x7e00
	s_xor_b64 exec, exec, s[24:25]
	s_cbranch_execnz .LBB215_1855
.LBB215_1837:
	s_or_b64 exec, exec, s[24:25]
	s_and_saveexec_b64 s[24:25], s[22:23]
	s_cbranch_execz .LBB215_1839
.LBB215_1838:
	v_lshlrev_b32_e32 v5, 24, v8
	v_and_b32_e32 v8, 0xffff, v8
	v_and_b32_e32 v9, 7, v8
	v_ffbh_u32_e32 v11, v9
	v_min_u32_e32 v11, 32, v11
	v_subrev_u32_e32 v12, 28, v11
	v_bfe_u32 v10, v8, 3, 4
	v_lshlrev_b32_e32 v8, v12, v8
	v_sub_u32_e32 v11, 29, v11
	v_and_b32_e32 v8, 7, v8
	v_cmp_eq_u32_e32 vcc, 0, v10
	v_cndmask_b32_e32 v10, v10, v11, vcc
	v_cndmask_b32_e32 v8, v9, v8, vcc
	v_mov_b32_e32 v9, 0x3b800000
	v_lshlrev_b32_e32 v8, 20, v8
	v_and_b32_e32 v5, 0x80000000, v5
	v_lshl_add_u32 v9, v10, 23, v9
	v_or3_b32 v5, v5, v9, v8
	v_cvt_f16_f32_e32 v5, v5
.LBB215_1839:
	s_or_b64 exec, exec, s[24:25]
.LBB215_1840:
	s_mov_b64 s[22:23], -1
.LBB215_1841:
	s_mov_b64 s[24:25], 0
.LBB215_1842:
	s_and_b64 vcc, exec, s[24:25]
	s_cbranch_vccz .LBB215_1875
; %bb.1843:
	s_cmp_gt_i32 s15, 22
	s_cbranch_scc0 .LBB215_1853
; %bb.1844:
	s_cmp_lt_i32 s15, 24
	s_cbranch_scc1 .LBB215_1856
; %bb.1845:
	s_cmp_gt_i32 s15, 24
	s_cbranch_scc0 .LBB215_1857
; %bb.1846:
	global_load_ubyte v8, v[0:1], off
	s_movk_i32 s4, 0x7f
	s_waitcnt vmcnt(0)
	v_cmp_lt_i16_e32 vcc, s4, v8
	s_mov_b64 s[4:5], 0
	s_and_saveexec_b64 s[22:23], vcc
	s_xor_b64 s[22:23], exec, s[22:23]
	s_cbranch_execz .LBB215_1869
; %bb.1847:
	s_movk_i32 s4, 0x80
	v_cmp_eq_u16_e32 vcc, s4, v8
	s_mov_b64 s[4:5], -1
	s_and_saveexec_b64 s[24:25], vcc
; %bb.1848:
	s_xor_b64 s[4:5], exec, -1
; %bb.1849:
	s_or_b64 exec, exec, s[24:25]
	s_and_b64 s[4:5], s[4:5], exec
	s_or_saveexec_b64 s[22:23], s[22:23]
	v_mov_b32_e32 v5, 0x7e00
	s_xor_b64 exec, exec, s[22:23]
	s_cbranch_execnz .LBB215_1870
.LBB215_1850:
	s_or_b64 exec, exec, s[22:23]
	s_and_saveexec_b64 s[22:23], s[4:5]
	s_cbranch_execz .LBB215_1852
.LBB215_1851:
	v_lshlrev_b32_e32 v5, 24, v8
	v_and_b32_e32 v8, 0xffff, v8
	v_and_b32_e32 v9, 3, v8
	v_ffbh_u32_e32 v11, v9
	v_min_u32_e32 v11, 32, v11
	v_subrev_u32_e32 v12, 29, v11
	v_bfe_u32 v10, v8, 2, 5
	v_lshlrev_b32_e32 v8, v12, v8
	v_sub_u32_e32 v11, 30, v11
	v_and_b32_e32 v8, 3, v8
	v_cmp_eq_u32_e32 vcc, 0, v10
	v_cndmask_b32_e32 v10, v10, v11, vcc
	v_cndmask_b32_e32 v8, v9, v8, vcc
	v_mov_b32_e32 v9, 0x37800000
	v_lshlrev_b32_e32 v8, 21, v8
	v_and_b32_e32 v5, 0x80000000, v5
	v_lshl_add_u32 v9, v10, 23, v9
	v_or3_b32 v5, v5, v9, v8
	v_cvt_f16_f32_e32 v5, v5
.LBB215_1852:
	s_or_b64 exec, exec, s[22:23]
	s_mov_b64 s[4:5], 0
	s_branch .LBB215_1858
.LBB215_1853:
	s_mov_b64 s[4:5], -1
                                        ; implicit-def: $vgpr5
	s_branch .LBB215_1864
.LBB215_1854:
	s_or_saveexec_b64 s[24:25], s[24:25]
	v_mov_b32_e32 v5, 0x7e00
	s_xor_b64 exec, exec, s[24:25]
	s_cbranch_execz .LBB215_1837
.LBB215_1855:
	v_cmp_ne_u16_e32 vcc, 0, v8
	s_andn2_b64 s[22:23], s[22:23], exec
	s_and_b64 s[26:27], vcc, exec
	s_or_b64 s[22:23], s[22:23], s[26:27]
	v_mov_b32_e32 v5, v8
	s_or_b64 exec, exec, s[24:25]
	s_and_saveexec_b64 s[24:25], s[22:23]
	s_cbranch_execnz .LBB215_1838
	s_branch .LBB215_1839
.LBB215_1856:
	s_mov_b64 s[4:5], -1
                                        ; implicit-def: $vgpr5
	s_branch .LBB215_1861
.LBB215_1857:
	s_mov_b64 s[4:5], -1
                                        ; implicit-def: $vgpr5
.LBB215_1858:
	s_and_b64 vcc, exec, s[4:5]
	s_cbranch_vccz .LBB215_1860
; %bb.1859:
	global_load_ubyte v5, v[0:1], off
	s_mov_b32 s4, 0x7f800000
	s_waitcnt vmcnt(0)
	v_lshlrev_b32_e32 v5, 24, v5
	v_and_b32_e32 v8, 0x7f000000, v5
	v_ffbh_u32_e32 v9, v8
	v_min_u32_e32 v9, 32, v9
	v_sub_u32_e64 v9, v9, 4 clamp
	v_lshlrev_b32_e32 v11, v9, v8
	v_lshlrev_b32_e32 v9, 23, v9
	v_lshrrev_b32_e32 v11, 4, v11
	v_add_u32_e32 v10, 0x1000000, v8
	v_sub_u32_e32 v9, v11, v9
	v_ashrrev_i32_e32 v10, 8, v10
	v_add_u32_e32 v9, 0x3c000000, v9
	v_and_or_b32 v9, v10, s4, v9
	v_cmp_ne_u32_e32 vcc, 0, v8
	v_cndmask_b32_e32 v8, 0, v9, vcc
	s_brev_b32 s4, 1
	v_and_or_b32 v5, v5, s4, v8
	v_cvt_f16_f32_e32 v5, v5
.LBB215_1860:
	s_mov_b64 s[4:5], 0
.LBB215_1861:
	s_andn2_b64 vcc, exec, s[4:5]
	s_cbranch_vccnz .LBB215_1863
; %bb.1862:
	global_load_ubyte v5, v[0:1], off
	s_movk_i32 s4, 0x7f00
	s_brev_b32 s5, 16
	s_waitcnt vmcnt(0)
	v_lshlrev_b16_e32 v8, 8, v5
	v_lshlrev_b32_e32 v5, 25, v5
	v_lshrrev_b32_e32 v9, 4, v5
	v_and_or_b32 v10, v8, s4, 0.5
	v_or_b32_e32 v9, 0x70000000, v9
	v_add_f32_e32 v10, -0.5, v10
	v_mul_f32_e32 v9, 0x7800000, v9
	v_cmp_gt_u32_e32 vcc, s5, v5
	v_bfe_i32 v8, v8, 0, 16
	v_cndmask_b32_e32 v5, v9, v10, vcc
	s_brev_b32 s4, 1
	v_and_or_b32 v5, v8, s4, v5
	v_cvt_f16_f32_e32 v5, v5
.LBB215_1863:
	s_mov_b64 s[4:5], 0
	s_mov_b64 s[22:23], -1
.LBB215_1864:
	s_andn2_b64 vcc, exec, s[4:5]
	s_mov_b64 s[4:5], 0
	s_cbranch_vccnz .LBB215_1875
; %bb.1865:
	s_cmp_gt_i32 s15, 14
	s_cbranch_scc0 .LBB215_1868
; %bb.1866:
	s_cmp_eq_u32 s15, 15
	s_cbranch_scc0 .LBB215_1871
; %bb.1867:
	global_load_ushort v5, v[0:1], off
	s_mov_b64 s[0:1], 0
	s_mov_b64 s[22:23], -1
	s_waitcnt vmcnt(0)
	v_lshlrev_b32_e32 v5, 16, v5
	v_cvt_f16_f32_e32 v5, v5
	s_branch .LBB215_1872
.LBB215_1868:
	s_mov_b64 s[24:25], -1
                                        ; implicit-def: $vgpr5
	s_branch .LBB215_1873
.LBB215_1869:
	s_or_saveexec_b64 s[22:23], s[22:23]
	v_mov_b32_e32 v5, 0x7e00
	s_xor_b64 exec, exec, s[22:23]
	s_cbranch_execz .LBB215_1850
.LBB215_1870:
	v_cmp_ne_u16_e32 vcc, 0, v8
	s_andn2_b64 s[4:5], s[4:5], exec
	s_and_b64 s[24:25], vcc, exec
	s_or_b64 s[4:5], s[4:5], s[24:25]
	v_mov_b32_e32 v5, v8
	s_or_b64 exec, exec, s[22:23]
	s_and_saveexec_b64 s[22:23], s[4:5]
	s_cbranch_execnz .LBB215_1851
	s_branch .LBB215_1852
.LBB215_1871:
	s_mov_b64 s[0:1], -1
                                        ; implicit-def: $vgpr5
.LBB215_1872:
	s_mov_b64 s[24:25], 0
.LBB215_1873:
	s_and_b64 vcc, exec, s[24:25]
	s_cbranch_vccz .LBB215_1875
; %bb.1874:
	s_cmp_lg_u32 s15, 11
	s_mov_b64 s[4:5], -1
	s_cselect_b64 s[0:1], -1, 0
.LBB215_1875:
	s_and_b64 vcc, exec, s[0:1]
	s_cbranch_vccnz .LBB215_1938
; %bb.1876:
	s_andn2_b64 vcc, exec, s[4:5]
	s_cbranch_vccnz .LBB215_1878
.LBB215_1877:
	global_load_ubyte v5, v[0:1], off
	v_mov_b32_e32 v8, 0x3c00
	s_mov_b64 s[22:23], -1
	s_waitcnt vmcnt(0)
	v_cmp_ne_u16_e32 vcc, 0, v5
	v_cndmask_b32_e32 v5, 0, v8, vcc
.LBB215_1878:
	s_branch .LBB215_1806
.LBB215_1879:
	s_and_b32 s4, 0xffff, s28
	s_cmp_lt_i32 s4, 5
	s_cbranch_scc1 .LBB215_1884
; %bb.1880:
	s_cmp_lt_i32 s4, 8
	s_cbranch_scc1 .LBB215_1885
; %bb.1881:
	;; [unrolled: 3-line block ×3, first 2 shown]
	s_cmp_gt_i32 s4, 9
	s_cbranch_scc0 .LBB215_1887
; %bb.1883:
	global_load_dwordx2 v[8:9], v[0:1], off
	s_movk_i32 s0, 0x1ff
	s_movk_i32 s1, 0xffe
	v_mov_b32_e32 v5, 0x7c00
	v_mov_b32_e32 v10, 0x7e00
	s_movk_i32 s5, 0x40f
	s_mov_b32 s15, 0x8000
	s_waitcnt vmcnt(0)
	v_and_or_b32 v8, v9, s0, v8
	v_cmp_ne_u32_e32 vcc, 0, v8
	v_lshrrev_b32_e32 v11, 8, v9
	v_bfe_u32 v12, v9, 20, 11
	v_cndmask_b32_e64 v8, 0, 1, vcc
	v_sub_u32_e32 v13, 0x3f1, v12
	v_and_or_b32 v8, v11, s1, v8
	v_add_u32_e32 v12, 0xfffffc10, v12
	v_med3_i32 v11, v13, 0, 13
	v_or_b32_e32 v13, 0x1000, v8
	v_cmp_ne_u32_e32 vcc, 0, v8
	v_lshl_or_b32 v14, v12, 12, v8
	v_cndmask_b32_e32 v8, v5, v10, vcc
	v_lshrrev_b32_e32 v10, v11, v13
	v_lshlrev_b32_e32 v11, v11, v10
	v_cmp_ne_u32_e32 vcc, v11, v13
	v_cndmask_b32_e64 v11, 0, 1, vcc
	v_or_b32_e32 v10, v10, v11
	v_cmp_gt_i32_e32 vcc, 1, v12
	v_cndmask_b32_e32 v10, v14, v10, vcc
	v_and_b32_e32 v11, 7, v10
	v_cmp_lt_i32_e32 vcc, 5, v11
	v_cndmask_b32_e64 v13, 0, 1, vcc
	v_cmp_eq_u32_e32 vcc, 3, v11
	v_cndmask_b32_e64 v11, 0, 1, vcc
	v_lshrrev_b32_e32 v10, 2, v10
	v_or_b32_e32 v11, v11, v13
	v_add_u32_e32 v10, v10, v11
	v_cmp_gt_i32_e32 vcc, 31, v12
	v_cndmask_b32_e32 v5, v5, v10, vcc
	v_cmp_eq_u32_e32 vcc, s5, v12
	v_lshrrev_b32_e32 v9, 16, v9
	v_cndmask_b32_e32 v5, v5, v8, vcc
	v_and_or_b32 v5, v9, s15, v5
	s_mov_b64 s[0:1], 0
	s_branch .LBB215_1888
.LBB215_1884:
	s_mov_b64 s[0:1], -1
                                        ; implicit-def: $vgpr5
	s_branch .LBB215_1906
.LBB215_1885:
	s_mov_b64 s[0:1], -1
                                        ; implicit-def: $vgpr5
	s_branch .LBB215_1894
.LBB215_1886:
	s_mov_b64 s[0:1], -1
                                        ; implicit-def: $vgpr5
	s_branch .LBB215_1891
.LBB215_1887:
	s_mov_b64 s[0:1], -1
                                        ; implicit-def: $vgpr5
.LBB215_1888:
	s_andn2_b64 vcc, exec, s[0:1]
	s_cbranch_vccnz .LBB215_1890
; %bb.1889:
	global_load_dword v5, v[0:1], off
	s_waitcnt vmcnt(0)
	v_cvt_f16_f32_e32 v5, v5
.LBB215_1890:
	s_mov_b64 s[0:1], 0
.LBB215_1891:
	s_andn2_b64 vcc, exec, s[0:1]
	s_cbranch_vccnz .LBB215_1893
; %bb.1892:
	global_load_dword v5, v[0:1], off
.LBB215_1893:
	s_mov_b64 s[0:1], 0
.LBB215_1894:
	s_andn2_b64 vcc, exec, s[0:1]
	s_cbranch_vccnz .LBB215_1905
; %bb.1895:
	s_cmp_lt_i32 s4, 6
	s_cbranch_scc1 .LBB215_1898
; %bb.1896:
	s_cmp_gt_i32 s4, 6
	s_cbranch_scc0 .LBB215_1899
; %bb.1897:
	global_load_dwordx2 v[8:9], v[0:1], off
	s_movk_i32 s0, 0x1ff
	s_movk_i32 s1, 0xffe
	s_waitcnt vmcnt(1)
	v_mov_b32_e32 v5, 0x7c00
	v_mov_b32_e32 v10, 0x7e00
	s_movk_i32 s5, 0x40f
	s_mov_b32 s15, 0x8000
	s_waitcnt vmcnt(0)
	v_and_or_b32 v8, v9, s0, v8
	v_cmp_ne_u32_e32 vcc, 0, v8
	v_lshrrev_b32_e32 v11, 8, v9
	v_bfe_u32 v12, v9, 20, 11
	v_cndmask_b32_e64 v8, 0, 1, vcc
	v_sub_u32_e32 v13, 0x3f1, v12
	v_and_or_b32 v8, v11, s1, v8
	v_add_u32_e32 v12, 0xfffffc10, v12
	v_med3_i32 v11, v13, 0, 13
	v_or_b32_e32 v13, 0x1000, v8
	v_cmp_ne_u32_e32 vcc, 0, v8
	v_lshl_or_b32 v14, v12, 12, v8
	v_cndmask_b32_e32 v8, v5, v10, vcc
	v_lshrrev_b32_e32 v10, v11, v13
	v_lshlrev_b32_e32 v11, v11, v10
	v_cmp_ne_u32_e32 vcc, v11, v13
	v_cndmask_b32_e64 v11, 0, 1, vcc
	v_or_b32_e32 v10, v10, v11
	v_cmp_gt_i32_e32 vcc, 1, v12
	v_cndmask_b32_e32 v10, v14, v10, vcc
	v_and_b32_e32 v11, 7, v10
	v_cmp_lt_i32_e32 vcc, 5, v11
	v_cndmask_b32_e64 v13, 0, 1, vcc
	v_cmp_eq_u32_e32 vcc, 3, v11
	v_cndmask_b32_e64 v11, 0, 1, vcc
	v_lshrrev_b32_e32 v10, 2, v10
	v_or_b32_e32 v11, v11, v13
	v_add_u32_e32 v10, v10, v11
	v_cmp_gt_i32_e32 vcc, 31, v12
	v_cndmask_b32_e32 v5, v5, v10, vcc
	v_cmp_eq_u32_e32 vcc, s5, v12
	v_lshrrev_b32_e32 v9, 16, v9
	v_cndmask_b32_e32 v5, v5, v8, vcc
	v_and_or_b32 v5, v9, s15, v5
	s_mov_b64 s[0:1], 0
	s_branch .LBB215_1900
.LBB215_1898:
	s_mov_b64 s[0:1], -1
                                        ; implicit-def: $vgpr5
	s_branch .LBB215_1903
.LBB215_1899:
	s_mov_b64 s[0:1], -1
                                        ; implicit-def: $vgpr5
.LBB215_1900:
	s_andn2_b64 vcc, exec, s[0:1]
	s_cbranch_vccnz .LBB215_1902
; %bb.1901:
	global_load_dword v5, v[0:1], off
	s_waitcnt vmcnt(0)
	v_cvt_f16_f32_e32 v5, v5
.LBB215_1902:
	s_mov_b64 s[0:1], 0
.LBB215_1903:
	s_andn2_b64 vcc, exec, s[0:1]
	s_cbranch_vccnz .LBB215_1905
; %bb.1904:
	global_load_ushort v5, v[0:1], off
.LBB215_1905:
	s_mov_b64 s[0:1], 0
.LBB215_1906:
	s_andn2_b64 vcc, exec, s[0:1]
	s_cbranch_vccnz .LBB215_1926
; %bb.1907:
	s_cmp_lt_i32 s4, 2
	s_cbranch_scc1 .LBB215_1911
; %bb.1908:
	s_cmp_lt_i32 s4, 3
	s_cbranch_scc1 .LBB215_1912
; %bb.1909:
	s_cmp_gt_i32 s4, 3
	s_cbranch_scc0 .LBB215_1913
; %bb.1910:
	global_load_dwordx2 v[8:9], v[0:1], off
	s_mov_b64 s[0:1], 0
	s_waitcnt vmcnt(0)
	v_xor_b32_e32 v10, v8, v9
	v_ffbh_i32_e32 v5, v9
	v_ashrrev_i32_e32 v10, 31, v10
	v_add_u32_e32 v5, -1, v5
	v_add_u32_e32 v10, 32, v10
	v_min_u32_e32 v5, v5, v10
	v_lshlrev_b64 v[8:9], v5, v[8:9]
	v_sub_u32_e32 v5, 32, v5
	v_min_u32_e32 v8, 1, v8
	v_or_b32_e32 v8, v9, v8
	v_cvt_f32_i32_e32 v8, v8
	v_ldexp_f32 v5, v8, v5
	v_cvt_f16_f32_e32 v5, v5
	s_branch .LBB215_1914
.LBB215_1911:
	s_mov_b64 s[0:1], -1
                                        ; implicit-def: $vgpr5
	s_branch .LBB215_1920
.LBB215_1912:
	s_mov_b64 s[0:1], -1
                                        ; implicit-def: $vgpr5
	s_branch .LBB215_1917
.LBB215_1913:
	s_mov_b64 s[0:1], -1
                                        ; implicit-def: $vgpr5
.LBB215_1914:
	s_andn2_b64 vcc, exec, s[0:1]
	s_cbranch_vccnz .LBB215_1916
; %bb.1915:
	global_load_dword v5, v[0:1], off
	s_waitcnt vmcnt(0)
	v_cvt_f32_i32_e32 v5, v5
	v_cvt_f16_f32_e32 v5, v5
.LBB215_1916:
	s_mov_b64 s[0:1], 0
.LBB215_1917:
	s_andn2_b64 vcc, exec, s[0:1]
	s_cbranch_vccnz .LBB215_1919
; %bb.1918:
	global_load_ushort v5, v[0:1], off
	s_waitcnt vmcnt(0)
	v_cvt_f16_i16_e32 v5, v5
.LBB215_1919:
	s_mov_b64 s[0:1], 0
.LBB215_1920:
	s_andn2_b64 vcc, exec, s[0:1]
	s_cbranch_vccnz .LBB215_1926
; %bb.1921:
	s_cmp_gt_i32 s4, 0
	s_cbranch_scc0 .LBB215_1923
; %bb.1922:
	global_load_sbyte v5, v[0:1], off
	s_mov_b64 s[0:1], 0
	s_waitcnt vmcnt(0)
	v_cvt_f16_i16_e32 v5, v5
	s_branch .LBB215_1924
.LBB215_1923:
	s_mov_b64 s[0:1], -1
                                        ; implicit-def: $vgpr5
.LBB215_1924:
	s_andn2_b64 vcc, exec, s[0:1]
	s_cbranch_vccnz .LBB215_1926
; %bb.1925:
	global_load_ubyte v0, v[0:1], off
	s_waitcnt vmcnt(0)
	v_cvt_f16_u16_e32 v5, v0
.LBB215_1926:
.LBB215_1927:
	s_lshl_b32 s26, s14, 7
	v_add_u32_e32 v8, s26, v6
	v_ashrrev_i32_e32 v1, 31, v8
	v_mov_b32_e32 v6, s17
	v_add_co_u32_e32 v0, vcc, s16, v8
	s_cmp_lt_i32 s29, 11
	v_addc_co_u32_e32 v1, vcc, v6, v1, vcc
	s_cbranch_scc1 .LBB215_1934
; %bb.1928:
	s_and_b32 s27, 0xffff, s29
	s_cmp_gt_i32 s27, 25
	s_mov_b64 s[4:5], 0
	s_cbranch_scc0 .LBB215_1935
; %bb.1929:
	s_cmp_gt_i32 s27, 28
	s_cbranch_scc0 .LBB215_1936
; %bb.1930:
	s_cmp_gt_i32 s27, 43
	s_cbranch_scc0 .LBB215_1937
; %bb.1931:
	s_cmp_gt_i32 s27, 45
	s_cbranch_scc0 .LBB215_1939
; %bb.1932:
	s_cmp_eq_u32 s27, 46
	s_mov_b64 s[22:23], 0
	s_cbranch_scc0 .LBB215_1940
; %bb.1933:
	global_load_dword v6, v[0:1], off
	s_mov_b64 s[0:1], 0
	s_mov_b64 s[14:15], -1
	s_waitcnt vmcnt(0)
	v_lshlrev_b32_e32 v6, 16, v6
	v_cvt_f16_f32_e32 v6, v6
	s_branch .LBB215_1941
.LBB215_1934:
	s_mov_b64 s[0:1], -1
	s_mov_b64 s[14:15], 0
                                        ; implicit-def: $vgpr6
	s_branch .LBB215_2007
.LBB215_1935:
	s_mov_b64 s[22:23], -1
	s_mov_b64 s[14:15], 0
	s_mov_b64 s[0:1], 0
                                        ; implicit-def: $vgpr6
	s_branch .LBB215_1970
.LBB215_1936:
	s_mov_b64 s[22:23], -1
	s_mov_b64 s[14:15], 0
	s_mov_b64 s[0:1], 0
                                        ; implicit-def: $vgpr6
	s_branch .LBB215_1951
.LBB215_1937:
	s_mov_b64 s[22:23], -1
	s_mov_b64 s[14:15], 0
	s_mov_b64 s[0:1], 0
                                        ; implicit-def: $vgpr6
	s_branch .LBB215_1946
.LBB215_1938:
	s_trap 2
	s_or_b64 s[20:21], s[20:21], exec
	s_cbranch_execz .LBB215_1877
	s_branch .LBB215_1878
.LBB215_1939:
	s_mov_b64 s[22:23], -1
	s_mov_b64 s[14:15], 0
	s_mov_b64 s[0:1], 0
                                        ; implicit-def: $vgpr6
	s_branch .LBB215_1941
.LBB215_1940:
	s_mov_b64 s[0:1], -1
                                        ; implicit-def: $vgpr6
	s_mov_b64 s[14:15], 0
.LBB215_1941:
	s_and_b64 vcc, exec, s[22:23]
	s_cbranch_vccz .LBB215_1945
; %bb.1942:
	s_cmp_eq_u32 s27, 44
	s_cbranch_scc0 .LBB215_1944
; %bb.1943:
	global_load_ubyte v6, v[0:1], off
	s_movk_i32 s14, 0xff
	v_mov_b32_e32 v10, 0x7e00
	s_mov_b64 s[0:1], 0
	s_waitcnt vmcnt(0)
	v_lshlrev_b32_e32 v9, 23, v6
	v_cvt_f16_f32_e32 v9, v9
	v_cmp_ne_u32_e32 vcc, s14, v6
	s_mov_b64 s[14:15], -1
	v_cndmask_b32_e32 v9, v10, v9, vcc
	v_cmp_ne_u32_e32 vcc, 0, v6
	v_cndmask_b32_e32 v6, 0, v9, vcc
	s_branch .LBB215_1945
.LBB215_1944:
	s_mov_b64 s[0:1], -1
                                        ; implicit-def: $vgpr6
.LBB215_1945:
	s_mov_b64 s[22:23], 0
.LBB215_1946:
	s_and_b64 vcc, exec, s[22:23]
	s_cbranch_vccz .LBB215_1950
; %bb.1947:
	s_cmp_eq_u32 s27, 29
	s_cbranch_scc0 .LBB215_1949
; %bb.1948:
	global_load_dwordx2 v[9:10], v[0:1], off
	s_mov_b64 s[0:1], 0
	s_mov_b64 s[14:15], -1
	s_mov_b64 s[22:23], 0
	s_waitcnt vmcnt(0)
	v_ffbh_u32_e32 v6, v10
	v_min_u32_e32 v6, 32, v6
	v_lshlrev_b64 v[9:10], v6, v[9:10]
	v_sub_u32_e32 v6, 32, v6
	v_min_u32_e32 v9, 1, v9
	v_or_b32_e32 v9, v10, v9
	v_cvt_f32_u32_e32 v9, v9
	v_ldexp_f32 v6, v9, v6
	v_cvt_f16_f32_e32 v6, v6
	s_branch .LBB215_1951
.LBB215_1949:
	s_mov_b64 s[0:1], -1
                                        ; implicit-def: $vgpr6
.LBB215_1950:
	s_mov_b64 s[22:23], 0
.LBB215_1951:
	s_and_b64 vcc, exec, s[22:23]
	s_cbranch_vccz .LBB215_1969
; %bb.1952:
	s_cmp_lt_i32 s27, 27
	s_cbranch_scc1 .LBB215_1955
; %bb.1953:
	s_cmp_gt_i32 s27, 27
	s_cbranch_scc0 .LBB215_1956
; %bb.1954:
	global_load_dword v6, v[0:1], off
	s_mov_b64 s[14:15], 0
	s_waitcnt vmcnt(0)
	v_cvt_f32_u32_e32 v6, v6
	v_cvt_f16_f32_e32 v6, v6
	s_branch .LBB215_1957
.LBB215_1955:
	s_mov_b64 s[14:15], -1
                                        ; implicit-def: $vgpr6
	s_branch .LBB215_1960
.LBB215_1956:
	s_mov_b64 s[14:15], -1
                                        ; implicit-def: $vgpr6
.LBB215_1957:
	s_andn2_b64 vcc, exec, s[14:15]
	s_cbranch_vccnz .LBB215_1959
; %bb.1958:
	global_load_ushort v6, v[0:1], off
	s_waitcnt vmcnt(0)
	v_cvt_f16_u16_e32 v6, v6
.LBB215_1959:
	s_mov_b64 s[14:15], 0
.LBB215_1960:
	s_andn2_b64 vcc, exec, s[14:15]
	s_cbranch_vccnz .LBB215_1968
; %bb.1961:
	global_load_ubyte v9, v[0:1], off
	s_movk_i32 s14, 0x7f
	s_waitcnt vmcnt(0)
	v_cmp_lt_i16_e32 vcc, s14, v9
	s_mov_b64 s[14:15], 0
	s_and_saveexec_b64 s[22:23], vcc
	s_xor_b64 s[22:23], exec, s[22:23]
	s_cbranch_execz .LBB215_1982
; %bb.1962:
	s_movk_i32 s14, 0x80
	v_cmp_eq_u16_e32 vcc, s14, v9
	s_mov_b64 s[14:15], -1
	s_and_saveexec_b64 s[24:25], vcc
; %bb.1963:
	s_xor_b64 s[14:15], exec, -1
; %bb.1964:
	s_or_b64 exec, exec, s[24:25]
	s_and_b64 s[14:15], s[14:15], exec
	s_or_saveexec_b64 s[22:23], s[22:23]
	v_mov_b32_e32 v6, 0x7e00
	s_xor_b64 exec, exec, s[22:23]
	s_cbranch_execnz .LBB215_1983
.LBB215_1965:
	s_or_b64 exec, exec, s[22:23]
	s_and_saveexec_b64 s[22:23], s[14:15]
	s_cbranch_execz .LBB215_1967
.LBB215_1966:
	v_lshlrev_b32_e32 v6, 24, v9
	v_and_b32_e32 v9, 0xffff, v9
	v_and_b32_e32 v10, 7, v9
	v_ffbh_u32_e32 v12, v10
	v_min_u32_e32 v12, 32, v12
	v_subrev_u32_e32 v13, 28, v12
	v_bfe_u32 v11, v9, 3, 4
	v_lshlrev_b32_e32 v9, v13, v9
	v_sub_u32_e32 v12, 29, v12
	v_and_b32_e32 v9, 7, v9
	v_cmp_eq_u32_e32 vcc, 0, v11
	v_cndmask_b32_e32 v11, v11, v12, vcc
	v_cndmask_b32_e32 v9, v10, v9, vcc
	v_mov_b32_e32 v10, 0x3b800000
	v_lshlrev_b32_e32 v9, 20, v9
	v_and_b32_e32 v6, 0x80000000, v6
	v_lshl_add_u32 v10, v11, 23, v10
	v_or3_b32 v6, v6, v10, v9
	v_cvt_f16_f32_e32 v6, v6
.LBB215_1967:
	s_or_b64 exec, exec, s[22:23]
.LBB215_1968:
	s_mov_b64 s[14:15], -1
.LBB215_1969:
	s_mov_b64 s[22:23], 0
.LBB215_1970:
	s_and_b64 vcc, exec, s[22:23]
	s_cbranch_vccz .LBB215_2003
; %bb.1971:
	s_cmp_gt_i32 s27, 22
	s_cbranch_scc0 .LBB215_1981
; %bb.1972:
	s_cmp_lt_i32 s27, 24
	s_cbranch_scc1 .LBB215_1984
; %bb.1973:
	s_cmp_gt_i32 s27, 24
	s_cbranch_scc0 .LBB215_1985
; %bb.1974:
	global_load_ubyte v9, v[0:1], off
	s_movk_i32 s4, 0x7f
	s_waitcnt vmcnt(0)
	v_cmp_lt_i16_e32 vcc, s4, v9
	s_mov_b64 s[4:5], 0
	s_and_saveexec_b64 s[14:15], vcc
	s_xor_b64 s[14:15], exec, s[14:15]
	s_cbranch_execz .LBB215_1997
; %bb.1975:
	s_movk_i32 s4, 0x80
	v_cmp_eq_u16_e32 vcc, s4, v9
	s_mov_b64 s[4:5], -1
	s_and_saveexec_b64 s[22:23], vcc
; %bb.1976:
	s_xor_b64 s[4:5], exec, -1
; %bb.1977:
	s_or_b64 exec, exec, s[22:23]
	s_and_b64 s[4:5], s[4:5], exec
	s_or_saveexec_b64 s[14:15], s[14:15]
	v_mov_b32_e32 v6, 0x7e00
	s_xor_b64 exec, exec, s[14:15]
	s_cbranch_execnz .LBB215_1998
.LBB215_1978:
	s_or_b64 exec, exec, s[14:15]
	s_and_saveexec_b64 s[14:15], s[4:5]
	s_cbranch_execz .LBB215_1980
.LBB215_1979:
	v_lshlrev_b32_e32 v6, 24, v9
	v_and_b32_e32 v9, 0xffff, v9
	v_and_b32_e32 v10, 3, v9
	v_ffbh_u32_e32 v12, v10
	v_min_u32_e32 v12, 32, v12
	v_subrev_u32_e32 v13, 29, v12
	v_bfe_u32 v11, v9, 2, 5
	v_lshlrev_b32_e32 v9, v13, v9
	v_sub_u32_e32 v12, 30, v12
	v_and_b32_e32 v9, 3, v9
	v_cmp_eq_u32_e32 vcc, 0, v11
	v_cndmask_b32_e32 v11, v11, v12, vcc
	v_cndmask_b32_e32 v9, v10, v9, vcc
	v_mov_b32_e32 v10, 0x37800000
	v_lshlrev_b32_e32 v9, 21, v9
	v_and_b32_e32 v6, 0x80000000, v6
	v_lshl_add_u32 v10, v11, 23, v10
	v_or3_b32 v6, v6, v10, v9
	v_cvt_f16_f32_e32 v6, v6
.LBB215_1980:
	s_or_b64 exec, exec, s[14:15]
	s_mov_b64 s[4:5], 0
	s_branch .LBB215_1986
.LBB215_1981:
	s_mov_b64 s[4:5], -1
                                        ; implicit-def: $vgpr6
	s_branch .LBB215_1992
.LBB215_1982:
	s_or_saveexec_b64 s[22:23], s[22:23]
	v_mov_b32_e32 v6, 0x7e00
	s_xor_b64 exec, exec, s[22:23]
	s_cbranch_execz .LBB215_1965
.LBB215_1983:
	v_cmp_ne_u16_e32 vcc, 0, v9
	s_andn2_b64 s[14:15], s[14:15], exec
	s_and_b64 s[24:25], vcc, exec
	s_or_b64 s[14:15], s[14:15], s[24:25]
	v_mov_b32_e32 v6, v9
	s_or_b64 exec, exec, s[22:23]
	s_and_saveexec_b64 s[22:23], s[14:15]
	s_cbranch_execnz .LBB215_1966
	s_branch .LBB215_1967
.LBB215_1984:
	s_mov_b64 s[4:5], -1
                                        ; implicit-def: $vgpr6
	s_branch .LBB215_1989
.LBB215_1985:
	s_mov_b64 s[4:5], -1
                                        ; implicit-def: $vgpr6
.LBB215_1986:
	s_and_b64 vcc, exec, s[4:5]
	s_cbranch_vccz .LBB215_1988
; %bb.1987:
	global_load_ubyte v6, v[0:1], off
	s_mov_b32 s4, 0x7f800000
	s_waitcnt vmcnt(0)
	v_lshlrev_b32_e32 v6, 24, v6
	v_and_b32_e32 v9, 0x7f000000, v6
	v_ffbh_u32_e32 v10, v9
	v_min_u32_e32 v10, 32, v10
	v_sub_u32_e64 v10, v10, 4 clamp
	v_lshlrev_b32_e32 v12, v10, v9
	v_lshlrev_b32_e32 v10, 23, v10
	v_lshrrev_b32_e32 v12, 4, v12
	v_add_u32_e32 v11, 0x1000000, v9
	v_sub_u32_e32 v10, v12, v10
	v_ashrrev_i32_e32 v11, 8, v11
	v_add_u32_e32 v10, 0x3c000000, v10
	v_and_or_b32 v10, v11, s4, v10
	v_cmp_ne_u32_e32 vcc, 0, v9
	v_cndmask_b32_e32 v9, 0, v10, vcc
	s_brev_b32 s4, 1
	v_and_or_b32 v6, v6, s4, v9
	v_cvt_f16_f32_e32 v6, v6
.LBB215_1988:
	s_mov_b64 s[4:5], 0
.LBB215_1989:
	s_andn2_b64 vcc, exec, s[4:5]
	s_cbranch_vccnz .LBB215_1991
; %bb.1990:
	global_load_ubyte v6, v[0:1], off
	s_movk_i32 s4, 0x7f00
	s_brev_b32 s5, 16
	s_waitcnt vmcnt(0)
	v_lshlrev_b16_e32 v9, 8, v6
	v_lshlrev_b32_e32 v6, 25, v6
	v_lshrrev_b32_e32 v10, 4, v6
	v_and_or_b32 v11, v9, s4, 0.5
	v_or_b32_e32 v10, 0x70000000, v10
	v_add_f32_e32 v11, -0.5, v11
	v_mul_f32_e32 v10, 0x7800000, v10
	v_cmp_gt_u32_e32 vcc, s5, v6
	v_bfe_i32 v9, v9, 0, 16
	v_cndmask_b32_e32 v6, v10, v11, vcc
	s_brev_b32 s4, 1
	v_and_or_b32 v6, v9, s4, v6
	v_cvt_f16_f32_e32 v6, v6
.LBB215_1991:
	s_mov_b64 s[4:5], 0
	s_mov_b64 s[14:15], -1
.LBB215_1992:
	s_andn2_b64 vcc, exec, s[4:5]
	s_mov_b64 s[4:5], 0
	s_cbranch_vccnz .LBB215_2003
; %bb.1993:
	s_cmp_gt_i32 s27, 14
	s_cbranch_scc0 .LBB215_1996
; %bb.1994:
	s_cmp_eq_u32 s27, 15
	s_cbranch_scc0 .LBB215_1999
; %bb.1995:
	global_load_ushort v6, v[0:1], off
	s_mov_b64 s[0:1], 0
	s_mov_b64 s[14:15], -1
	s_waitcnt vmcnt(0)
	v_lshlrev_b32_e32 v6, 16, v6
	v_cvt_f16_f32_e32 v6, v6
	s_branch .LBB215_2000
.LBB215_1996:
	s_mov_b64 s[22:23], -1
                                        ; implicit-def: $vgpr6
	s_branch .LBB215_2001
.LBB215_1997:
	s_or_saveexec_b64 s[14:15], s[14:15]
	v_mov_b32_e32 v6, 0x7e00
	s_xor_b64 exec, exec, s[14:15]
	s_cbranch_execz .LBB215_1978
.LBB215_1998:
	v_cmp_ne_u16_e32 vcc, 0, v9
	s_andn2_b64 s[4:5], s[4:5], exec
	s_and_b64 s[22:23], vcc, exec
	s_or_b64 s[4:5], s[4:5], s[22:23]
	v_mov_b32_e32 v6, v9
	s_or_b64 exec, exec, s[14:15]
	s_and_saveexec_b64 s[14:15], s[4:5]
	s_cbranch_execnz .LBB215_1979
	s_branch .LBB215_1980
.LBB215_1999:
	s_mov_b64 s[0:1], -1
                                        ; implicit-def: $vgpr6
.LBB215_2000:
	s_mov_b64 s[22:23], 0
.LBB215_2001:
	s_and_b64 vcc, exec, s[22:23]
	s_cbranch_vccz .LBB215_2003
; %bb.2002:
	s_cmp_lg_u32 s27, 11
	s_mov_b64 s[4:5], -1
	s_cselect_b64 s[0:1], -1, 0
.LBB215_2003:
	s_and_b64 vcc, exec, s[0:1]
	s_cbranch_vccnz .LBB215_2068
; %bb.2004:
	s_andn2_b64 vcc, exec, s[4:5]
	s_cbranch_vccnz .LBB215_2006
.LBB215_2005:
	global_load_ubyte v6, v[0:1], off
	v_mov_b32_e32 v9, 0x3c00
	s_mov_b64 s[14:15], -1
	s_waitcnt vmcnt(0)
	v_cmp_ne_u16_e32 vcc, 0, v6
	v_cndmask_b32_e32 v6, 0, v9, vcc
.LBB215_2006:
	s_mov_b64 s[0:1], 0
.LBB215_2007:
	s_and_b64 vcc, exec, s[0:1]
	s_cbranch_vccz .LBB215_2056
; %bb.2008:
	s_and_b32 s4, 0xffff, s29
	s_cmp_lt_i32 s4, 5
	s_cbranch_scc1 .LBB215_2013
; %bb.2009:
	s_cmp_lt_i32 s4, 8
	s_cbranch_scc1 .LBB215_2014
; %bb.2010:
	;; [unrolled: 3-line block ×3, first 2 shown]
	s_cmp_gt_i32 s4, 9
	s_cbranch_scc0 .LBB215_2016
; %bb.2012:
	global_load_dwordx2 v[9:10], v[0:1], off
	s_movk_i32 s0, 0x1ff
	s_movk_i32 s1, 0xffe
	v_mov_b32_e32 v6, 0x7c00
	v_mov_b32_e32 v11, 0x7e00
	s_movk_i32 s5, 0x40f
	s_mov_b32 s14, 0x8000
	s_waitcnt vmcnt(0)
	v_and_or_b32 v9, v10, s0, v9
	v_cmp_ne_u32_e32 vcc, 0, v9
	v_lshrrev_b32_e32 v12, 8, v10
	v_bfe_u32 v13, v10, 20, 11
	v_cndmask_b32_e64 v9, 0, 1, vcc
	v_sub_u32_e32 v14, 0x3f1, v13
	v_and_or_b32 v9, v12, s1, v9
	v_add_u32_e32 v13, 0xfffffc10, v13
	v_med3_i32 v12, v14, 0, 13
	v_or_b32_e32 v14, 0x1000, v9
	v_cmp_ne_u32_e32 vcc, 0, v9
	v_lshl_or_b32 v15, v13, 12, v9
	v_cndmask_b32_e32 v9, v6, v11, vcc
	v_lshrrev_b32_e32 v11, v12, v14
	v_lshlrev_b32_e32 v12, v12, v11
	v_cmp_ne_u32_e32 vcc, v12, v14
	v_cndmask_b32_e64 v12, 0, 1, vcc
	v_or_b32_e32 v11, v11, v12
	v_cmp_gt_i32_e32 vcc, 1, v13
	v_cndmask_b32_e32 v11, v15, v11, vcc
	v_and_b32_e32 v12, 7, v11
	v_cmp_lt_i32_e32 vcc, 5, v12
	v_cndmask_b32_e64 v14, 0, 1, vcc
	v_cmp_eq_u32_e32 vcc, 3, v12
	v_cndmask_b32_e64 v12, 0, 1, vcc
	v_lshrrev_b32_e32 v11, 2, v11
	v_or_b32_e32 v12, v12, v14
	v_add_u32_e32 v11, v11, v12
	v_cmp_gt_i32_e32 vcc, 31, v13
	v_cndmask_b32_e32 v6, v6, v11, vcc
	v_cmp_eq_u32_e32 vcc, s5, v13
	v_lshrrev_b32_e32 v10, 16, v10
	v_cndmask_b32_e32 v6, v6, v9, vcc
	v_and_or_b32 v6, v10, s14, v6
	s_mov_b64 s[0:1], 0
	s_branch .LBB215_2017
.LBB215_2013:
	s_mov_b64 s[0:1], -1
                                        ; implicit-def: $vgpr6
	s_branch .LBB215_2035
.LBB215_2014:
	s_mov_b64 s[0:1], -1
                                        ; implicit-def: $vgpr6
	s_branch .LBB215_2023
.LBB215_2015:
	s_mov_b64 s[0:1], -1
                                        ; implicit-def: $vgpr6
	s_branch .LBB215_2020
.LBB215_2016:
	s_mov_b64 s[0:1], -1
                                        ; implicit-def: $vgpr6
.LBB215_2017:
	s_andn2_b64 vcc, exec, s[0:1]
	s_cbranch_vccnz .LBB215_2019
; %bb.2018:
	global_load_dword v6, v[0:1], off
	s_waitcnt vmcnt(0)
	v_cvt_f16_f32_e32 v6, v6
.LBB215_2019:
	s_mov_b64 s[0:1], 0
.LBB215_2020:
	s_andn2_b64 vcc, exec, s[0:1]
	s_cbranch_vccnz .LBB215_2022
; %bb.2021:
	global_load_dword v6, v[0:1], off
.LBB215_2022:
	s_mov_b64 s[0:1], 0
.LBB215_2023:
	s_andn2_b64 vcc, exec, s[0:1]
	s_cbranch_vccnz .LBB215_2034
; %bb.2024:
	s_cmp_lt_i32 s4, 6
	s_cbranch_scc1 .LBB215_2027
; %bb.2025:
	s_cmp_gt_i32 s4, 6
	s_cbranch_scc0 .LBB215_2028
; %bb.2026:
	global_load_dwordx2 v[9:10], v[0:1], off
	s_movk_i32 s0, 0x1ff
	s_movk_i32 s1, 0xffe
	s_waitcnt vmcnt(1)
	v_mov_b32_e32 v6, 0x7c00
	v_mov_b32_e32 v11, 0x7e00
	s_movk_i32 s5, 0x40f
	s_mov_b32 s14, 0x8000
	s_waitcnt vmcnt(0)
	v_and_or_b32 v9, v10, s0, v9
	v_cmp_ne_u32_e32 vcc, 0, v9
	v_lshrrev_b32_e32 v12, 8, v10
	v_bfe_u32 v13, v10, 20, 11
	v_cndmask_b32_e64 v9, 0, 1, vcc
	v_sub_u32_e32 v14, 0x3f1, v13
	v_and_or_b32 v9, v12, s1, v9
	v_add_u32_e32 v13, 0xfffffc10, v13
	v_med3_i32 v12, v14, 0, 13
	v_or_b32_e32 v14, 0x1000, v9
	v_cmp_ne_u32_e32 vcc, 0, v9
	v_lshl_or_b32 v15, v13, 12, v9
	v_cndmask_b32_e32 v9, v6, v11, vcc
	v_lshrrev_b32_e32 v11, v12, v14
	v_lshlrev_b32_e32 v12, v12, v11
	v_cmp_ne_u32_e32 vcc, v12, v14
	v_cndmask_b32_e64 v12, 0, 1, vcc
	v_or_b32_e32 v11, v11, v12
	v_cmp_gt_i32_e32 vcc, 1, v13
	v_cndmask_b32_e32 v11, v15, v11, vcc
	v_and_b32_e32 v12, 7, v11
	v_cmp_lt_i32_e32 vcc, 5, v12
	v_cndmask_b32_e64 v14, 0, 1, vcc
	v_cmp_eq_u32_e32 vcc, 3, v12
	v_cndmask_b32_e64 v12, 0, 1, vcc
	v_lshrrev_b32_e32 v11, 2, v11
	v_or_b32_e32 v12, v12, v14
	v_add_u32_e32 v11, v11, v12
	v_cmp_gt_i32_e32 vcc, 31, v13
	v_cndmask_b32_e32 v6, v6, v11, vcc
	v_cmp_eq_u32_e32 vcc, s5, v13
	v_lshrrev_b32_e32 v10, 16, v10
	v_cndmask_b32_e32 v6, v6, v9, vcc
	v_and_or_b32 v6, v10, s14, v6
	s_mov_b64 s[0:1], 0
	s_branch .LBB215_2029
.LBB215_2027:
	s_mov_b64 s[0:1], -1
                                        ; implicit-def: $vgpr6
	s_branch .LBB215_2032
.LBB215_2028:
	s_mov_b64 s[0:1], -1
                                        ; implicit-def: $vgpr6
.LBB215_2029:
	s_andn2_b64 vcc, exec, s[0:1]
	s_cbranch_vccnz .LBB215_2031
; %bb.2030:
	global_load_dword v6, v[0:1], off
	s_waitcnt vmcnt(0)
	v_cvt_f16_f32_e32 v6, v6
.LBB215_2031:
	s_mov_b64 s[0:1], 0
.LBB215_2032:
	s_andn2_b64 vcc, exec, s[0:1]
	s_cbranch_vccnz .LBB215_2034
; %bb.2033:
	global_load_ushort v6, v[0:1], off
.LBB215_2034:
	s_mov_b64 s[0:1], 0
.LBB215_2035:
	s_andn2_b64 vcc, exec, s[0:1]
	s_cbranch_vccnz .LBB215_2055
; %bb.2036:
	s_cmp_lt_i32 s4, 2
	s_cbranch_scc1 .LBB215_2040
; %bb.2037:
	s_cmp_lt_i32 s4, 3
	s_cbranch_scc1 .LBB215_2041
; %bb.2038:
	s_cmp_gt_i32 s4, 3
	s_cbranch_scc0 .LBB215_2042
; %bb.2039:
	global_load_dwordx2 v[9:10], v[0:1], off
	s_mov_b64 s[0:1], 0
	s_waitcnt vmcnt(0)
	v_xor_b32_e32 v11, v9, v10
	v_ffbh_i32_e32 v6, v10
	v_ashrrev_i32_e32 v11, 31, v11
	v_add_u32_e32 v6, -1, v6
	v_add_u32_e32 v11, 32, v11
	v_min_u32_e32 v6, v6, v11
	v_lshlrev_b64 v[9:10], v6, v[9:10]
	v_sub_u32_e32 v6, 32, v6
	v_min_u32_e32 v9, 1, v9
	v_or_b32_e32 v9, v10, v9
	v_cvt_f32_i32_e32 v9, v9
	v_ldexp_f32 v6, v9, v6
	v_cvt_f16_f32_e32 v6, v6
	s_branch .LBB215_2043
.LBB215_2040:
	s_mov_b64 s[0:1], -1
                                        ; implicit-def: $vgpr6
	s_branch .LBB215_2049
.LBB215_2041:
	s_mov_b64 s[0:1], -1
                                        ; implicit-def: $vgpr6
	s_branch .LBB215_2046
.LBB215_2042:
	s_mov_b64 s[0:1], -1
                                        ; implicit-def: $vgpr6
.LBB215_2043:
	s_andn2_b64 vcc, exec, s[0:1]
	s_cbranch_vccnz .LBB215_2045
; %bb.2044:
	global_load_dword v6, v[0:1], off
	s_waitcnt vmcnt(0)
	v_cvt_f32_i32_e32 v6, v6
	v_cvt_f16_f32_e32 v6, v6
.LBB215_2045:
	s_mov_b64 s[0:1], 0
.LBB215_2046:
	s_andn2_b64 vcc, exec, s[0:1]
	s_cbranch_vccnz .LBB215_2048
; %bb.2047:
	global_load_ushort v6, v[0:1], off
	s_waitcnt vmcnt(0)
	v_cvt_f16_i16_e32 v6, v6
.LBB215_2048:
	s_mov_b64 s[0:1], 0
.LBB215_2049:
	s_andn2_b64 vcc, exec, s[0:1]
	s_cbranch_vccnz .LBB215_2055
; %bb.2050:
	s_cmp_gt_i32 s4, 0
	s_cbranch_scc0 .LBB215_2052
; %bb.2051:
	global_load_sbyte v6, v[0:1], off
	s_mov_b64 s[0:1], 0
	s_waitcnt vmcnt(0)
	v_cvt_f16_i16_e32 v6, v6
	s_branch .LBB215_2053
.LBB215_2052:
	s_mov_b64 s[0:1], -1
                                        ; implicit-def: $vgpr6
.LBB215_2053:
	s_andn2_b64 vcc, exec, s[0:1]
	s_cbranch_vccnz .LBB215_2055
; %bb.2054:
	global_load_ubyte v0, v[0:1], off
	s_waitcnt vmcnt(0)
	v_cvt_f16_u16_e32 v6, v0
.LBB215_2055:
	s_mov_b64 s[14:15], -1
.LBB215_2056:
	s_andn2_b64 vcc, exec, s[14:15]
	s_cbranch_vccnz .LBB215_3012
; %bb.2057:
	v_add_u32_e32 v9, s13, v7
	v_ashrrev_i32_e32 v1, 31, v9
	v_mov_b32_e32 v7, s11
	v_add_co_u32_e32 v0, vcc, s10, v9
	s_cmp_lt_i32 s28, 11
	v_addc_co_u32_e32 v1, vcc, v7, v1, vcc
	s_cbranch_scc1 .LBB215_2064
; %bb.2058:
	s_and_b32 s27, 0xffff, s28
	s_cmp_gt_i32 s27, 25
	s_mov_b64 s[4:5], 0
	s_cbranch_scc0 .LBB215_2065
; %bb.2059:
	s_cmp_gt_i32 s27, 28
	s_cbranch_scc0 .LBB215_2066
; %bb.2060:
	s_cmp_gt_i32 s27, 43
	;; [unrolled: 3-line block ×3, first 2 shown]
	s_cbranch_scc0 .LBB215_2069
; %bb.2062:
	s_cmp_eq_u32 s27, 46
	s_mov_b64 s[22:23], 0
	s_cbranch_scc0 .LBB215_2070
; %bb.2063:
	global_load_dword v7, v[0:1], off
	s_mov_b64 s[0:1], 0
	s_mov_b64 s[14:15], -1
	s_waitcnt vmcnt(0)
	v_lshlrev_b32_e32 v7, 16, v7
	v_cvt_f16_f32_e32 v7, v7
	s_branch .LBB215_2071
.LBB215_2064:
	s_mov_b64 s[0:1], -1
	s_mov_b64 s[14:15], 0
                                        ; implicit-def: $vgpr7
	s_branch .LBB215_2137
.LBB215_2065:
	s_mov_b64 s[22:23], -1
	s_mov_b64 s[14:15], 0
	s_mov_b64 s[0:1], 0
                                        ; implicit-def: $vgpr7
	s_branch .LBB215_2100
.LBB215_2066:
	s_mov_b64 s[22:23], -1
	s_mov_b64 s[14:15], 0
	s_mov_b64 s[0:1], 0
                                        ; implicit-def: $vgpr7
	s_branch .LBB215_2081
.LBB215_2067:
	s_mov_b64 s[22:23], -1
	s_mov_b64 s[14:15], 0
	s_mov_b64 s[0:1], 0
                                        ; implicit-def: $vgpr7
	s_branch .LBB215_2076
.LBB215_2068:
	s_trap 2
	s_or_b64 s[20:21], s[20:21], exec
	s_cbranch_execz .LBB215_2005
	s_branch .LBB215_2006
.LBB215_2069:
	s_mov_b64 s[22:23], -1
	s_mov_b64 s[14:15], 0
	s_mov_b64 s[0:1], 0
                                        ; implicit-def: $vgpr7
	s_branch .LBB215_2071
.LBB215_2070:
	s_mov_b64 s[0:1], -1
                                        ; implicit-def: $vgpr7
	s_mov_b64 s[14:15], 0
.LBB215_2071:
	s_and_b64 vcc, exec, s[22:23]
	s_cbranch_vccz .LBB215_2075
; %bb.2072:
	s_cmp_eq_u32 s27, 44
	s_cbranch_scc0 .LBB215_2074
; %bb.2073:
	global_load_ubyte v7, v[0:1], off
	s_movk_i32 s14, 0xff
	v_mov_b32_e32 v11, 0x7e00
	s_mov_b64 s[0:1], 0
	s_waitcnt vmcnt(0)
	v_lshlrev_b32_e32 v10, 23, v7
	v_cvt_f16_f32_e32 v10, v10
	v_cmp_ne_u32_e32 vcc, s14, v7
	s_mov_b64 s[14:15], -1
	v_cndmask_b32_e32 v10, v11, v10, vcc
	v_cmp_ne_u32_e32 vcc, 0, v7
	v_cndmask_b32_e32 v7, 0, v10, vcc
	s_branch .LBB215_2075
.LBB215_2074:
	s_mov_b64 s[0:1], -1
                                        ; implicit-def: $vgpr7
.LBB215_2075:
	s_mov_b64 s[22:23], 0
.LBB215_2076:
	s_and_b64 vcc, exec, s[22:23]
	s_cbranch_vccz .LBB215_2080
; %bb.2077:
	s_cmp_eq_u32 s27, 29
	s_cbranch_scc0 .LBB215_2079
; %bb.2078:
	global_load_dwordx2 v[10:11], v[0:1], off
	s_mov_b64 s[0:1], 0
	s_mov_b64 s[14:15], -1
	s_mov_b64 s[22:23], 0
	s_waitcnt vmcnt(0)
	v_ffbh_u32_e32 v7, v11
	v_min_u32_e32 v7, 32, v7
	v_lshlrev_b64 v[10:11], v7, v[10:11]
	v_sub_u32_e32 v7, 32, v7
	v_min_u32_e32 v10, 1, v10
	v_or_b32_e32 v10, v11, v10
	v_cvt_f32_u32_e32 v10, v10
	v_ldexp_f32 v7, v10, v7
	v_cvt_f16_f32_e32 v7, v7
	s_branch .LBB215_2081
.LBB215_2079:
	s_mov_b64 s[0:1], -1
                                        ; implicit-def: $vgpr7
.LBB215_2080:
	s_mov_b64 s[22:23], 0
.LBB215_2081:
	s_and_b64 vcc, exec, s[22:23]
	s_cbranch_vccz .LBB215_2099
; %bb.2082:
	s_cmp_lt_i32 s27, 27
	s_cbranch_scc1 .LBB215_2085
; %bb.2083:
	s_cmp_gt_i32 s27, 27
	s_cbranch_scc0 .LBB215_2086
; %bb.2084:
	global_load_dword v7, v[0:1], off
	s_mov_b64 s[14:15], 0
	s_waitcnt vmcnt(0)
	v_cvt_f32_u32_e32 v7, v7
	v_cvt_f16_f32_e32 v7, v7
	s_branch .LBB215_2087
.LBB215_2085:
	s_mov_b64 s[14:15], -1
                                        ; implicit-def: $vgpr7
	s_branch .LBB215_2090
.LBB215_2086:
	s_mov_b64 s[14:15], -1
                                        ; implicit-def: $vgpr7
.LBB215_2087:
	s_andn2_b64 vcc, exec, s[14:15]
	s_cbranch_vccnz .LBB215_2089
; %bb.2088:
	global_load_ushort v7, v[0:1], off
	s_waitcnt vmcnt(0)
	v_cvt_f16_u16_e32 v7, v7
.LBB215_2089:
	s_mov_b64 s[14:15], 0
.LBB215_2090:
	s_andn2_b64 vcc, exec, s[14:15]
	s_cbranch_vccnz .LBB215_2098
; %bb.2091:
	global_load_ubyte v10, v[0:1], off
	s_movk_i32 s14, 0x7f
	s_waitcnt vmcnt(0)
	v_cmp_lt_i16_e32 vcc, s14, v10
	s_mov_b64 s[14:15], 0
	s_and_saveexec_b64 s[22:23], vcc
	s_xor_b64 s[22:23], exec, s[22:23]
	s_cbranch_execz .LBB215_2112
; %bb.2092:
	s_movk_i32 s14, 0x80
	v_cmp_eq_u16_e32 vcc, s14, v10
	s_mov_b64 s[14:15], -1
	s_and_saveexec_b64 s[24:25], vcc
; %bb.2093:
	s_xor_b64 s[14:15], exec, -1
; %bb.2094:
	s_or_b64 exec, exec, s[24:25]
	s_and_b64 s[14:15], s[14:15], exec
	s_or_saveexec_b64 s[22:23], s[22:23]
	v_mov_b32_e32 v7, 0x7e00
	s_xor_b64 exec, exec, s[22:23]
	s_cbranch_execnz .LBB215_2113
.LBB215_2095:
	s_or_b64 exec, exec, s[22:23]
	s_and_saveexec_b64 s[22:23], s[14:15]
	s_cbranch_execz .LBB215_2097
.LBB215_2096:
	v_lshlrev_b32_e32 v7, 24, v10
	v_and_b32_e32 v10, 0xffff, v10
	v_and_b32_e32 v11, 7, v10
	v_ffbh_u32_e32 v13, v11
	v_min_u32_e32 v13, 32, v13
	v_subrev_u32_e32 v14, 28, v13
	v_bfe_u32 v12, v10, 3, 4
	v_lshlrev_b32_e32 v10, v14, v10
	v_sub_u32_e32 v13, 29, v13
	v_and_b32_e32 v10, 7, v10
	v_cmp_eq_u32_e32 vcc, 0, v12
	v_cndmask_b32_e32 v12, v12, v13, vcc
	v_cndmask_b32_e32 v10, v11, v10, vcc
	v_mov_b32_e32 v11, 0x3b800000
	v_lshlrev_b32_e32 v10, 20, v10
	v_and_b32_e32 v7, 0x80000000, v7
	v_lshl_add_u32 v11, v12, 23, v11
	v_or3_b32 v7, v7, v11, v10
	v_cvt_f16_f32_e32 v7, v7
.LBB215_2097:
	s_or_b64 exec, exec, s[22:23]
.LBB215_2098:
	s_mov_b64 s[14:15], -1
.LBB215_2099:
	s_mov_b64 s[22:23], 0
.LBB215_2100:
	s_and_b64 vcc, exec, s[22:23]
	s_cbranch_vccz .LBB215_2133
; %bb.2101:
	s_cmp_gt_i32 s27, 22
	s_cbranch_scc0 .LBB215_2111
; %bb.2102:
	s_cmp_lt_i32 s27, 24
	s_cbranch_scc1 .LBB215_2114
; %bb.2103:
	s_cmp_gt_i32 s27, 24
	s_cbranch_scc0 .LBB215_2115
; %bb.2104:
	global_load_ubyte v10, v[0:1], off
	s_movk_i32 s4, 0x7f
	s_waitcnt vmcnt(0)
	v_cmp_lt_i16_e32 vcc, s4, v10
	s_mov_b64 s[4:5], 0
	s_and_saveexec_b64 s[14:15], vcc
	s_xor_b64 s[14:15], exec, s[14:15]
	s_cbranch_execz .LBB215_2127
; %bb.2105:
	s_movk_i32 s4, 0x80
	v_cmp_eq_u16_e32 vcc, s4, v10
	s_mov_b64 s[4:5], -1
	s_and_saveexec_b64 s[22:23], vcc
; %bb.2106:
	s_xor_b64 s[4:5], exec, -1
; %bb.2107:
	s_or_b64 exec, exec, s[22:23]
	s_and_b64 s[4:5], s[4:5], exec
	s_or_saveexec_b64 s[14:15], s[14:15]
	v_mov_b32_e32 v7, 0x7e00
	s_xor_b64 exec, exec, s[14:15]
	s_cbranch_execnz .LBB215_2128
.LBB215_2108:
	s_or_b64 exec, exec, s[14:15]
	s_and_saveexec_b64 s[14:15], s[4:5]
	s_cbranch_execz .LBB215_2110
.LBB215_2109:
	v_lshlrev_b32_e32 v7, 24, v10
	v_and_b32_e32 v10, 0xffff, v10
	v_and_b32_e32 v11, 3, v10
	v_ffbh_u32_e32 v13, v11
	v_min_u32_e32 v13, 32, v13
	v_subrev_u32_e32 v14, 29, v13
	v_bfe_u32 v12, v10, 2, 5
	v_lshlrev_b32_e32 v10, v14, v10
	v_sub_u32_e32 v13, 30, v13
	v_and_b32_e32 v10, 3, v10
	v_cmp_eq_u32_e32 vcc, 0, v12
	v_cndmask_b32_e32 v12, v12, v13, vcc
	v_cndmask_b32_e32 v10, v11, v10, vcc
	v_mov_b32_e32 v11, 0x37800000
	v_lshlrev_b32_e32 v10, 21, v10
	v_and_b32_e32 v7, 0x80000000, v7
	v_lshl_add_u32 v11, v12, 23, v11
	v_or3_b32 v7, v7, v11, v10
	v_cvt_f16_f32_e32 v7, v7
.LBB215_2110:
	s_or_b64 exec, exec, s[14:15]
	s_mov_b64 s[4:5], 0
	s_branch .LBB215_2116
.LBB215_2111:
	s_mov_b64 s[4:5], -1
                                        ; implicit-def: $vgpr7
	s_branch .LBB215_2122
.LBB215_2112:
	s_or_saveexec_b64 s[22:23], s[22:23]
	v_mov_b32_e32 v7, 0x7e00
	s_xor_b64 exec, exec, s[22:23]
	s_cbranch_execz .LBB215_2095
.LBB215_2113:
	v_cmp_ne_u16_e32 vcc, 0, v10
	s_andn2_b64 s[14:15], s[14:15], exec
	s_and_b64 s[24:25], vcc, exec
	s_or_b64 s[14:15], s[14:15], s[24:25]
	v_mov_b32_e32 v7, v10
	s_or_b64 exec, exec, s[22:23]
	s_and_saveexec_b64 s[22:23], s[14:15]
	s_cbranch_execnz .LBB215_2096
	s_branch .LBB215_2097
.LBB215_2114:
	s_mov_b64 s[4:5], -1
                                        ; implicit-def: $vgpr7
	s_branch .LBB215_2119
.LBB215_2115:
	s_mov_b64 s[4:5], -1
                                        ; implicit-def: $vgpr7
.LBB215_2116:
	s_and_b64 vcc, exec, s[4:5]
	s_cbranch_vccz .LBB215_2118
; %bb.2117:
	global_load_ubyte v7, v[0:1], off
	s_mov_b32 s4, 0x7f800000
	s_waitcnt vmcnt(0)
	v_lshlrev_b32_e32 v7, 24, v7
	v_and_b32_e32 v10, 0x7f000000, v7
	v_ffbh_u32_e32 v11, v10
	v_min_u32_e32 v11, 32, v11
	v_sub_u32_e64 v11, v11, 4 clamp
	v_lshlrev_b32_e32 v13, v11, v10
	v_lshlrev_b32_e32 v11, 23, v11
	v_lshrrev_b32_e32 v13, 4, v13
	v_add_u32_e32 v12, 0x1000000, v10
	v_sub_u32_e32 v11, v13, v11
	v_ashrrev_i32_e32 v12, 8, v12
	v_add_u32_e32 v11, 0x3c000000, v11
	v_and_or_b32 v11, v12, s4, v11
	v_cmp_ne_u32_e32 vcc, 0, v10
	v_cndmask_b32_e32 v10, 0, v11, vcc
	s_brev_b32 s4, 1
	v_and_or_b32 v7, v7, s4, v10
	v_cvt_f16_f32_e32 v7, v7
.LBB215_2118:
	s_mov_b64 s[4:5], 0
.LBB215_2119:
	s_andn2_b64 vcc, exec, s[4:5]
	s_cbranch_vccnz .LBB215_2121
; %bb.2120:
	global_load_ubyte v7, v[0:1], off
	s_movk_i32 s4, 0x7f00
	s_brev_b32 s5, 16
	s_waitcnt vmcnt(0)
	v_lshlrev_b16_e32 v10, 8, v7
	v_lshlrev_b32_e32 v7, 25, v7
	v_lshrrev_b32_e32 v11, 4, v7
	v_and_or_b32 v12, v10, s4, 0.5
	v_or_b32_e32 v11, 0x70000000, v11
	v_add_f32_e32 v12, -0.5, v12
	v_mul_f32_e32 v11, 0x7800000, v11
	v_cmp_gt_u32_e32 vcc, s5, v7
	v_bfe_i32 v10, v10, 0, 16
	v_cndmask_b32_e32 v7, v11, v12, vcc
	s_brev_b32 s4, 1
	v_and_or_b32 v7, v10, s4, v7
	v_cvt_f16_f32_e32 v7, v7
.LBB215_2121:
	s_mov_b64 s[4:5], 0
	s_mov_b64 s[14:15], -1
.LBB215_2122:
	s_andn2_b64 vcc, exec, s[4:5]
	s_mov_b64 s[4:5], 0
	s_cbranch_vccnz .LBB215_2133
; %bb.2123:
	s_cmp_gt_i32 s27, 14
	s_cbranch_scc0 .LBB215_2126
; %bb.2124:
	s_cmp_eq_u32 s27, 15
	s_cbranch_scc0 .LBB215_2129
; %bb.2125:
	global_load_ushort v7, v[0:1], off
	s_mov_b64 s[0:1], 0
	s_mov_b64 s[14:15], -1
	s_waitcnt vmcnt(0)
	v_lshlrev_b32_e32 v7, 16, v7
	v_cvt_f16_f32_e32 v7, v7
	s_branch .LBB215_2130
.LBB215_2126:
	s_mov_b64 s[22:23], -1
                                        ; implicit-def: $vgpr7
	s_branch .LBB215_2131
.LBB215_2127:
	s_or_saveexec_b64 s[14:15], s[14:15]
	v_mov_b32_e32 v7, 0x7e00
	s_xor_b64 exec, exec, s[14:15]
	s_cbranch_execz .LBB215_2108
.LBB215_2128:
	v_cmp_ne_u16_e32 vcc, 0, v10
	s_andn2_b64 s[4:5], s[4:5], exec
	s_and_b64 s[22:23], vcc, exec
	s_or_b64 s[4:5], s[4:5], s[22:23]
	v_mov_b32_e32 v7, v10
	s_or_b64 exec, exec, s[14:15]
	s_and_saveexec_b64 s[14:15], s[4:5]
	s_cbranch_execnz .LBB215_2109
	s_branch .LBB215_2110
.LBB215_2129:
	s_mov_b64 s[0:1], -1
                                        ; implicit-def: $vgpr7
.LBB215_2130:
	s_mov_b64 s[22:23], 0
.LBB215_2131:
	s_and_b64 vcc, exec, s[22:23]
	s_cbranch_vccz .LBB215_2133
; %bb.2132:
	s_cmp_lg_u32 s27, 11
	s_mov_b64 s[4:5], -1
	s_cselect_b64 s[0:1], -1, 0
.LBB215_2133:
	s_and_b64 vcc, exec, s[0:1]
	s_cbranch_vccnz .LBB215_2198
; %bb.2134:
	s_andn2_b64 vcc, exec, s[4:5]
	s_cbranch_vccnz .LBB215_2136
.LBB215_2135:
	global_load_ubyte v7, v[0:1], off
	v_mov_b32_e32 v10, 0x3c00
	s_mov_b64 s[14:15], -1
	s_waitcnt vmcnt(0)
	v_cmp_ne_u16_e32 vcc, 0, v7
	v_cndmask_b32_e32 v7, 0, v10, vcc
.LBB215_2136:
	s_mov_b64 s[0:1], 0
.LBB215_2137:
	s_and_b64 vcc, exec, s[0:1]
	s_cbranch_vccz .LBB215_2186
; %bb.2138:
	s_and_b32 s4, 0xffff, s28
	s_cmp_lt_i32 s4, 5
	s_cbranch_scc1 .LBB215_2143
; %bb.2139:
	s_cmp_lt_i32 s4, 8
	s_cbranch_scc1 .LBB215_2144
; %bb.2140:
	;; [unrolled: 3-line block ×3, first 2 shown]
	s_cmp_gt_i32 s4, 9
	s_cbranch_scc0 .LBB215_2146
; %bb.2142:
	global_load_dwordx2 v[10:11], v[0:1], off
	s_movk_i32 s0, 0x1ff
	s_movk_i32 s1, 0xffe
	v_mov_b32_e32 v7, 0x7c00
	v_mov_b32_e32 v12, 0x7e00
	s_movk_i32 s5, 0x40f
	s_mov_b32 s14, 0x8000
	s_waitcnt vmcnt(0)
	v_and_or_b32 v10, v11, s0, v10
	v_cmp_ne_u32_e32 vcc, 0, v10
	v_lshrrev_b32_e32 v13, 8, v11
	v_bfe_u32 v14, v11, 20, 11
	v_cndmask_b32_e64 v10, 0, 1, vcc
	v_sub_u32_e32 v15, 0x3f1, v14
	v_and_or_b32 v10, v13, s1, v10
	v_add_u32_e32 v14, 0xfffffc10, v14
	v_med3_i32 v13, v15, 0, 13
	v_or_b32_e32 v15, 0x1000, v10
	v_cmp_ne_u32_e32 vcc, 0, v10
	v_lshl_or_b32 v16, v14, 12, v10
	v_cndmask_b32_e32 v10, v7, v12, vcc
	v_lshrrev_b32_e32 v12, v13, v15
	v_lshlrev_b32_e32 v13, v13, v12
	v_cmp_ne_u32_e32 vcc, v13, v15
	v_cndmask_b32_e64 v13, 0, 1, vcc
	v_or_b32_e32 v12, v12, v13
	v_cmp_gt_i32_e32 vcc, 1, v14
	v_cndmask_b32_e32 v12, v16, v12, vcc
	v_and_b32_e32 v13, 7, v12
	v_cmp_lt_i32_e32 vcc, 5, v13
	v_cndmask_b32_e64 v15, 0, 1, vcc
	v_cmp_eq_u32_e32 vcc, 3, v13
	v_cndmask_b32_e64 v13, 0, 1, vcc
	v_lshrrev_b32_e32 v12, 2, v12
	v_or_b32_e32 v13, v13, v15
	v_add_u32_e32 v12, v12, v13
	v_cmp_gt_i32_e32 vcc, 31, v14
	v_cndmask_b32_e32 v7, v7, v12, vcc
	v_cmp_eq_u32_e32 vcc, s5, v14
	v_lshrrev_b32_e32 v11, 16, v11
	v_cndmask_b32_e32 v7, v7, v10, vcc
	v_and_or_b32 v7, v11, s14, v7
	s_mov_b64 s[0:1], 0
	s_branch .LBB215_2147
.LBB215_2143:
	s_mov_b64 s[0:1], -1
                                        ; implicit-def: $vgpr7
	s_branch .LBB215_2165
.LBB215_2144:
	s_mov_b64 s[0:1], -1
                                        ; implicit-def: $vgpr7
	s_branch .LBB215_2153
.LBB215_2145:
	s_mov_b64 s[0:1], -1
                                        ; implicit-def: $vgpr7
	s_branch .LBB215_2150
.LBB215_2146:
	s_mov_b64 s[0:1], -1
                                        ; implicit-def: $vgpr7
.LBB215_2147:
	s_andn2_b64 vcc, exec, s[0:1]
	s_cbranch_vccnz .LBB215_2149
; %bb.2148:
	global_load_dword v7, v[0:1], off
	s_waitcnt vmcnt(0)
	v_cvt_f16_f32_e32 v7, v7
.LBB215_2149:
	s_mov_b64 s[0:1], 0
.LBB215_2150:
	s_andn2_b64 vcc, exec, s[0:1]
	s_cbranch_vccnz .LBB215_2152
; %bb.2151:
	global_load_dword v7, v[0:1], off
.LBB215_2152:
	s_mov_b64 s[0:1], 0
.LBB215_2153:
	s_andn2_b64 vcc, exec, s[0:1]
	s_cbranch_vccnz .LBB215_2164
; %bb.2154:
	s_cmp_lt_i32 s4, 6
	s_cbranch_scc1 .LBB215_2157
; %bb.2155:
	s_cmp_gt_i32 s4, 6
	s_cbranch_scc0 .LBB215_2158
; %bb.2156:
	global_load_dwordx2 v[10:11], v[0:1], off
	s_movk_i32 s0, 0x1ff
	s_movk_i32 s1, 0xffe
	s_waitcnt vmcnt(1)
	v_mov_b32_e32 v7, 0x7c00
	v_mov_b32_e32 v12, 0x7e00
	s_movk_i32 s5, 0x40f
	s_mov_b32 s14, 0x8000
	s_waitcnt vmcnt(0)
	v_and_or_b32 v10, v11, s0, v10
	v_cmp_ne_u32_e32 vcc, 0, v10
	v_lshrrev_b32_e32 v13, 8, v11
	v_bfe_u32 v14, v11, 20, 11
	v_cndmask_b32_e64 v10, 0, 1, vcc
	v_sub_u32_e32 v15, 0x3f1, v14
	v_and_or_b32 v10, v13, s1, v10
	v_add_u32_e32 v14, 0xfffffc10, v14
	v_med3_i32 v13, v15, 0, 13
	v_or_b32_e32 v15, 0x1000, v10
	v_cmp_ne_u32_e32 vcc, 0, v10
	v_lshl_or_b32 v16, v14, 12, v10
	v_cndmask_b32_e32 v10, v7, v12, vcc
	v_lshrrev_b32_e32 v12, v13, v15
	v_lshlrev_b32_e32 v13, v13, v12
	v_cmp_ne_u32_e32 vcc, v13, v15
	v_cndmask_b32_e64 v13, 0, 1, vcc
	v_or_b32_e32 v12, v12, v13
	v_cmp_gt_i32_e32 vcc, 1, v14
	v_cndmask_b32_e32 v12, v16, v12, vcc
	v_and_b32_e32 v13, 7, v12
	v_cmp_lt_i32_e32 vcc, 5, v13
	v_cndmask_b32_e64 v15, 0, 1, vcc
	v_cmp_eq_u32_e32 vcc, 3, v13
	v_cndmask_b32_e64 v13, 0, 1, vcc
	v_lshrrev_b32_e32 v12, 2, v12
	v_or_b32_e32 v13, v13, v15
	v_add_u32_e32 v12, v12, v13
	v_cmp_gt_i32_e32 vcc, 31, v14
	v_cndmask_b32_e32 v7, v7, v12, vcc
	v_cmp_eq_u32_e32 vcc, s5, v14
	v_lshrrev_b32_e32 v11, 16, v11
	v_cndmask_b32_e32 v7, v7, v10, vcc
	v_and_or_b32 v7, v11, s14, v7
	s_mov_b64 s[0:1], 0
	s_branch .LBB215_2159
.LBB215_2157:
	s_mov_b64 s[0:1], -1
                                        ; implicit-def: $vgpr7
	s_branch .LBB215_2162
.LBB215_2158:
	s_mov_b64 s[0:1], -1
                                        ; implicit-def: $vgpr7
.LBB215_2159:
	s_andn2_b64 vcc, exec, s[0:1]
	s_cbranch_vccnz .LBB215_2161
; %bb.2160:
	global_load_dword v7, v[0:1], off
	s_waitcnt vmcnt(0)
	v_cvt_f16_f32_e32 v7, v7
.LBB215_2161:
	s_mov_b64 s[0:1], 0
.LBB215_2162:
	s_andn2_b64 vcc, exec, s[0:1]
	s_cbranch_vccnz .LBB215_2164
; %bb.2163:
	global_load_ushort v7, v[0:1], off
.LBB215_2164:
	s_mov_b64 s[0:1], 0
.LBB215_2165:
	s_andn2_b64 vcc, exec, s[0:1]
	s_cbranch_vccnz .LBB215_2185
; %bb.2166:
	s_cmp_lt_i32 s4, 2
	s_cbranch_scc1 .LBB215_2170
; %bb.2167:
	s_cmp_lt_i32 s4, 3
	s_cbranch_scc1 .LBB215_2171
; %bb.2168:
	s_cmp_gt_i32 s4, 3
	s_cbranch_scc0 .LBB215_2172
; %bb.2169:
	global_load_dwordx2 v[10:11], v[0:1], off
	s_mov_b64 s[0:1], 0
	s_waitcnt vmcnt(0)
	v_xor_b32_e32 v12, v10, v11
	v_ffbh_i32_e32 v7, v11
	v_ashrrev_i32_e32 v12, 31, v12
	v_add_u32_e32 v7, -1, v7
	v_add_u32_e32 v12, 32, v12
	v_min_u32_e32 v7, v7, v12
	v_lshlrev_b64 v[10:11], v7, v[10:11]
	v_sub_u32_e32 v7, 32, v7
	v_min_u32_e32 v10, 1, v10
	v_or_b32_e32 v10, v11, v10
	v_cvt_f32_i32_e32 v10, v10
	v_ldexp_f32 v7, v10, v7
	v_cvt_f16_f32_e32 v7, v7
	s_branch .LBB215_2173
.LBB215_2170:
	s_mov_b64 s[0:1], -1
                                        ; implicit-def: $vgpr7
	s_branch .LBB215_2179
.LBB215_2171:
	s_mov_b64 s[0:1], -1
                                        ; implicit-def: $vgpr7
	s_branch .LBB215_2176
.LBB215_2172:
	s_mov_b64 s[0:1], -1
                                        ; implicit-def: $vgpr7
.LBB215_2173:
	s_andn2_b64 vcc, exec, s[0:1]
	s_cbranch_vccnz .LBB215_2175
; %bb.2174:
	global_load_dword v7, v[0:1], off
	s_waitcnt vmcnt(0)
	v_cvt_f32_i32_e32 v7, v7
	v_cvt_f16_f32_e32 v7, v7
.LBB215_2175:
	s_mov_b64 s[0:1], 0
.LBB215_2176:
	s_andn2_b64 vcc, exec, s[0:1]
	s_cbranch_vccnz .LBB215_2178
; %bb.2177:
	global_load_ushort v7, v[0:1], off
	s_waitcnt vmcnt(0)
	v_cvt_f16_i16_e32 v7, v7
.LBB215_2178:
	s_mov_b64 s[0:1], 0
.LBB215_2179:
	s_andn2_b64 vcc, exec, s[0:1]
	s_cbranch_vccnz .LBB215_2185
; %bb.2180:
	s_cmp_gt_i32 s4, 0
	s_cbranch_scc0 .LBB215_2182
; %bb.2181:
	global_load_sbyte v7, v[0:1], off
	s_mov_b64 s[0:1], 0
	s_waitcnt vmcnt(0)
	v_cvt_f16_i16_e32 v7, v7
	s_branch .LBB215_2183
.LBB215_2182:
	s_mov_b64 s[0:1], -1
                                        ; implicit-def: $vgpr7
.LBB215_2183:
	s_andn2_b64 vcc, exec, s[0:1]
	s_cbranch_vccnz .LBB215_2185
; %bb.2184:
	global_load_ubyte v0, v[0:1], off
	s_waitcnt vmcnt(0)
	v_cvt_f16_u16_e32 v7, v0
.LBB215_2185:
	s_mov_b64 s[14:15], -1
.LBB215_2186:
	s_andn2_b64 vcc, exec, s[14:15]
	s_cbranch_vccnz .LBB215_3012
; %bb.2187:
	v_add_u32_e32 v10, s26, v8
	v_ashrrev_i32_e32 v1, 31, v10
	v_mov_b32_e32 v8, s17
	v_add_co_u32_e32 v0, vcc, s16, v10
	s_cmp_lt_i32 s29, 11
	v_addc_co_u32_e32 v1, vcc, v8, v1, vcc
	s_cbranch_scc1 .LBB215_2194
; %bb.2188:
	s_and_b32 s27, 0xffff, s29
	s_cmp_gt_i32 s27, 25
	s_mov_b64 s[4:5], 0
	s_cbranch_scc0 .LBB215_2195
; %bb.2189:
	s_cmp_gt_i32 s27, 28
	s_cbranch_scc0 .LBB215_2196
; %bb.2190:
	s_cmp_gt_i32 s27, 43
	;; [unrolled: 3-line block ×3, first 2 shown]
	s_cbranch_scc0 .LBB215_2199
; %bb.2192:
	s_cmp_eq_u32 s27, 46
	s_mov_b64 s[22:23], 0
	s_cbranch_scc0 .LBB215_2202
; %bb.2193:
	global_load_dword v8, v[0:1], off
	s_mov_b64 s[0:1], 0
	s_mov_b64 s[14:15], -1
	s_waitcnt vmcnt(0)
	v_lshlrev_b32_e32 v8, 16, v8
	v_cvt_f16_f32_e32 v8, v8
	s_branch .LBB215_2203
.LBB215_2194:
	s_mov_b64 s[0:1], -1
	s_mov_b64 s[14:15], 0
                                        ; implicit-def: $vgpr8
	s_branch .LBB215_2269
.LBB215_2195:
	s_mov_b64 s[22:23], -1
	s_mov_b64 s[14:15], 0
	s_mov_b64 s[0:1], 0
                                        ; implicit-def: $vgpr8
	s_branch .LBB215_2232
.LBB215_2196:
	s_mov_b64 s[22:23], -1
	s_mov_b64 s[14:15], 0
	s_mov_b64 s[0:1], 0
                                        ; implicit-def: $vgpr8
	s_branch .LBB215_2213
.LBB215_2197:
	s_mov_b64 s[22:23], -1
	s_mov_b64 s[14:15], 0
	s_mov_b64 s[0:1], 0
                                        ; implicit-def: $vgpr8
	s_branch .LBB215_2208
.LBB215_2198:
	s_trap 2
	s_or_b64 s[20:21], s[20:21], exec
	s_cbranch_execz .LBB215_2135
	s_branch .LBB215_2136
.LBB215_2199:
	s_mov_b64 s[22:23], -1
	s_mov_b64 s[14:15], 0
	s_mov_b64 s[0:1], 0
                                        ; implicit-def: $vgpr8
	s_branch .LBB215_2203
.LBB215_2200:
	s_andn2_saveexec_b64 s[46:47], s[46:47]
	s_cbranch_execz .LBB215_1085
.LBB215_2201:
	s_mov_b32 s51, 0x42800000
	v_add_f32_e64 v5, |v4|, s51
	v_and_b32_e32 v5, 0xff, v5
	v_cmp_ne_u32_e32 vcc, 0, v5
	s_andn2_b64 s[44:45], s[44:45], exec
	s_and_b64 s[52:53], vcc, exec
	s_or_b64 s[44:45], s[44:45], s[52:53]
	s_or_b64 exec, exec, s[46:47]
	v_mov_b32_e32 v6, 0
	s_and_saveexec_b64 s[46:47], s[44:45]
	s_cbranch_execnz .LBB215_1086
	s_branch .LBB215_1087
.LBB215_2202:
	s_mov_b64 s[0:1], -1
                                        ; implicit-def: $vgpr8
	s_mov_b64 s[14:15], 0
.LBB215_2203:
	s_and_b64 vcc, exec, s[22:23]
	s_cbranch_vccz .LBB215_2207
; %bb.2204:
	s_cmp_eq_u32 s27, 44
	s_cbranch_scc0 .LBB215_2206
; %bb.2205:
	global_load_ubyte v8, v[0:1], off
	s_movk_i32 s14, 0xff
	v_mov_b32_e32 v12, 0x7e00
	s_mov_b64 s[0:1], 0
	s_waitcnt vmcnt(0)
	v_lshlrev_b32_e32 v11, 23, v8
	v_cvt_f16_f32_e32 v11, v11
	v_cmp_ne_u32_e32 vcc, s14, v8
	s_mov_b64 s[14:15], -1
	v_cndmask_b32_e32 v11, v12, v11, vcc
	v_cmp_ne_u32_e32 vcc, 0, v8
	v_cndmask_b32_e32 v8, 0, v11, vcc
	s_branch .LBB215_2207
.LBB215_2206:
	s_mov_b64 s[0:1], -1
                                        ; implicit-def: $vgpr8
.LBB215_2207:
	s_mov_b64 s[22:23], 0
.LBB215_2208:
	s_and_b64 vcc, exec, s[22:23]
	s_cbranch_vccz .LBB215_2212
; %bb.2209:
	s_cmp_eq_u32 s27, 29
	s_cbranch_scc0 .LBB215_2211
; %bb.2210:
	global_load_dwordx2 v[11:12], v[0:1], off
	s_mov_b64 s[0:1], 0
	s_mov_b64 s[14:15], -1
	s_mov_b64 s[22:23], 0
	s_waitcnt vmcnt(0)
	v_ffbh_u32_e32 v8, v12
	v_min_u32_e32 v8, 32, v8
	v_lshlrev_b64 v[11:12], v8, v[11:12]
	v_sub_u32_e32 v8, 32, v8
	v_min_u32_e32 v11, 1, v11
	v_or_b32_e32 v11, v12, v11
	v_cvt_f32_u32_e32 v11, v11
	v_ldexp_f32 v8, v11, v8
	v_cvt_f16_f32_e32 v8, v8
	s_branch .LBB215_2213
.LBB215_2211:
	s_mov_b64 s[0:1], -1
                                        ; implicit-def: $vgpr8
.LBB215_2212:
	s_mov_b64 s[22:23], 0
.LBB215_2213:
	s_and_b64 vcc, exec, s[22:23]
	s_cbranch_vccz .LBB215_2231
; %bb.2214:
	s_cmp_lt_i32 s27, 27
	s_cbranch_scc1 .LBB215_2217
; %bb.2215:
	s_cmp_gt_i32 s27, 27
	s_cbranch_scc0 .LBB215_2218
; %bb.2216:
	global_load_dword v8, v[0:1], off
	s_mov_b64 s[14:15], 0
	s_waitcnt vmcnt(0)
	v_cvt_f32_u32_e32 v8, v8
	v_cvt_f16_f32_e32 v8, v8
	s_branch .LBB215_2219
.LBB215_2217:
	s_mov_b64 s[14:15], -1
                                        ; implicit-def: $vgpr8
	s_branch .LBB215_2222
.LBB215_2218:
	s_mov_b64 s[14:15], -1
                                        ; implicit-def: $vgpr8
.LBB215_2219:
	s_andn2_b64 vcc, exec, s[14:15]
	s_cbranch_vccnz .LBB215_2221
; %bb.2220:
	global_load_ushort v8, v[0:1], off
	s_waitcnt vmcnt(0)
	v_cvt_f16_u16_e32 v8, v8
.LBB215_2221:
	s_mov_b64 s[14:15], 0
.LBB215_2222:
	s_andn2_b64 vcc, exec, s[14:15]
	s_cbranch_vccnz .LBB215_2230
; %bb.2223:
	global_load_ubyte v11, v[0:1], off
	s_movk_i32 s14, 0x7f
	s_waitcnt vmcnt(0)
	v_cmp_lt_i16_e32 vcc, s14, v11
	s_mov_b64 s[14:15], 0
	s_and_saveexec_b64 s[22:23], vcc
	s_xor_b64 s[22:23], exec, s[22:23]
	s_cbranch_execz .LBB215_2244
; %bb.2224:
	s_movk_i32 s14, 0x80
	v_cmp_eq_u16_e32 vcc, s14, v11
	s_mov_b64 s[14:15], -1
	s_and_saveexec_b64 s[24:25], vcc
; %bb.2225:
	s_xor_b64 s[14:15], exec, -1
; %bb.2226:
	s_or_b64 exec, exec, s[24:25]
	s_and_b64 s[14:15], s[14:15], exec
	s_or_saveexec_b64 s[22:23], s[22:23]
	v_mov_b32_e32 v8, 0x7e00
	s_xor_b64 exec, exec, s[22:23]
	s_cbranch_execnz .LBB215_2245
.LBB215_2227:
	s_or_b64 exec, exec, s[22:23]
	s_and_saveexec_b64 s[22:23], s[14:15]
	s_cbranch_execz .LBB215_2229
.LBB215_2228:
	v_lshlrev_b32_e32 v8, 24, v11
	v_and_b32_e32 v11, 0xffff, v11
	v_and_b32_e32 v12, 7, v11
	v_ffbh_u32_e32 v14, v12
	v_min_u32_e32 v14, 32, v14
	v_subrev_u32_e32 v15, 28, v14
	v_bfe_u32 v13, v11, 3, 4
	v_lshlrev_b32_e32 v11, v15, v11
	v_sub_u32_e32 v14, 29, v14
	v_and_b32_e32 v11, 7, v11
	v_cmp_eq_u32_e32 vcc, 0, v13
	v_cndmask_b32_e32 v13, v13, v14, vcc
	v_cndmask_b32_e32 v11, v12, v11, vcc
	v_mov_b32_e32 v12, 0x3b800000
	v_lshlrev_b32_e32 v11, 20, v11
	v_and_b32_e32 v8, 0x80000000, v8
	v_lshl_add_u32 v12, v13, 23, v12
	v_or3_b32 v8, v8, v12, v11
	v_cvt_f16_f32_e32 v8, v8
.LBB215_2229:
	s_or_b64 exec, exec, s[22:23]
.LBB215_2230:
	s_mov_b64 s[14:15], -1
.LBB215_2231:
	s_mov_b64 s[22:23], 0
.LBB215_2232:
	s_and_b64 vcc, exec, s[22:23]
	s_cbranch_vccz .LBB215_2265
; %bb.2233:
	s_cmp_gt_i32 s27, 22
	s_cbranch_scc0 .LBB215_2243
; %bb.2234:
	s_cmp_lt_i32 s27, 24
	s_cbranch_scc1 .LBB215_2246
; %bb.2235:
	s_cmp_gt_i32 s27, 24
	s_cbranch_scc0 .LBB215_2247
; %bb.2236:
	global_load_ubyte v11, v[0:1], off
	s_movk_i32 s4, 0x7f
	s_waitcnt vmcnt(0)
	v_cmp_lt_i16_e32 vcc, s4, v11
	s_mov_b64 s[4:5], 0
	s_and_saveexec_b64 s[14:15], vcc
	s_xor_b64 s[14:15], exec, s[14:15]
	s_cbranch_execz .LBB215_2259
; %bb.2237:
	s_movk_i32 s4, 0x80
	v_cmp_eq_u16_e32 vcc, s4, v11
	s_mov_b64 s[4:5], -1
	s_and_saveexec_b64 s[22:23], vcc
; %bb.2238:
	s_xor_b64 s[4:5], exec, -1
; %bb.2239:
	s_or_b64 exec, exec, s[22:23]
	s_and_b64 s[4:5], s[4:5], exec
	s_or_saveexec_b64 s[14:15], s[14:15]
	v_mov_b32_e32 v8, 0x7e00
	s_xor_b64 exec, exec, s[14:15]
	s_cbranch_execnz .LBB215_2260
.LBB215_2240:
	s_or_b64 exec, exec, s[14:15]
	s_and_saveexec_b64 s[14:15], s[4:5]
	s_cbranch_execz .LBB215_2242
.LBB215_2241:
	v_lshlrev_b32_e32 v8, 24, v11
	v_and_b32_e32 v11, 0xffff, v11
	v_and_b32_e32 v12, 3, v11
	v_ffbh_u32_e32 v14, v12
	v_min_u32_e32 v14, 32, v14
	v_subrev_u32_e32 v15, 29, v14
	v_bfe_u32 v13, v11, 2, 5
	v_lshlrev_b32_e32 v11, v15, v11
	v_sub_u32_e32 v14, 30, v14
	v_and_b32_e32 v11, 3, v11
	v_cmp_eq_u32_e32 vcc, 0, v13
	v_cndmask_b32_e32 v13, v13, v14, vcc
	v_cndmask_b32_e32 v11, v12, v11, vcc
	v_mov_b32_e32 v12, 0x37800000
	v_lshlrev_b32_e32 v11, 21, v11
	v_and_b32_e32 v8, 0x80000000, v8
	v_lshl_add_u32 v12, v13, 23, v12
	v_or3_b32 v8, v8, v12, v11
	v_cvt_f16_f32_e32 v8, v8
.LBB215_2242:
	s_or_b64 exec, exec, s[14:15]
	s_mov_b64 s[4:5], 0
	s_branch .LBB215_2248
.LBB215_2243:
	s_mov_b64 s[4:5], -1
                                        ; implicit-def: $vgpr8
	s_branch .LBB215_2254
.LBB215_2244:
	s_or_saveexec_b64 s[22:23], s[22:23]
	v_mov_b32_e32 v8, 0x7e00
	s_xor_b64 exec, exec, s[22:23]
	s_cbranch_execz .LBB215_2227
.LBB215_2245:
	v_cmp_ne_u16_e32 vcc, 0, v11
	s_andn2_b64 s[14:15], s[14:15], exec
	s_and_b64 s[24:25], vcc, exec
	s_or_b64 s[14:15], s[14:15], s[24:25]
	v_mov_b32_e32 v8, v11
	s_or_b64 exec, exec, s[22:23]
	s_and_saveexec_b64 s[22:23], s[14:15]
	s_cbranch_execnz .LBB215_2228
	s_branch .LBB215_2229
.LBB215_2246:
	s_mov_b64 s[4:5], -1
                                        ; implicit-def: $vgpr8
	s_branch .LBB215_2251
.LBB215_2247:
	s_mov_b64 s[4:5], -1
                                        ; implicit-def: $vgpr8
.LBB215_2248:
	s_and_b64 vcc, exec, s[4:5]
	s_cbranch_vccz .LBB215_2250
; %bb.2249:
	global_load_ubyte v8, v[0:1], off
	s_mov_b32 s4, 0x7f800000
	s_waitcnt vmcnt(0)
	v_lshlrev_b32_e32 v8, 24, v8
	v_and_b32_e32 v11, 0x7f000000, v8
	v_ffbh_u32_e32 v12, v11
	v_min_u32_e32 v12, 32, v12
	v_sub_u32_e64 v12, v12, 4 clamp
	v_lshlrev_b32_e32 v14, v12, v11
	v_lshlrev_b32_e32 v12, 23, v12
	v_lshrrev_b32_e32 v14, 4, v14
	v_add_u32_e32 v13, 0x1000000, v11
	v_sub_u32_e32 v12, v14, v12
	v_ashrrev_i32_e32 v13, 8, v13
	v_add_u32_e32 v12, 0x3c000000, v12
	v_and_or_b32 v12, v13, s4, v12
	v_cmp_ne_u32_e32 vcc, 0, v11
	v_cndmask_b32_e32 v11, 0, v12, vcc
	s_brev_b32 s4, 1
	v_and_or_b32 v8, v8, s4, v11
	v_cvt_f16_f32_e32 v8, v8
.LBB215_2250:
	s_mov_b64 s[4:5], 0
.LBB215_2251:
	s_andn2_b64 vcc, exec, s[4:5]
	s_cbranch_vccnz .LBB215_2253
; %bb.2252:
	global_load_ubyte v8, v[0:1], off
	s_movk_i32 s4, 0x7f00
	s_brev_b32 s5, 16
	s_waitcnt vmcnt(0)
	v_lshlrev_b16_e32 v11, 8, v8
	v_lshlrev_b32_e32 v8, 25, v8
	v_lshrrev_b32_e32 v12, 4, v8
	v_and_or_b32 v13, v11, s4, 0.5
	v_or_b32_e32 v12, 0x70000000, v12
	v_add_f32_e32 v13, -0.5, v13
	v_mul_f32_e32 v12, 0x7800000, v12
	v_cmp_gt_u32_e32 vcc, s5, v8
	v_bfe_i32 v11, v11, 0, 16
	v_cndmask_b32_e32 v8, v12, v13, vcc
	s_brev_b32 s4, 1
	v_and_or_b32 v8, v11, s4, v8
	v_cvt_f16_f32_e32 v8, v8
.LBB215_2253:
	s_mov_b64 s[4:5], 0
	s_mov_b64 s[14:15], -1
.LBB215_2254:
	s_andn2_b64 vcc, exec, s[4:5]
	s_mov_b64 s[4:5], 0
	s_cbranch_vccnz .LBB215_2265
; %bb.2255:
	s_cmp_gt_i32 s27, 14
	s_cbranch_scc0 .LBB215_2258
; %bb.2256:
	s_cmp_eq_u32 s27, 15
	s_cbranch_scc0 .LBB215_2261
; %bb.2257:
	global_load_ushort v8, v[0:1], off
	s_mov_b64 s[0:1], 0
	s_mov_b64 s[14:15], -1
	s_waitcnt vmcnt(0)
	v_lshlrev_b32_e32 v8, 16, v8
	v_cvt_f16_f32_e32 v8, v8
	s_branch .LBB215_2262
.LBB215_2258:
	s_mov_b64 s[22:23], -1
                                        ; implicit-def: $vgpr8
	s_branch .LBB215_2263
.LBB215_2259:
	s_or_saveexec_b64 s[14:15], s[14:15]
	v_mov_b32_e32 v8, 0x7e00
	s_xor_b64 exec, exec, s[14:15]
	s_cbranch_execz .LBB215_2240
.LBB215_2260:
	v_cmp_ne_u16_e32 vcc, 0, v11
	s_andn2_b64 s[4:5], s[4:5], exec
	s_and_b64 s[22:23], vcc, exec
	s_or_b64 s[4:5], s[4:5], s[22:23]
	v_mov_b32_e32 v8, v11
	s_or_b64 exec, exec, s[14:15]
	s_and_saveexec_b64 s[14:15], s[4:5]
	s_cbranch_execnz .LBB215_2241
	s_branch .LBB215_2242
.LBB215_2261:
	s_mov_b64 s[0:1], -1
                                        ; implicit-def: $vgpr8
.LBB215_2262:
	s_mov_b64 s[22:23], 0
.LBB215_2263:
	s_and_b64 vcc, exec, s[22:23]
	s_cbranch_vccz .LBB215_2265
; %bb.2264:
	s_cmp_lg_u32 s27, 11
	s_mov_b64 s[4:5], -1
	s_cselect_b64 s[0:1], -1, 0
.LBB215_2265:
	s_and_b64 vcc, exec, s[0:1]
	s_cbranch_vccnz .LBB215_2330
; %bb.2266:
	s_andn2_b64 vcc, exec, s[4:5]
	s_cbranch_vccnz .LBB215_2268
.LBB215_2267:
	global_load_ubyte v8, v[0:1], off
	v_mov_b32_e32 v11, 0x3c00
	s_mov_b64 s[14:15], -1
	s_waitcnt vmcnt(0)
	v_cmp_ne_u16_e32 vcc, 0, v8
	v_cndmask_b32_e32 v8, 0, v11, vcc
.LBB215_2268:
	s_mov_b64 s[0:1], 0
.LBB215_2269:
	s_and_b64 vcc, exec, s[0:1]
	s_cbranch_vccz .LBB215_2318
; %bb.2270:
	s_and_b32 s4, 0xffff, s29
	s_cmp_lt_i32 s4, 5
	s_cbranch_scc1 .LBB215_2275
; %bb.2271:
	s_cmp_lt_i32 s4, 8
	s_cbranch_scc1 .LBB215_2276
; %bb.2272:
	;; [unrolled: 3-line block ×3, first 2 shown]
	s_cmp_gt_i32 s4, 9
	s_cbranch_scc0 .LBB215_2278
; %bb.2274:
	global_load_dwordx2 v[11:12], v[0:1], off
	s_movk_i32 s0, 0x1ff
	s_movk_i32 s1, 0xffe
	v_mov_b32_e32 v8, 0x7c00
	v_mov_b32_e32 v13, 0x7e00
	s_movk_i32 s5, 0x40f
	s_mov_b32 s14, 0x8000
	s_waitcnt vmcnt(0)
	v_and_or_b32 v11, v12, s0, v11
	v_cmp_ne_u32_e32 vcc, 0, v11
	v_lshrrev_b32_e32 v14, 8, v12
	v_bfe_u32 v15, v12, 20, 11
	v_cndmask_b32_e64 v11, 0, 1, vcc
	v_sub_u32_e32 v16, 0x3f1, v15
	v_and_or_b32 v11, v14, s1, v11
	v_add_u32_e32 v15, 0xfffffc10, v15
	v_med3_i32 v14, v16, 0, 13
	v_or_b32_e32 v16, 0x1000, v11
	v_cmp_ne_u32_e32 vcc, 0, v11
	v_lshl_or_b32 v17, v15, 12, v11
	v_cndmask_b32_e32 v11, v8, v13, vcc
	v_lshrrev_b32_e32 v13, v14, v16
	v_lshlrev_b32_e32 v14, v14, v13
	v_cmp_ne_u32_e32 vcc, v14, v16
	v_cndmask_b32_e64 v14, 0, 1, vcc
	v_or_b32_e32 v13, v13, v14
	v_cmp_gt_i32_e32 vcc, 1, v15
	v_cndmask_b32_e32 v13, v17, v13, vcc
	v_and_b32_e32 v14, 7, v13
	v_cmp_lt_i32_e32 vcc, 5, v14
	v_cndmask_b32_e64 v16, 0, 1, vcc
	v_cmp_eq_u32_e32 vcc, 3, v14
	v_cndmask_b32_e64 v14, 0, 1, vcc
	v_lshrrev_b32_e32 v13, 2, v13
	v_or_b32_e32 v14, v14, v16
	v_add_u32_e32 v13, v13, v14
	v_cmp_gt_i32_e32 vcc, 31, v15
	v_cndmask_b32_e32 v8, v8, v13, vcc
	v_cmp_eq_u32_e32 vcc, s5, v15
	v_lshrrev_b32_e32 v12, 16, v12
	v_cndmask_b32_e32 v8, v8, v11, vcc
	v_and_or_b32 v8, v12, s14, v8
	s_mov_b64 s[0:1], 0
	s_branch .LBB215_2279
.LBB215_2275:
	s_mov_b64 s[0:1], -1
                                        ; implicit-def: $vgpr8
	s_branch .LBB215_2297
.LBB215_2276:
	s_mov_b64 s[0:1], -1
                                        ; implicit-def: $vgpr8
	s_branch .LBB215_2285
.LBB215_2277:
	s_mov_b64 s[0:1], -1
                                        ; implicit-def: $vgpr8
	s_branch .LBB215_2282
.LBB215_2278:
	s_mov_b64 s[0:1], -1
                                        ; implicit-def: $vgpr8
.LBB215_2279:
	s_andn2_b64 vcc, exec, s[0:1]
	s_cbranch_vccnz .LBB215_2281
; %bb.2280:
	global_load_dword v8, v[0:1], off
	s_waitcnt vmcnt(0)
	v_cvt_f16_f32_e32 v8, v8
.LBB215_2281:
	s_mov_b64 s[0:1], 0
.LBB215_2282:
	s_andn2_b64 vcc, exec, s[0:1]
	s_cbranch_vccnz .LBB215_2284
; %bb.2283:
	global_load_dword v8, v[0:1], off
.LBB215_2284:
	s_mov_b64 s[0:1], 0
.LBB215_2285:
	s_andn2_b64 vcc, exec, s[0:1]
	s_cbranch_vccnz .LBB215_2296
; %bb.2286:
	s_cmp_lt_i32 s4, 6
	s_cbranch_scc1 .LBB215_2289
; %bb.2287:
	s_cmp_gt_i32 s4, 6
	s_cbranch_scc0 .LBB215_2290
; %bb.2288:
	global_load_dwordx2 v[11:12], v[0:1], off
	s_movk_i32 s0, 0x1ff
	s_movk_i32 s1, 0xffe
	s_waitcnt vmcnt(1)
	v_mov_b32_e32 v8, 0x7c00
	v_mov_b32_e32 v13, 0x7e00
	s_movk_i32 s5, 0x40f
	s_mov_b32 s14, 0x8000
	s_waitcnt vmcnt(0)
	v_and_or_b32 v11, v12, s0, v11
	v_cmp_ne_u32_e32 vcc, 0, v11
	v_lshrrev_b32_e32 v14, 8, v12
	v_bfe_u32 v15, v12, 20, 11
	v_cndmask_b32_e64 v11, 0, 1, vcc
	v_sub_u32_e32 v16, 0x3f1, v15
	v_and_or_b32 v11, v14, s1, v11
	v_add_u32_e32 v15, 0xfffffc10, v15
	v_med3_i32 v14, v16, 0, 13
	v_or_b32_e32 v16, 0x1000, v11
	v_cmp_ne_u32_e32 vcc, 0, v11
	v_lshl_or_b32 v17, v15, 12, v11
	v_cndmask_b32_e32 v11, v8, v13, vcc
	v_lshrrev_b32_e32 v13, v14, v16
	v_lshlrev_b32_e32 v14, v14, v13
	v_cmp_ne_u32_e32 vcc, v14, v16
	v_cndmask_b32_e64 v14, 0, 1, vcc
	v_or_b32_e32 v13, v13, v14
	v_cmp_gt_i32_e32 vcc, 1, v15
	v_cndmask_b32_e32 v13, v17, v13, vcc
	v_and_b32_e32 v14, 7, v13
	v_cmp_lt_i32_e32 vcc, 5, v14
	v_cndmask_b32_e64 v16, 0, 1, vcc
	v_cmp_eq_u32_e32 vcc, 3, v14
	v_cndmask_b32_e64 v14, 0, 1, vcc
	v_lshrrev_b32_e32 v13, 2, v13
	v_or_b32_e32 v14, v14, v16
	v_add_u32_e32 v13, v13, v14
	v_cmp_gt_i32_e32 vcc, 31, v15
	v_cndmask_b32_e32 v8, v8, v13, vcc
	v_cmp_eq_u32_e32 vcc, s5, v15
	v_lshrrev_b32_e32 v12, 16, v12
	v_cndmask_b32_e32 v8, v8, v11, vcc
	v_and_or_b32 v8, v12, s14, v8
	s_mov_b64 s[0:1], 0
	s_branch .LBB215_2291
.LBB215_2289:
	s_mov_b64 s[0:1], -1
                                        ; implicit-def: $vgpr8
	s_branch .LBB215_2294
.LBB215_2290:
	s_mov_b64 s[0:1], -1
                                        ; implicit-def: $vgpr8
.LBB215_2291:
	s_andn2_b64 vcc, exec, s[0:1]
	s_cbranch_vccnz .LBB215_2293
; %bb.2292:
	global_load_dword v8, v[0:1], off
	s_waitcnt vmcnt(0)
	v_cvt_f16_f32_e32 v8, v8
.LBB215_2293:
	s_mov_b64 s[0:1], 0
.LBB215_2294:
	s_andn2_b64 vcc, exec, s[0:1]
	s_cbranch_vccnz .LBB215_2296
; %bb.2295:
	global_load_ushort v8, v[0:1], off
.LBB215_2296:
	s_mov_b64 s[0:1], 0
.LBB215_2297:
	s_andn2_b64 vcc, exec, s[0:1]
	s_cbranch_vccnz .LBB215_2317
; %bb.2298:
	s_cmp_lt_i32 s4, 2
	s_cbranch_scc1 .LBB215_2302
; %bb.2299:
	s_cmp_lt_i32 s4, 3
	s_cbranch_scc1 .LBB215_2303
; %bb.2300:
	s_cmp_gt_i32 s4, 3
	s_cbranch_scc0 .LBB215_2304
; %bb.2301:
	global_load_dwordx2 v[11:12], v[0:1], off
	s_mov_b64 s[0:1], 0
	s_waitcnt vmcnt(0)
	v_xor_b32_e32 v13, v11, v12
	v_ffbh_i32_e32 v8, v12
	v_ashrrev_i32_e32 v13, 31, v13
	v_add_u32_e32 v8, -1, v8
	v_add_u32_e32 v13, 32, v13
	v_min_u32_e32 v8, v8, v13
	v_lshlrev_b64 v[11:12], v8, v[11:12]
	v_sub_u32_e32 v8, 32, v8
	v_min_u32_e32 v11, 1, v11
	v_or_b32_e32 v11, v12, v11
	v_cvt_f32_i32_e32 v11, v11
	v_ldexp_f32 v8, v11, v8
	v_cvt_f16_f32_e32 v8, v8
	s_branch .LBB215_2305
.LBB215_2302:
	s_mov_b64 s[0:1], -1
                                        ; implicit-def: $vgpr8
	s_branch .LBB215_2311
.LBB215_2303:
	s_mov_b64 s[0:1], -1
                                        ; implicit-def: $vgpr8
	s_branch .LBB215_2308
.LBB215_2304:
	s_mov_b64 s[0:1], -1
                                        ; implicit-def: $vgpr8
.LBB215_2305:
	s_andn2_b64 vcc, exec, s[0:1]
	s_cbranch_vccnz .LBB215_2307
; %bb.2306:
	global_load_dword v8, v[0:1], off
	s_waitcnt vmcnt(0)
	v_cvt_f32_i32_e32 v8, v8
	v_cvt_f16_f32_e32 v8, v8
.LBB215_2307:
	s_mov_b64 s[0:1], 0
.LBB215_2308:
	s_andn2_b64 vcc, exec, s[0:1]
	s_cbranch_vccnz .LBB215_2310
; %bb.2309:
	global_load_ushort v8, v[0:1], off
	s_waitcnt vmcnt(0)
	v_cvt_f16_i16_e32 v8, v8
.LBB215_2310:
	s_mov_b64 s[0:1], 0
.LBB215_2311:
	s_andn2_b64 vcc, exec, s[0:1]
	s_cbranch_vccnz .LBB215_2317
; %bb.2312:
	s_cmp_gt_i32 s4, 0
	s_cbranch_scc0 .LBB215_2314
; %bb.2313:
	global_load_sbyte v8, v[0:1], off
	s_mov_b64 s[0:1], 0
	s_waitcnt vmcnt(0)
	v_cvt_f16_i16_e32 v8, v8
	s_branch .LBB215_2315
.LBB215_2314:
	s_mov_b64 s[0:1], -1
                                        ; implicit-def: $vgpr8
.LBB215_2315:
	s_andn2_b64 vcc, exec, s[0:1]
	s_cbranch_vccnz .LBB215_2317
; %bb.2316:
	global_load_ubyte v0, v[0:1], off
	s_waitcnt vmcnt(0)
	v_cvt_f16_u16_e32 v8, v0
.LBB215_2317:
	s_mov_b64 s[14:15], -1
.LBB215_2318:
	s_andn2_b64 vcc, exec, s[14:15]
	s_cbranch_vccnz .LBB215_3012
; %bb.2319:
	v_add_u32_e32 v0, s13, v9
	v_ashrrev_i32_e32 v1, 31, v0
	v_mov_b32_e32 v9, s11
	v_add_co_u32_e32 v0, vcc, s10, v0
	s_cmp_lt_i32 s28, 11
	v_addc_co_u32_e32 v1, vcc, v9, v1, vcc
	s_cbranch_scc1 .LBB215_2326
; %bb.2320:
	s_and_b32 s13, 0xffff, s28
	s_cmp_gt_i32 s13, 25
	s_mov_b64 s[4:5], 0
	s_cbranch_scc0 .LBB215_2327
; %bb.2321:
	s_cmp_gt_i32 s13, 28
	s_cbranch_scc0 .LBB215_2328
; %bb.2322:
	s_cmp_gt_i32 s13, 43
	;; [unrolled: 3-line block ×3, first 2 shown]
	s_cbranch_scc0 .LBB215_2331
; %bb.2324:
	s_cmp_eq_u32 s13, 46
	s_mov_b64 s[14:15], 0
	s_cbranch_scc0 .LBB215_2332
; %bb.2325:
	global_load_dword v9, v[0:1], off
	s_mov_b64 s[0:1], 0
	s_mov_b64 s[10:11], -1
	s_waitcnt vmcnt(0)
	v_lshlrev_b32_e32 v9, 16, v9
	v_cvt_f16_f32_e32 v9, v9
	s_branch .LBB215_2333
.LBB215_2326:
	s_mov_b64 s[0:1], -1
	s_mov_b64 s[10:11], 0
                                        ; implicit-def: $vgpr9
	s_branch .LBB215_2399
.LBB215_2327:
	s_mov_b64 s[14:15], -1
	s_mov_b64 s[10:11], 0
	s_mov_b64 s[0:1], 0
                                        ; implicit-def: $vgpr9
	s_branch .LBB215_2362
.LBB215_2328:
	s_mov_b64 s[14:15], -1
	s_mov_b64 s[10:11], 0
	s_mov_b64 s[0:1], 0
                                        ; implicit-def: $vgpr9
	s_branch .LBB215_2343
.LBB215_2329:
	s_mov_b64 s[14:15], -1
	s_mov_b64 s[10:11], 0
	s_mov_b64 s[0:1], 0
                                        ; implicit-def: $vgpr9
	s_branch .LBB215_2338
.LBB215_2330:
	s_trap 2
	s_or_b64 s[20:21], s[20:21], exec
	s_cbranch_execz .LBB215_2267
	s_branch .LBB215_2268
.LBB215_2331:
	s_mov_b64 s[14:15], -1
	s_mov_b64 s[10:11], 0
	s_mov_b64 s[0:1], 0
                                        ; implicit-def: $vgpr9
	s_branch .LBB215_2333
.LBB215_2332:
	s_mov_b64 s[0:1], -1
                                        ; implicit-def: $vgpr9
	s_mov_b64 s[10:11], 0
.LBB215_2333:
	s_and_b64 vcc, exec, s[14:15]
	s_cbranch_vccz .LBB215_2337
; %bb.2334:
	s_cmp_eq_u32 s13, 44
	s_cbranch_scc0 .LBB215_2336
; %bb.2335:
	global_load_ubyte v9, v[0:1], off
	s_movk_i32 s10, 0xff
	v_mov_b32_e32 v12, 0x7e00
	s_mov_b64 s[0:1], 0
	s_waitcnt vmcnt(0)
	v_lshlrev_b32_e32 v11, 23, v9
	v_cvt_f16_f32_e32 v11, v11
	v_cmp_ne_u32_e32 vcc, s10, v9
	s_mov_b64 s[10:11], -1
	v_cndmask_b32_e32 v11, v12, v11, vcc
	v_cmp_ne_u32_e32 vcc, 0, v9
	v_cndmask_b32_e32 v9, 0, v11, vcc
	s_branch .LBB215_2337
.LBB215_2336:
	s_mov_b64 s[0:1], -1
                                        ; implicit-def: $vgpr9
.LBB215_2337:
	s_mov_b64 s[14:15], 0
.LBB215_2338:
	s_and_b64 vcc, exec, s[14:15]
	s_cbranch_vccz .LBB215_2342
; %bb.2339:
	s_cmp_eq_u32 s13, 29
	s_cbranch_scc0 .LBB215_2341
; %bb.2340:
	global_load_dwordx2 v[11:12], v[0:1], off
	s_mov_b64 s[0:1], 0
	s_mov_b64 s[10:11], -1
	s_mov_b64 s[14:15], 0
	s_waitcnt vmcnt(0)
	v_ffbh_u32_e32 v9, v12
	v_min_u32_e32 v9, 32, v9
	v_lshlrev_b64 v[11:12], v9, v[11:12]
	v_sub_u32_e32 v9, 32, v9
	v_min_u32_e32 v11, 1, v11
	v_or_b32_e32 v11, v12, v11
	v_cvt_f32_u32_e32 v11, v11
	v_ldexp_f32 v9, v11, v9
	v_cvt_f16_f32_e32 v9, v9
	s_branch .LBB215_2343
.LBB215_2341:
	s_mov_b64 s[0:1], -1
                                        ; implicit-def: $vgpr9
.LBB215_2342:
	s_mov_b64 s[14:15], 0
.LBB215_2343:
	s_and_b64 vcc, exec, s[14:15]
	s_cbranch_vccz .LBB215_2361
; %bb.2344:
	s_cmp_lt_i32 s13, 27
	s_cbranch_scc1 .LBB215_2347
; %bb.2345:
	s_cmp_gt_i32 s13, 27
	s_cbranch_scc0 .LBB215_2348
; %bb.2346:
	global_load_dword v9, v[0:1], off
	s_mov_b64 s[10:11], 0
	s_waitcnt vmcnt(0)
	v_cvt_f32_u32_e32 v9, v9
	v_cvt_f16_f32_e32 v9, v9
	s_branch .LBB215_2349
.LBB215_2347:
	s_mov_b64 s[10:11], -1
                                        ; implicit-def: $vgpr9
	s_branch .LBB215_2352
.LBB215_2348:
	s_mov_b64 s[10:11], -1
                                        ; implicit-def: $vgpr9
.LBB215_2349:
	s_andn2_b64 vcc, exec, s[10:11]
	s_cbranch_vccnz .LBB215_2351
; %bb.2350:
	global_load_ushort v9, v[0:1], off
	s_waitcnt vmcnt(0)
	v_cvt_f16_u16_e32 v9, v9
.LBB215_2351:
	s_mov_b64 s[10:11], 0
.LBB215_2352:
	s_andn2_b64 vcc, exec, s[10:11]
	s_cbranch_vccnz .LBB215_2360
; %bb.2353:
	global_load_ubyte v11, v[0:1], off
	s_movk_i32 s10, 0x7f
	s_waitcnt vmcnt(0)
	v_cmp_lt_i16_e32 vcc, s10, v11
	s_mov_b64 s[10:11], 0
	s_and_saveexec_b64 s[14:15], vcc
	s_xor_b64 s[14:15], exec, s[14:15]
	s_cbranch_execz .LBB215_2374
; %bb.2354:
	s_movk_i32 s10, 0x80
	v_cmp_eq_u16_e32 vcc, s10, v11
	s_mov_b64 s[10:11], -1
	s_and_saveexec_b64 s[22:23], vcc
; %bb.2355:
	s_xor_b64 s[10:11], exec, -1
; %bb.2356:
	s_or_b64 exec, exec, s[22:23]
	s_and_b64 s[10:11], s[10:11], exec
	s_or_saveexec_b64 s[14:15], s[14:15]
	v_mov_b32_e32 v9, 0x7e00
	s_xor_b64 exec, exec, s[14:15]
	s_cbranch_execnz .LBB215_2375
.LBB215_2357:
	s_or_b64 exec, exec, s[14:15]
	s_and_saveexec_b64 s[14:15], s[10:11]
	s_cbranch_execz .LBB215_2359
.LBB215_2358:
	v_lshlrev_b32_e32 v9, 24, v11
	v_and_b32_e32 v11, 0xffff, v11
	v_and_b32_e32 v12, 7, v11
	v_ffbh_u32_e32 v14, v12
	v_min_u32_e32 v14, 32, v14
	v_subrev_u32_e32 v15, 28, v14
	v_bfe_u32 v13, v11, 3, 4
	v_lshlrev_b32_e32 v11, v15, v11
	v_sub_u32_e32 v14, 29, v14
	v_and_b32_e32 v11, 7, v11
	v_cmp_eq_u32_e32 vcc, 0, v13
	v_cndmask_b32_e32 v13, v13, v14, vcc
	v_cndmask_b32_e32 v11, v12, v11, vcc
	v_mov_b32_e32 v12, 0x3b800000
	v_lshlrev_b32_e32 v11, 20, v11
	v_and_b32_e32 v9, 0x80000000, v9
	v_lshl_add_u32 v12, v13, 23, v12
	v_or3_b32 v9, v9, v12, v11
	v_cvt_f16_f32_e32 v9, v9
.LBB215_2359:
	s_or_b64 exec, exec, s[14:15]
.LBB215_2360:
	s_mov_b64 s[10:11], -1
.LBB215_2361:
	s_mov_b64 s[14:15], 0
.LBB215_2362:
	s_and_b64 vcc, exec, s[14:15]
	s_cbranch_vccz .LBB215_2395
; %bb.2363:
	s_cmp_gt_i32 s13, 22
	s_cbranch_scc0 .LBB215_2373
; %bb.2364:
	s_cmp_lt_i32 s13, 24
	s_cbranch_scc1 .LBB215_2376
; %bb.2365:
	s_cmp_gt_i32 s13, 24
	s_cbranch_scc0 .LBB215_2377
; %bb.2366:
	global_load_ubyte v11, v[0:1], off
	s_movk_i32 s4, 0x7f
	s_waitcnt vmcnt(0)
	v_cmp_lt_i16_e32 vcc, s4, v11
	s_mov_b64 s[4:5], 0
	s_and_saveexec_b64 s[10:11], vcc
	s_xor_b64 s[10:11], exec, s[10:11]
	s_cbranch_execz .LBB215_2389
; %bb.2367:
	s_movk_i32 s4, 0x80
	v_cmp_eq_u16_e32 vcc, s4, v11
	s_mov_b64 s[4:5], -1
	s_and_saveexec_b64 s[14:15], vcc
; %bb.2368:
	s_xor_b64 s[4:5], exec, -1
; %bb.2369:
	s_or_b64 exec, exec, s[14:15]
	s_and_b64 s[4:5], s[4:5], exec
	s_or_saveexec_b64 s[10:11], s[10:11]
	v_mov_b32_e32 v9, 0x7e00
	s_xor_b64 exec, exec, s[10:11]
	s_cbranch_execnz .LBB215_2390
.LBB215_2370:
	s_or_b64 exec, exec, s[10:11]
	s_and_saveexec_b64 s[10:11], s[4:5]
	s_cbranch_execz .LBB215_2372
.LBB215_2371:
	v_lshlrev_b32_e32 v9, 24, v11
	v_and_b32_e32 v11, 0xffff, v11
	v_and_b32_e32 v12, 3, v11
	v_ffbh_u32_e32 v14, v12
	v_min_u32_e32 v14, 32, v14
	v_subrev_u32_e32 v15, 29, v14
	v_bfe_u32 v13, v11, 2, 5
	v_lshlrev_b32_e32 v11, v15, v11
	v_sub_u32_e32 v14, 30, v14
	v_and_b32_e32 v11, 3, v11
	v_cmp_eq_u32_e32 vcc, 0, v13
	v_cndmask_b32_e32 v13, v13, v14, vcc
	v_cndmask_b32_e32 v11, v12, v11, vcc
	v_mov_b32_e32 v12, 0x37800000
	v_lshlrev_b32_e32 v11, 21, v11
	v_and_b32_e32 v9, 0x80000000, v9
	v_lshl_add_u32 v12, v13, 23, v12
	v_or3_b32 v9, v9, v12, v11
	v_cvt_f16_f32_e32 v9, v9
.LBB215_2372:
	s_or_b64 exec, exec, s[10:11]
	s_mov_b64 s[4:5], 0
	s_branch .LBB215_2378
.LBB215_2373:
	s_mov_b64 s[4:5], -1
                                        ; implicit-def: $vgpr9
	s_branch .LBB215_2384
.LBB215_2374:
	s_or_saveexec_b64 s[14:15], s[14:15]
	v_mov_b32_e32 v9, 0x7e00
	s_xor_b64 exec, exec, s[14:15]
	s_cbranch_execz .LBB215_2357
.LBB215_2375:
	v_cmp_ne_u16_e32 vcc, 0, v11
	s_andn2_b64 s[10:11], s[10:11], exec
	s_and_b64 s[22:23], vcc, exec
	s_or_b64 s[10:11], s[10:11], s[22:23]
	v_mov_b32_e32 v9, v11
	s_or_b64 exec, exec, s[14:15]
	s_and_saveexec_b64 s[14:15], s[10:11]
	s_cbranch_execnz .LBB215_2358
	s_branch .LBB215_2359
.LBB215_2376:
	s_mov_b64 s[4:5], -1
                                        ; implicit-def: $vgpr9
	s_branch .LBB215_2381
.LBB215_2377:
	s_mov_b64 s[4:5], -1
                                        ; implicit-def: $vgpr9
.LBB215_2378:
	s_and_b64 vcc, exec, s[4:5]
	s_cbranch_vccz .LBB215_2380
; %bb.2379:
	global_load_ubyte v9, v[0:1], off
	s_mov_b32 s4, 0x7f800000
	s_waitcnt vmcnt(0)
	v_lshlrev_b32_e32 v9, 24, v9
	v_and_b32_e32 v11, 0x7f000000, v9
	v_ffbh_u32_e32 v12, v11
	v_min_u32_e32 v12, 32, v12
	v_sub_u32_e64 v12, v12, 4 clamp
	v_lshlrev_b32_e32 v14, v12, v11
	v_lshlrev_b32_e32 v12, 23, v12
	v_lshrrev_b32_e32 v14, 4, v14
	v_add_u32_e32 v13, 0x1000000, v11
	v_sub_u32_e32 v12, v14, v12
	v_ashrrev_i32_e32 v13, 8, v13
	v_add_u32_e32 v12, 0x3c000000, v12
	v_and_or_b32 v12, v13, s4, v12
	v_cmp_ne_u32_e32 vcc, 0, v11
	v_cndmask_b32_e32 v11, 0, v12, vcc
	s_brev_b32 s4, 1
	v_and_or_b32 v9, v9, s4, v11
	v_cvt_f16_f32_e32 v9, v9
.LBB215_2380:
	s_mov_b64 s[4:5], 0
.LBB215_2381:
	s_andn2_b64 vcc, exec, s[4:5]
	s_cbranch_vccnz .LBB215_2383
; %bb.2382:
	global_load_ubyte v9, v[0:1], off
	s_movk_i32 s4, 0x7f00
	s_brev_b32 s5, 16
	s_waitcnt vmcnt(0)
	v_lshlrev_b16_e32 v11, 8, v9
	v_lshlrev_b32_e32 v9, 25, v9
	v_lshrrev_b32_e32 v12, 4, v9
	v_and_or_b32 v13, v11, s4, 0.5
	v_or_b32_e32 v12, 0x70000000, v12
	v_add_f32_e32 v13, -0.5, v13
	v_mul_f32_e32 v12, 0x7800000, v12
	v_cmp_gt_u32_e32 vcc, s5, v9
	v_bfe_i32 v11, v11, 0, 16
	v_cndmask_b32_e32 v9, v12, v13, vcc
	s_brev_b32 s4, 1
	v_and_or_b32 v9, v11, s4, v9
	v_cvt_f16_f32_e32 v9, v9
.LBB215_2383:
	s_mov_b64 s[4:5], 0
	s_mov_b64 s[10:11], -1
.LBB215_2384:
	s_andn2_b64 vcc, exec, s[4:5]
	s_mov_b64 s[4:5], 0
	s_cbranch_vccnz .LBB215_2395
; %bb.2385:
	s_cmp_gt_i32 s13, 14
	s_cbranch_scc0 .LBB215_2388
; %bb.2386:
	s_cmp_eq_u32 s13, 15
	s_cbranch_scc0 .LBB215_2391
; %bb.2387:
	global_load_ushort v9, v[0:1], off
	s_mov_b64 s[0:1], 0
	s_mov_b64 s[10:11], -1
	s_waitcnt vmcnt(0)
	v_lshlrev_b32_e32 v9, 16, v9
	v_cvt_f16_f32_e32 v9, v9
	s_branch .LBB215_2392
.LBB215_2388:
	s_mov_b64 s[14:15], -1
                                        ; implicit-def: $vgpr9
	s_branch .LBB215_2393
.LBB215_2389:
	s_or_saveexec_b64 s[10:11], s[10:11]
	v_mov_b32_e32 v9, 0x7e00
	s_xor_b64 exec, exec, s[10:11]
	s_cbranch_execz .LBB215_2370
.LBB215_2390:
	v_cmp_ne_u16_e32 vcc, 0, v11
	s_andn2_b64 s[4:5], s[4:5], exec
	s_and_b64 s[14:15], vcc, exec
	s_or_b64 s[4:5], s[4:5], s[14:15]
	v_mov_b32_e32 v9, v11
	s_or_b64 exec, exec, s[10:11]
	s_and_saveexec_b64 s[10:11], s[4:5]
	s_cbranch_execnz .LBB215_2371
	s_branch .LBB215_2372
.LBB215_2391:
	s_mov_b64 s[0:1], -1
                                        ; implicit-def: $vgpr9
.LBB215_2392:
	s_mov_b64 s[14:15], 0
.LBB215_2393:
	s_and_b64 vcc, exec, s[14:15]
	s_cbranch_vccz .LBB215_2395
; %bb.2394:
	s_cmp_lg_u32 s13, 11
	s_mov_b64 s[4:5], -1
	s_cselect_b64 s[0:1], -1, 0
.LBB215_2395:
	s_and_b64 vcc, exec, s[0:1]
	s_cbranch_vccnz .LBB215_2460
; %bb.2396:
	s_andn2_b64 vcc, exec, s[4:5]
	s_cbranch_vccnz .LBB215_2398
.LBB215_2397:
	global_load_ubyte v9, v[0:1], off
	v_mov_b32_e32 v11, 0x3c00
	s_mov_b64 s[10:11], -1
	s_waitcnt vmcnt(0)
	v_cmp_ne_u16_e32 vcc, 0, v9
	v_cndmask_b32_e32 v9, 0, v11, vcc
.LBB215_2398:
	s_mov_b64 s[0:1], 0
.LBB215_2399:
	s_and_b64 vcc, exec, s[0:1]
	s_cbranch_vccz .LBB215_2448
; %bb.2400:
	s_and_b32 s4, 0xffff, s28
	s_cmp_lt_i32 s4, 5
	s_cbranch_scc1 .LBB215_2405
; %bb.2401:
	s_cmp_lt_i32 s4, 8
	s_cbranch_scc1 .LBB215_2406
; %bb.2402:
	;; [unrolled: 3-line block ×3, first 2 shown]
	s_cmp_gt_i32 s4, 9
	s_cbranch_scc0 .LBB215_2408
; %bb.2404:
	global_load_dwordx2 v[11:12], v[0:1], off
	s_movk_i32 s0, 0x1ff
	s_movk_i32 s1, 0xffe
	v_mov_b32_e32 v9, 0x7c00
	v_mov_b32_e32 v13, 0x7e00
	s_movk_i32 s5, 0x40f
	s_mov_b32 s10, 0x8000
	s_waitcnt vmcnt(0)
	v_and_or_b32 v11, v12, s0, v11
	v_cmp_ne_u32_e32 vcc, 0, v11
	v_lshrrev_b32_e32 v14, 8, v12
	v_bfe_u32 v15, v12, 20, 11
	v_cndmask_b32_e64 v11, 0, 1, vcc
	v_sub_u32_e32 v16, 0x3f1, v15
	v_and_or_b32 v11, v14, s1, v11
	v_add_u32_e32 v15, 0xfffffc10, v15
	v_med3_i32 v14, v16, 0, 13
	v_or_b32_e32 v16, 0x1000, v11
	v_cmp_ne_u32_e32 vcc, 0, v11
	v_lshl_or_b32 v17, v15, 12, v11
	v_cndmask_b32_e32 v11, v9, v13, vcc
	v_lshrrev_b32_e32 v13, v14, v16
	v_lshlrev_b32_e32 v14, v14, v13
	v_cmp_ne_u32_e32 vcc, v14, v16
	v_cndmask_b32_e64 v14, 0, 1, vcc
	v_or_b32_e32 v13, v13, v14
	v_cmp_gt_i32_e32 vcc, 1, v15
	v_cndmask_b32_e32 v13, v17, v13, vcc
	v_and_b32_e32 v14, 7, v13
	v_cmp_lt_i32_e32 vcc, 5, v14
	v_cndmask_b32_e64 v16, 0, 1, vcc
	v_cmp_eq_u32_e32 vcc, 3, v14
	v_cndmask_b32_e64 v14, 0, 1, vcc
	v_lshrrev_b32_e32 v13, 2, v13
	v_or_b32_e32 v14, v14, v16
	v_add_u32_e32 v13, v13, v14
	v_cmp_gt_i32_e32 vcc, 31, v15
	v_cndmask_b32_e32 v9, v9, v13, vcc
	v_cmp_eq_u32_e32 vcc, s5, v15
	v_lshrrev_b32_e32 v12, 16, v12
	v_cndmask_b32_e32 v9, v9, v11, vcc
	v_and_or_b32 v9, v12, s10, v9
	s_mov_b64 s[0:1], 0
	s_branch .LBB215_2409
.LBB215_2405:
	s_mov_b64 s[0:1], -1
                                        ; implicit-def: $vgpr9
	s_branch .LBB215_2427
.LBB215_2406:
	s_mov_b64 s[0:1], -1
                                        ; implicit-def: $vgpr9
	s_branch .LBB215_2415
.LBB215_2407:
	s_mov_b64 s[0:1], -1
                                        ; implicit-def: $vgpr9
	s_branch .LBB215_2412
.LBB215_2408:
	s_mov_b64 s[0:1], -1
                                        ; implicit-def: $vgpr9
.LBB215_2409:
	s_andn2_b64 vcc, exec, s[0:1]
	s_cbranch_vccnz .LBB215_2411
; %bb.2410:
	global_load_dword v9, v[0:1], off
	s_waitcnt vmcnt(0)
	v_cvt_f16_f32_e32 v9, v9
.LBB215_2411:
	s_mov_b64 s[0:1], 0
.LBB215_2412:
	s_andn2_b64 vcc, exec, s[0:1]
	s_cbranch_vccnz .LBB215_2414
; %bb.2413:
	global_load_dword v9, v[0:1], off
.LBB215_2414:
	s_mov_b64 s[0:1], 0
.LBB215_2415:
	s_andn2_b64 vcc, exec, s[0:1]
	s_cbranch_vccnz .LBB215_2426
; %bb.2416:
	s_cmp_lt_i32 s4, 6
	s_cbranch_scc1 .LBB215_2419
; %bb.2417:
	s_cmp_gt_i32 s4, 6
	s_cbranch_scc0 .LBB215_2420
; %bb.2418:
	global_load_dwordx2 v[11:12], v[0:1], off
	s_movk_i32 s0, 0x1ff
	s_movk_i32 s1, 0xffe
	s_waitcnt vmcnt(1)
	v_mov_b32_e32 v9, 0x7c00
	v_mov_b32_e32 v13, 0x7e00
	s_movk_i32 s5, 0x40f
	s_mov_b32 s10, 0x8000
	s_waitcnt vmcnt(0)
	v_and_or_b32 v11, v12, s0, v11
	v_cmp_ne_u32_e32 vcc, 0, v11
	v_lshrrev_b32_e32 v14, 8, v12
	v_bfe_u32 v15, v12, 20, 11
	v_cndmask_b32_e64 v11, 0, 1, vcc
	v_sub_u32_e32 v16, 0x3f1, v15
	v_and_or_b32 v11, v14, s1, v11
	v_add_u32_e32 v15, 0xfffffc10, v15
	v_med3_i32 v14, v16, 0, 13
	v_or_b32_e32 v16, 0x1000, v11
	v_cmp_ne_u32_e32 vcc, 0, v11
	v_lshl_or_b32 v17, v15, 12, v11
	v_cndmask_b32_e32 v11, v9, v13, vcc
	v_lshrrev_b32_e32 v13, v14, v16
	v_lshlrev_b32_e32 v14, v14, v13
	v_cmp_ne_u32_e32 vcc, v14, v16
	v_cndmask_b32_e64 v14, 0, 1, vcc
	v_or_b32_e32 v13, v13, v14
	v_cmp_gt_i32_e32 vcc, 1, v15
	v_cndmask_b32_e32 v13, v17, v13, vcc
	v_and_b32_e32 v14, 7, v13
	v_cmp_lt_i32_e32 vcc, 5, v14
	v_cndmask_b32_e64 v16, 0, 1, vcc
	v_cmp_eq_u32_e32 vcc, 3, v14
	v_cndmask_b32_e64 v14, 0, 1, vcc
	v_lshrrev_b32_e32 v13, 2, v13
	v_or_b32_e32 v14, v14, v16
	v_add_u32_e32 v13, v13, v14
	v_cmp_gt_i32_e32 vcc, 31, v15
	v_cndmask_b32_e32 v9, v9, v13, vcc
	v_cmp_eq_u32_e32 vcc, s5, v15
	v_lshrrev_b32_e32 v12, 16, v12
	v_cndmask_b32_e32 v9, v9, v11, vcc
	v_and_or_b32 v9, v12, s10, v9
	s_mov_b64 s[0:1], 0
	s_branch .LBB215_2421
.LBB215_2419:
	s_mov_b64 s[0:1], -1
                                        ; implicit-def: $vgpr9
	s_branch .LBB215_2424
.LBB215_2420:
	s_mov_b64 s[0:1], -1
                                        ; implicit-def: $vgpr9
.LBB215_2421:
	s_andn2_b64 vcc, exec, s[0:1]
	s_cbranch_vccnz .LBB215_2423
; %bb.2422:
	global_load_dword v9, v[0:1], off
	s_waitcnt vmcnt(0)
	v_cvt_f16_f32_e32 v9, v9
.LBB215_2423:
	s_mov_b64 s[0:1], 0
.LBB215_2424:
	s_andn2_b64 vcc, exec, s[0:1]
	s_cbranch_vccnz .LBB215_2426
; %bb.2425:
	global_load_ushort v9, v[0:1], off
.LBB215_2426:
	s_mov_b64 s[0:1], 0
.LBB215_2427:
	s_andn2_b64 vcc, exec, s[0:1]
	s_cbranch_vccnz .LBB215_2447
; %bb.2428:
	s_cmp_lt_i32 s4, 2
	s_cbranch_scc1 .LBB215_2432
; %bb.2429:
	s_cmp_lt_i32 s4, 3
	s_cbranch_scc1 .LBB215_2433
; %bb.2430:
	s_cmp_gt_i32 s4, 3
	s_cbranch_scc0 .LBB215_2434
; %bb.2431:
	global_load_dwordx2 v[11:12], v[0:1], off
	s_mov_b64 s[0:1], 0
	s_waitcnt vmcnt(0)
	v_xor_b32_e32 v13, v11, v12
	v_ffbh_i32_e32 v9, v12
	v_ashrrev_i32_e32 v13, 31, v13
	v_add_u32_e32 v9, -1, v9
	v_add_u32_e32 v13, 32, v13
	v_min_u32_e32 v9, v9, v13
	v_lshlrev_b64 v[11:12], v9, v[11:12]
	v_sub_u32_e32 v9, 32, v9
	v_min_u32_e32 v11, 1, v11
	v_or_b32_e32 v11, v12, v11
	v_cvt_f32_i32_e32 v11, v11
	v_ldexp_f32 v9, v11, v9
	v_cvt_f16_f32_e32 v9, v9
	s_branch .LBB215_2435
.LBB215_2432:
	s_mov_b64 s[0:1], -1
                                        ; implicit-def: $vgpr9
	s_branch .LBB215_2441
.LBB215_2433:
	s_mov_b64 s[0:1], -1
                                        ; implicit-def: $vgpr9
	s_branch .LBB215_2438
.LBB215_2434:
	s_mov_b64 s[0:1], -1
                                        ; implicit-def: $vgpr9
.LBB215_2435:
	s_andn2_b64 vcc, exec, s[0:1]
	s_cbranch_vccnz .LBB215_2437
; %bb.2436:
	global_load_dword v9, v[0:1], off
	s_waitcnt vmcnt(0)
	v_cvt_f32_i32_e32 v9, v9
	v_cvt_f16_f32_e32 v9, v9
.LBB215_2437:
	s_mov_b64 s[0:1], 0
.LBB215_2438:
	s_andn2_b64 vcc, exec, s[0:1]
	s_cbranch_vccnz .LBB215_2440
; %bb.2439:
	global_load_ushort v9, v[0:1], off
	s_waitcnt vmcnt(0)
	v_cvt_f16_i16_e32 v9, v9
.LBB215_2440:
	s_mov_b64 s[0:1], 0
.LBB215_2441:
	s_andn2_b64 vcc, exec, s[0:1]
	s_cbranch_vccnz .LBB215_2447
; %bb.2442:
	s_cmp_gt_i32 s4, 0
	s_cbranch_scc0 .LBB215_2444
; %bb.2443:
	global_load_sbyte v9, v[0:1], off
	s_mov_b64 s[0:1], 0
	s_waitcnt vmcnt(0)
	v_cvt_f16_i16_e32 v9, v9
	s_branch .LBB215_2445
.LBB215_2444:
	s_mov_b64 s[0:1], -1
                                        ; implicit-def: $vgpr9
.LBB215_2445:
	s_andn2_b64 vcc, exec, s[0:1]
	s_cbranch_vccnz .LBB215_2447
; %bb.2446:
	global_load_ubyte v0, v[0:1], off
	s_waitcnt vmcnt(0)
	v_cvt_f16_u16_e32 v9, v0
.LBB215_2447:
	s_mov_b64 s[10:11], -1
.LBB215_2448:
	s_andn2_b64 vcc, exec, s[10:11]
	s_cbranch_vccnz .LBB215_3012
; %bb.2449:
	v_add_u32_e32 v0, s26, v10
	v_ashrrev_i32_e32 v1, 31, v0
	v_mov_b32_e32 v10, s17
	v_add_co_u32_e32 v0, vcc, s16, v0
	s_cmp_lt_i32 s29, 11
	v_addc_co_u32_e32 v1, vcc, v10, v1, vcc
	s_cbranch_scc1 .LBB215_2456
; %bb.2450:
	s_and_b32 s13, 0xffff, s29
	s_cmp_gt_i32 s13, 25
	s_mov_b64 s[4:5], 0
	s_cbranch_scc0 .LBB215_2457
; %bb.2451:
	s_cmp_gt_i32 s13, 28
	s_cbranch_scc0 .LBB215_2458
; %bb.2452:
	s_cmp_gt_i32 s13, 43
	;; [unrolled: 3-line block ×3, first 2 shown]
	s_cbranch_scc0 .LBB215_2461
; %bb.2454:
	s_cmp_eq_u32 s13, 46
	s_mov_b64 s[14:15], 0
	s_cbranch_scc0 .LBB215_2462
; %bb.2455:
	global_load_dword v10, v[0:1], off
	s_mov_b64 s[0:1], 0
	s_mov_b64 s[10:11], -1
	s_waitcnt vmcnt(0)
	v_lshlrev_b32_e32 v10, 16, v10
	v_cvt_f16_f32_e32 v10, v10
	s_branch .LBB215_2463
.LBB215_2456:
	s_mov_b64 s[0:1], -1
	s_mov_b64 s[10:11], 0
                                        ; implicit-def: $vgpr10
	s_branch .LBB215_2529
.LBB215_2457:
	s_mov_b64 s[14:15], -1
	s_mov_b64 s[10:11], 0
	s_mov_b64 s[0:1], 0
                                        ; implicit-def: $vgpr10
	s_branch .LBB215_2492
.LBB215_2458:
	s_mov_b64 s[14:15], -1
	s_mov_b64 s[10:11], 0
	s_mov_b64 s[0:1], 0
                                        ; implicit-def: $vgpr10
	s_branch .LBB215_2473
.LBB215_2459:
	s_mov_b64 s[14:15], -1
	s_mov_b64 s[10:11], 0
	s_mov_b64 s[0:1], 0
                                        ; implicit-def: $vgpr10
	s_branch .LBB215_2468
.LBB215_2460:
	s_trap 2
	s_or_b64 s[20:21], s[20:21], exec
	s_cbranch_execz .LBB215_2397
	s_branch .LBB215_2398
.LBB215_2461:
	s_mov_b64 s[14:15], -1
	s_mov_b64 s[10:11], 0
	s_mov_b64 s[0:1], 0
                                        ; implicit-def: $vgpr10
	s_branch .LBB215_2463
.LBB215_2462:
	s_mov_b64 s[0:1], -1
                                        ; implicit-def: $vgpr10
	s_mov_b64 s[10:11], 0
.LBB215_2463:
	s_and_b64 vcc, exec, s[14:15]
	s_cbranch_vccz .LBB215_2467
; %bb.2464:
	s_cmp_eq_u32 s13, 44
	s_cbranch_scc0 .LBB215_2466
; %bb.2465:
	global_load_ubyte v10, v[0:1], off
	s_movk_i32 s10, 0xff
	v_mov_b32_e32 v12, 0x7e00
	s_mov_b64 s[0:1], 0
	s_waitcnt vmcnt(0)
	v_lshlrev_b32_e32 v11, 23, v10
	v_cvt_f16_f32_e32 v11, v11
	v_cmp_ne_u32_e32 vcc, s10, v10
	s_mov_b64 s[10:11], -1
	v_cndmask_b32_e32 v11, v12, v11, vcc
	v_cmp_ne_u32_e32 vcc, 0, v10
	v_cndmask_b32_e32 v10, 0, v11, vcc
	s_branch .LBB215_2467
.LBB215_2466:
	s_mov_b64 s[0:1], -1
                                        ; implicit-def: $vgpr10
.LBB215_2467:
	s_mov_b64 s[14:15], 0
.LBB215_2468:
	s_and_b64 vcc, exec, s[14:15]
	s_cbranch_vccz .LBB215_2472
; %bb.2469:
	s_cmp_eq_u32 s13, 29
	s_cbranch_scc0 .LBB215_2471
; %bb.2470:
	global_load_dwordx2 v[10:11], v[0:1], off
	s_mov_b64 s[0:1], 0
	s_mov_b64 s[10:11], -1
	s_mov_b64 s[14:15], 0
	s_waitcnt vmcnt(0)
	v_ffbh_u32_e32 v12, v11
	v_min_u32_e32 v12, 32, v12
	v_lshlrev_b64 v[10:11], v12, v[10:11]
	v_min_u32_e32 v10, 1, v10
	v_or_b32_e32 v10, v11, v10
	v_cvt_f32_u32_e32 v10, v10
	v_sub_u32_e32 v11, 32, v12
	v_ldexp_f32 v10, v10, v11
	v_cvt_f16_f32_e32 v10, v10
	s_branch .LBB215_2473
.LBB215_2471:
	s_mov_b64 s[0:1], -1
                                        ; implicit-def: $vgpr10
.LBB215_2472:
	s_mov_b64 s[14:15], 0
.LBB215_2473:
	s_and_b64 vcc, exec, s[14:15]
	s_cbranch_vccz .LBB215_2491
; %bb.2474:
	s_cmp_lt_i32 s13, 27
	s_cbranch_scc1 .LBB215_2477
; %bb.2475:
	s_cmp_gt_i32 s13, 27
	s_cbranch_scc0 .LBB215_2478
; %bb.2476:
	global_load_dword v10, v[0:1], off
	s_mov_b64 s[10:11], 0
	s_waitcnt vmcnt(0)
	v_cvt_f32_u32_e32 v10, v10
	v_cvt_f16_f32_e32 v10, v10
	s_branch .LBB215_2479
.LBB215_2477:
	s_mov_b64 s[10:11], -1
                                        ; implicit-def: $vgpr10
	s_branch .LBB215_2482
.LBB215_2478:
	s_mov_b64 s[10:11], -1
                                        ; implicit-def: $vgpr10
.LBB215_2479:
	s_andn2_b64 vcc, exec, s[10:11]
	s_cbranch_vccnz .LBB215_2481
; %bb.2480:
	global_load_ushort v10, v[0:1], off
	s_waitcnt vmcnt(0)
	v_cvt_f16_u16_e32 v10, v10
.LBB215_2481:
	s_mov_b64 s[10:11], 0
.LBB215_2482:
	s_andn2_b64 vcc, exec, s[10:11]
	s_cbranch_vccnz .LBB215_2490
; %bb.2483:
	global_load_ubyte v11, v[0:1], off
	s_movk_i32 s10, 0x7f
	s_waitcnt vmcnt(0)
	v_cmp_lt_i16_e32 vcc, s10, v11
	s_mov_b64 s[10:11], 0
	s_and_saveexec_b64 s[14:15], vcc
	s_xor_b64 s[14:15], exec, s[14:15]
	s_cbranch_execz .LBB215_2504
; %bb.2484:
	s_movk_i32 s10, 0x80
	v_cmp_eq_u16_e32 vcc, s10, v11
	s_mov_b64 s[10:11], -1
	s_and_saveexec_b64 s[16:17], vcc
; %bb.2485:
	s_xor_b64 s[10:11], exec, -1
; %bb.2486:
	s_or_b64 exec, exec, s[16:17]
	s_and_b64 s[10:11], s[10:11], exec
	s_or_saveexec_b64 s[14:15], s[14:15]
	v_mov_b32_e32 v10, 0x7e00
	s_xor_b64 exec, exec, s[14:15]
	s_cbranch_execnz .LBB215_2505
.LBB215_2487:
	s_or_b64 exec, exec, s[14:15]
	s_and_saveexec_b64 s[14:15], s[10:11]
	s_cbranch_execz .LBB215_2489
.LBB215_2488:
	v_lshlrev_b32_e32 v10, 24, v11
	v_and_b32_e32 v11, 0xffff, v11
	v_and_b32_e32 v12, 7, v11
	v_ffbh_u32_e32 v14, v12
	v_min_u32_e32 v14, 32, v14
	v_subrev_u32_e32 v15, 28, v14
	v_bfe_u32 v13, v11, 3, 4
	v_lshlrev_b32_e32 v11, v15, v11
	v_sub_u32_e32 v14, 29, v14
	v_and_b32_e32 v11, 7, v11
	v_cmp_eq_u32_e32 vcc, 0, v13
	v_cndmask_b32_e32 v13, v13, v14, vcc
	v_cndmask_b32_e32 v11, v12, v11, vcc
	v_mov_b32_e32 v12, 0x3b800000
	v_lshlrev_b32_e32 v11, 20, v11
	v_and_b32_e32 v10, 0x80000000, v10
	v_lshl_add_u32 v12, v13, 23, v12
	v_or3_b32 v10, v10, v12, v11
	v_cvt_f16_f32_e32 v10, v10
.LBB215_2489:
	s_or_b64 exec, exec, s[14:15]
.LBB215_2490:
	s_mov_b64 s[10:11], -1
.LBB215_2491:
	s_mov_b64 s[14:15], 0
.LBB215_2492:
	s_and_b64 vcc, exec, s[14:15]
	s_cbranch_vccz .LBB215_2525
; %bb.2493:
	s_cmp_gt_i32 s13, 22
	s_cbranch_scc0 .LBB215_2503
; %bb.2494:
	s_cmp_lt_i32 s13, 24
	s_cbranch_scc1 .LBB215_2506
; %bb.2495:
	s_cmp_gt_i32 s13, 24
	s_cbranch_scc0 .LBB215_2507
; %bb.2496:
	global_load_ubyte v11, v[0:1], off
	s_movk_i32 s4, 0x7f
	s_waitcnt vmcnt(0)
	v_cmp_lt_i16_e32 vcc, s4, v11
	s_mov_b64 s[4:5], 0
	s_and_saveexec_b64 s[10:11], vcc
	s_xor_b64 s[10:11], exec, s[10:11]
	s_cbranch_execz .LBB215_2519
; %bb.2497:
	s_movk_i32 s4, 0x80
	v_cmp_eq_u16_e32 vcc, s4, v11
	s_mov_b64 s[4:5], -1
	s_and_saveexec_b64 s[14:15], vcc
; %bb.2498:
	s_xor_b64 s[4:5], exec, -1
; %bb.2499:
	s_or_b64 exec, exec, s[14:15]
	s_and_b64 s[4:5], s[4:5], exec
	s_or_saveexec_b64 s[10:11], s[10:11]
	v_mov_b32_e32 v10, 0x7e00
	s_xor_b64 exec, exec, s[10:11]
	s_cbranch_execnz .LBB215_2520
.LBB215_2500:
	s_or_b64 exec, exec, s[10:11]
	s_and_saveexec_b64 s[10:11], s[4:5]
	s_cbranch_execz .LBB215_2502
.LBB215_2501:
	v_lshlrev_b32_e32 v10, 24, v11
	v_and_b32_e32 v11, 0xffff, v11
	v_and_b32_e32 v12, 3, v11
	v_ffbh_u32_e32 v14, v12
	v_min_u32_e32 v14, 32, v14
	v_subrev_u32_e32 v15, 29, v14
	v_bfe_u32 v13, v11, 2, 5
	v_lshlrev_b32_e32 v11, v15, v11
	v_sub_u32_e32 v14, 30, v14
	v_and_b32_e32 v11, 3, v11
	v_cmp_eq_u32_e32 vcc, 0, v13
	v_cndmask_b32_e32 v13, v13, v14, vcc
	v_cndmask_b32_e32 v11, v12, v11, vcc
	v_mov_b32_e32 v12, 0x37800000
	v_lshlrev_b32_e32 v11, 21, v11
	v_and_b32_e32 v10, 0x80000000, v10
	v_lshl_add_u32 v12, v13, 23, v12
	v_or3_b32 v10, v10, v12, v11
	v_cvt_f16_f32_e32 v10, v10
.LBB215_2502:
	s_or_b64 exec, exec, s[10:11]
	s_mov_b64 s[4:5], 0
	s_branch .LBB215_2508
.LBB215_2503:
	s_mov_b64 s[4:5], -1
                                        ; implicit-def: $vgpr10
	s_branch .LBB215_2514
.LBB215_2504:
	s_or_saveexec_b64 s[14:15], s[14:15]
	v_mov_b32_e32 v10, 0x7e00
	s_xor_b64 exec, exec, s[14:15]
	s_cbranch_execz .LBB215_2487
.LBB215_2505:
	v_cmp_ne_u16_e32 vcc, 0, v11
	s_andn2_b64 s[10:11], s[10:11], exec
	s_and_b64 s[16:17], vcc, exec
	s_or_b64 s[10:11], s[10:11], s[16:17]
	v_mov_b32_e32 v10, v11
	s_or_b64 exec, exec, s[14:15]
	s_and_saveexec_b64 s[14:15], s[10:11]
	s_cbranch_execnz .LBB215_2488
	s_branch .LBB215_2489
.LBB215_2506:
	s_mov_b64 s[4:5], -1
                                        ; implicit-def: $vgpr10
	s_branch .LBB215_2511
.LBB215_2507:
	s_mov_b64 s[4:5], -1
                                        ; implicit-def: $vgpr10
.LBB215_2508:
	s_and_b64 vcc, exec, s[4:5]
	s_cbranch_vccz .LBB215_2510
; %bb.2509:
	global_load_ubyte v10, v[0:1], off
	s_mov_b32 s4, 0x7f800000
	s_waitcnt vmcnt(0)
	v_lshlrev_b32_e32 v10, 24, v10
	v_and_b32_e32 v11, 0x7f000000, v10
	v_ffbh_u32_e32 v12, v11
	v_min_u32_e32 v12, 32, v12
	v_sub_u32_e64 v12, v12, 4 clamp
	v_lshlrev_b32_e32 v14, v12, v11
	v_lshlrev_b32_e32 v12, 23, v12
	v_lshrrev_b32_e32 v14, 4, v14
	v_add_u32_e32 v13, 0x1000000, v11
	v_sub_u32_e32 v12, v14, v12
	v_ashrrev_i32_e32 v13, 8, v13
	v_add_u32_e32 v12, 0x3c000000, v12
	v_and_or_b32 v12, v13, s4, v12
	v_cmp_ne_u32_e32 vcc, 0, v11
	v_cndmask_b32_e32 v11, 0, v12, vcc
	s_brev_b32 s4, 1
	v_and_or_b32 v10, v10, s4, v11
	v_cvt_f16_f32_e32 v10, v10
.LBB215_2510:
	s_mov_b64 s[4:5], 0
.LBB215_2511:
	s_andn2_b64 vcc, exec, s[4:5]
	s_cbranch_vccnz .LBB215_2513
; %bb.2512:
	global_load_ubyte v10, v[0:1], off
	s_movk_i32 s4, 0x7f00
	s_brev_b32 s5, 16
	s_waitcnt vmcnt(0)
	v_lshlrev_b16_e32 v11, 8, v10
	v_lshlrev_b32_e32 v10, 25, v10
	v_lshrrev_b32_e32 v12, 4, v10
	v_and_or_b32 v13, v11, s4, 0.5
	v_or_b32_e32 v12, 0x70000000, v12
	v_add_f32_e32 v13, -0.5, v13
	v_mul_f32_e32 v12, 0x7800000, v12
	v_cmp_gt_u32_e32 vcc, s5, v10
	v_bfe_i32 v11, v11, 0, 16
	v_cndmask_b32_e32 v10, v12, v13, vcc
	s_brev_b32 s4, 1
	v_and_or_b32 v10, v11, s4, v10
	v_cvt_f16_f32_e32 v10, v10
.LBB215_2513:
	s_mov_b64 s[4:5], 0
	s_mov_b64 s[10:11], -1
.LBB215_2514:
	s_andn2_b64 vcc, exec, s[4:5]
	s_mov_b64 s[4:5], 0
	s_cbranch_vccnz .LBB215_2525
; %bb.2515:
	s_cmp_gt_i32 s13, 14
	s_cbranch_scc0 .LBB215_2518
; %bb.2516:
	s_cmp_eq_u32 s13, 15
	s_cbranch_scc0 .LBB215_2521
; %bb.2517:
	global_load_ushort v10, v[0:1], off
	s_mov_b64 s[0:1], 0
	s_mov_b64 s[10:11], -1
	s_waitcnt vmcnt(0)
	v_lshlrev_b32_e32 v10, 16, v10
	v_cvt_f16_f32_e32 v10, v10
	s_branch .LBB215_2522
.LBB215_2518:
	s_mov_b64 s[14:15], -1
                                        ; implicit-def: $vgpr10
	s_branch .LBB215_2523
.LBB215_2519:
	s_or_saveexec_b64 s[10:11], s[10:11]
	v_mov_b32_e32 v10, 0x7e00
	s_xor_b64 exec, exec, s[10:11]
	s_cbranch_execz .LBB215_2500
.LBB215_2520:
	v_cmp_ne_u16_e32 vcc, 0, v11
	s_andn2_b64 s[4:5], s[4:5], exec
	s_and_b64 s[14:15], vcc, exec
	s_or_b64 s[4:5], s[4:5], s[14:15]
	v_mov_b32_e32 v10, v11
	s_or_b64 exec, exec, s[10:11]
	s_and_saveexec_b64 s[10:11], s[4:5]
	s_cbranch_execnz .LBB215_2501
	s_branch .LBB215_2502
.LBB215_2521:
	s_mov_b64 s[0:1], -1
                                        ; implicit-def: $vgpr10
.LBB215_2522:
	s_mov_b64 s[14:15], 0
.LBB215_2523:
	s_and_b64 vcc, exec, s[14:15]
	s_cbranch_vccz .LBB215_2525
; %bb.2524:
	s_cmp_lg_u32 s13, 11
	s_mov_b64 s[4:5], -1
	s_cselect_b64 s[0:1], -1, 0
.LBB215_2525:
	s_and_b64 vcc, exec, s[0:1]
	s_cbranch_vccnz .LBB215_3058
; %bb.2526:
	s_andn2_b64 vcc, exec, s[4:5]
	s_cbranch_vccnz .LBB215_2528
.LBB215_2527:
	global_load_ubyte v10, v[0:1], off
	v_mov_b32_e32 v11, 0x3c00
	s_mov_b64 s[10:11], -1
	s_waitcnt vmcnt(0)
	v_cmp_ne_u16_e32 vcc, 0, v10
	v_cndmask_b32_e32 v10, 0, v11, vcc
.LBB215_2528:
	s_mov_b64 s[0:1], 0
.LBB215_2529:
	s_and_b64 vcc, exec, s[0:1]
	s_cbranch_vccz .LBB215_2578
; %bb.2530:
	s_and_b32 s4, 0xffff, s29
	s_cmp_lt_i32 s4, 5
	s_cbranch_scc1 .LBB215_2535
; %bb.2531:
	s_cmp_lt_i32 s4, 8
	s_cbranch_scc1 .LBB215_2536
; %bb.2532:
	;; [unrolled: 3-line block ×3, first 2 shown]
	s_cmp_gt_i32 s4, 9
	s_cbranch_scc0 .LBB215_2538
; %bb.2534:
	global_load_dwordx2 v[10:11], v[0:1], off
	s_movk_i32 s0, 0x1ff
	s_movk_i32 s1, 0xffe
	v_mov_b32_e32 v12, 0x7c00
	v_mov_b32_e32 v13, 0x7e00
	s_movk_i32 s5, 0x40f
	s_mov_b32 s10, 0x8000
	s_waitcnt vmcnt(0)
	v_and_or_b32 v10, v11, s0, v10
	v_cmp_ne_u32_e32 vcc, 0, v10
	v_lshrrev_b32_e32 v14, 8, v11
	v_bfe_u32 v15, v11, 20, 11
	v_cndmask_b32_e64 v10, 0, 1, vcc
	v_sub_u32_e32 v16, 0x3f1, v15
	v_and_or_b32 v10, v14, s1, v10
	v_add_u32_e32 v15, 0xfffffc10, v15
	v_med3_i32 v14, v16, 0, 13
	v_or_b32_e32 v16, 0x1000, v10
	v_cmp_ne_u32_e32 vcc, 0, v10
	v_lshl_or_b32 v17, v15, 12, v10
	v_cndmask_b32_e32 v10, v12, v13, vcc
	v_lshrrev_b32_e32 v13, v14, v16
	v_lshlrev_b32_e32 v14, v14, v13
	v_cmp_ne_u32_e32 vcc, v14, v16
	v_cndmask_b32_e64 v14, 0, 1, vcc
	v_or_b32_e32 v13, v13, v14
	v_cmp_gt_i32_e32 vcc, 1, v15
	v_cndmask_b32_e32 v13, v17, v13, vcc
	v_and_b32_e32 v14, 7, v13
	v_cmp_lt_i32_e32 vcc, 5, v14
	v_cndmask_b32_e64 v16, 0, 1, vcc
	v_cmp_eq_u32_e32 vcc, 3, v14
	v_cndmask_b32_e64 v14, 0, 1, vcc
	v_lshrrev_b32_e32 v13, 2, v13
	v_or_b32_e32 v14, v14, v16
	v_add_u32_e32 v13, v13, v14
	v_cmp_gt_i32_e32 vcc, 31, v15
	v_cndmask_b32_e32 v12, v12, v13, vcc
	v_cmp_eq_u32_e32 vcc, s5, v15
	v_lshrrev_b32_e32 v11, 16, v11
	v_cndmask_b32_e32 v10, v12, v10, vcc
	v_and_or_b32 v10, v11, s10, v10
	s_mov_b64 s[0:1], 0
	s_branch .LBB215_2539
.LBB215_2535:
	s_mov_b64 s[0:1], -1
                                        ; implicit-def: $vgpr10
	s_branch .LBB215_2557
.LBB215_2536:
	s_mov_b64 s[0:1], -1
                                        ; implicit-def: $vgpr10
	s_branch .LBB215_2545
.LBB215_2537:
	s_mov_b64 s[0:1], -1
                                        ; implicit-def: $vgpr10
	s_branch .LBB215_2542
.LBB215_2538:
	s_mov_b64 s[0:1], -1
                                        ; implicit-def: $vgpr10
.LBB215_2539:
	s_andn2_b64 vcc, exec, s[0:1]
	s_cbranch_vccnz .LBB215_2541
; %bb.2540:
	global_load_dword v10, v[0:1], off
	s_waitcnt vmcnt(0)
	v_cvt_f16_f32_e32 v10, v10
.LBB215_2541:
	s_mov_b64 s[0:1], 0
.LBB215_2542:
	s_andn2_b64 vcc, exec, s[0:1]
	s_cbranch_vccnz .LBB215_2544
; %bb.2543:
	global_load_dword v10, v[0:1], off
.LBB215_2544:
	s_mov_b64 s[0:1], 0
.LBB215_2545:
	s_andn2_b64 vcc, exec, s[0:1]
	s_cbranch_vccnz .LBB215_2556
; %bb.2546:
	s_cmp_lt_i32 s4, 6
	s_cbranch_scc1 .LBB215_2549
; %bb.2547:
	s_cmp_gt_i32 s4, 6
	s_cbranch_scc0 .LBB215_2550
; %bb.2548:
	global_load_dwordx2 v[10:11], v[0:1], off
	s_movk_i32 s0, 0x1ff
	s_movk_i32 s1, 0xffe
	v_mov_b32_e32 v12, 0x7c00
	v_mov_b32_e32 v13, 0x7e00
	s_movk_i32 s5, 0x40f
	s_mov_b32 s10, 0x8000
	s_waitcnt vmcnt(0)
	v_and_or_b32 v10, v11, s0, v10
	v_cmp_ne_u32_e32 vcc, 0, v10
	v_lshrrev_b32_e32 v14, 8, v11
	v_bfe_u32 v15, v11, 20, 11
	v_cndmask_b32_e64 v10, 0, 1, vcc
	v_sub_u32_e32 v16, 0x3f1, v15
	v_and_or_b32 v10, v14, s1, v10
	v_add_u32_e32 v15, 0xfffffc10, v15
	v_med3_i32 v14, v16, 0, 13
	v_or_b32_e32 v16, 0x1000, v10
	v_cmp_ne_u32_e32 vcc, 0, v10
	v_lshl_or_b32 v17, v15, 12, v10
	v_cndmask_b32_e32 v10, v12, v13, vcc
	v_lshrrev_b32_e32 v13, v14, v16
	v_lshlrev_b32_e32 v14, v14, v13
	v_cmp_ne_u32_e32 vcc, v14, v16
	v_cndmask_b32_e64 v14, 0, 1, vcc
	v_or_b32_e32 v13, v13, v14
	v_cmp_gt_i32_e32 vcc, 1, v15
	v_cndmask_b32_e32 v13, v17, v13, vcc
	v_and_b32_e32 v14, 7, v13
	v_cmp_lt_i32_e32 vcc, 5, v14
	v_cndmask_b32_e64 v16, 0, 1, vcc
	v_cmp_eq_u32_e32 vcc, 3, v14
	v_cndmask_b32_e64 v14, 0, 1, vcc
	v_lshrrev_b32_e32 v13, 2, v13
	v_or_b32_e32 v14, v14, v16
	v_add_u32_e32 v13, v13, v14
	v_cmp_gt_i32_e32 vcc, 31, v15
	v_cndmask_b32_e32 v12, v12, v13, vcc
	v_cmp_eq_u32_e32 vcc, s5, v15
	v_lshrrev_b32_e32 v11, 16, v11
	v_cndmask_b32_e32 v10, v12, v10, vcc
	v_and_or_b32 v10, v11, s10, v10
	s_mov_b64 s[0:1], 0
	s_branch .LBB215_2551
.LBB215_2549:
	s_mov_b64 s[0:1], -1
                                        ; implicit-def: $vgpr10
	s_branch .LBB215_2554
.LBB215_2550:
	s_mov_b64 s[0:1], -1
                                        ; implicit-def: $vgpr10
.LBB215_2551:
	s_andn2_b64 vcc, exec, s[0:1]
	s_cbranch_vccnz .LBB215_2553
; %bb.2552:
	global_load_dword v10, v[0:1], off
	s_waitcnt vmcnt(0)
	v_cvt_f16_f32_e32 v10, v10
.LBB215_2553:
	s_mov_b64 s[0:1], 0
.LBB215_2554:
	s_andn2_b64 vcc, exec, s[0:1]
	s_cbranch_vccnz .LBB215_2556
; %bb.2555:
	global_load_ushort v10, v[0:1], off
.LBB215_2556:
	s_mov_b64 s[0:1], 0
.LBB215_2557:
	s_andn2_b64 vcc, exec, s[0:1]
	s_cbranch_vccnz .LBB215_2577
; %bb.2558:
	s_cmp_lt_i32 s4, 2
	s_cbranch_scc1 .LBB215_2562
; %bb.2559:
	s_cmp_lt_i32 s4, 3
	s_cbranch_scc1 .LBB215_2563
; %bb.2560:
	s_cmp_gt_i32 s4, 3
	s_cbranch_scc0 .LBB215_2564
; %bb.2561:
	global_load_dwordx2 v[10:11], v[0:1], off
	s_mov_b64 s[0:1], 0
	s_waitcnt vmcnt(0)
	v_xor_b32_e32 v13, v10, v11
	v_ffbh_i32_e32 v12, v11
	v_ashrrev_i32_e32 v13, 31, v13
	v_add_u32_e32 v12, -1, v12
	v_add_u32_e32 v13, 32, v13
	v_min_u32_e32 v12, v12, v13
	v_lshlrev_b64 v[10:11], v12, v[10:11]
	v_min_u32_e32 v10, 1, v10
	v_or_b32_e32 v10, v11, v10
	v_cvt_f32_i32_e32 v10, v10
	v_sub_u32_e32 v11, 32, v12
	v_ldexp_f32 v10, v10, v11
	v_cvt_f16_f32_e32 v10, v10
	s_branch .LBB215_2565
.LBB215_2562:
	s_mov_b64 s[0:1], -1
                                        ; implicit-def: $vgpr10
	s_branch .LBB215_2571
.LBB215_2563:
	s_mov_b64 s[0:1], -1
                                        ; implicit-def: $vgpr10
	s_branch .LBB215_2568
.LBB215_2564:
	s_mov_b64 s[0:1], -1
                                        ; implicit-def: $vgpr10
.LBB215_2565:
	s_andn2_b64 vcc, exec, s[0:1]
	s_cbranch_vccnz .LBB215_2567
; %bb.2566:
	global_load_dword v10, v[0:1], off
	s_waitcnt vmcnt(0)
	v_cvt_f32_i32_e32 v10, v10
	v_cvt_f16_f32_e32 v10, v10
.LBB215_2567:
	s_mov_b64 s[0:1], 0
.LBB215_2568:
	s_andn2_b64 vcc, exec, s[0:1]
	s_cbranch_vccnz .LBB215_2570
; %bb.2569:
	global_load_ushort v10, v[0:1], off
	s_waitcnt vmcnt(0)
	v_cvt_f16_i16_e32 v10, v10
.LBB215_2570:
	s_mov_b64 s[0:1], 0
.LBB215_2571:
	s_andn2_b64 vcc, exec, s[0:1]
	s_cbranch_vccnz .LBB215_2577
; %bb.2572:
	s_cmp_gt_i32 s4, 0
	s_cbranch_scc0 .LBB215_2574
; %bb.2573:
	global_load_sbyte v10, v[0:1], off
	s_mov_b64 s[0:1], 0
	s_waitcnt vmcnt(0)
	v_cvt_f16_i16_e32 v10, v10
	s_branch .LBB215_2575
.LBB215_2574:
	s_mov_b64 s[0:1], -1
                                        ; implicit-def: $vgpr10
.LBB215_2575:
	s_andn2_b64 vcc, exec, s[0:1]
	s_cbranch_vccnz .LBB215_2577
; %bb.2576:
	global_load_ubyte v0, v[0:1], off
	s_waitcnt vmcnt(0)
	v_cvt_f16_u16_e32 v10, v0
.LBB215_2577:
	s_mov_b64 s[10:11], -1
.LBB215_2578:
	s_andn2_b64 vcc, exec, s[10:11]
	s_cbranch_vccnz .LBB215_3012
; %bb.2579:
	v_mul_lo_u32 v2, s12, v2
	v_mov_b32_e32 v0, s33
	s_waitcnt vmcnt(0)
	v_cmp_ge_f16_e32 vcc, s2, v3
	v_cndmask_b32_e32 v3, v4, v0, vcc
	v_ashrrev_i32_e32 v1, 31, v2
	v_mov_b32_e32 v4, s9
	s_and_b32 s22, s3, 0xff
	v_add_co_u32_e32 v0, vcc, s8, v2
	s_cmp_lt_i32 s22, 11
	v_addc_co_u32_e32 v1, vcc, v4, v1, vcc
	s_cbranch_scc1 .LBB215_2657
; %bb.2580:
	s_and_b32 s3, 0xffff, s22
	s_mov_b64 s[14:15], -1
	s_mov_b64 s[4:5], 0
	s_cmp_gt_i32 s3, 25
	s_mov_b64 s[10:11], 0
	s_mov_b64 s[0:1], 0
	s_cbranch_scc0 .LBB215_2613
; %bb.2581:
	s_cmp_gt_i32 s3, 28
	s_cbranch_scc0 .LBB215_2596
; %bb.2582:
	s_cmp_gt_i32 s3, 43
	;; [unrolled: 3-line block ×3, first 2 shown]
	s_cbranch_scc0 .LBB215_2586
; %bb.2584:
	s_mov_b64 s[0:1], -1
	s_mov_b64 s[14:15], 0
	s_cmp_eq_u32 s3, 46
	s_cbranch_scc0 .LBB215_2586
; %bb.2585:
	v_cvt_f32_f16_e32 v4, v3
	s_movk_i32 s0, 0x7fff
	v_cmp_o_f16_e32 vcc, v3, v3
	v_mov_b32_e32 v11, 0x7fc0
	v_bfe_u32 v12, v4, 16, 1
	v_add3_u32 v4, v4, v12, s0
	v_cndmask_b32_sdwa v4, v11, v4, vcc dst_sel:DWORD dst_unused:UNUSED_PAD src0_sel:DWORD src1_sel:WORD_1
	global_store_dword v[0:1], v4, off
	s_mov_b64 s[0:1], 0
	s_mov_b64 s[10:11], -1
.LBB215_2586:
	s_and_b64 vcc, exec, s[14:15]
	s_cbranch_vccz .LBB215_2591
; %bb.2587:
	s_cmp_eq_u32 s3, 44
	s_mov_b64 s[0:1], -1
	s_cbranch_scc0 .LBB215_2591
; %bb.2588:
	v_cvt_f32_f16_e32 v4, v3
	s_movk_i32 s0, 0xff
	v_mov_b32_e32 v12, 0xff
	v_bfe_u32 v11, v4, 23, 8
	v_cmp_ne_u32_e32 vcc, s0, v11
	s_and_saveexec_b64 s[10:11], vcc
; %bb.2589:
	s_mov_b32 s0, 0x3fffff
	v_lshrrev_b32_e32 v12, 23, v4
	v_and_b32_e32 v13, 0x400000, v4
	v_and_or_b32 v4, v4, s0, v11
	v_cmp_ne_u32_e32 vcc, 0, v13
	v_cmp_ne_u32_e64 s[0:1], 0, v4
	s_and_b64 s[0:1], vcc, s[0:1]
	v_cndmask_b32_e64 v4, 0, 1, s[0:1]
	v_add_u32_e32 v12, v12, v4
; %bb.2590:
	s_or_b64 exec, exec, s[10:11]
	s_mov_b64 s[0:1], 0
	s_mov_b64 s[10:11], -1
	global_store_byte v[0:1], v12, off
.LBB215_2591:
	s_mov_b64 s[14:15], 0
.LBB215_2592:
	s_and_b64 vcc, exec, s[14:15]
	s_cbranch_vccz .LBB215_2595
; %bb.2593:
	s_cmp_eq_u32 s3, 29
	s_mov_b64 s[0:1], -1
	s_cbranch_scc0 .LBB215_2595
; %bb.2594:
	v_cvt_f32_f16_e32 v4, v3
	v_mov_b32_e32 v12, 0
	s_mov_b64 s[0:1], 0
	s_mov_b64 s[10:11], -1
	v_cvt_u32_f32_e32 v11, v4
	global_store_dwordx2 v[0:1], v[11:12], off
.LBB215_2595:
	s_mov_b64 s[14:15], 0
.LBB215_2596:
	s_and_b64 vcc, exec, s[14:15]
	s_cbranch_vccz .LBB215_2612
; %bb.2597:
	s_cmp_lt_i32 s3, 27
	s_mov_b64 s[10:11], -1
	s_cbranch_scc1 .LBB215_2603
; %bb.2598:
	s_cmp_gt_i32 s3, 27
	s_cbranch_scc0 .LBB215_2600
; %bb.2599:
	v_cvt_f32_f16_e32 v4, v3
	s_mov_b64 s[10:11], 0
	v_cvt_u32_f32_e32 v4, v4
	global_store_dword v[0:1], v4, off
.LBB215_2600:
	s_andn2_b64 vcc, exec, s[10:11]
	s_cbranch_vccnz .LBB215_2602
; %bb.2601:
	v_cvt_u16_f16_e32 v4, v3
	global_store_short v[0:1], v4, off
.LBB215_2602:
	s_mov_b64 s[10:11], 0
.LBB215_2603:
	s_andn2_b64 vcc, exec, s[10:11]
	s_cbranch_vccnz .LBB215_2611
; %bb.2604:
	v_cvt_f32_f16_e32 v4, v3
	s_mov_b32 s10, 0x43800000
	v_mov_b32_e32 v12, 0x80
	v_and_b32_e32 v11, 0x7fffffff, v4
	v_cmp_gt_u32_e32 vcc, s10, v11
	s_and_saveexec_b64 s[10:11], vcc
	s_cbranch_execz .LBB215_2610
; %bb.2605:
	s_mov_b32 s13, 0x3bffffff
	v_cmp_lt_u32_e32 vcc, s13, v11
	s_mov_b64 s[14:15], 0
                                        ; implicit-def: $vgpr11
	s_and_saveexec_b64 s[16:17], vcc
	s_xor_b64 s[16:17], exec, s[16:17]
	s_cbranch_execz .LBB215_3059
; %bb.2606:
	v_bfe_u32 v11, v4, 20, 1
	s_mov_b32 s13, 0x487ffff
	v_add3_u32 v11, v4, v11, s13
	s_mov_b64 s[14:15], exec
	v_lshrrev_b32_e32 v11, 20, v11
	s_andn2_saveexec_b64 s[16:17], s[16:17]
	s_cbranch_execnz .LBB215_3060
.LBB215_2607:
	s_or_b64 exec, exec, s[16:17]
	v_mov_b32_e32 v12, 0
	s_and_saveexec_b64 s[16:17], s[14:15]
.LBB215_2608:
	v_lshrrev_b32_e32 v4, 24, v4
	s_movk_i32 s13, 0x80
	v_and_or_b32 v12, v4, s13, v11
.LBB215_2609:
	s_or_b64 exec, exec, s[16:17]
.LBB215_2610:
	s_or_b64 exec, exec, s[10:11]
	global_store_byte v[0:1], v12, off
.LBB215_2611:
	s_mov_b64 s[10:11], -1
.LBB215_2612:
	s_mov_b64 s[14:15], 0
.LBB215_2613:
	s_and_b64 vcc, exec, s[14:15]
	s_cbranch_vccz .LBB215_2653
; %bb.2614:
	s_cmp_gt_i32 s3, 22
	s_mov_b64 s[4:5], -1
	s_cbranch_scc0 .LBB215_2646
; %bb.2615:
	s_cmp_lt_i32 s3, 24
	s_cbranch_scc1 .LBB215_2635
; %bb.2616:
	s_cmp_gt_i32 s3, 24
	s_cbranch_scc0 .LBB215_2624
; %bb.2617:
	v_cvt_f32_f16_e32 v4, v3
	s_mov_b32 s4, 0x47800000
	v_mov_b32_e32 v12, 0x80
	v_and_b32_e32 v11, 0x7fffffff, v4
	v_cmp_gt_u32_e32 vcc, s4, v11
	s_and_saveexec_b64 s[4:5], vcc
	s_cbranch_execz .LBB215_2623
; %bb.2618:
	s_mov_b32 s10, 0x37ffffff
	v_cmp_lt_u32_e32 vcc, s10, v11
	s_mov_b64 s[10:11], 0
                                        ; implicit-def: $vgpr11
	s_and_saveexec_b64 s[14:15], vcc
	s_xor_b64 s[14:15], exec, s[14:15]
	s_cbranch_execz .LBB215_3062
; %bb.2619:
	v_bfe_u32 v11, v4, 21, 1
	s_mov_b32 s13, 0x88fffff
	v_add3_u32 v11, v4, v11, s13
	s_mov_b64 s[10:11], exec
	v_lshrrev_b32_e32 v11, 21, v11
	s_andn2_saveexec_b64 s[14:15], s[14:15]
	s_cbranch_execnz .LBB215_3063
.LBB215_2620:
	s_or_b64 exec, exec, s[14:15]
	v_mov_b32_e32 v12, 0
	s_and_saveexec_b64 s[14:15], s[10:11]
.LBB215_2621:
	v_lshrrev_b32_e32 v4, 24, v4
	s_movk_i32 s10, 0x80
	v_and_or_b32 v12, v4, s10, v11
.LBB215_2622:
	s_or_b64 exec, exec, s[14:15]
.LBB215_2623:
	s_or_b64 exec, exec, s[4:5]
	s_mov_b64 s[4:5], 0
	global_store_byte v[0:1], v12, off
.LBB215_2624:
	s_and_b64 vcc, exec, s[4:5]
	s_cbranch_vccz .LBB215_2634
; %bb.2625:
	v_cvt_f32_f16_e32 v4, v3
	s_mov_b32 s4, 0x43f00000
                                        ; implicit-def: $vgpr11
	v_and_b32_e32 v12, 0x7fffffff, v4
	v_cmp_gt_u32_e32 vcc, s4, v12
	s_and_saveexec_b64 s[4:5], vcc
	s_xor_b64 s[4:5], exec, s[4:5]
	s_cbranch_execz .LBB215_2631
; %bb.2626:
	s_mov_b32 s10, 0x3c7fffff
	v_cmp_lt_u32_e32 vcc, s10, v12
                                        ; implicit-def: $vgpr11
	s_and_saveexec_b64 s[10:11], vcc
	s_xor_b64 s[10:11], exec, s[10:11]
; %bb.2627:
	v_bfe_u32 v11, v4, 20, 1
	s_mov_b32 s13, 0x407ffff
	v_add3_u32 v11, v4, v11, s13
	v_lshrrev_b32_e32 v12, 20, v11
	v_and_b32_e32 v11, 0xff00000, v11
	s_mov_b32 s13, 0x7f00000
	v_mov_b32_e32 v13, 0x7e
	v_cmp_ne_u32_e32 vcc, s13, v11
	v_cndmask_b32_e32 v11, v13, v12, vcc
; %bb.2628:
	s_andn2_saveexec_b64 s[10:11], s[10:11]
; %bb.2629:
	s_mov_b32 s13, 0x46800000
	v_add_f32_e64 v11, |v4|, s13
; %bb.2630:
	s_or_b64 exec, exec, s[10:11]
                                        ; implicit-def: $vgpr12
.LBB215_2631:
	s_andn2_saveexec_b64 s[4:5], s[4:5]
; %bb.2632:
	s_mov_b32 s10, 0x7f800000
	v_mov_b32_e32 v11, 0x7e
	v_mov_b32_e32 v13, 0x7f
	v_cmp_lt_u32_e32 vcc, s10, v12
	v_cndmask_b32_e32 v11, v11, v13, vcc
; %bb.2633:
	s_or_b64 exec, exec, s[4:5]
	v_lshrrev_b32_e32 v4, 24, v4
	s_movk_i32 s4, 0x80
	v_and_or_b32 v4, v4, s4, v11
	global_store_byte v[0:1], v4, off
.LBB215_2634:
	s_mov_b64 s[4:5], 0
.LBB215_2635:
	s_andn2_b64 vcc, exec, s[4:5]
	s_cbranch_vccnz .LBB215_2645
; %bb.2636:
	v_cvt_f32_f16_e32 v4, v3
	s_mov_b32 s4, 0x47800000
                                        ; implicit-def: $vgpr11
	v_and_b32_e32 v12, 0x7fffffff, v4
	v_cmp_gt_u32_e32 vcc, s4, v12
	s_and_saveexec_b64 s[4:5], vcc
	s_xor_b64 s[4:5], exec, s[4:5]
	s_cbranch_execz .LBB215_2642
; %bb.2637:
	s_mov_b32 s10, 0x387fffff
	v_cmp_lt_u32_e32 vcc, s10, v12
                                        ; implicit-def: $vgpr11
	s_and_saveexec_b64 s[10:11], vcc
	s_xor_b64 s[10:11], exec, s[10:11]
; %bb.2638:
	v_bfe_u32 v11, v4, 21, 1
	s_mov_b32 s13, 0x80fffff
	v_add3_u32 v11, v4, v11, s13
	v_lshrrev_b32_e32 v11, 21, v11
; %bb.2639:
	s_andn2_saveexec_b64 s[10:11], s[10:11]
; %bb.2640:
	s_mov_b32 s13, 0x43000000
	v_add_f32_e64 v11, |v4|, s13
; %bb.2641:
	s_or_b64 exec, exec, s[10:11]
                                        ; implicit-def: $vgpr12
.LBB215_2642:
	s_andn2_saveexec_b64 s[4:5], s[4:5]
; %bb.2643:
	s_mov_b32 s10, 0x7f800000
	v_mov_b32_e32 v11, 0x7c
	v_mov_b32_e32 v13, 0x7f
	v_cmp_lt_u32_e32 vcc, s10, v12
	v_cndmask_b32_e32 v11, v11, v13, vcc
; %bb.2644:
	s_or_b64 exec, exec, s[4:5]
	v_lshrrev_b32_e32 v4, 24, v4
	s_movk_i32 s4, 0x80
	v_and_or_b32 v4, v4, s4, v11
	global_store_byte v[0:1], v4, off
.LBB215_2645:
	s_mov_b64 s[4:5], 0
	s_mov_b64 s[10:11], -1
.LBB215_2646:
	s_andn2_b64 vcc, exec, s[4:5]
	s_mov_b64 s[4:5], 0
	s_cbranch_vccnz .LBB215_2653
; %bb.2647:
	s_cmp_gt_i32 s3, 14
	s_mov_b64 s[14:15], -1
	s_cbranch_scc0 .LBB215_2651
; %bb.2648:
	s_cmp_eq_u32 s3, 15
	s_mov_b64 s[0:1], -1
	s_cbranch_scc0 .LBB215_2650
; %bb.2649:
	v_cvt_f32_f16_e32 v4, v3
	s_movk_i32 s0, 0x7fff
	v_cmp_o_f16_e32 vcc, v3, v3
	v_mov_b32_e32 v11, 0x7fc0
	v_bfe_u32 v12, v4, 16, 1
	v_add3_u32 v4, v4, v12, s0
	v_cndmask_b32_sdwa v4, v11, v4, vcc dst_sel:DWORD dst_unused:UNUSED_PAD src0_sel:DWORD src1_sel:WORD_1
	global_store_short v[0:1], v4, off
	s_mov_b64 s[0:1], 0
	s_mov_b64 s[10:11], -1
.LBB215_2650:
	s_mov_b64 s[14:15], 0
.LBB215_2651:
	s_and_b64 vcc, exec, s[14:15]
	s_cbranch_vccz .LBB215_2653
; %bb.2652:
	s_cmp_lg_u32 s3, 11
	s_mov_b64 s[4:5], -1
	s_cselect_b64 s[0:1], -1, 0
.LBB215_2653:
	s_and_b64 vcc, exec, s[0:1]
	s_cbranch_vccnz .LBB215_3061
; %bb.2654:
	s_andn2_b64 vcc, exec, s[4:5]
	s_cbranch_vccnz .LBB215_2656
.LBB215_2655:
	v_and_b32_e32 v4, 0x7fff, v3
	v_cmp_ne_u16_e32 vcc, 0, v4
	v_cndmask_b32_e64 v4, 0, 1, vcc
	s_mov_b64 s[10:11], -1
	global_store_byte v[0:1], v4, off
.LBB215_2656:
	s_mov_b64 s[0:1], 0
	s_branch .LBB215_2658
.LBB215_2657:
	s_mov_b64 s[0:1], -1
	s_mov_b64 s[10:11], 0
.LBB215_2658:
	s_and_b64 vcc, exec, s[0:1]
	s_cbranch_vccz .LBB215_2697
; %bb.2659:
	s_and_b32 s3, 0xffff, s22
	s_cmp_lt_i32 s3, 5
	s_mov_b64 s[0:1], -1
	s_cbranch_scc1 .LBB215_2680
; %bb.2660:
	s_cmp_lt_i32 s3, 8
	s_cbranch_scc1 .LBB215_2670
; %bb.2661:
	s_cmp_lt_i32 s3, 9
	s_cbranch_scc1 .LBB215_2667
; %bb.2662:
	s_cmp_gt_i32 s3, 9
	s_cbranch_scc0 .LBB215_2664
; %bb.2663:
	v_cvt_f32_f16_e32 v4, v3
	v_mov_b32_e32 v13, 0
	v_mov_b32_e32 v14, v13
	s_mov_b64 s[0:1], 0
	v_cvt_f64_f32_e32 v[11:12], v4
	global_store_dwordx4 v[0:1], v[11:14], off
.LBB215_2664:
	s_andn2_b64 vcc, exec, s[0:1]
	s_cbranch_vccnz .LBB215_2666
; %bb.2665:
	v_cvt_f32_f16_e32 v11, v3
	v_mov_b32_e32 v12, 0
	global_store_dwordx2 v[0:1], v[11:12], off
.LBB215_2666:
	s_mov_b64 s[0:1], 0
.LBB215_2667:
	s_andn2_b64 vcc, exec, s[0:1]
	s_cbranch_vccnz .LBB215_2669
; %bb.2668:
	v_and_b32_e32 v4, 0xffff, v3
	global_store_dword v[0:1], v4, off
.LBB215_2669:
	s_mov_b64 s[0:1], 0
.LBB215_2670:
	s_andn2_b64 vcc, exec, s[0:1]
	s_cbranch_vccnz .LBB215_2679
; %bb.2671:
	s_cmp_lt_i32 s3, 6
	s_mov_b64 s[0:1], -1
	s_cbranch_scc1 .LBB215_2677
; %bb.2672:
	s_cmp_gt_i32 s3, 6
	s_cbranch_scc0 .LBB215_2674
; %bb.2673:
	v_cvt_f32_f16_e32 v4, v3
	s_mov_b64 s[0:1], 0
	v_cvt_f64_f32_e32 v[11:12], v4
	global_store_dwordx2 v[0:1], v[11:12], off
.LBB215_2674:
	s_andn2_b64 vcc, exec, s[0:1]
	s_cbranch_vccnz .LBB215_2676
; %bb.2675:
	v_cvt_f32_f16_e32 v4, v3
	global_store_dword v[0:1], v4, off
.LBB215_2676:
	s_mov_b64 s[0:1], 0
.LBB215_2677:
	s_andn2_b64 vcc, exec, s[0:1]
	s_cbranch_vccnz .LBB215_2679
; %bb.2678:
	global_store_short v[0:1], v3, off
.LBB215_2679:
	s_mov_b64 s[0:1], 0
.LBB215_2680:
	s_andn2_b64 vcc, exec, s[0:1]
	s_cbranch_vccnz .LBB215_2696
; %bb.2681:
	s_cmp_lt_i32 s3, 2
	s_mov_b64 s[0:1], -1
	s_cbranch_scc1 .LBB215_2691
; %bb.2682:
	s_cmp_lt_i32 s3, 3
	s_cbranch_scc1 .LBB215_2688
; %bb.2683:
	s_cmp_gt_i32 s3, 3
	s_cbranch_scc0 .LBB215_2685
; %bb.2684:
	v_cvt_f32_f16_e32 v4, v3
	s_mov_b64 s[0:1], 0
	v_cvt_i32_f32_e32 v11, v4
	v_ashrrev_i32_e32 v12, 31, v11
	global_store_dwordx2 v[0:1], v[11:12], off
.LBB215_2685:
	s_andn2_b64 vcc, exec, s[0:1]
	s_cbranch_vccnz .LBB215_2687
; %bb.2686:
	v_cvt_f32_f16_e32 v4, v3
	v_cvt_i32_f32_e32 v4, v4
	global_store_dword v[0:1], v4, off
.LBB215_2687:
	s_mov_b64 s[0:1], 0
.LBB215_2688:
	s_andn2_b64 vcc, exec, s[0:1]
	s_cbranch_vccnz .LBB215_2690
; %bb.2689:
	v_cvt_i16_f16_e32 v4, v3
	global_store_short v[0:1], v4, off
.LBB215_2690:
	s_mov_b64 s[0:1], 0
.LBB215_2691:
	s_andn2_b64 vcc, exec, s[0:1]
	s_cbranch_vccnz .LBB215_2696
; %bb.2692:
	s_cmp_gt_i32 s3, 0
	s_mov_b64 s[0:1], -1
	s_cbranch_scc0 .LBB215_2694
; %bb.2693:
	v_cvt_i16_f16_e32 v4, v3
	global_store_byte v[0:1], v4, off
	s_mov_b64 s[0:1], 0
.LBB215_2694:
	s_andn2_b64 vcc, exec, s[0:1]
	s_cbranch_vccnz .LBB215_2696
; %bb.2695:
	v_cvt_f32_f16_e32 v3, v3
	v_cvt_i32_f32_e32 v3, v3
	global_store_byte v[0:1], v3, off
.LBB215_2696:
	s_mov_b64 s[10:11], -1
.LBB215_2697:
	s_andn2_b64 vcc, exec, s[10:11]
	s_cbranch_vccnz .LBB215_3012
; %bb.2698:
	s_lshl_b32 s3, s12, 7
	v_mov_b32_e32 v0, s33
	v_cmp_ge_f16_e32 vcc, s2, v5
	v_add_u32_e32 v2, s3, v2
	v_cndmask_b32_e32 v3, v6, v0, vcc
	v_ashrrev_i32_e32 v1, 31, v2
	v_mov_b32_e32 v4, s9
	v_add_co_u32_e32 v0, vcc, s8, v2
	s_cmp_lt_i32 s22, 11
	v_addc_co_u32_e32 v1, vcc, v4, v1, vcc
	s_cbranch_scc1 .LBB215_2776
; %bb.2699:
	s_and_b32 s16, 0xffff, s22
	s_mov_b64 s[12:13], -1
	s_mov_b64 s[4:5], 0
	s_cmp_gt_i32 s16, 25
	s_mov_b64 s[10:11], 0
	s_mov_b64 s[0:1], 0
	s_cbranch_scc0 .LBB215_2732
; %bb.2700:
	s_cmp_gt_i32 s16, 28
	s_cbranch_scc0 .LBB215_2715
; %bb.2701:
	s_cmp_gt_i32 s16, 43
	;; [unrolled: 3-line block ×3, first 2 shown]
	s_cbranch_scc0 .LBB215_2705
; %bb.2703:
	s_mov_b64 s[0:1], -1
	s_mov_b64 s[12:13], 0
	s_cmp_eq_u32 s16, 46
	s_cbranch_scc0 .LBB215_2705
; %bb.2704:
	v_cvt_f32_f16_e32 v4, v3
	s_movk_i32 s0, 0x7fff
	v_cmp_o_f16_e32 vcc, v3, v3
	v_mov_b32_e32 v5, 0x7fc0
	v_bfe_u32 v6, v4, 16, 1
	v_add3_u32 v4, v4, v6, s0
	v_cndmask_b32_sdwa v4, v5, v4, vcc dst_sel:DWORD dst_unused:UNUSED_PAD src0_sel:DWORD src1_sel:WORD_1
	global_store_dword v[0:1], v4, off
	s_mov_b64 s[0:1], 0
	s_mov_b64 s[10:11], -1
.LBB215_2705:
	s_and_b64 vcc, exec, s[12:13]
	s_cbranch_vccz .LBB215_2710
; %bb.2706:
	s_cmp_eq_u32 s16, 44
	s_mov_b64 s[0:1], -1
	s_cbranch_scc0 .LBB215_2710
; %bb.2707:
	v_cvt_f32_f16_e32 v4, v3
	s_movk_i32 s0, 0xff
	v_mov_b32_e32 v6, 0xff
	v_bfe_u32 v5, v4, 23, 8
	v_cmp_ne_u32_e32 vcc, s0, v5
	s_and_saveexec_b64 s[10:11], vcc
; %bb.2708:
	s_mov_b32 s0, 0x3fffff
	v_lshrrev_b32_e32 v6, 23, v4
	v_and_b32_e32 v11, 0x400000, v4
	v_and_or_b32 v4, v4, s0, v5
	v_cmp_ne_u32_e32 vcc, 0, v11
	v_cmp_ne_u32_e64 s[0:1], 0, v4
	s_and_b64 s[0:1], vcc, s[0:1]
	v_cndmask_b32_e64 v4, 0, 1, s[0:1]
	v_add_u32_e32 v6, v6, v4
; %bb.2709:
	s_or_b64 exec, exec, s[10:11]
	s_mov_b64 s[0:1], 0
	s_mov_b64 s[10:11], -1
	global_store_byte v[0:1], v6, off
.LBB215_2710:
	s_mov_b64 s[12:13], 0
.LBB215_2711:
	s_and_b64 vcc, exec, s[12:13]
	s_cbranch_vccz .LBB215_2714
; %bb.2712:
	s_cmp_eq_u32 s16, 29
	s_mov_b64 s[0:1], -1
	s_cbranch_scc0 .LBB215_2714
; %bb.2713:
	v_cvt_f32_f16_e32 v4, v3
	v_mov_b32_e32 v5, 0
	s_mov_b64 s[0:1], 0
	s_mov_b64 s[10:11], -1
	v_cvt_u32_f32_e32 v4, v4
	global_store_dwordx2 v[0:1], v[4:5], off
.LBB215_2714:
	s_mov_b64 s[12:13], 0
.LBB215_2715:
	s_and_b64 vcc, exec, s[12:13]
	s_cbranch_vccz .LBB215_2731
; %bb.2716:
	s_cmp_lt_i32 s16, 27
	s_mov_b64 s[10:11], -1
	s_cbranch_scc1 .LBB215_2722
; %bb.2717:
	s_cmp_gt_i32 s16, 27
	s_cbranch_scc0 .LBB215_2719
; %bb.2718:
	v_cvt_f32_f16_e32 v4, v3
	s_mov_b64 s[10:11], 0
	v_cvt_u32_f32_e32 v4, v4
	global_store_dword v[0:1], v4, off
.LBB215_2719:
	s_andn2_b64 vcc, exec, s[10:11]
	s_cbranch_vccnz .LBB215_2721
; %bb.2720:
	v_cvt_u16_f16_e32 v4, v3
	global_store_short v[0:1], v4, off
.LBB215_2721:
	s_mov_b64 s[10:11], 0
.LBB215_2722:
	s_andn2_b64 vcc, exec, s[10:11]
	s_cbranch_vccnz .LBB215_2730
; %bb.2723:
	v_cvt_f32_f16_e32 v4, v3
	s_mov_b32 s10, 0x43800000
	v_mov_b32_e32 v6, 0x80
	v_and_b32_e32 v5, 0x7fffffff, v4
	v_cmp_gt_u32_e32 vcc, s10, v5
	s_and_saveexec_b64 s[10:11], vcc
	s_cbranch_execz .LBB215_2729
; %bb.2724:
	s_mov_b32 s12, 0x3bffffff
	v_cmp_lt_u32_e32 vcc, s12, v5
	s_mov_b64 s[12:13], 0
                                        ; implicit-def: $vgpr5
	s_and_saveexec_b64 s[14:15], vcc
	s_xor_b64 s[14:15], exec, s[14:15]
	s_cbranch_execz .LBB215_3064
; %bb.2725:
	v_bfe_u32 v5, v4, 20, 1
	s_mov_b32 s17, 0x487ffff
	v_add3_u32 v5, v4, v5, s17
	s_mov_b64 s[12:13], exec
	v_lshrrev_b32_e32 v5, 20, v5
	s_andn2_saveexec_b64 s[14:15], s[14:15]
	s_cbranch_execnz .LBB215_3065
.LBB215_2726:
	s_or_b64 exec, exec, s[14:15]
	v_mov_b32_e32 v6, 0
	s_and_saveexec_b64 s[14:15], s[12:13]
.LBB215_2727:
	v_lshrrev_b32_e32 v4, 24, v4
	s_movk_i32 s12, 0x80
	v_and_or_b32 v6, v4, s12, v5
.LBB215_2728:
	s_or_b64 exec, exec, s[14:15]
.LBB215_2729:
	s_or_b64 exec, exec, s[10:11]
	global_store_byte v[0:1], v6, off
.LBB215_2730:
	s_mov_b64 s[10:11], -1
.LBB215_2731:
	s_mov_b64 s[12:13], 0
.LBB215_2732:
	s_and_b64 vcc, exec, s[12:13]
	s_cbranch_vccz .LBB215_2772
; %bb.2733:
	s_cmp_gt_i32 s16, 22
	s_mov_b64 s[4:5], -1
	s_cbranch_scc0 .LBB215_2765
; %bb.2734:
	s_cmp_lt_i32 s16, 24
	s_cbranch_scc1 .LBB215_2754
; %bb.2735:
	s_cmp_gt_i32 s16, 24
	s_cbranch_scc0 .LBB215_2743
; %bb.2736:
	v_cvt_f32_f16_e32 v4, v3
	s_mov_b32 s4, 0x47800000
	v_mov_b32_e32 v6, 0x80
	v_and_b32_e32 v5, 0x7fffffff, v4
	v_cmp_gt_u32_e32 vcc, s4, v5
	s_and_saveexec_b64 s[4:5], vcc
	s_cbranch_execz .LBB215_2742
; %bb.2737:
	s_mov_b32 s10, 0x37ffffff
	v_cmp_lt_u32_e32 vcc, s10, v5
	s_mov_b64 s[10:11], 0
                                        ; implicit-def: $vgpr5
	s_and_saveexec_b64 s[12:13], vcc
	s_xor_b64 s[12:13], exec, s[12:13]
	s_cbranch_execz .LBB215_3067
; %bb.2738:
	v_bfe_u32 v5, v4, 21, 1
	s_mov_b32 s14, 0x88fffff
	v_add3_u32 v5, v4, v5, s14
	s_mov_b64 s[10:11], exec
	v_lshrrev_b32_e32 v5, 21, v5
	s_andn2_saveexec_b64 s[12:13], s[12:13]
	s_cbranch_execnz .LBB215_3068
.LBB215_2739:
	s_or_b64 exec, exec, s[12:13]
	v_mov_b32_e32 v6, 0
	s_and_saveexec_b64 s[12:13], s[10:11]
.LBB215_2740:
	v_lshrrev_b32_e32 v4, 24, v4
	s_movk_i32 s10, 0x80
	v_and_or_b32 v6, v4, s10, v5
.LBB215_2741:
	s_or_b64 exec, exec, s[12:13]
.LBB215_2742:
	s_or_b64 exec, exec, s[4:5]
	s_mov_b64 s[4:5], 0
	global_store_byte v[0:1], v6, off
.LBB215_2743:
	s_and_b64 vcc, exec, s[4:5]
	s_cbranch_vccz .LBB215_2753
; %bb.2744:
	v_cvt_f32_f16_e32 v4, v3
	s_mov_b32 s4, 0x43f00000
                                        ; implicit-def: $vgpr5
	v_and_b32_e32 v6, 0x7fffffff, v4
	v_cmp_gt_u32_e32 vcc, s4, v6
	s_and_saveexec_b64 s[4:5], vcc
	s_xor_b64 s[4:5], exec, s[4:5]
	s_cbranch_execz .LBB215_2750
; %bb.2745:
	s_mov_b32 s10, 0x3c7fffff
	v_cmp_lt_u32_e32 vcc, s10, v6
                                        ; implicit-def: $vgpr5
	s_and_saveexec_b64 s[10:11], vcc
	s_xor_b64 s[10:11], exec, s[10:11]
; %bb.2746:
	v_bfe_u32 v5, v4, 20, 1
	s_mov_b32 s12, 0x407ffff
	v_add3_u32 v5, v4, v5, s12
	v_lshrrev_b32_e32 v6, 20, v5
	v_and_b32_e32 v5, 0xff00000, v5
	s_mov_b32 s12, 0x7f00000
	v_mov_b32_e32 v11, 0x7e
	v_cmp_ne_u32_e32 vcc, s12, v5
	v_cndmask_b32_e32 v5, v11, v6, vcc
; %bb.2747:
	s_andn2_saveexec_b64 s[10:11], s[10:11]
; %bb.2748:
	s_mov_b32 s12, 0x46800000
	v_add_f32_e64 v5, |v4|, s12
; %bb.2749:
	s_or_b64 exec, exec, s[10:11]
                                        ; implicit-def: $vgpr6
.LBB215_2750:
	s_andn2_saveexec_b64 s[4:5], s[4:5]
; %bb.2751:
	s_mov_b32 s10, 0x7f800000
	v_mov_b32_e32 v5, 0x7e
	v_mov_b32_e32 v11, 0x7f
	v_cmp_lt_u32_e32 vcc, s10, v6
	v_cndmask_b32_e32 v5, v5, v11, vcc
; %bb.2752:
	s_or_b64 exec, exec, s[4:5]
	v_lshrrev_b32_e32 v4, 24, v4
	s_movk_i32 s4, 0x80
	v_and_or_b32 v4, v4, s4, v5
	global_store_byte v[0:1], v4, off
.LBB215_2753:
	s_mov_b64 s[4:5], 0
.LBB215_2754:
	s_andn2_b64 vcc, exec, s[4:5]
	s_cbranch_vccnz .LBB215_2764
; %bb.2755:
	v_cvt_f32_f16_e32 v4, v3
	s_mov_b32 s4, 0x47800000
                                        ; implicit-def: $vgpr5
	v_and_b32_e32 v6, 0x7fffffff, v4
	v_cmp_gt_u32_e32 vcc, s4, v6
	s_and_saveexec_b64 s[4:5], vcc
	s_xor_b64 s[4:5], exec, s[4:5]
	s_cbranch_execz .LBB215_2761
; %bb.2756:
	s_mov_b32 s10, 0x387fffff
	v_cmp_lt_u32_e32 vcc, s10, v6
                                        ; implicit-def: $vgpr5
	s_and_saveexec_b64 s[10:11], vcc
	s_xor_b64 s[10:11], exec, s[10:11]
; %bb.2757:
	v_bfe_u32 v5, v4, 21, 1
	s_mov_b32 s12, 0x80fffff
	v_add3_u32 v5, v4, v5, s12
	v_lshrrev_b32_e32 v5, 21, v5
; %bb.2758:
	s_andn2_saveexec_b64 s[10:11], s[10:11]
; %bb.2759:
	s_mov_b32 s12, 0x43000000
	v_add_f32_e64 v5, |v4|, s12
; %bb.2760:
	s_or_b64 exec, exec, s[10:11]
                                        ; implicit-def: $vgpr6
.LBB215_2761:
	s_andn2_saveexec_b64 s[4:5], s[4:5]
; %bb.2762:
	s_mov_b32 s10, 0x7f800000
	v_mov_b32_e32 v5, 0x7c
	v_mov_b32_e32 v11, 0x7f
	v_cmp_lt_u32_e32 vcc, s10, v6
	v_cndmask_b32_e32 v5, v5, v11, vcc
; %bb.2763:
	s_or_b64 exec, exec, s[4:5]
	v_lshrrev_b32_e32 v4, 24, v4
	s_movk_i32 s4, 0x80
	v_and_or_b32 v4, v4, s4, v5
	global_store_byte v[0:1], v4, off
.LBB215_2764:
	s_mov_b64 s[4:5], 0
	s_mov_b64 s[10:11], -1
.LBB215_2765:
	s_andn2_b64 vcc, exec, s[4:5]
	s_mov_b64 s[4:5], 0
	s_cbranch_vccnz .LBB215_2772
; %bb.2766:
	s_cmp_gt_i32 s16, 14
	s_mov_b64 s[12:13], -1
	s_cbranch_scc0 .LBB215_2770
; %bb.2767:
	s_cmp_eq_u32 s16, 15
	s_mov_b64 s[0:1], -1
	s_cbranch_scc0 .LBB215_2769
; %bb.2768:
	v_cvt_f32_f16_e32 v4, v3
	s_movk_i32 s0, 0x7fff
	v_cmp_o_f16_e32 vcc, v3, v3
	v_mov_b32_e32 v5, 0x7fc0
	v_bfe_u32 v6, v4, 16, 1
	v_add3_u32 v4, v4, v6, s0
	v_cndmask_b32_sdwa v4, v5, v4, vcc dst_sel:DWORD dst_unused:UNUSED_PAD src0_sel:DWORD src1_sel:WORD_1
	global_store_short v[0:1], v4, off
	s_mov_b64 s[0:1], 0
	s_mov_b64 s[10:11], -1
.LBB215_2769:
	s_mov_b64 s[12:13], 0
.LBB215_2770:
	s_and_b64 vcc, exec, s[12:13]
	s_cbranch_vccz .LBB215_2772
; %bb.2771:
	s_cmp_lg_u32 s16, 11
	s_mov_b64 s[4:5], -1
	s_cselect_b64 s[0:1], -1, 0
.LBB215_2772:
	s_and_b64 vcc, exec, s[0:1]
	s_cbranch_vccnz .LBB215_3066
; %bb.2773:
	s_andn2_b64 vcc, exec, s[4:5]
	s_cbranch_vccnz .LBB215_2775
.LBB215_2774:
	v_and_b32_e32 v4, 0x7fff, v3
	v_cmp_ne_u16_e32 vcc, 0, v4
	v_cndmask_b32_e64 v4, 0, 1, vcc
	s_mov_b64 s[10:11], -1
	global_store_byte v[0:1], v4, off
.LBB215_2775:
	s_mov_b64 s[0:1], 0
	s_branch .LBB215_2777
.LBB215_2776:
	s_mov_b64 s[0:1], -1
	s_mov_b64 s[10:11], 0
.LBB215_2777:
	s_and_b64 vcc, exec, s[0:1]
	s_cbranch_vccz .LBB215_2816
; %bb.2778:
	s_and_b32 s4, 0xffff, s22
	s_cmp_lt_i32 s4, 5
	s_mov_b64 s[0:1], -1
	s_cbranch_scc1 .LBB215_2799
; %bb.2779:
	s_cmp_lt_i32 s4, 8
	s_cbranch_scc1 .LBB215_2789
; %bb.2780:
	s_cmp_lt_i32 s4, 9
	s_cbranch_scc1 .LBB215_2786
; %bb.2781:
	s_cmp_gt_i32 s4, 9
	s_cbranch_scc0 .LBB215_2783
; %bb.2782:
	v_cvt_f32_f16_e32 v4, v3
	v_mov_b32_e32 v13, 0
	v_mov_b32_e32 v14, v13
	s_mov_b64 s[0:1], 0
	v_cvt_f64_f32_e32 v[11:12], v4
	global_store_dwordx4 v[0:1], v[11:14], off
.LBB215_2783:
	s_andn2_b64 vcc, exec, s[0:1]
	s_cbranch_vccnz .LBB215_2785
; %bb.2784:
	v_cvt_f32_f16_e32 v4, v3
	v_mov_b32_e32 v5, 0
	global_store_dwordx2 v[0:1], v[4:5], off
.LBB215_2785:
	s_mov_b64 s[0:1], 0
.LBB215_2786:
	s_andn2_b64 vcc, exec, s[0:1]
	s_cbranch_vccnz .LBB215_2788
; %bb.2787:
	v_and_b32_e32 v4, 0xffff, v3
	global_store_dword v[0:1], v4, off
.LBB215_2788:
	s_mov_b64 s[0:1], 0
.LBB215_2789:
	s_andn2_b64 vcc, exec, s[0:1]
	s_cbranch_vccnz .LBB215_2798
; %bb.2790:
	s_cmp_lt_i32 s4, 6
	s_mov_b64 s[0:1], -1
	s_cbranch_scc1 .LBB215_2796
; %bb.2791:
	s_cmp_gt_i32 s4, 6
	s_cbranch_scc0 .LBB215_2793
; %bb.2792:
	v_cvt_f32_f16_e32 v4, v3
	s_mov_b64 s[0:1], 0
	v_cvt_f64_f32_e32 v[4:5], v4
	global_store_dwordx2 v[0:1], v[4:5], off
.LBB215_2793:
	s_andn2_b64 vcc, exec, s[0:1]
	s_cbranch_vccnz .LBB215_2795
; %bb.2794:
	v_cvt_f32_f16_e32 v4, v3
	global_store_dword v[0:1], v4, off
.LBB215_2795:
	s_mov_b64 s[0:1], 0
.LBB215_2796:
	s_andn2_b64 vcc, exec, s[0:1]
	s_cbranch_vccnz .LBB215_2798
; %bb.2797:
	global_store_short v[0:1], v3, off
.LBB215_2798:
	s_mov_b64 s[0:1], 0
.LBB215_2799:
	s_andn2_b64 vcc, exec, s[0:1]
	s_cbranch_vccnz .LBB215_2815
; %bb.2800:
	s_cmp_lt_i32 s4, 2
	s_mov_b64 s[0:1], -1
	s_cbranch_scc1 .LBB215_2810
; %bb.2801:
	s_cmp_lt_i32 s4, 3
	s_cbranch_scc1 .LBB215_2807
; %bb.2802:
	s_cmp_gt_i32 s4, 3
	s_cbranch_scc0 .LBB215_2804
; %bb.2803:
	v_cvt_f32_f16_e32 v4, v3
	s_mov_b64 s[0:1], 0
	v_cvt_i32_f32_e32 v4, v4
	v_ashrrev_i32_e32 v5, 31, v4
	global_store_dwordx2 v[0:1], v[4:5], off
.LBB215_2804:
	s_andn2_b64 vcc, exec, s[0:1]
	s_cbranch_vccnz .LBB215_2806
; %bb.2805:
	v_cvt_f32_f16_e32 v4, v3
	v_cvt_i32_f32_e32 v4, v4
	global_store_dword v[0:1], v4, off
.LBB215_2806:
	s_mov_b64 s[0:1], 0
.LBB215_2807:
	s_andn2_b64 vcc, exec, s[0:1]
	s_cbranch_vccnz .LBB215_2809
; %bb.2808:
	v_cvt_i16_f16_e32 v4, v3
	global_store_short v[0:1], v4, off
.LBB215_2809:
	s_mov_b64 s[0:1], 0
.LBB215_2810:
	s_andn2_b64 vcc, exec, s[0:1]
	s_cbranch_vccnz .LBB215_2815
; %bb.2811:
	s_cmp_gt_i32 s4, 0
	s_mov_b64 s[0:1], -1
	s_cbranch_scc0 .LBB215_2813
; %bb.2812:
	v_cvt_i16_f16_e32 v4, v3
	global_store_byte v[0:1], v4, off
	s_mov_b64 s[0:1], 0
.LBB215_2813:
	s_andn2_b64 vcc, exec, s[0:1]
	s_cbranch_vccnz .LBB215_2815
; %bb.2814:
	v_cvt_f32_f16_e32 v3, v3
	v_cvt_i32_f32_e32 v3, v3
	global_store_byte v[0:1], v3, off
.LBB215_2815:
	s_mov_b64 s[10:11], -1
.LBB215_2816:
	s_andn2_b64 vcc, exec, s[10:11]
	s_cbranch_vccnz .LBB215_3012
; %bb.2817:
	v_mov_b32_e32 v0, s33
	v_cmp_ge_f16_e32 vcc, s2, v7
	v_add_u32_e32 v2, s3, v2
	v_cndmask_b32_e32 v3, v8, v0, vcc
	v_ashrrev_i32_e32 v1, 31, v2
	v_mov_b32_e32 v4, s9
	v_add_co_u32_e32 v0, vcc, s8, v2
	s_cmp_lt_i32 s22, 11
	v_addc_co_u32_e32 v1, vcc, v4, v1, vcc
	s_cbranch_scc1 .LBB215_2895
; %bb.2818:
	s_and_b32 s16, 0xffff, s22
	s_mov_b64 s[12:13], -1
	s_mov_b64 s[4:5], 0
	s_cmp_gt_i32 s16, 25
	s_mov_b64 s[10:11], 0
	s_mov_b64 s[0:1], 0
	s_cbranch_scc0 .LBB215_2851
; %bb.2819:
	s_cmp_gt_i32 s16, 28
	s_cbranch_scc0 .LBB215_2834
; %bb.2820:
	s_cmp_gt_i32 s16, 43
	;; [unrolled: 3-line block ×3, first 2 shown]
	s_cbranch_scc0 .LBB215_2824
; %bb.2822:
	s_mov_b64 s[0:1], -1
	s_mov_b64 s[12:13], 0
	s_cmp_eq_u32 s16, 46
	s_cbranch_scc0 .LBB215_2824
; %bb.2823:
	v_cvt_f32_f16_e32 v4, v3
	s_movk_i32 s0, 0x7fff
	v_cmp_o_f16_e32 vcc, v3, v3
	v_mov_b32_e32 v5, 0x7fc0
	v_bfe_u32 v6, v4, 16, 1
	v_add3_u32 v4, v4, v6, s0
	v_cndmask_b32_sdwa v4, v5, v4, vcc dst_sel:DWORD dst_unused:UNUSED_PAD src0_sel:DWORD src1_sel:WORD_1
	global_store_dword v[0:1], v4, off
	s_mov_b64 s[0:1], 0
	s_mov_b64 s[10:11], -1
.LBB215_2824:
	s_and_b64 vcc, exec, s[12:13]
	s_cbranch_vccz .LBB215_2829
; %bb.2825:
	s_cmp_eq_u32 s16, 44
	s_mov_b64 s[0:1], -1
	s_cbranch_scc0 .LBB215_2829
; %bb.2826:
	v_cvt_f32_f16_e32 v4, v3
	s_movk_i32 s0, 0xff
	v_mov_b32_e32 v6, 0xff
	v_bfe_u32 v5, v4, 23, 8
	v_cmp_ne_u32_e32 vcc, s0, v5
	s_and_saveexec_b64 s[10:11], vcc
; %bb.2827:
	s_mov_b32 s0, 0x3fffff
	v_lshrrev_b32_e32 v6, 23, v4
	v_and_b32_e32 v7, 0x400000, v4
	v_and_or_b32 v4, v4, s0, v5
	v_cmp_ne_u32_e32 vcc, 0, v7
	v_cmp_ne_u32_e64 s[0:1], 0, v4
	s_and_b64 s[0:1], vcc, s[0:1]
	v_cndmask_b32_e64 v4, 0, 1, s[0:1]
	v_add_u32_e32 v6, v6, v4
; %bb.2828:
	s_or_b64 exec, exec, s[10:11]
	s_mov_b64 s[0:1], 0
	s_mov_b64 s[10:11], -1
	global_store_byte v[0:1], v6, off
.LBB215_2829:
	s_mov_b64 s[12:13], 0
.LBB215_2830:
	s_and_b64 vcc, exec, s[12:13]
	s_cbranch_vccz .LBB215_2833
; %bb.2831:
	s_cmp_eq_u32 s16, 29
	s_mov_b64 s[0:1], -1
	s_cbranch_scc0 .LBB215_2833
; %bb.2832:
	v_cvt_f32_f16_e32 v4, v3
	v_mov_b32_e32 v5, 0
	s_mov_b64 s[0:1], 0
	s_mov_b64 s[10:11], -1
	v_cvt_u32_f32_e32 v4, v4
	global_store_dwordx2 v[0:1], v[4:5], off
.LBB215_2833:
	s_mov_b64 s[12:13], 0
.LBB215_2834:
	s_and_b64 vcc, exec, s[12:13]
	s_cbranch_vccz .LBB215_2850
; %bb.2835:
	s_cmp_lt_i32 s16, 27
	s_mov_b64 s[10:11], -1
	s_cbranch_scc1 .LBB215_2841
; %bb.2836:
	s_cmp_gt_i32 s16, 27
	s_cbranch_scc0 .LBB215_2838
; %bb.2837:
	v_cvt_f32_f16_e32 v4, v3
	s_mov_b64 s[10:11], 0
	v_cvt_u32_f32_e32 v4, v4
	global_store_dword v[0:1], v4, off
.LBB215_2838:
	s_andn2_b64 vcc, exec, s[10:11]
	s_cbranch_vccnz .LBB215_2840
; %bb.2839:
	v_cvt_u16_f16_e32 v4, v3
	global_store_short v[0:1], v4, off
.LBB215_2840:
	s_mov_b64 s[10:11], 0
.LBB215_2841:
	s_andn2_b64 vcc, exec, s[10:11]
	s_cbranch_vccnz .LBB215_2849
; %bb.2842:
	v_cvt_f32_f16_e32 v4, v3
	s_mov_b32 s10, 0x43800000
	v_mov_b32_e32 v6, 0x80
	v_and_b32_e32 v5, 0x7fffffff, v4
	v_cmp_gt_u32_e32 vcc, s10, v5
	s_and_saveexec_b64 s[10:11], vcc
	s_cbranch_execz .LBB215_2848
; %bb.2843:
	s_mov_b32 s12, 0x3bffffff
	v_cmp_lt_u32_e32 vcc, s12, v5
	s_mov_b64 s[12:13], 0
                                        ; implicit-def: $vgpr5
	s_and_saveexec_b64 s[14:15], vcc
	s_xor_b64 s[14:15], exec, s[14:15]
	s_cbranch_execz .LBB215_3069
; %bb.2844:
	v_bfe_u32 v5, v4, 20, 1
	s_mov_b32 s17, 0x487ffff
	v_add3_u32 v5, v4, v5, s17
	s_mov_b64 s[12:13], exec
	v_lshrrev_b32_e32 v5, 20, v5
	s_andn2_saveexec_b64 s[14:15], s[14:15]
	s_cbranch_execnz .LBB215_3070
.LBB215_2845:
	s_or_b64 exec, exec, s[14:15]
	v_mov_b32_e32 v6, 0
	s_and_saveexec_b64 s[14:15], s[12:13]
.LBB215_2846:
	v_lshrrev_b32_e32 v4, 24, v4
	s_movk_i32 s12, 0x80
	v_and_or_b32 v6, v4, s12, v5
.LBB215_2847:
	s_or_b64 exec, exec, s[14:15]
.LBB215_2848:
	s_or_b64 exec, exec, s[10:11]
	global_store_byte v[0:1], v6, off
.LBB215_2849:
	s_mov_b64 s[10:11], -1
.LBB215_2850:
	s_mov_b64 s[12:13], 0
.LBB215_2851:
	s_and_b64 vcc, exec, s[12:13]
	s_cbranch_vccz .LBB215_2891
; %bb.2852:
	s_cmp_gt_i32 s16, 22
	s_mov_b64 s[4:5], -1
	s_cbranch_scc0 .LBB215_2884
; %bb.2853:
	s_cmp_lt_i32 s16, 24
	s_cbranch_scc1 .LBB215_2873
; %bb.2854:
	s_cmp_gt_i32 s16, 24
	s_cbranch_scc0 .LBB215_2862
; %bb.2855:
	v_cvt_f32_f16_e32 v4, v3
	s_mov_b32 s4, 0x47800000
	v_mov_b32_e32 v6, 0x80
	v_and_b32_e32 v5, 0x7fffffff, v4
	v_cmp_gt_u32_e32 vcc, s4, v5
	s_and_saveexec_b64 s[4:5], vcc
	s_cbranch_execz .LBB215_2861
; %bb.2856:
	s_mov_b32 s10, 0x37ffffff
	v_cmp_lt_u32_e32 vcc, s10, v5
	s_mov_b64 s[10:11], 0
                                        ; implicit-def: $vgpr5
	s_and_saveexec_b64 s[12:13], vcc
	s_xor_b64 s[12:13], exec, s[12:13]
	s_cbranch_execz .LBB215_3072
; %bb.2857:
	v_bfe_u32 v5, v4, 21, 1
	s_mov_b32 s14, 0x88fffff
	v_add3_u32 v5, v4, v5, s14
	s_mov_b64 s[10:11], exec
	v_lshrrev_b32_e32 v5, 21, v5
	s_andn2_saveexec_b64 s[12:13], s[12:13]
	s_cbranch_execnz .LBB215_3073
.LBB215_2858:
	s_or_b64 exec, exec, s[12:13]
	v_mov_b32_e32 v6, 0
	s_and_saveexec_b64 s[12:13], s[10:11]
.LBB215_2859:
	v_lshrrev_b32_e32 v4, 24, v4
	s_movk_i32 s10, 0x80
	v_and_or_b32 v6, v4, s10, v5
.LBB215_2860:
	s_or_b64 exec, exec, s[12:13]
.LBB215_2861:
	s_or_b64 exec, exec, s[4:5]
	s_mov_b64 s[4:5], 0
	global_store_byte v[0:1], v6, off
.LBB215_2862:
	s_and_b64 vcc, exec, s[4:5]
	s_cbranch_vccz .LBB215_2872
; %bb.2863:
	v_cvt_f32_f16_e32 v4, v3
	s_mov_b32 s4, 0x43f00000
                                        ; implicit-def: $vgpr5
	v_and_b32_e32 v6, 0x7fffffff, v4
	v_cmp_gt_u32_e32 vcc, s4, v6
	s_and_saveexec_b64 s[4:5], vcc
	s_xor_b64 s[4:5], exec, s[4:5]
	s_cbranch_execz .LBB215_2869
; %bb.2864:
	s_mov_b32 s10, 0x3c7fffff
	v_cmp_lt_u32_e32 vcc, s10, v6
                                        ; implicit-def: $vgpr5
	s_and_saveexec_b64 s[10:11], vcc
	s_xor_b64 s[10:11], exec, s[10:11]
; %bb.2865:
	v_bfe_u32 v5, v4, 20, 1
	s_mov_b32 s12, 0x407ffff
	v_add3_u32 v5, v4, v5, s12
	v_lshrrev_b32_e32 v6, 20, v5
	v_and_b32_e32 v5, 0xff00000, v5
	s_mov_b32 s12, 0x7f00000
	v_mov_b32_e32 v7, 0x7e
	v_cmp_ne_u32_e32 vcc, s12, v5
	v_cndmask_b32_e32 v5, v7, v6, vcc
; %bb.2866:
	s_andn2_saveexec_b64 s[10:11], s[10:11]
; %bb.2867:
	s_mov_b32 s12, 0x46800000
	v_add_f32_e64 v5, |v4|, s12
; %bb.2868:
	s_or_b64 exec, exec, s[10:11]
                                        ; implicit-def: $vgpr6
.LBB215_2869:
	s_andn2_saveexec_b64 s[4:5], s[4:5]
; %bb.2870:
	s_mov_b32 s10, 0x7f800000
	v_mov_b32_e32 v5, 0x7e
	v_mov_b32_e32 v7, 0x7f
	v_cmp_lt_u32_e32 vcc, s10, v6
	v_cndmask_b32_e32 v5, v5, v7, vcc
; %bb.2871:
	s_or_b64 exec, exec, s[4:5]
	v_lshrrev_b32_e32 v4, 24, v4
	s_movk_i32 s4, 0x80
	v_and_or_b32 v4, v4, s4, v5
	global_store_byte v[0:1], v4, off
.LBB215_2872:
	s_mov_b64 s[4:5], 0
.LBB215_2873:
	s_andn2_b64 vcc, exec, s[4:5]
	s_cbranch_vccnz .LBB215_2883
; %bb.2874:
	v_cvt_f32_f16_e32 v4, v3
	s_mov_b32 s4, 0x47800000
                                        ; implicit-def: $vgpr5
	v_and_b32_e32 v6, 0x7fffffff, v4
	v_cmp_gt_u32_e32 vcc, s4, v6
	s_and_saveexec_b64 s[4:5], vcc
	s_xor_b64 s[4:5], exec, s[4:5]
	s_cbranch_execz .LBB215_2880
; %bb.2875:
	s_mov_b32 s10, 0x387fffff
	v_cmp_lt_u32_e32 vcc, s10, v6
                                        ; implicit-def: $vgpr5
	s_and_saveexec_b64 s[10:11], vcc
	s_xor_b64 s[10:11], exec, s[10:11]
; %bb.2876:
	v_bfe_u32 v5, v4, 21, 1
	s_mov_b32 s12, 0x80fffff
	v_add3_u32 v5, v4, v5, s12
	v_lshrrev_b32_e32 v5, 21, v5
; %bb.2877:
	s_andn2_saveexec_b64 s[10:11], s[10:11]
; %bb.2878:
	s_mov_b32 s12, 0x43000000
	v_add_f32_e64 v5, |v4|, s12
; %bb.2879:
	s_or_b64 exec, exec, s[10:11]
                                        ; implicit-def: $vgpr6
.LBB215_2880:
	s_andn2_saveexec_b64 s[4:5], s[4:5]
; %bb.2881:
	s_mov_b32 s10, 0x7f800000
	v_mov_b32_e32 v5, 0x7c
	v_mov_b32_e32 v7, 0x7f
	v_cmp_lt_u32_e32 vcc, s10, v6
	v_cndmask_b32_e32 v5, v5, v7, vcc
; %bb.2882:
	s_or_b64 exec, exec, s[4:5]
	v_lshrrev_b32_e32 v4, 24, v4
	s_movk_i32 s4, 0x80
	v_and_or_b32 v4, v4, s4, v5
	global_store_byte v[0:1], v4, off
.LBB215_2883:
	s_mov_b64 s[4:5], 0
	s_mov_b64 s[10:11], -1
.LBB215_2884:
	s_andn2_b64 vcc, exec, s[4:5]
	s_mov_b64 s[4:5], 0
	s_cbranch_vccnz .LBB215_2891
; %bb.2885:
	s_cmp_gt_i32 s16, 14
	s_mov_b64 s[12:13], -1
	s_cbranch_scc0 .LBB215_2889
; %bb.2886:
	s_cmp_eq_u32 s16, 15
	s_mov_b64 s[0:1], -1
	s_cbranch_scc0 .LBB215_2888
; %bb.2887:
	v_cvt_f32_f16_e32 v4, v3
	s_movk_i32 s0, 0x7fff
	v_cmp_o_f16_e32 vcc, v3, v3
	v_mov_b32_e32 v5, 0x7fc0
	v_bfe_u32 v6, v4, 16, 1
	v_add3_u32 v4, v4, v6, s0
	v_cndmask_b32_sdwa v4, v5, v4, vcc dst_sel:DWORD dst_unused:UNUSED_PAD src0_sel:DWORD src1_sel:WORD_1
	global_store_short v[0:1], v4, off
	s_mov_b64 s[0:1], 0
	s_mov_b64 s[10:11], -1
.LBB215_2888:
	s_mov_b64 s[12:13], 0
.LBB215_2889:
	s_and_b64 vcc, exec, s[12:13]
	s_cbranch_vccz .LBB215_2891
; %bb.2890:
	s_cmp_lg_u32 s16, 11
	s_mov_b64 s[4:5], -1
	s_cselect_b64 s[0:1], -1, 0
.LBB215_2891:
	s_and_b64 vcc, exec, s[0:1]
	s_cbranch_vccnz .LBB215_3071
; %bb.2892:
	s_andn2_b64 vcc, exec, s[4:5]
	s_cbranch_vccnz .LBB215_2894
.LBB215_2893:
	v_and_b32_e32 v4, 0x7fff, v3
	v_cmp_ne_u16_e32 vcc, 0, v4
	v_cndmask_b32_e64 v4, 0, 1, vcc
	s_mov_b64 s[10:11], -1
	global_store_byte v[0:1], v4, off
.LBB215_2894:
	s_mov_b64 s[0:1], 0
	s_branch .LBB215_2896
.LBB215_2895:
	s_mov_b64 s[0:1], -1
	s_mov_b64 s[10:11], 0
.LBB215_2896:
	s_and_b64 vcc, exec, s[0:1]
	s_cbranch_vccz .LBB215_2935
; %bb.2897:
	s_and_b32 s4, 0xffff, s22
	s_cmp_lt_i32 s4, 5
	s_mov_b64 s[0:1], -1
	s_cbranch_scc1 .LBB215_2918
; %bb.2898:
	s_cmp_lt_i32 s4, 8
	s_cbranch_scc1 .LBB215_2908
; %bb.2899:
	s_cmp_lt_i32 s4, 9
	s_cbranch_scc1 .LBB215_2905
; %bb.2900:
	s_cmp_gt_i32 s4, 9
	s_cbranch_scc0 .LBB215_2902
; %bb.2901:
	v_cvt_f32_f16_e32 v4, v3
	v_mov_b32_e32 v6, 0
	v_mov_b32_e32 v7, v6
	s_mov_b64 s[0:1], 0
	v_cvt_f64_f32_e32 v[4:5], v4
	global_store_dwordx4 v[0:1], v[4:7], off
.LBB215_2902:
	s_andn2_b64 vcc, exec, s[0:1]
	s_cbranch_vccnz .LBB215_2904
; %bb.2903:
	v_cvt_f32_f16_e32 v4, v3
	v_mov_b32_e32 v5, 0
	global_store_dwordx2 v[0:1], v[4:5], off
.LBB215_2904:
	s_mov_b64 s[0:1], 0
.LBB215_2905:
	s_andn2_b64 vcc, exec, s[0:1]
	s_cbranch_vccnz .LBB215_2907
; %bb.2906:
	v_and_b32_e32 v4, 0xffff, v3
	global_store_dword v[0:1], v4, off
.LBB215_2907:
	s_mov_b64 s[0:1], 0
.LBB215_2908:
	s_andn2_b64 vcc, exec, s[0:1]
	s_cbranch_vccnz .LBB215_2917
; %bb.2909:
	s_cmp_lt_i32 s4, 6
	s_mov_b64 s[0:1], -1
	s_cbranch_scc1 .LBB215_2915
; %bb.2910:
	s_cmp_gt_i32 s4, 6
	s_cbranch_scc0 .LBB215_2912
; %bb.2911:
	v_cvt_f32_f16_e32 v4, v3
	s_mov_b64 s[0:1], 0
	v_cvt_f64_f32_e32 v[4:5], v4
	global_store_dwordx2 v[0:1], v[4:5], off
.LBB215_2912:
	s_andn2_b64 vcc, exec, s[0:1]
	s_cbranch_vccnz .LBB215_2914
; %bb.2913:
	v_cvt_f32_f16_e32 v4, v3
	global_store_dword v[0:1], v4, off
.LBB215_2914:
	s_mov_b64 s[0:1], 0
.LBB215_2915:
	s_andn2_b64 vcc, exec, s[0:1]
	s_cbranch_vccnz .LBB215_2917
; %bb.2916:
	global_store_short v[0:1], v3, off
.LBB215_2917:
	s_mov_b64 s[0:1], 0
.LBB215_2918:
	s_andn2_b64 vcc, exec, s[0:1]
	s_cbranch_vccnz .LBB215_2934
; %bb.2919:
	s_cmp_lt_i32 s4, 2
	s_mov_b64 s[0:1], -1
	s_cbranch_scc1 .LBB215_2929
; %bb.2920:
	s_cmp_lt_i32 s4, 3
	s_cbranch_scc1 .LBB215_2926
; %bb.2921:
	s_cmp_gt_i32 s4, 3
	s_cbranch_scc0 .LBB215_2923
; %bb.2922:
	v_cvt_f32_f16_e32 v4, v3
	s_mov_b64 s[0:1], 0
	v_cvt_i32_f32_e32 v4, v4
	v_ashrrev_i32_e32 v5, 31, v4
	global_store_dwordx2 v[0:1], v[4:5], off
.LBB215_2923:
	s_andn2_b64 vcc, exec, s[0:1]
	s_cbranch_vccnz .LBB215_2925
; %bb.2924:
	v_cvt_f32_f16_e32 v4, v3
	v_cvt_i32_f32_e32 v4, v4
	global_store_dword v[0:1], v4, off
.LBB215_2925:
	s_mov_b64 s[0:1], 0
.LBB215_2926:
	s_andn2_b64 vcc, exec, s[0:1]
	s_cbranch_vccnz .LBB215_2928
; %bb.2927:
	v_cvt_i16_f16_e32 v4, v3
	global_store_short v[0:1], v4, off
.LBB215_2928:
	s_mov_b64 s[0:1], 0
.LBB215_2929:
	s_andn2_b64 vcc, exec, s[0:1]
	s_cbranch_vccnz .LBB215_2934
; %bb.2930:
	s_cmp_gt_i32 s4, 0
	s_mov_b64 s[0:1], -1
	s_cbranch_scc0 .LBB215_2932
; %bb.2931:
	v_cvt_i16_f16_e32 v4, v3
	global_store_byte v[0:1], v4, off
	s_mov_b64 s[0:1], 0
.LBB215_2932:
	s_andn2_b64 vcc, exec, s[0:1]
	s_cbranch_vccnz .LBB215_2934
; %bb.2933:
	v_cvt_f32_f16_e32 v3, v3
	v_cvt_i32_f32_e32 v3, v3
	global_store_byte v[0:1], v3, off
.LBB215_2934:
	s_mov_b64 s[10:11], -1
.LBB215_2935:
	s_andn2_b64 vcc, exec, s[10:11]
	s_cbranch_vccnz .LBB215_3012
; %bb.2936:
	v_mov_b32_e32 v0, s33
	v_cmp_ge_f16_e32 vcc, s2, v9
	v_cndmask_b32_e32 v3, v10, v0, vcc
	v_add_u32_e32 v0, s3, v2
	v_ashrrev_i32_e32 v1, 31, v0
	v_mov_b32_e32 v2, s9
	v_add_co_u32_e32 v0, vcc, s8, v0
	s_cmp_lt_i32 s22, 11
	v_addc_co_u32_e32 v1, vcc, v2, v1, vcc
	s_cbranch_scc1 .LBB215_3057
; %bb.2937:
	s_and_b32 s12, 0xffff, s22
	s_mov_b64 s[4:5], -1
	s_mov_b64 s[2:3], 0
	s_cmp_gt_i32 s12, 25
	s_mov_b64 s[0:1], 0
	s_cbranch_scc0 .LBB215_2970
; %bb.2938:
	s_cmp_gt_i32 s12, 28
	s_cbranch_scc0 .LBB215_2954
; %bb.2939:
	s_cmp_gt_i32 s12, 43
	;; [unrolled: 3-line block ×3, first 2 shown]
	s_cbranch_scc0 .LBB215_2944
; %bb.2941:
	s_cmp_eq_u32 s12, 46
	s_mov_b64 s[0:1], -1
	s_cbranch_scc0 .LBB215_2943
; %bb.2942:
	v_cvt_f32_f16_e32 v2, v3
	s_movk_i32 s0, 0x7fff
	v_cmp_o_f16_e32 vcc, v3, v3
	v_mov_b32_e32 v4, 0x7fc0
	v_bfe_u32 v5, v2, 16, 1
	v_add3_u32 v2, v2, v5, s0
	v_cndmask_b32_sdwa v2, v4, v2, vcc dst_sel:DWORD dst_unused:UNUSED_PAD src0_sel:DWORD src1_sel:WORD_1
	global_store_dword v[0:1], v2, off
	s_mov_b64 s[0:1], 0
.LBB215_2943:
	s_mov_b64 s[4:5], 0
.LBB215_2944:
	s_and_b64 vcc, exec, s[4:5]
	s_cbranch_vccz .LBB215_2949
; %bb.2945:
	s_cmp_eq_u32 s12, 44
	s_mov_b64 s[0:1], -1
	s_cbranch_scc0 .LBB215_2949
; %bb.2946:
	v_cvt_f32_f16_e32 v2, v3
	s_movk_i32 s0, 0xff
	v_mov_b32_e32 v5, 0xff
	v_bfe_u32 v4, v2, 23, 8
	v_cmp_ne_u32_e32 vcc, s0, v4
	s_and_saveexec_b64 s[4:5], vcc
; %bb.2947:
	s_mov_b32 s0, 0x3fffff
	v_lshrrev_b32_e32 v5, 23, v2
	v_and_b32_e32 v6, 0x400000, v2
	v_and_or_b32 v2, v2, s0, v4
	v_cmp_ne_u32_e32 vcc, 0, v6
	v_cmp_ne_u32_e64 s[0:1], 0, v2
	s_and_b64 s[0:1], vcc, s[0:1]
	v_cndmask_b32_e64 v2, 0, 1, s[0:1]
	v_add_u32_e32 v5, v5, v2
; %bb.2948:
	s_or_b64 exec, exec, s[4:5]
	s_mov_b64 s[0:1], 0
	global_store_byte v[0:1], v5, off
.LBB215_2949:
	s_mov_b64 s[4:5], 0
.LBB215_2950:
	s_and_b64 vcc, exec, s[4:5]
	s_cbranch_vccz .LBB215_2953
; %bb.2951:
	s_cmp_eq_u32 s12, 29
	s_mov_b64 s[0:1], -1
	s_cbranch_scc0 .LBB215_2953
; %bb.2952:
	v_cvt_f32_f16_e32 v2, v3
	v_mov_b32_e32 v5, 0
	s_mov_b64 s[0:1], 0
	v_cvt_u32_f32_e32 v4, v2
	global_store_dwordx2 v[0:1], v[4:5], off
.LBB215_2953:
	s_mov_b64 s[4:5], 0
.LBB215_2954:
	s_and_b64 vcc, exec, s[4:5]
	s_cbranch_vccz .LBB215_2969
; %bb.2955:
	s_cmp_lt_i32 s12, 27
	s_mov_b64 s[4:5], -1
	s_cbranch_scc1 .LBB215_2961
; %bb.2956:
	s_cmp_gt_i32 s12, 27
	s_cbranch_scc0 .LBB215_2958
; %bb.2957:
	v_cvt_f32_f16_e32 v2, v3
	s_mov_b64 s[4:5], 0
	v_cvt_u32_f32_e32 v2, v2
	global_store_dword v[0:1], v2, off
.LBB215_2958:
	s_andn2_b64 vcc, exec, s[4:5]
	s_cbranch_vccnz .LBB215_2960
; %bb.2959:
	v_cvt_u16_f16_e32 v2, v3
	global_store_short v[0:1], v2, off
.LBB215_2960:
	s_mov_b64 s[4:5], 0
.LBB215_2961:
	s_andn2_b64 vcc, exec, s[4:5]
	s_cbranch_vccnz .LBB215_2969
; %bb.2962:
	v_cvt_f32_f16_e32 v2, v3
	s_mov_b32 s4, 0x43800000
	v_mov_b32_e32 v5, 0x80
	v_and_b32_e32 v4, 0x7fffffff, v2
	v_cmp_gt_u32_e32 vcc, s4, v4
	s_and_saveexec_b64 s[4:5], vcc
	s_cbranch_execz .LBB215_2968
; %bb.2963:
	s_mov_b32 s8, 0x3bffffff
	v_cmp_lt_u32_e32 vcc, s8, v4
	s_mov_b64 s[8:9], 0
                                        ; implicit-def: $vgpr4
	s_and_saveexec_b64 s[10:11], vcc
	s_xor_b64 s[10:11], exec, s[10:11]
	s_cbranch_execz .LBB215_3074
; %bb.2964:
	v_bfe_u32 v4, v2, 20, 1
	s_mov_b32 s13, 0x487ffff
	v_add3_u32 v4, v2, v4, s13
	s_mov_b64 s[8:9], exec
	v_lshrrev_b32_e32 v4, 20, v4
	s_andn2_saveexec_b64 s[10:11], s[10:11]
	s_cbranch_execnz .LBB215_3075
.LBB215_2965:
	s_or_b64 exec, exec, s[10:11]
	v_mov_b32_e32 v5, 0
	s_and_saveexec_b64 s[10:11], s[8:9]
.LBB215_2966:
	v_lshrrev_b32_e32 v2, 24, v2
	s_movk_i32 s8, 0x80
	v_and_or_b32 v5, v2, s8, v4
.LBB215_2967:
	s_or_b64 exec, exec, s[10:11]
.LBB215_2968:
	s_or_b64 exec, exec, s[4:5]
	global_store_byte v[0:1], v5, off
.LBB215_2969:
	s_mov_b64 s[4:5], 0
.LBB215_2970:
	s_and_b64 vcc, exec, s[4:5]
	s_cbranch_vccz .LBB215_3010
; %bb.2971:
	s_cmp_gt_i32 s12, 22
	s_mov_b64 s[2:3], -1
	s_cbranch_scc0 .LBB215_3003
; %bb.2972:
	s_cmp_lt_i32 s12, 24
	s_cbranch_scc1 .LBB215_2992
; %bb.2973:
	s_cmp_gt_i32 s12, 24
	s_cbranch_scc0 .LBB215_2981
; %bb.2974:
	v_cvt_f32_f16_e32 v2, v3
	s_mov_b32 s2, 0x47800000
	v_mov_b32_e32 v5, 0x80
	v_and_b32_e32 v4, 0x7fffffff, v2
	v_cmp_gt_u32_e32 vcc, s2, v4
	s_and_saveexec_b64 s[2:3], vcc
	s_cbranch_execz .LBB215_2980
; %bb.2975:
	s_mov_b32 s4, 0x37ffffff
	v_cmp_lt_u32_e32 vcc, s4, v4
	s_mov_b64 s[4:5], 0
                                        ; implicit-def: $vgpr4
	s_and_saveexec_b64 s[8:9], vcc
	s_xor_b64 s[8:9], exec, s[8:9]
	s_cbranch_execz .LBB215_3077
; %bb.2976:
	v_bfe_u32 v4, v2, 21, 1
	s_mov_b32 s10, 0x88fffff
	v_add3_u32 v4, v2, v4, s10
	s_mov_b64 s[4:5], exec
	v_lshrrev_b32_e32 v4, 21, v4
	s_andn2_saveexec_b64 s[8:9], s[8:9]
	s_cbranch_execnz .LBB215_3078
.LBB215_2977:
	s_or_b64 exec, exec, s[8:9]
	v_mov_b32_e32 v5, 0
	s_and_saveexec_b64 s[8:9], s[4:5]
.LBB215_2978:
	v_lshrrev_b32_e32 v2, 24, v2
	s_movk_i32 s4, 0x80
	v_and_or_b32 v5, v2, s4, v4
.LBB215_2979:
	s_or_b64 exec, exec, s[8:9]
.LBB215_2980:
	s_or_b64 exec, exec, s[2:3]
	s_mov_b64 s[2:3], 0
	global_store_byte v[0:1], v5, off
.LBB215_2981:
	s_and_b64 vcc, exec, s[2:3]
	s_cbranch_vccz .LBB215_2991
; %bb.2982:
	v_cvt_f32_f16_e32 v2, v3
	s_mov_b32 s2, 0x43f00000
                                        ; implicit-def: $vgpr4
	v_and_b32_e32 v5, 0x7fffffff, v2
	v_cmp_gt_u32_e32 vcc, s2, v5
	s_and_saveexec_b64 s[2:3], vcc
	s_xor_b64 s[2:3], exec, s[2:3]
	s_cbranch_execz .LBB215_2988
; %bb.2983:
	s_mov_b32 s4, 0x3c7fffff
	v_cmp_lt_u32_e32 vcc, s4, v5
                                        ; implicit-def: $vgpr4
	s_and_saveexec_b64 s[4:5], vcc
	s_xor_b64 s[4:5], exec, s[4:5]
; %bb.2984:
	v_bfe_u32 v4, v2, 20, 1
	s_mov_b32 s8, 0x407ffff
	v_add3_u32 v4, v2, v4, s8
	v_lshrrev_b32_e32 v5, 20, v4
	v_and_b32_e32 v4, 0xff00000, v4
	s_mov_b32 s8, 0x7f00000
	v_mov_b32_e32 v6, 0x7e
	v_cmp_ne_u32_e32 vcc, s8, v4
	v_cndmask_b32_e32 v4, v6, v5, vcc
; %bb.2985:
	s_andn2_saveexec_b64 s[4:5], s[4:5]
; %bb.2986:
	s_mov_b32 s8, 0x46800000
	v_add_f32_e64 v4, |v2|, s8
; %bb.2987:
	s_or_b64 exec, exec, s[4:5]
                                        ; implicit-def: $vgpr5
.LBB215_2988:
	s_andn2_saveexec_b64 s[2:3], s[2:3]
; %bb.2989:
	s_mov_b32 s4, 0x7f800000
	v_mov_b32_e32 v4, 0x7e
	v_mov_b32_e32 v6, 0x7f
	v_cmp_lt_u32_e32 vcc, s4, v5
	v_cndmask_b32_e32 v4, v4, v6, vcc
; %bb.2990:
	s_or_b64 exec, exec, s[2:3]
	v_lshrrev_b32_e32 v2, 24, v2
	s_movk_i32 s2, 0x80
	v_and_or_b32 v2, v2, s2, v4
	global_store_byte v[0:1], v2, off
.LBB215_2991:
	s_mov_b64 s[2:3], 0
.LBB215_2992:
	s_andn2_b64 vcc, exec, s[2:3]
	s_cbranch_vccnz .LBB215_3002
; %bb.2993:
	v_cvt_f32_f16_e32 v2, v3
	s_mov_b32 s2, 0x47800000
                                        ; implicit-def: $vgpr4
	v_and_b32_e32 v5, 0x7fffffff, v2
	v_cmp_gt_u32_e32 vcc, s2, v5
	s_and_saveexec_b64 s[2:3], vcc
	s_xor_b64 s[2:3], exec, s[2:3]
	s_cbranch_execz .LBB215_2999
; %bb.2994:
	s_mov_b32 s4, 0x387fffff
	v_cmp_lt_u32_e32 vcc, s4, v5
                                        ; implicit-def: $vgpr4
	s_and_saveexec_b64 s[4:5], vcc
	s_xor_b64 s[4:5], exec, s[4:5]
; %bb.2995:
	v_bfe_u32 v4, v2, 21, 1
	s_mov_b32 s8, 0x80fffff
	v_add3_u32 v4, v2, v4, s8
	v_lshrrev_b32_e32 v4, 21, v4
; %bb.2996:
	s_andn2_saveexec_b64 s[4:5], s[4:5]
; %bb.2997:
	s_mov_b32 s8, 0x43000000
	v_add_f32_e64 v4, |v2|, s8
; %bb.2998:
	s_or_b64 exec, exec, s[4:5]
                                        ; implicit-def: $vgpr5
.LBB215_2999:
	s_andn2_saveexec_b64 s[2:3], s[2:3]
; %bb.3000:
	s_mov_b32 s4, 0x7f800000
	v_mov_b32_e32 v4, 0x7c
	v_mov_b32_e32 v6, 0x7f
	v_cmp_lt_u32_e32 vcc, s4, v5
	v_cndmask_b32_e32 v4, v4, v6, vcc
; %bb.3001:
	s_or_b64 exec, exec, s[2:3]
	v_lshrrev_b32_e32 v2, 24, v2
	s_movk_i32 s2, 0x80
	v_and_or_b32 v2, v2, s2, v4
	global_store_byte v[0:1], v2, off
.LBB215_3002:
	s_mov_b64 s[2:3], 0
.LBB215_3003:
	s_andn2_b64 vcc, exec, s[2:3]
	s_mov_b64 s[2:3], 0
	s_cbranch_vccnz .LBB215_3010
; %bb.3004:
	s_cmp_gt_i32 s12, 14
	s_mov_b64 s[4:5], -1
	s_cbranch_scc0 .LBB215_3008
; %bb.3005:
	s_cmp_eq_u32 s12, 15
	s_mov_b64 s[0:1], -1
	s_cbranch_scc0 .LBB215_3007
; %bb.3006:
	v_cvt_f32_f16_e32 v2, v3
	s_movk_i32 s0, 0x7fff
	v_cmp_o_f16_e32 vcc, v3, v3
	v_mov_b32_e32 v4, 0x7fc0
	v_bfe_u32 v5, v2, 16, 1
	v_add3_u32 v2, v2, v5, s0
	v_cndmask_b32_sdwa v2, v4, v2, vcc dst_sel:DWORD dst_unused:UNUSED_PAD src0_sel:DWORD src1_sel:WORD_1
	global_store_short v[0:1], v2, off
	s_mov_b64 s[0:1], 0
.LBB215_3007:
	s_mov_b64 s[4:5], 0
.LBB215_3008:
	s_and_b64 vcc, exec, s[4:5]
	s_cbranch_vccz .LBB215_3010
; %bb.3009:
	s_cmp_lg_u32 s12, 11
	s_mov_b64 s[2:3], -1
	s_cselect_b64 s[0:1], -1, 0
.LBB215_3010:
	s_and_b64 vcc, exec, s[0:1]
	s_cbranch_vccnz .LBB215_3076
.LBB215_3011:
	s_mov_b64 s[0:1], 0
	s_branch .LBB215_3013
.LBB215_3012:
	s_mov_b64 s[0:1], 0
	s_mov_b64 s[2:3], 0
                                        ; implicit-def: $sgpr22
                                        ; implicit-def: $vgpr0_vgpr1
                                        ; implicit-def: $vgpr3
.LBB215_3013:
	s_and_b64 s[4:5], s[2:3], exec
	s_andn2_b64 s[2:3], s[18:19], exec
	s_and_b64 s[8:9], s[20:21], exec
	s_and_b64 s[0:1], s[0:1], exec
	s_or_b64 s[18:19], s[2:3], s[8:9]
.LBB215_3014:
	s_or_b64 exec, exec, s[6:7]
	s_and_saveexec_b64 s[2:3], s[18:19]
	s_cbranch_execz .LBB215_3017
; %bb.3015:
	; divergent unreachable
	s_or_b64 exec, exec, s[2:3]
	s_and_saveexec_b64 s[2:3], s[4:5]
	s_xor_b64 s[2:3], exec, s[2:3]
	s_cbranch_execnz .LBB215_3018
.LBB215_3016:
	s_or_b64 exec, exec, s[2:3]
	s_and_saveexec_b64 s[2:3], s[0:1]
	s_cbranch_execnz .LBB215_3019
	s_branch .LBB215_3056
.LBB215_3017:
	s_or_b64 exec, exec, s[2:3]
	s_and_saveexec_b64 s[2:3], s[4:5]
	s_xor_b64 s[2:3], exec, s[2:3]
	s_cbranch_execz .LBB215_3016
.LBB215_3018:
	s_waitcnt vmcnt(0)
	v_and_b32_e32 v2, 0x7fff, v3
	v_cmp_ne_u16_e32 vcc, 0, v2
	v_cndmask_b32_e64 v2, 0, 1, vcc
	global_store_byte v[0:1], v2, off
	s_or_b64 exec, exec, s[2:3]
	s_and_saveexec_b64 s[2:3], s[0:1]
	s_cbranch_execz .LBB215_3056
.LBB215_3019:
	s_sext_i32_i16 s2, s22
	s_cmp_lt_i32 s2, 5
	s_mov_b64 s[0:1], -1
	s_cbranch_scc1 .LBB215_3040
; %bb.3020:
	s_cmp_lt_i32 s2, 8
	s_cbranch_scc1 .LBB215_3030
; %bb.3021:
	s_cmp_lt_i32 s2, 9
	s_cbranch_scc1 .LBB215_3027
; %bb.3022:
	s_cmp_gt_i32 s2, 9
	s_cbranch_scc0 .LBB215_3024
; %bb.3023:
	s_waitcnt vmcnt(0)
	v_cvt_f32_f16_e32 v2, v3
	v_mov_b32_e32 v6, 0
	v_mov_b32_e32 v7, v6
	s_mov_b64 s[0:1], 0
	v_cvt_f64_f32_e32 v[4:5], v2
	global_store_dwordx4 v[0:1], v[4:7], off
.LBB215_3024:
	s_andn2_b64 vcc, exec, s[0:1]
	s_cbranch_vccnz .LBB215_3026
; %bb.3025:
	s_waitcnt vmcnt(0)
	v_cvt_f32_f16_e32 v4, v3
	v_mov_b32_e32 v5, 0
	global_store_dwordx2 v[0:1], v[4:5], off
.LBB215_3026:
	s_mov_b64 s[0:1], 0
.LBB215_3027:
	s_andn2_b64 vcc, exec, s[0:1]
	s_cbranch_vccnz .LBB215_3029
; %bb.3028:
	s_waitcnt vmcnt(0)
	v_and_b32_e32 v2, 0xffff, v3
	global_store_dword v[0:1], v2, off
.LBB215_3029:
	s_mov_b64 s[0:1], 0
.LBB215_3030:
	s_andn2_b64 vcc, exec, s[0:1]
	s_cbranch_vccnz .LBB215_3039
; %bb.3031:
	s_sext_i32_i16 s2, s22
	s_cmp_lt_i32 s2, 6
	s_mov_b64 s[0:1], -1
	s_cbranch_scc1 .LBB215_3037
; %bb.3032:
	s_cmp_gt_i32 s2, 6
	s_cbranch_scc0 .LBB215_3034
; %bb.3033:
	s_waitcnt vmcnt(0)
	v_cvt_f32_f16_e32 v2, v3
	s_mov_b64 s[0:1], 0
	v_cvt_f64_f32_e32 v[4:5], v2
	global_store_dwordx2 v[0:1], v[4:5], off
.LBB215_3034:
	s_andn2_b64 vcc, exec, s[0:1]
	s_cbranch_vccnz .LBB215_3036
; %bb.3035:
	s_waitcnt vmcnt(0)
	v_cvt_f32_f16_e32 v2, v3
	global_store_dword v[0:1], v2, off
.LBB215_3036:
	s_mov_b64 s[0:1], 0
.LBB215_3037:
	s_andn2_b64 vcc, exec, s[0:1]
	s_cbranch_vccnz .LBB215_3039
; %bb.3038:
	s_waitcnt vmcnt(0)
	global_store_short v[0:1], v3, off
.LBB215_3039:
	s_mov_b64 s[0:1], 0
.LBB215_3040:
	s_andn2_b64 vcc, exec, s[0:1]
	s_cbranch_vccnz .LBB215_3056
; %bb.3041:
	s_sext_i32_i16 s2, s22
	s_cmp_lt_i32 s2, 2
	s_mov_b64 s[0:1], -1
	s_cbranch_scc1 .LBB215_3051
; %bb.3042:
	s_cmp_lt_i32 s2, 3
	s_cbranch_scc1 .LBB215_3048
; %bb.3043:
	s_cmp_gt_i32 s2, 3
	s_cbranch_scc0 .LBB215_3045
; %bb.3044:
	s_waitcnt vmcnt(0)
	v_cvt_f32_f16_e32 v2, v3
	s_mov_b64 s[0:1], 0
	v_cvt_i32_f32_e32 v4, v2
	v_ashrrev_i32_e32 v5, 31, v4
	global_store_dwordx2 v[0:1], v[4:5], off
.LBB215_3045:
	s_andn2_b64 vcc, exec, s[0:1]
	s_cbranch_vccnz .LBB215_3047
; %bb.3046:
	s_waitcnt vmcnt(0)
	v_cvt_f32_f16_e32 v2, v3
	v_cvt_i32_f32_e32 v2, v2
	global_store_dword v[0:1], v2, off
.LBB215_3047:
	s_mov_b64 s[0:1], 0
.LBB215_3048:
	s_andn2_b64 vcc, exec, s[0:1]
	s_cbranch_vccnz .LBB215_3050
; %bb.3049:
	s_waitcnt vmcnt(0)
	v_cvt_i16_f16_e32 v2, v3
	global_store_short v[0:1], v2, off
.LBB215_3050:
	s_mov_b64 s[0:1], 0
.LBB215_3051:
	s_andn2_b64 vcc, exec, s[0:1]
	s_cbranch_vccnz .LBB215_3056
; %bb.3052:
	s_sext_i32_i16 s0, s22
	s_cmp_gt_i32 s0, 0
	s_mov_b64 s[0:1], -1
	s_cbranch_scc0 .LBB215_3054
; %bb.3053:
	s_waitcnt vmcnt(0)
	v_cvt_i16_f16_e32 v2, v3
	global_store_byte v[0:1], v2, off
	s_mov_b64 s[0:1], 0
.LBB215_3054:
	s_andn2_b64 vcc, exec, s[0:1]
	s_cbranch_vccnz .LBB215_3056
; %bb.3055:
	s_waitcnt vmcnt(0)
	v_cvt_f32_f16_e32 v2, v3
	v_cvt_i32_f32_e32 v2, v2
	global_store_byte v[0:1], v2, off
	s_endpgm
.LBB215_3056:
	s_endpgm
.LBB215_3057:
	s_mov_b64 s[2:3], 0
	s_mov_b64 s[0:1], -1
	s_branch .LBB215_3013
.LBB215_3058:
	s_trap 2
	s_or_b64 s[20:21], s[20:21], exec
	s_cbranch_execz .LBB215_2527
	s_branch .LBB215_2528
.LBB215_3059:
	s_andn2_saveexec_b64 s[16:17], s[16:17]
	s_cbranch_execz .LBB215_2607
.LBB215_3060:
	s_mov_b32 s13, 0x46000000
	v_add_f32_e64 v11, |v4|, s13
	v_and_b32_e32 v11, 0xff, v11
	v_cmp_ne_u32_e32 vcc, 0, v11
	s_andn2_b64 s[14:15], s[14:15], exec
	s_and_b64 s[24:25], vcc, exec
	s_or_b64 s[14:15], s[14:15], s[24:25]
	s_or_b64 exec, exec, s[16:17]
	v_mov_b32_e32 v12, 0
	s_and_saveexec_b64 s[16:17], s[14:15]
	s_cbranch_execnz .LBB215_2608
	s_branch .LBB215_2609
.LBB215_3061:
	s_trap 2
	s_or_b64 s[20:21], s[20:21], exec
	s_cbranch_execz .LBB215_2655
	s_branch .LBB215_2656
.LBB215_3062:
	s_andn2_saveexec_b64 s[14:15], s[14:15]
	s_cbranch_execz .LBB215_2620
.LBB215_3063:
	s_mov_b32 s13, 0x42800000
	v_add_f32_e64 v11, |v4|, s13
	v_and_b32_e32 v11, 0xff, v11
	v_cmp_ne_u32_e32 vcc, 0, v11
	s_andn2_b64 s[10:11], s[10:11], exec
	s_and_b64 s[16:17], vcc, exec
	s_or_b64 s[10:11], s[10:11], s[16:17]
	s_or_b64 exec, exec, s[14:15]
	v_mov_b32_e32 v12, 0
	s_and_saveexec_b64 s[14:15], s[10:11]
	s_cbranch_execnz .LBB215_2621
	s_branch .LBB215_2622
.LBB215_3064:
	s_andn2_saveexec_b64 s[14:15], s[14:15]
	s_cbranch_execz .LBB215_2726
.LBB215_3065:
	s_mov_b32 s17, 0x46000000
	v_add_f32_e64 v5, |v4|, s17
	v_and_b32_e32 v5, 0xff, v5
	v_cmp_ne_u32_e32 vcc, 0, v5
	s_andn2_b64 s[12:13], s[12:13], exec
	s_and_b64 s[24:25], vcc, exec
	s_or_b64 s[12:13], s[12:13], s[24:25]
	s_or_b64 exec, exec, s[14:15]
	v_mov_b32_e32 v6, 0
	s_and_saveexec_b64 s[14:15], s[12:13]
	s_cbranch_execnz .LBB215_2727
	s_branch .LBB215_2728
.LBB215_3066:
	s_trap 2
	s_or_b64 s[20:21], s[20:21], exec
	s_cbranch_execz .LBB215_2774
	s_branch .LBB215_2775
.LBB215_3067:
	s_andn2_saveexec_b64 s[12:13], s[12:13]
	s_cbranch_execz .LBB215_2739
.LBB215_3068:
	s_mov_b32 s14, 0x42800000
	v_add_f32_e64 v5, |v4|, s14
	v_and_b32_e32 v5, 0xff, v5
	v_cmp_ne_u32_e32 vcc, 0, v5
	s_andn2_b64 s[10:11], s[10:11], exec
	s_and_b64 s[14:15], vcc, exec
	s_or_b64 s[10:11], s[10:11], s[14:15]
	s_or_b64 exec, exec, s[12:13]
	v_mov_b32_e32 v6, 0
	s_and_saveexec_b64 s[12:13], s[10:11]
	s_cbranch_execnz .LBB215_2740
	s_branch .LBB215_2741
.LBB215_3069:
	s_andn2_saveexec_b64 s[14:15], s[14:15]
	s_cbranch_execz .LBB215_2845
.LBB215_3070:
	s_mov_b32 s17, 0x46000000
	v_add_f32_e64 v5, |v4|, s17
	v_and_b32_e32 v5, 0xff, v5
	v_cmp_ne_u32_e32 vcc, 0, v5
	s_andn2_b64 s[12:13], s[12:13], exec
	s_and_b64 s[24:25], vcc, exec
	s_or_b64 s[12:13], s[12:13], s[24:25]
	s_or_b64 exec, exec, s[14:15]
	v_mov_b32_e32 v6, 0
	s_and_saveexec_b64 s[14:15], s[12:13]
	s_cbranch_execnz .LBB215_2846
	s_branch .LBB215_2847
.LBB215_3071:
	s_trap 2
	s_or_b64 s[20:21], s[20:21], exec
	s_cbranch_execz .LBB215_2893
	s_branch .LBB215_2894
.LBB215_3072:
	s_andn2_saveexec_b64 s[12:13], s[12:13]
	s_cbranch_execz .LBB215_2858
.LBB215_3073:
	s_mov_b32 s14, 0x42800000
	v_add_f32_e64 v5, |v4|, s14
	v_and_b32_e32 v5, 0xff, v5
	v_cmp_ne_u32_e32 vcc, 0, v5
	s_andn2_b64 s[10:11], s[10:11], exec
	s_and_b64 s[14:15], vcc, exec
	s_or_b64 s[10:11], s[10:11], s[14:15]
	s_or_b64 exec, exec, s[12:13]
	v_mov_b32_e32 v6, 0
	s_and_saveexec_b64 s[12:13], s[10:11]
	s_cbranch_execnz .LBB215_2859
	s_branch .LBB215_2860
.LBB215_3074:
	s_andn2_saveexec_b64 s[10:11], s[10:11]
	s_cbranch_execz .LBB215_2965
.LBB215_3075:
	s_mov_b32 s13, 0x46000000
	v_add_f32_e64 v4, |v2|, s13
	v_and_b32_e32 v4, 0xff, v4
	v_cmp_ne_u32_e32 vcc, 0, v4
	s_andn2_b64 s[8:9], s[8:9], exec
	s_and_b64 s[14:15], vcc, exec
	s_or_b64 s[8:9], s[8:9], s[14:15]
	s_or_b64 exec, exec, s[10:11]
	v_mov_b32_e32 v5, 0
	s_and_saveexec_b64 s[10:11], s[8:9]
	s_cbranch_execnz .LBB215_2966
	s_branch .LBB215_2967
.LBB215_3076:
	s_mov_b64 s[2:3], 0
	s_or_b64 s[20:21], s[20:21], exec
	s_trap 2
	s_branch .LBB215_3011
.LBB215_3077:
	s_andn2_saveexec_b64 s[8:9], s[8:9]
	s_cbranch_execz .LBB215_2977
.LBB215_3078:
	s_mov_b32 s10, 0x42800000
	v_add_f32_e64 v4, |v2|, s10
	v_and_b32_e32 v4, 0xff, v4
	v_cmp_ne_u32_e32 vcc, 0, v4
	s_andn2_b64 s[4:5], s[4:5], exec
	s_and_b64 s[10:11], vcc, exec
	s_or_b64 s[4:5], s[4:5], s[10:11]
	s_or_b64 exec, exec, s[8:9]
	v_mov_b32_e32 v5, 0
	s_and_saveexec_b64 s[8:9], s[4:5]
	s_cbranch_execnz .LBB215_2978
	s_branch .LBB215_2979
	.section	.rodata,"a",@progbits
	.p2align	6, 0x0
	.amdhsa_kernel _ZN2at6native32elementwise_kernel_manual_unrollILi128ELi4EZNS0_15gpu_kernel_implINS0_13BinaryFunctorIN3c104HalfES5_S5_ZNS0_12_GLOBAL__N_121threshold_kernel_implIS5_EEvRNS_18TensorIteratorBaseET_SA_EUlS5_S5_E_EEEEvS9_RKSA_EUlibE_EEviT1_
		.amdhsa_group_segment_fixed_size 0
		.amdhsa_private_segment_fixed_size 0
		.amdhsa_kernarg_size 56
		.amdhsa_user_sgpr_count 6
		.amdhsa_user_sgpr_private_segment_buffer 1
		.amdhsa_user_sgpr_dispatch_ptr 0
		.amdhsa_user_sgpr_queue_ptr 0
		.amdhsa_user_sgpr_kernarg_segment_ptr 1
		.amdhsa_user_sgpr_dispatch_id 0
		.amdhsa_user_sgpr_flat_scratch_init 0
		.amdhsa_user_sgpr_private_segment_size 0
		.amdhsa_uses_dynamic_stack 0
		.amdhsa_system_sgpr_private_segment_wavefront_offset 0
		.amdhsa_system_sgpr_workgroup_id_x 1
		.amdhsa_system_sgpr_workgroup_id_y 0
		.amdhsa_system_sgpr_workgroup_id_z 0
		.amdhsa_system_sgpr_workgroup_info 0
		.amdhsa_system_vgpr_workitem_id 0
		.amdhsa_next_free_vgpr 18
		.amdhsa_next_free_sgpr 58
		.amdhsa_reserve_vcc 1
		.amdhsa_reserve_flat_scratch 0
		.amdhsa_float_round_mode_32 0
		.amdhsa_float_round_mode_16_64 0
		.amdhsa_float_denorm_mode_32 3
		.amdhsa_float_denorm_mode_16_64 3
		.amdhsa_dx10_clamp 1
		.amdhsa_ieee_mode 1
		.amdhsa_fp16_overflow 0
		.amdhsa_exception_fp_ieee_invalid_op 0
		.amdhsa_exception_fp_denorm_src 0
		.amdhsa_exception_fp_ieee_div_zero 0
		.amdhsa_exception_fp_ieee_overflow 0
		.amdhsa_exception_fp_ieee_underflow 0
		.amdhsa_exception_fp_ieee_inexact 0
		.amdhsa_exception_int_div_zero 0
	.end_amdhsa_kernel
	.section	.text._ZN2at6native32elementwise_kernel_manual_unrollILi128ELi4EZNS0_15gpu_kernel_implINS0_13BinaryFunctorIN3c104HalfES5_S5_ZNS0_12_GLOBAL__N_121threshold_kernel_implIS5_EEvRNS_18TensorIteratorBaseET_SA_EUlS5_S5_E_EEEEvS9_RKSA_EUlibE_EEviT1_,"axG",@progbits,_ZN2at6native32elementwise_kernel_manual_unrollILi128ELi4EZNS0_15gpu_kernel_implINS0_13BinaryFunctorIN3c104HalfES5_S5_ZNS0_12_GLOBAL__N_121threshold_kernel_implIS5_EEvRNS_18TensorIteratorBaseET_SA_EUlS5_S5_E_EEEEvS9_RKSA_EUlibE_EEviT1_,comdat
.Lfunc_end215:
	.size	_ZN2at6native32elementwise_kernel_manual_unrollILi128ELi4EZNS0_15gpu_kernel_implINS0_13BinaryFunctorIN3c104HalfES5_S5_ZNS0_12_GLOBAL__N_121threshold_kernel_implIS5_EEvRNS_18TensorIteratorBaseET_SA_EUlS5_S5_E_EEEEvS9_RKSA_EUlibE_EEviT1_, .Lfunc_end215-_ZN2at6native32elementwise_kernel_manual_unrollILi128ELi4EZNS0_15gpu_kernel_implINS0_13BinaryFunctorIN3c104HalfES5_S5_ZNS0_12_GLOBAL__N_121threshold_kernel_implIS5_EEvRNS_18TensorIteratorBaseET_SA_EUlS5_S5_E_EEEEvS9_RKSA_EUlibE_EEviT1_
                                        ; -- End function
	.set _ZN2at6native32elementwise_kernel_manual_unrollILi128ELi4EZNS0_15gpu_kernel_implINS0_13BinaryFunctorIN3c104HalfES5_S5_ZNS0_12_GLOBAL__N_121threshold_kernel_implIS5_EEvRNS_18TensorIteratorBaseET_SA_EUlS5_S5_E_EEEEvS9_RKSA_EUlibE_EEviT1_.num_vgpr, 18
	.set _ZN2at6native32elementwise_kernel_manual_unrollILi128ELi4EZNS0_15gpu_kernel_implINS0_13BinaryFunctorIN3c104HalfES5_S5_ZNS0_12_GLOBAL__N_121threshold_kernel_implIS5_EEvRNS_18TensorIteratorBaseET_SA_EUlS5_S5_E_EEEEvS9_RKSA_EUlibE_EEviT1_.num_agpr, 0
	.set _ZN2at6native32elementwise_kernel_manual_unrollILi128ELi4EZNS0_15gpu_kernel_implINS0_13BinaryFunctorIN3c104HalfES5_S5_ZNS0_12_GLOBAL__N_121threshold_kernel_implIS5_EEvRNS_18TensorIteratorBaseET_SA_EUlS5_S5_E_EEEEvS9_RKSA_EUlibE_EEviT1_.numbered_sgpr, 58
	.set _ZN2at6native32elementwise_kernel_manual_unrollILi128ELi4EZNS0_15gpu_kernel_implINS0_13BinaryFunctorIN3c104HalfES5_S5_ZNS0_12_GLOBAL__N_121threshold_kernel_implIS5_EEvRNS_18TensorIteratorBaseET_SA_EUlS5_S5_E_EEEEvS9_RKSA_EUlibE_EEviT1_.num_named_barrier, 0
	.set _ZN2at6native32elementwise_kernel_manual_unrollILi128ELi4EZNS0_15gpu_kernel_implINS0_13BinaryFunctorIN3c104HalfES5_S5_ZNS0_12_GLOBAL__N_121threshold_kernel_implIS5_EEvRNS_18TensorIteratorBaseET_SA_EUlS5_S5_E_EEEEvS9_RKSA_EUlibE_EEviT1_.private_seg_size, 0
	.set _ZN2at6native32elementwise_kernel_manual_unrollILi128ELi4EZNS0_15gpu_kernel_implINS0_13BinaryFunctorIN3c104HalfES5_S5_ZNS0_12_GLOBAL__N_121threshold_kernel_implIS5_EEvRNS_18TensorIteratorBaseET_SA_EUlS5_S5_E_EEEEvS9_RKSA_EUlibE_EEviT1_.uses_vcc, 1
	.set _ZN2at6native32elementwise_kernel_manual_unrollILi128ELi4EZNS0_15gpu_kernel_implINS0_13BinaryFunctorIN3c104HalfES5_S5_ZNS0_12_GLOBAL__N_121threshold_kernel_implIS5_EEvRNS_18TensorIteratorBaseET_SA_EUlS5_S5_E_EEEEvS9_RKSA_EUlibE_EEviT1_.uses_flat_scratch, 0
	.set _ZN2at6native32elementwise_kernel_manual_unrollILi128ELi4EZNS0_15gpu_kernel_implINS0_13BinaryFunctorIN3c104HalfES5_S5_ZNS0_12_GLOBAL__N_121threshold_kernel_implIS5_EEvRNS_18TensorIteratorBaseET_SA_EUlS5_S5_E_EEEEvS9_RKSA_EUlibE_EEviT1_.has_dyn_sized_stack, 0
	.set _ZN2at6native32elementwise_kernel_manual_unrollILi128ELi4EZNS0_15gpu_kernel_implINS0_13BinaryFunctorIN3c104HalfES5_S5_ZNS0_12_GLOBAL__N_121threshold_kernel_implIS5_EEvRNS_18TensorIteratorBaseET_SA_EUlS5_S5_E_EEEEvS9_RKSA_EUlibE_EEviT1_.has_recursion, 0
	.set _ZN2at6native32elementwise_kernel_manual_unrollILi128ELi4EZNS0_15gpu_kernel_implINS0_13BinaryFunctorIN3c104HalfES5_S5_ZNS0_12_GLOBAL__N_121threshold_kernel_implIS5_EEvRNS_18TensorIteratorBaseET_SA_EUlS5_S5_E_EEEEvS9_RKSA_EUlibE_EEviT1_.has_indirect_call, 0
	.section	.AMDGPU.csdata,"",@progbits
; Kernel info:
; codeLenInByte = 55352
; TotalNumSgprs: 62
; NumVgprs: 18
; ScratchSize: 0
; MemoryBound: 0
; FloatMode: 240
; IeeeMode: 1
; LDSByteSize: 0 bytes/workgroup (compile time only)
; SGPRBlocks: 7
; VGPRBlocks: 4
; NumSGPRsForWavesPerEU: 62
; NumVGPRsForWavesPerEU: 18
; Occupancy: 10
; WaveLimiterHint : 0
; COMPUTE_PGM_RSRC2:SCRATCH_EN: 0
; COMPUTE_PGM_RSRC2:USER_SGPR: 6
; COMPUTE_PGM_RSRC2:TRAP_HANDLER: 0
; COMPUTE_PGM_RSRC2:TGID_X_EN: 1
; COMPUTE_PGM_RSRC2:TGID_Y_EN: 0
; COMPUTE_PGM_RSRC2:TGID_Z_EN: 0
; COMPUTE_PGM_RSRC2:TIDIG_COMP_CNT: 0
	.section	.text._ZN2at6native32elementwise_kernel_manual_unrollILi128ELi4EZNS0_15gpu_kernel_implINS0_13BinaryFunctorIN3c104HalfES5_S5_ZNS0_12_GLOBAL__N_121threshold_kernel_implIS5_EEvRNS_18TensorIteratorBaseET_SA_EUlS5_S5_E_EEEEvS9_RKSA_EUlibE0_EEviT1_,"axG",@progbits,_ZN2at6native32elementwise_kernel_manual_unrollILi128ELi4EZNS0_15gpu_kernel_implINS0_13BinaryFunctorIN3c104HalfES5_S5_ZNS0_12_GLOBAL__N_121threshold_kernel_implIS5_EEvRNS_18TensorIteratorBaseET_SA_EUlS5_S5_E_EEEEvS9_RKSA_EUlibE0_EEviT1_,comdat
	.globl	_ZN2at6native32elementwise_kernel_manual_unrollILi128ELi4EZNS0_15gpu_kernel_implINS0_13BinaryFunctorIN3c104HalfES5_S5_ZNS0_12_GLOBAL__N_121threshold_kernel_implIS5_EEvRNS_18TensorIteratorBaseET_SA_EUlS5_S5_E_EEEEvS9_RKSA_EUlibE0_EEviT1_ ; -- Begin function _ZN2at6native32elementwise_kernel_manual_unrollILi128ELi4EZNS0_15gpu_kernel_implINS0_13BinaryFunctorIN3c104HalfES5_S5_ZNS0_12_GLOBAL__N_121threshold_kernel_implIS5_EEvRNS_18TensorIteratorBaseET_SA_EUlS5_S5_E_EEEEvS9_RKSA_EUlibE0_EEviT1_
	.p2align	8
	.type	_ZN2at6native32elementwise_kernel_manual_unrollILi128ELi4EZNS0_15gpu_kernel_implINS0_13BinaryFunctorIN3c104HalfES5_S5_ZNS0_12_GLOBAL__N_121threshold_kernel_implIS5_EEvRNS_18TensorIteratorBaseET_SA_EUlS5_S5_E_EEEEvS9_RKSA_EUlibE0_EEviT1_,@function
_ZN2at6native32elementwise_kernel_manual_unrollILi128ELi4EZNS0_15gpu_kernel_implINS0_13BinaryFunctorIN3c104HalfES5_S5_ZNS0_12_GLOBAL__N_121threshold_kernel_implIS5_EEvRNS_18TensorIteratorBaseET_SA_EUlS5_S5_E_EEEEvS9_RKSA_EUlibE0_EEviT1_: ; @_ZN2at6native32elementwise_kernel_manual_unrollILi128ELi4EZNS0_15gpu_kernel_implINS0_13BinaryFunctorIN3c104HalfES5_S5_ZNS0_12_GLOBAL__N_121threshold_kernel_implIS5_EEvRNS_18TensorIteratorBaseET_SA_EUlS5_S5_E_EEEEvS9_RKSA_EUlibE0_EEviT1_
; %bb.0:
	s_load_dword s68, s[4:5], 0x0
	s_load_dword s33, s[4:5], 0x8
	s_add_u32 s2, s4, 8
	s_addc_u32 s3, s5, 0
	v_lshl_or_b32 v8, s6, 9, v0
	v_or_b32_e32 v23, 0x180, v8
	s_waitcnt lgkmcnt(0)
	s_add_i32 s70, s33, -1
	s_cmp_gt_u32 s70, 1
	v_cmp_le_i32_e32 vcc, s68, v23
	s_cselect_b64 s[24:25], -1, 0
	s_mov_b64 s[6:7], 0
	s_mov_b64 s[12:13], 0
	s_and_saveexec_b64 s[0:1], vcc
	s_xor_b64 s[26:27], exec, s[0:1]
	s_cbranch_execz .LBB216_1589
; %bb.1:
	s_cmp_lg_u32 s33, 0
	s_load_dwordx4 s[16:19], s[2:3], 0x4
	s_load_dwordx2 s[30:31], s[2:3], 0x14
	s_load_dwordx8 s[8:15], s[2:3], 0x188
	s_load_dwordx4 s[20:23], s[2:3], 0xc4
	s_load_dwordx2 s[28:29], s[2:3], 0xd4
	s_cselect_b64 s[36:37], -1, 0
	s_min_u32 s74, s70, 15
	s_cmp_gt_u32 s33, 1
	s_cselect_b64 s[34:35], -1, 0
	s_waitcnt lgkmcnt(0)
	s_lshr_b32 s71, s14, 16
	s_lshr_b32 s73, s15, 8
	;; [unrolled: 1-line block ×3, first 2 shown]
	v_cmp_gt_i32_e32 vcc, s68, v8
	s_mov_b64 s[0:1], -1
	s_mov_b64 s[48:49], 0
	s_mov_b64 s[42:43], 0
	s_mov_b64 s[40:41], 0
	s_mov_b64 s[38:39], 0
	s_and_saveexec_b64 s[44:45], vcc
	s_cbranch_execz .LBB216_394
; %bb.2:
	s_andn2_b64 vcc, exec, s[24:25]
	s_cbranch_vccnz .LBB216_8
; %bb.3:
	s_andn2_b64 vcc, exec, s[36:37]
	s_cbranch_vccnz .LBB216_9
; %bb.4:
	s_add_i32 s0, s74, 1
	s_and_b32 s38, s0, 30
	s_add_u32 s0, s2, 0xffffffe8
	s_addc_u32 s1, s3, -1
	v_mov_b32_e32 v2, 0
	v_mov_b32_e32 v4, 0
	;; [unrolled: 1-line block ×4, first 2 shown]
.LBB216_5:                              ; =>This Inner Loop Header: Depth=1
	s_load_dwordx4 s[40:43], s[0:1], 0x1c
	s_load_dwordx2 s[46:47], s[0:1], 0x2c
	s_load_dwordx2 s[50:51], s[0:1], 0xec
	s_load_dwordx4 s[52:55], s[0:1], 0xdc
	s_add_u32 s0, s0, 24
	s_waitcnt lgkmcnt(0)
	v_mul_hi_u32 v3, s41, v1
	s_addc_u32 s1, s1, 0
	s_add_i32 s38, s38, -2
	s_cmp_lg_u32 s38, 0
	v_add_u32_e32 v3, v1, v3
	v_lshrrev_b32_e32 v3, s42, v3
	v_mul_lo_u32 v5, v3, s40
	v_mul_hi_u32 v6, s46, v3
	v_sub_u32_e32 v5, v1, v5
	v_add_u32_e32 v1, v3, v6
	v_lshrrev_b32_e32 v1, s47, v1
	v_mul_lo_u32 v9, v1, s43
	v_mul_lo_u32 v6, v5, s52
	;; [unrolled: 1-line block ×4, first 2 shown]
	v_sub_u32_e32 v3, v3, v9
	v_mul_lo_u32 v9, v3, s55
	v_mul_lo_u32 v10, v3, s50
	;; [unrolled: 1-line block ×3, first 2 shown]
	v_add3_u32 v0, v6, v0, v9
	v_add3_u32 v4, v7, v4, v10
	;; [unrolled: 1-line block ×3, first 2 shown]
	s_cbranch_scc1 .LBB216_5
; %bb.6:
	s_bitcmp1_b32 s74, 0
	s_cselect_b64 s[38:39], -1, 0
	s_and_b64 vcc, exec, s[38:39]
	s_cbranch_vccnz .LBB216_10
; %bb.7:
	s_load_dwordx2 s[38:39], s[0:1], 0x1c
	s_load_dword s42, s[0:1], 0x24
	s_load_dwordx2 s[40:41], s[0:1], 0xdc
	s_waitcnt lgkmcnt(0)
	v_mul_hi_u32 v3, s39, v1
	v_add_u32_e32 v3, v1, v3
	v_lshrrev_b32_e32 v3, s42, v3
	v_mul_lo_u32 v3, v3, s38
	s_load_dword s38, s[0:1], 0xe4
	v_sub_u32_e32 v3, v1, v3
	v_mad_u64_u32 v[0:1], s[0:1], v3, s40, v[0:1]
	v_mad_u64_u32 v[4:5], s[0:1], v3, s41, v[4:5]
	s_waitcnt lgkmcnt(0)
	v_mad_u64_u32 v[2:3], s[0:1], v3, s38, v[2:3]
	s_cbranch_execz .LBB216_11
	s_branch .LBB216_13
.LBB216_8:
                                        ; implicit-def: $vgpr0
                                        ; implicit-def: $vgpr4
                                        ; implicit-def: $vgpr2
	s_andn2_b64 vcc, exec, s[0:1]
	s_cbranch_vccz .LBB216_11
	s_branch .LBB216_13
.LBB216_9:
	v_mov_b32_e32 v0, 0
	v_mov_b32_e32 v4, 0
	;; [unrolled: 1-line block ×3, first 2 shown]
.LBB216_10:
	s_cbranch_execnz .LBB216_13
.LBB216_11:
	v_mul_hi_u32 v0, s17, v8
	s_andn2_b64 vcc, exec, s[34:35]
	v_add_u32_e32 v0, v8, v0
	v_lshrrev_b32_e32 v1, s18, v0
	v_mul_lo_u32 v0, v1, s16
	v_sub_u32_e32 v2, v8, v0
	v_mul_lo_u32 v0, v2, s20
	v_mul_lo_u32 v4, v2, s21
	;; [unrolled: 1-line block ×3, first 2 shown]
	s_cbranch_vccnz .LBB216_13
; %bb.12:
	v_mul_hi_u32 v3, s30, v1
	v_add_u32_e32 v3, v1, v3
	v_lshrrev_b32_e32 v3, s31, v3
	v_mul_lo_u32 v3, v3, s19
	v_sub_u32_e32 v3, v1, v3
	v_mad_u64_u32 v[0:1], s[0:1], v3, s23, v[0:1]
	v_mad_u64_u32 v[4:5], s[0:1], v3, s28, v[4:5]
	;; [unrolled: 1-line block ×3, first 2 shown]
.LBB216_13:
	v_mov_b32_e32 v1, s11
	s_and_b32 s46, s73, 0xff
	v_add_co_u32_e32 v3, vcc, s10, v4
	s_cmp_lt_i32 s46, 11
	v_addc_co_u32_e32 v4, vcc, 0, v1, vcc
	s_cbranch_scc1 .LBB216_20
; %bb.14:
	s_and_b32 s47, 0xffff, s46
	s_cmp_gt_i32 s47, 25
	s_cbranch_scc0 .LBB216_29
; %bb.15:
	s_cmp_gt_i32 s47, 28
	s_cbranch_scc0 .LBB216_39
; %bb.16:
	;; [unrolled: 3-line block ×4, first 2 shown]
	s_cmp_eq_u32 s47, 46
	s_mov_b64 s[38:39], 0
	s_cbranch_scc0 .LBB216_48
; %bb.19:
	global_load_dword v1, v[3:4], off
	s_mov_b64 s[0:1], -1
	s_mov_b64 s[42:43], 0
	s_waitcnt vmcnt(0)
	v_lshlrev_b32_e32 v1, 16, v1
	v_cvt_f16_f32_e32 v5, v1
	s_branch .LBB216_50
.LBB216_20:
	s_mov_b64 s[42:43], 0
                                        ; implicit-def: $vgpr5
	s_mov_b64 s[0:1], 0
	s_cbranch_execnz .LBB216_116
.LBB216_21:
	s_andn2_b64 vcc, exec, s[0:1]
	s_cbranch_vccnz .LBB216_163
.LBB216_22:
	v_mov_b32_e32 v3, s13
	s_and_b32 s50, s72, 0xff
	v_add_co_u32_e32 v1, vcc, s12, v2
	s_cmp_lt_i32 s50, 11
	v_addc_co_u32_e32 v2, vcc, 0, v3, vcc
	s_cbranch_scc1 .LBB216_30
; %bb.23:
	s_and_b32 s51, 0xffff, s50
	s_cmp_gt_i32 s51, 25
	s_cbranch_scc0 .LBB216_40
; %bb.24:
	s_cmp_gt_i32 s51, 28
	s_cbranch_scc0 .LBB216_43
; %bb.25:
	;; [unrolled: 3-line block ×4, first 2 shown]
	s_cmp_eq_u32 s51, 46
	s_mov_b64 s[38:39], 0
	s_cbranch_scc0 .LBB216_164
; %bb.28:
	global_load_dword v3, v[1:2], off
	s_mov_b64 s[0:1], -1
	s_mov_b64 s[40:41], 0
	s_waitcnt vmcnt(0)
	v_lshlrev_b32_e32 v3, 16, v3
	v_cvt_f16_f32_e32 v3, v3
	s_branch .LBB216_166
.LBB216_29:
	s_mov_b64 s[42:43], 0
	s_mov_b64 s[0:1], 0
                                        ; implicit-def: $vgpr5
	s_cbranch_execnz .LBB216_81
	s_branch .LBB216_115
.LBB216_30:
	s_mov_b64 s[40:41], 0
                                        ; implicit-def: $vgpr3
	s_mov_b64 s[0:1], 0
	s_cbranch_execnz .LBB216_343
.LBB216_31:
	s_andn2_b64 vcc, exec, s[0:1]
	s_cbranch_vccnz .LBB216_391
.LBB216_32:
	v_mov_b32_e32 v1, s71
	s_waitcnt vmcnt(0)
	v_cmp_ge_f16_e32 vcc, s14, v5
	v_cndmask_b32_e32 v2, v3, v1, vcc
	v_mov_b32_e32 v1, s9
	s_and_b32 s52, s15, 0xff
	v_add_co_u32_e32 v0, vcc, s8, v0
	s_cmp_lt_i32 s52, 11
	v_addc_co_u32_e32 v1, vcc, 0, v1, vcc
	s_cbranch_scc1 .LBB216_41
; %bb.33:
	s_and_b32 s53, 0xffff, s52
	s_cmp_gt_i32 s53, 25
	s_cbranch_scc0 .LBB216_44
; %bb.34:
	s_cmp_gt_i32 s53, 28
	s_cbranch_scc0 .LBB216_47
; %bb.35:
	;; [unrolled: 3-line block ×4, first 2 shown]
	s_mov_b64 s[46:47], 0
	s_mov_b64 s[0:1], -1
	s_cmp_eq_u32 s53, 46
	s_mov_b64 s[38:39], 0
	s_cbranch_scc0 .LBB216_170
; %bb.38:
	v_cvt_f32_f16_e32 v3, v2
	s_movk_i32 s0, 0x7fff
	v_cmp_o_f16_e32 vcc, v2, v2
	v_mov_b32_e32 v4, 0x7fc0
	v_bfe_u32 v5, v3, 16, 1
	v_add3_u32 v3, v3, v5, s0
	v_cndmask_b32_sdwa v3, v4, v3, vcc dst_sel:DWORD dst_unused:UNUSED_PAD src0_sel:DWORD src1_sel:WORD_1
	global_store_dword v[0:1], v3, off
	s_mov_b64 s[38:39], -1
	s_mov_b64 s[0:1], 0
	s_branch .LBB216_170
.LBB216_39:
	s_mov_b64 s[38:39], -1
	s_mov_b64 s[42:43], 0
	s_mov_b64 s[0:1], 0
                                        ; implicit-def: $vgpr5
	s_branch .LBB216_62
.LBB216_40:
	s_mov_b64 s[38:39], -1
	s_mov_b64 s[40:41], 0
	s_mov_b64 s[0:1], 0
                                        ; implicit-def: $vgpr3
	s_branch .LBB216_307
.LBB216_41:
	s_mov_b64 s[46:47], -1
	s_mov_b64 s[0:1], 0
	s_mov_b64 s[38:39], 0
	s_branch .LBB216_239
.LBB216_42:
	s_mov_b64 s[38:39], -1
	s_mov_b64 s[42:43], 0
	s_mov_b64 s[0:1], 0
                                        ; implicit-def: $vgpr5
	s_branch .LBB216_57
.LBB216_43:
	s_mov_b64 s[38:39], -1
	s_mov_b64 s[40:41], 0
	s_mov_b64 s[0:1], 0
                                        ; implicit-def: $vgpr3
	s_branch .LBB216_288
.LBB216_44:
	s_mov_b64 s[46:47], -1
	s_mov_b64 s[0:1], 0
	s_mov_b64 s[38:39], 0
	s_branch .LBB216_197
.LBB216_45:
	s_mov_b64 s[38:39], -1
	s_mov_b64 s[42:43], 0
	s_branch .LBB216_49
.LBB216_46:
	s_mov_b64 s[38:39], -1
	s_mov_b64 s[40:41], 0
	s_mov_b64 s[0:1], 0
                                        ; implicit-def: $vgpr3
	s_branch .LBB216_283
.LBB216_47:
	s_mov_b64 s[46:47], -1
	s_mov_b64 s[0:1], 0
	s_mov_b64 s[38:39], 0
	s_branch .LBB216_180
.LBB216_48:
	s_mov_b64 s[42:43], -1
.LBB216_49:
	s_mov_b64 s[0:1], 0
                                        ; implicit-def: $vgpr5
.LBB216_50:
	s_and_b64 vcc, exec, s[38:39]
	s_cbranch_vccz .LBB216_56
; %bb.51:
	s_cmp_eq_u32 s47, 44
	s_cbranch_scc0 .LBB216_55
; %bb.52:
	global_load_ubyte v1, v[3:4], off
	s_movk_i32 s38, 0xff
	v_mov_b32_e32 v6, 0x7e00
	s_mov_b64 s[0:1], -1
	s_mov_b64 s[42:43], 0
	s_waitcnt vmcnt(0)
	v_lshlrev_b32_e32 v5, 23, v1
	v_cvt_f16_f32_e32 v5, v5
	v_cmp_ne_u32_e32 vcc, s38, v1
	v_cndmask_b32_e32 v5, v6, v5, vcc
	v_cmp_ne_u32_e32 vcc, 0, v1
	v_cndmask_b32_e32 v5, 0, v5, vcc
	s_branch .LBB216_56
.LBB216_53:
	s_mov_b64 s[38:39], -1
	s_mov_b64 s[40:41], 0
	s_branch .LBB216_165
.LBB216_54:
	s_mov_b64 s[46:47], -1
	s_mov_b64 s[0:1], 0
	s_mov_b64 s[38:39], 0
	s_branch .LBB216_176
.LBB216_55:
	s_mov_b64 s[42:43], -1
                                        ; implicit-def: $vgpr5
.LBB216_56:
	s_mov_b64 s[38:39], 0
.LBB216_57:
	s_and_b64 vcc, exec, s[38:39]
	s_cbranch_vccz .LBB216_61
; %bb.58:
	s_cmp_eq_u32 s47, 29
	s_cbranch_scc0 .LBB216_60
; %bb.59:
	global_load_dwordx2 v[5:6], v[3:4], off
	s_mov_b64 s[0:1], -1
	s_mov_b64 s[42:43], 0
	s_mov_b64 s[38:39], 0
	s_waitcnt vmcnt(0)
	v_ffbh_u32_e32 v1, v6
	v_min_u32_e32 v1, 32, v1
	v_lshlrev_b64 v[5:6], v1, v[5:6]
	v_sub_u32_e32 v1, 32, v1
	v_min_u32_e32 v5, 1, v5
	v_or_b32_e32 v5, v6, v5
	v_cvt_f32_u32_e32 v5, v5
	v_ldexp_f32 v1, v5, v1
	v_cvt_f16_f32_e32 v5, v1
	s_branch .LBB216_62
.LBB216_60:
	s_mov_b64 s[42:43], -1
                                        ; implicit-def: $vgpr5
.LBB216_61:
	s_mov_b64 s[38:39], 0
.LBB216_62:
	s_and_b64 vcc, exec, s[38:39]
	s_cbranch_vccz .LBB216_80
; %bb.63:
	s_cmp_lt_i32 s47, 27
	s_cbranch_scc1 .LBB216_66
; %bb.64:
	s_cmp_gt_i32 s47, 27
	s_cbranch_scc0 .LBB216_67
; %bb.65:
	global_load_dword v1, v[3:4], off
	s_mov_b64 s[0:1], 0
	s_waitcnt vmcnt(0)
	v_cvt_f32_u32_e32 v1, v1
	v_cvt_f16_f32_e32 v5, v1
	s_branch .LBB216_68
.LBB216_66:
	s_mov_b64 s[0:1], -1
                                        ; implicit-def: $vgpr5
	s_branch .LBB216_71
.LBB216_67:
	s_mov_b64 s[0:1], -1
                                        ; implicit-def: $vgpr5
.LBB216_68:
	s_andn2_b64 vcc, exec, s[0:1]
	s_cbranch_vccnz .LBB216_70
; %bb.69:
	global_load_ushort v1, v[3:4], off
	s_waitcnt vmcnt(0)
	v_cvt_f16_u16_e32 v5, v1
.LBB216_70:
	s_mov_b64 s[0:1], 0
.LBB216_71:
	s_andn2_b64 vcc, exec, s[0:1]
	s_cbranch_vccnz .LBB216_79
; %bb.72:
	global_load_ubyte v1, v[3:4], off
	s_movk_i32 s0, 0x7f
	s_waitcnt vmcnt(0)
	v_cmp_lt_i16_e32 vcc, s0, v1
	s_mov_b64 s[0:1], 0
	s_and_saveexec_b64 s[38:39], vcc
	s_xor_b64 s[38:39], exec, s[38:39]
	s_cbranch_execz .LBB216_92
; %bb.73:
	s_movk_i32 s0, 0x80
	v_cmp_eq_u16_e32 vcc, s0, v1
	s_mov_b64 s[0:1], -1
	s_and_saveexec_b64 s[40:41], vcc
; %bb.74:
	s_xor_b64 s[0:1], exec, -1
; %bb.75:
	s_or_b64 exec, exec, s[40:41]
	s_and_b64 s[0:1], s[0:1], exec
	s_or_saveexec_b64 s[38:39], s[38:39]
	v_mov_b32_e32 v5, 0x7e00
	s_xor_b64 exec, exec, s[38:39]
	s_cbranch_execnz .LBB216_93
.LBB216_76:
	s_or_b64 exec, exec, s[38:39]
	s_and_saveexec_b64 s[38:39], s[0:1]
	s_cbranch_execz .LBB216_78
.LBB216_77:
	v_lshlrev_b32_e32 v5, 24, v1
	v_and_b32_e32 v1, 0xffff, v1
	v_and_b32_e32 v6, 7, v1
	v_ffbh_u32_e32 v9, v6
	v_min_u32_e32 v9, 32, v9
	v_subrev_u32_e32 v10, 28, v9
	v_bfe_u32 v7, v1, 3, 4
	v_lshlrev_b32_e32 v1, v10, v1
	v_sub_u32_e32 v9, 29, v9
	v_and_b32_e32 v1, 7, v1
	v_cmp_eq_u32_e32 vcc, 0, v7
	v_cndmask_b32_e32 v7, v7, v9, vcc
	v_cndmask_b32_e32 v1, v6, v1, vcc
	v_mov_b32_e32 v6, 0x3b800000
	v_lshlrev_b32_e32 v1, 20, v1
	v_and_b32_e32 v5, 0x80000000, v5
	v_lshl_add_u32 v6, v7, 23, v6
	v_or3_b32 v1, v5, v6, v1
	v_cvt_f16_f32_e32 v5, v1
.LBB216_78:
	s_or_b64 exec, exec, s[38:39]
.LBB216_79:
	s_mov_b64 s[0:1], -1
.LBB216_80:
	s_branch .LBB216_115
.LBB216_81:
	s_cmp_gt_i32 s47, 22
	s_cbranch_scc0 .LBB216_91
; %bb.82:
	s_cmp_lt_i32 s47, 24
	s_cbranch_scc1 .LBB216_94
; %bb.83:
	s_cmp_gt_i32 s47, 24
	s_cbranch_scc0 .LBB216_95
; %bb.84:
	global_load_ubyte v1, v[3:4], off
	s_movk_i32 s0, 0x7f
	s_waitcnt vmcnt(0)
	v_cmp_lt_i16_e32 vcc, s0, v1
	s_mov_b64 s[0:1], 0
	s_and_saveexec_b64 s[38:39], vcc
	s_xor_b64 s[38:39], exec, s[38:39]
	s_cbranch_execz .LBB216_107
; %bb.85:
	s_movk_i32 s0, 0x80
	v_cmp_eq_u16_e32 vcc, s0, v1
	s_mov_b64 s[0:1], -1
	s_and_saveexec_b64 s[40:41], vcc
; %bb.86:
	s_xor_b64 s[0:1], exec, -1
; %bb.87:
	s_or_b64 exec, exec, s[40:41]
	s_and_b64 s[0:1], s[0:1], exec
	s_or_saveexec_b64 s[38:39], s[38:39]
	v_mov_b32_e32 v5, 0x7e00
	s_xor_b64 exec, exec, s[38:39]
	s_cbranch_execnz .LBB216_108
.LBB216_88:
	s_or_b64 exec, exec, s[38:39]
	s_and_saveexec_b64 s[38:39], s[0:1]
	s_cbranch_execz .LBB216_90
.LBB216_89:
	v_lshlrev_b32_e32 v5, 24, v1
	v_and_b32_e32 v1, 0xffff, v1
	v_and_b32_e32 v6, 3, v1
	v_ffbh_u32_e32 v9, v6
	v_min_u32_e32 v9, 32, v9
	v_subrev_u32_e32 v10, 29, v9
	v_bfe_u32 v7, v1, 2, 5
	v_lshlrev_b32_e32 v1, v10, v1
	v_sub_u32_e32 v9, 30, v9
	v_and_b32_e32 v1, 3, v1
	v_cmp_eq_u32_e32 vcc, 0, v7
	v_cndmask_b32_e32 v7, v7, v9, vcc
	v_cndmask_b32_e32 v1, v6, v1, vcc
	v_mov_b32_e32 v6, 0x37800000
	v_lshlrev_b32_e32 v1, 21, v1
	v_and_b32_e32 v5, 0x80000000, v5
	v_lshl_add_u32 v6, v7, 23, v6
	v_or3_b32 v1, v5, v6, v1
	v_cvt_f16_f32_e32 v5, v1
.LBB216_90:
	s_or_b64 exec, exec, s[38:39]
	s_mov_b64 s[0:1], 0
	s_branch .LBB216_96
.LBB216_91:
	s_mov_b64 s[38:39], -1
                                        ; implicit-def: $vgpr5
	s_branch .LBB216_102
.LBB216_92:
	s_or_saveexec_b64 s[38:39], s[38:39]
	v_mov_b32_e32 v5, 0x7e00
	s_xor_b64 exec, exec, s[38:39]
	s_cbranch_execz .LBB216_76
.LBB216_93:
	v_cmp_ne_u16_e32 vcc, 0, v1
	s_andn2_b64 s[0:1], s[0:1], exec
	s_and_b64 s[40:41], vcc, exec
	s_or_b64 s[0:1], s[0:1], s[40:41]
	v_mov_b32_e32 v5, v1
	s_or_b64 exec, exec, s[38:39]
	s_and_saveexec_b64 s[38:39], s[0:1]
	s_cbranch_execnz .LBB216_77
	s_branch .LBB216_78
.LBB216_94:
	s_mov_b64 s[0:1], -1
                                        ; implicit-def: $vgpr5
	s_branch .LBB216_99
.LBB216_95:
	s_mov_b64 s[0:1], -1
                                        ; implicit-def: $vgpr5
.LBB216_96:
	s_and_b64 vcc, exec, s[0:1]
	s_cbranch_vccz .LBB216_98
; %bb.97:
	global_load_ubyte v1, v[3:4], off
	s_mov_b32 s0, 0x7f800000
	s_waitcnt vmcnt(0)
	v_lshlrev_b32_e32 v1, 24, v1
	v_and_b32_e32 v5, 0x7f000000, v1
	v_ffbh_u32_e32 v6, v5
	v_min_u32_e32 v6, 32, v6
	v_sub_u32_e64 v6, v6, 4 clamp
	v_lshlrev_b32_e32 v9, v6, v5
	v_lshlrev_b32_e32 v6, 23, v6
	v_lshrrev_b32_e32 v9, 4, v9
	v_add_u32_e32 v7, 0x1000000, v5
	v_sub_u32_e32 v6, v9, v6
	v_ashrrev_i32_e32 v7, 8, v7
	v_add_u32_e32 v6, 0x3c000000, v6
	v_and_or_b32 v6, v7, s0, v6
	v_cmp_ne_u32_e32 vcc, 0, v5
	v_cndmask_b32_e32 v5, 0, v6, vcc
	s_brev_b32 s0, 1
	v_and_or_b32 v1, v1, s0, v5
	v_cvt_f16_f32_e32 v5, v1
.LBB216_98:
	s_mov_b64 s[0:1], 0
.LBB216_99:
	s_andn2_b64 vcc, exec, s[0:1]
	s_cbranch_vccnz .LBB216_101
; %bb.100:
	global_load_ubyte v1, v[3:4], off
	s_movk_i32 s0, 0x7f00
	s_brev_b32 s1, 16
	s_waitcnt vmcnt(0)
	v_lshlrev_b16_e32 v5, 8, v1
	v_lshlrev_b32_e32 v1, 25, v1
	v_lshrrev_b32_e32 v6, 4, v1
	v_and_or_b32 v7, v5, s0, 0.5
	v_or_b32_e32 v6, 0x70000000, v6
	v_add_f32_e32 v7, -0.5, v7
	v_mul_f32_e32 v6, 0x7800000, v6
	v_cmp_gt_u32_e32 vcc, s1, v1
	v_bfe_i32 v5, v5, 0, 16
	v_cndmask_b32_e32 v1, v6, v7, vcc
	s_brev_b32 s0, 1
	v_and_or_b32 v1, v5, s0, v1
	v_cvt_f16_f32_e32 v5, v1
.LBB216_101:
	s_mov_b64 s[38:39], 0
	s_mov_b64 s[0:1], -1
.LBB216_102:
	s_andn2_b64 vcc, exec, s[38:39]
	s_cbranch_vccnz .LBB216_115
; %bb.103:
	s_cmp_gt_i32 s47, 14
	s_cbranch_scc0 .LBB216_106
; %bb.104:
	s_cmp_eq_u32 s47, 15
	s_cbranch_scc0 .LBB216_109
; %bb.105:
	global_load_ushort v1, v[3:4], off
	s_mov_b64 s[0:1], -1
	s_mov_b64 s[42:43], 0
	s_waitcnt vmcnt(0)
	v_lshlrev_b32_e32 v1, 16, v1
	v_cvt_f16_f32_e32 v5, v1
	s_branch .LBB216_110
.LBB216_106:
	s_mov_b64 s[38:39], -1
                                        ; implicit-def: $vgpr5
	s_branch .LBB216_111
.LBB216_107:
	s_or_saveexec_b64 s[38:39], s[38:39]
	v_mov_b32_e32 v5, 0x7e00
	s_xor_b64 exec, exec, s[38:39]
	s_cbranch_execz .LBB216_88
.LBB216_108:
	v_cmp_ne_u16_e32 vcc, 0, v1
	s_andn2_b64 s[0:1], s[0:1], exec
	s_and_b64 s[40:41], vcc, exec
	s_or_b64 s[0:1], s[0:1], s[40:41]
	v_mov_b32_e32 v5, v1
	s_or_b64 exec, exec, s[38:39]
	s_and_saveexec_b64 s[38:39], s[0:1]
	s_cbranch_execnz .LBB216_89
	s_branch .LBB216_90
.LBB216_109:
	s_mov_b64 s[42:43], -1
                                        ; implicit-def: $vgpr5
.LBB216_110:
	s_mov_b64 s[38:39], 0
.LBB216_111:
	s_and_b64 vcc, exec, s[38:39]
	s_cbranch_vccz .LBB216_115
; %bb.112:
	s_cmp_eq_u32 s47, 11
	s_cbranch_scc0 .LBB216_114
; %bb.113:
	global_load_ubyte v1, v[3:4], off
	v_mov_b32_e32 v5, 0x3c00
	s_mov_b64 s[0:1], -1
	s_mov_b64 s[42:43], 0
	s_waitcnt vmcnt(0)
	v_cmp_ne_u16_e32 vcc, 0, v1
	v_cndmask_b32_e32 v5, 0, v5, vcc
	s_branch .LBB216_115
.LBB216_114:
	s_mov_b64 s[42:43], -1
                                        ; implicit-def: $vgpr5
.LBB216_115:
	s_branch .LBB216_21
.LBB216_116:
	s_and_b32 s38, 0xffff, s46
	s_cmp_lt_i32 s38, 5
	s_cbranch_scc1 .LBB216_121
; %bb.117:
	s_cmp_lt_i32 s38, 8
	s_cbranch_scc1 .LBB216_122
; %bb.118:
	;; [unrolled: 3-line block ×3, first 2 shown]
	s_cmp_gt_i32 s38, 9
	s_cbranch_scc0 .LBB216_124
; %bb.120:
	global_load_dwordx2 v[5:6], v[3:4], off
	s_movk_i32 s0, 0x1ff
	s_movk_i32 s1, 0xffe
	v_mov_b32_e32 v1, 0x7c00
	v_mov_b32_e32 v7, 0x7e00
	s_movk_i32 s39, 0x40f
	s_mov_b32 s40, 0x8000
	s_waitcnt vmcnt(0)
	v_and_or_b32 v5, v6, s0, v5
	v_cmp_ne_u32_e32 vcc, 0, v5
	v_lshrrev_b32_e32 v9, 8, v6
	v_bfe_u32 v10, v6, 20, 11
	v_cndmask_b32_e64 v5, 0, 1, vcc
	v_sub_u32_e32 v11, 0x3f1, v10
	v_and_or_b32 v5, v9, s1, v5
	v_add_u32_e32 v10, 0xfffffc10, v10
	v_med3_i32 v9, v11, 0, 13
	v_or_b32_e32 v11, 0x1000, v5
	v_cmp_ne_u32_e32 vcc, 0, v5
	v_lshl_or_b32 v12, v10, 12, v5
	v_cndmask_b32_e32 v5, v1, v7, vcc
	v_lshrrev_b32_e32 v7, v9, v11
	v_lshlrev_b32_e32 v9, v9, v7
	v_cmp_ne_u32_e32 vcc, v9, v11
	v_cndmask_b32_e64 v9, 0, 1, vcc
	v_or_b32_e32 v7, v7, v9
	v_cmp_gt_i32_e32 vcc, 1, v10
	v_cndmask_b32_e32 v7, v12, v7, vcc
	v_and_b32_e32 v9, 7, v7
	v_cmp_lt_i32_e32 vcc, 5, v9
	v_cndmask_b32_e64 v11, 0, 1, vcc
	v_cmp_eq_u32_e32 vcc, 3, v9
	v_cndmask_b32_e64 v9, 0, 1, vcc
	v_lshrrev_b32_e32 v7, 2, v7
	v_or_b32_e32 v9, v9, v11
	v_add_u32_e32 v7, v7, v9
	v_cmp_gt_i32_e32 vcc, 31, v10
	v_cndmask_b32_e32 v1, v1, v7, vcc
	v_cmp_eq_u32_e32 vcc, s39, v10
	v_lshrrev_b32_e32 v6, 16, v6
	v_cndmask_b32_e32 v1, v1, v5, vcc
	v_and_or_b32 v5, v6, s40, v1
	s_mov_b64 s[0:1], 0
	s_branch .LBB216_125
.LBB216_121:
                                        ; implicit-def: $vgpr5
	s_branch .LBB216_143
.LBB216_122:
	s_mov_b64 s[0:1], -1
                                        ; implicit-def: $vgpr5
	s_branch .LBB216_131
.LBB216_123:
	s_mov_b64 s[0:1], -1
                                        ; implicit-def: $vgpr5
	s_branch .LBB216_128
.LBB216_124:
	s_mov_b64 s[0:1], -1
                                        ; implicit-def: $vgpr5
.LBB216_125:
	s_andn2_b64 vcc, exec, s[0:1]
	s_cbranch_vccnz .LBB216_127
; %bb.126:
	global_load_dword v1, v[3:4], off
	s_waitcnt vmcnt(0)
	v_cvt_f16_f32_e32 v5, v1
.LBB216_127:
	s_mov_b64 s[0:1], 0
.LBB216_128:
	s_andn2_b64 vcc, exec, s[0:1]
	s_cbranch_vccnz .LBB216_130
; %bb.129:
	global_load_dword v5, v[3:4], off
.LBB216_130:
	s_mov_b64 s[0:1], 0
.LBB216_131:
	s_andn2_b64 vcc, exec, s[0:1]
	s_cbranch_vccnz .LBB216_142
; %bb.132:
	s_cmp_lt_i32 s38, 6
	s_cbranch_scc1 .LBB216_135
; %bb.133:
	s_cmp_gt_i32 s38, 6
	s_cbranch_scc0 .LBB216_136
; %bb.134:
	global_load_dwordx2 v[5:6], v[3:4], off
	s_movk_i32 s0, 0x1ff
	s_movk_i32 s1, 0xffe
	v_mov_b32_e32 v1, 0x7c00
	v_mov_b32_e32 v7, 0x7e00
	s_movk_i32 s39, 0x40f
	s_mov_b32 s40, 0x8000
	s_waitcnt vmcnt(0)
	v_and_or_b32 v5, v6, s0, v5
	v_cmp_ne_u32_e32 vcc, 0, v5
	v_lshrrev_b32_e32 v9, 8, v6
	v_bfe_u32 v10, v6, 20, 11
	v_cndmask_b32_e64 v5, 0, 1, vcc
	v_sub_u32_e32 v11, 0x3f1, v10
	v_and_or_b32 v5, v9, s1, v5
	v_add_u32_e32 v10, 0xfffffc10, v10
	v_med3_i32 v9, v11, 0, 13
	v_or_b32_e32 v11, 0x1000, v5
	v_cmp_ne_u32_e32 vcc, 0, v5
	v_lshl_or_b32 v12, v10, 12, v5
	v_cndmask_b32_e32 v5, v1, v7, vcc
	v_lshrrev_b32_e32 v7, v9, v11
	v_lshlrev_b32_e32 v9, v9, v7
	v_cmp_ne_u32_e32 vcc, v9, v11
	v_cndmask_b32_e64 v9, 0, 1, vcc
	v_or_b32_e32 v7, v7, v9
	v_cmp_gt_i32_e32 vcc, 1, v10
	v_cndmask_b32_e32 v7, v12, v7, vcc
	v_and_b32_e32 v9, 7, v7
	v_cmp_lt_i32_e32 vcc, 5, v9
	v_cndmask_b32_e64 v11, 0, 1, vcc
	v_cmp_eq_u32_e32 vcc, 3, v9
	v_cndmask_b32_e64 v9, 0, 1, vcc
	v_lshrrev_b32_e32 v7, 2, v7
	v_or_b32_e32 v9, v9, v11
	v_add_u32_e32 v7, v7, v9
	v_cmp_gt_i32_e32 vcc, 31, v10
	v_cndmask_b32_e32 v1, v1, v7, vcc
	v_cmp_eq_u32_e32 vcc, s39, v10
	v_lshrrev_b32_e32 v6, 16, v6
	v_cndmask_b32_e32 v1, v1, v5, vcc
	v_and_or_b32 v5, v6, s40, v1
	s_mov_b64 s[0:1], 0
	s_branch .LBB216_137
.LBB216_135:
	s_mov_b64 s[0:1], -1
                                        ; implicit-def: $vgpr5
	s_branch .LBB216_140
.LBB216_136:
	s_mov_b64 s[0:1], -1
                                        ; implicit-def: $vgpr5
.LBB216_137:
	s_andn2_b64 vcc, exec, s[0:1]
	s_cbranch_vccnz .LBB216_139
; %bb.138:
	global_load_dword v1, v[3:4], off
	s_waitcnt vmcnt(0)
	v_cvt_f16_f32_e32 v5, v1
.LBB216_139:
	s_mov_b64 s[0:1], 0
.LBB216_140:
	s_andn2_b64 vcc, exec, s[0:1]
	s_cbranch_vccnz .LBB216_142
; %bb.141:
	global_load_ushort v5, v[3:4], off
.LBB216_142:
	s_cbranch_execnz .LBB216_162
.LBB216_143:
	s_cmp_lt_i32 s38, 2
	s_cbranch_scc1 .LBB216_147
; %bb.144:
	s_cmp_lt_i32 s38, 3
	s_cbranch_scc1 .LBB216_148
; %bb.145:
	s_cmp_gt_i32 s38, 3
	s_cbranch_scc0 .LBB216_149
; %bb.146:
	global_load_dwordx2 v[5:6], v[3:4], off
	s_mov_b64 s[0:1], 0
	s_waitcnt vmcnt(0)
	v_xor_b32_e32 v7, v5, v6
	v_ffbh_i32_e32 v1, v6
	v_ashrrev_i32_e32 v7, 31, v7
	v_add_u32_e32 v1, -1, v1
	v_add_u32_e32 v7, 32, v7
	v_min_u32_e32 v1, v1, v7
	v_lshlrev_b64 v[5:6], v1, v[5:6]
	v_sub_u32_e32 v1, 32, v1
	v_min_u32_e32 v5, 1, v5
	v_or_b32_e32 v5, v6, v5
	v_cvt_f32_i32_e32 v5, v5
	v_ldexp_f32 v1, v5, v1
	v_cvt_f16_f32_e32 v5, v1
	s_branch .LBB216_150
.LBB216_147:
	s_mov_b64 s[0:1], -1
                                        ; implicit-def: $vgpr5
	s_branch .LBB216_156
.LBB216_148:
	s_mov_b64 s[0:1], -1
                                        ; implicit-def: $vgpr5
	s_branch .LBB216_153
.LBB216_149:
	s_mov_b64 s[0:1], -1
                                        ; implicit-def: $vgpr5
.LBB216_150:
	s_andn2_b64 vcc, exec, s[0:1]
	s_cbranch_vccnz .LBB216_152
; %bb.151:
	global_load_dword v1, v[3:4], off
	s_waitcnt vmcnt(0)
	v_cvt_f32_i32_e32 v1, v1
	v_cvt_f16_f32_e32 v5, v1
.LBB216_152:
	s_mov_b64 s[0:1], 0
.LBB216_153:
	s_andn2_b64 vcc, exec, s[0:1]
	s_cbranch_vccnz .LBB216_155
; %bb.154:
	global_load_ushort v1, v[3:4], off
	s_waitcnt vmcnt(0)
	v_cvt_f16_i16_e32 v5, v1
.LBB216_155:
	s_mov_b64 s[0:1], 0
.LBB216_156:
	s_andn2_b64 vcc, exec, s[0:1]
	s_cbranch_vccnz .LBB216_162
; %bb.157:
	s_cmp_gt_i32 s38, 0
	s_cbranch_scc0 .LBB216_159
; %bb.158:
	global_load_sbyte v1, v[3:4], off
	s_mov_b64 s[0:1], 0
	s_waitcnt vmcnt(0)
	v_cvt_f16_i16_e32 v5, v1
	s_branch .LBB216_160
.LBB216_159:
	s_mov_b64 s[0:1], -1
                                        ; implicit-def: $vgpr5
.LBB216_160:
	s_andn2_b64 vcc, exec, s[0:1]
	s_cbranch_vccnz .LBB216_162
; %bb.161:
	global_load_ubyte v1, v[3:4], off
	s_waitcnt vmcnt(0)
	v_cvt_f16_u16_e32 v5, v1
.LBB216_162:
	s_branch .LBB216_22
.LBB216_163:
	s_mov_b64 s[0:1], 0
	s_mov_b64 s[40:41], 0
	s_branch .LBB216_392
.LBB216_164:
	s_mov_b64 s[40:41], -1
.LBB216_165:
	s_mov_b64 s[0:1], 0
                                        ; implicit-def: $vgpr3
.LBB216_166:
	s_and_b64 vcc, exec, s[38:39]
	s_cbranch_vccz .LBB216_282
; %bb.167:
	s_cmp_eq_u32 s51, 44
	s_cbranch_scc0 .LBB216_281
; %bb.168:
	global_load_ubyte v3, v[1:2], off
	s_movk_i32 s38, 0xff
	v_mov_b32_e32 v6, 0x7e00
	s_mov_b64 s[0:1], -1
	s_mov_b64 s[40:41], 0
	s_waitcnt vmcnt(0)
	v_lshlrev_b32_e32 v4, 23, v3
	v_cvt_f16_f32_e32 v4, v4
	v_cmp_ne_u32_e32 vcc, s38, v3
	v_cndmask_b32_e32 v4, v6, v4, vcc
	v_cmp_ne_u32_e32 vcc, 0, v3
	v_cndmask_b32_e32 v3, 0, v4, vcc
	s_branch .LBB216_282
.LBB216_169:
	s_mov_b64 s[46:47], -1
	s_mov_b64 s[0:1], 0
	s_mov_b64 s[38:39], 0
.LBB216_170:
	s_and_b64 vcc, exec, s[46:47]
	s_cbranch_vccz .LBB216_175
; %bb.171:
	s_cmp_eq_u32 s53, 44
	s_mov_b64 s[0:1], -1
	s_cbranch_scc0 .LBB216_175
; %bb.172:
	v_cvt_f32_f16_e32 v3, v2
	s_movk_i32 s0, 0xff
	v_mov_b32_e32 v5, 0xff
	v_bfe_u32 v4, v3, 23, 8
	v_cmp_ne_u32_e32 vcc, s0, v4
	s_and_saveexec_b64 s[38:39], vcc
; %bb.173:
	s_mov_b32 s0, 0x3fffff
	v_lshrrev_b32_e32 v5, 23, v3
	v_and_b32_e32 v6, 0x400000, v3
	v_and_or_b32 v3, v3, s0, v4
	v_cmp_ne_u32_e32 vcc, 0, v6
	v_cmp_ne_u32_e64 s[0:1], 0, v3
	s_and_b64 s[0:1], vcc, s[0:1]
	v_cndmask_b32_e64 v3, 0, 1, s[0:1]
	v_add_u32_e32 v5, v5, v3
; %bb.174:
	s_or_b64 exec, exec, s[38:39]
	s_mov_b64 s[38:39], -1
	s_mov_b64 s[0:1], 0
	global_store_byte v[0:1], v5, off
.LBB216_175:
	s_mov_b64 s[46:47], 0
.LBB216_176:
	s_and_b64 vcc, exec, s[46:47]
	s_cbranch_vccz .LBB216_179
; %bb.177:
	s_cmp_eq_u32 s53, 29
	s_mov_b64 s[0:1], -1
	s_cbranch_scc0 .LBB216_179
; %bb.178:
	v_cvt_f32_f16_e32 v3, v2
	v_mov_b32_e32 v4, 0
	s_mov_b64 s[38:39], -1
	s_mov_b64 s[0:1], 0
	v_cvt_u32_f32_e32 v3, v3
	s_mov_b64 s[46:47], 0
	global_store_dwordx2 v[0:1], v[3:4], off
	s_branch .LBB216_180
.LBB216_179:
	s_mov_b64 s[46:47], 0
.LBB216_180:
	s_and_b64 vcc, exec, s[46:47]
	s_cbranch_vccz .LBB216_196
; %bb.181:
	s_cmp_lt_i32 s53, 27
	s_mov_b64 s[38:39], -1
	s_cbranch_scc1 .LBB216_187
; %bb.182:
	s_cmp_gt_i32 s53, 27
	s_cbranch_scc0 .LBB216_184
; %bb.183:
	v_cvt_f32_f16_e32 v3, v2
	s_mov_b64 s[38:39], 0
	v_cvt_u32_f32_e32 v3, v3
	global_store_dword v[0:1], v3, off
.LBB216_184:
	s_andn2_b64 vcc, exec, s[38:39]
	s_cbranch_vccnz .LBB216_186
; %bb.185:
	v_cvt_u16_f16_e32 v3, v2
	global_store_short v[0:1], v3, off
.LBB216_186:
	s_mov_b64 s[38:39], 0
.LBB216_187:
	s_andn2_b64 vcc, exec, s[38:39]
	s_cbranch_vccnz .LBB216_195
; %bb.188:
	v_cvt_f32_f16_e32 v3, v2
	s_mov_b32 s38, 0x43800000
	v_mov_b32_e32 v5, 0x80
	v_and_b32_e32 v4, 0x7fffffff, v3
	v_cmp_gt_u32_e32 vcc, s38, v4
	s_and_saveexec_b64 s[38:39], vcc
	s_cbranch_execz .LBB216_194
; %bb.189:
	s_mov_b32 s46, 0x3bffffff
	v_cmp_lt_u32_e32 vcc, s46, v4
	s_mov_b64 s[46:47], 0
                                        ; implicit-def: $vgpr4
	s_and_saveexec_b64 s[50:51], vcc
	s_xor_b64 s[50:51], exec, s[50:51]
	s_cbranch_execz .LBB216_434
; %bb.190:
	v_bfe_u32 v4, v3, 20, 1
	s_mov_b32 s54, 0x487ffff
	v_add3_u32 v4, v3, v4, s54
	s_mov_b64 s[46:47], exec
	v_lshrrev_b32_e32 v4, 20, v4
	s_andn2_saveexec_b64 s[50:51], s[50:51]
	s_cbranch_execnz .LBB216_435
.LBB216_191:
	s_or_b64 exec, exec, s[50:51]
	v_mov_b32_e32 v5, 0
	s_and_saveexec_b64 s[50:51], s[46:47]
.LBB216_192:
	v_lshrrev_b32_e32 v3, 24, v3
	s_movk_i32 s46, 0x80
	v_and_or_b32 v5, v3, s46, v4
.LBB216_193:
	s_or_b64 exec, exec, s[50:51]
.LBB216_194:
	s_or_b64 exec, exec, s[38:39]
	global_store_byte v[0:1], v5, off
.LBB216_195:
	s_mov_b64 s[38:39], -1
.LBB216_196:
	s_mov_b64 s[46:47], 0
.LBB216_197:
	s_and_b64 vcc, exec, s[46:47]
	s_cbranch_vccz .LBB216_238
; %bb.198:
	s_cmp_gt_i32 s53, 22
	s_mov_b64 s[46:47], -1
	s_cbranch_scc0 .LBB216_230
; %bb.199:
	s_cmp_lt_i32 s53, 24
	s_mov_b64 s[38:39], -1
	s_cbranch_scc1 .LBB216_219
; %bb.200:
	s_cmp_gt_i32 s53, 24
	s_cbranch_scc0 .LBB216_208
; %bb.201:
	v_cvt_f32_f16_e32 v3, v2
	s_mov_b32 s38, 0x47800000
	v_mov_b32_e32 v5, 0x80
	v_and_b32_e32 v4, 0x7fffffff, v3
	v_cmp_gt_u32_e32 vcc, s38, v4
	s_and_saveexec_b64 s[38:39], vcc
	s_cbranch_execz .LBB216_207
; %bb.202:
	s_mov_b32 s46, 0x37ffffff
	v_cmp_lt_u32_e32 vcc, s46, v4
	s_mov_b64 s[46:47], 0
                                        ; implicit-def: $vgpr4
	s_and_saveexec_b64 s[50:51], vcc
	s_xor_b64 s[50:51], exec, s[50:51]
	s_cbranch_execz .LBB216_553
; %bb.203:
	v_bfe_u32 v4, v3, 21, 1
	s_mov_b32 s54, 0x88fffff
	v_add3_u32 v4, v3, v4, s54
	s_mov_b64 s[46:47], exec
	v_lshrrev_b32_e32 v4, 21, v4
	s_andn2_saveexec_b64 s[50:51], s[50:51]
	s_cbranch_execnz .LBB216_554
.LBB216_204:
	s_or_b64 exec, exec, s[50:51]
	v_mov_b32_e32 v5, 0
	s_and_saveexec_b64 s[50:51], s[46:47]
.LBB216_205:
	v_lshrrev_b32_e32 v3, 24, v3
	s_movk_i32 s46, 0x80
	v_and_or_b32 v5, v3, s46, v4
.LBB216_206:
	s_or_b64 exec, exec, s[50:51]
.LBB216_207:
	s_or_b64 exec, exec, s[38:39]
	s_mov_b64 s[38:39], 0
	global_store_byte v[0:1], v5, off
.LBB216_208:
	s_and_b64 vcc, exec, s[38:39]
	s_cbranch_vccz .LBB216_218
; %bb.209:
	v_cvt_f32_f16_e32 v3, v2
	s_mov_b32 s38, 0x43f00000
                                        ; implicit-def: $vgpr4
	v_and_b32_e32 v5, 0x7fffffff, v3
	v_cmp_gt_u32_e32 vcc, s38, v5
	s_and_saveexec_b64 s[38:39], vcc
	s_xor_b64 s[38:39], exec, s[38:39]
	s_cbranch_execz .LBB216_215
; %bb.210:
	s_mov_b32 s46, 0x3c7fffff
	v_cmp_lt_u32_e32 vcc, s46, v5
                                        ; implicit-def: $vgpr4
	s_and_saveexec_b64 s[46:47], vcc
	s_xor_b64 s[46:47], exec, s[46:47]
; %bb.211:
	v_bfe_u32 v4, v3, 20, 1
	s_mov_b32 s50, 0x407ffff
	v_add3_u32 v4, v3, v4, s50
	v_lshrrev_b32_e32 v5, 20, v4
	v_and_b32_e32 v4, 0xff00000, v4
	s_mov_b32 s50, 0x7f00000
	v_mov_b32_e32 v6, 0x7e
	v_cmp_ne_u32_e32 vcc, s50, v4
	v_cndmask_b32_e32 v4, v6, v5, vcc
; %bb.212:
	s_andn2_saveexec_b64 s[46:47], s[46:47]
; %bb.213:
	s_mov_b32 s50, 0x46800000
	v_add_f32_e64 v4, |v3|, s50
; %bb.214:
	s_or_b64 exec, exec, s[46:47]
                                        ; implicit-def: $vgpr5
.LBB216_215:
	s_andn2_saveexec_b64 s[38:39], s[38:39]
; %bb.216:
	s_mov_b32 s46, 0x7f800000
	v_mov_b32_e32 v4, 0x7e
	v_mov_b32_e32 v6, 0x7f
	v_cmp_lt_u32_e32 vcc, s46, v5
	v_cndmask_b32_e32 v4, v4, v6, vcc
; %bb.217:
	s_or_b64 exec, exec, s[38:39]
	v_lshrrev_b32_e32 v3, 24, v3
	s_movk_i32 s38, 0x80
	v_and_or_b32 v3, v3, s38, v4
	global_store_byte v[0:1], v3, off
.LBB216_218:
	s_mov_b64 s[38:39], 0
.LBB216_219:
	s_andn2_b64 vcc, exec, s[38:39]
	s_cbranch_vccnz .LBB216_229
; %bb.220:
	v_cvt_f32_f16_e32 v3, v2
	s_mov_b32 s38, 0x47800000
                                        ; implicit-def: $vgpr4
	v_and_b32_e32 v5, 0x7fffffff, v3
	v_cmp_gt_u32_e32 vcc, s38, v5
	s_and_saveexec_b64 s[38:39], vcc
	s_xor_b64 s[38:39], exec, s[38:39]
	s_cbranch_execz .LBB216_226
; %bb.221:
	s_mov_b32 s46, 0x387fffff
	v_cmp_lt_u32_e32 vcc, s46, v5
                                        ; implicit-def: $vgpr4
	s_and_saveexec_b64 s[46:47], vcc
	s_xor_b64 s[46:47], exec, s[46:47]
; %bb.222:
	v_bfe_u32 v4, v3, 21, 1
	s_mov_b32 s50, 0x80fffff
	v_add3_u32 v4, v3, v4, s50
	v_lshrrev_b32_e32 v4, 21, v4
; %bb.223:
	s_andn2_saveexec_b64 s[46:47], s[46:47]
; %bb.224:
	s_mov_b32 s50, 0x43000000
	v_add_f32_e64 v4, |v3|, s50
; %bb.225:
	s_or_b64 exec, exec, s[46:47]
                                        ; implicit-def: $vgpr5
.LBB216_226:
	s_andn2_saveexec_b64 s[38:39], s[38:39]
; %bb.227:
	s_mov_b32 s46, 0x7f800000
	v_mov_b32_e32 v4, 0x7c
	v_mov_b32_e32 v6, 0x7f
	v_cmp_lt_u32_e32 vcc, s46, v5
	v_cndmask_b32_e32 v4, v4, v6, vcc
; %bb.228:
	s_or_b64 exec, exec, s[38:39]
	v_lshrrev_b32_e32 v3, 24, v3
	s_movk_i32 s38, 0x80
	v_and_or_b32 v3, v3, s38, v4
	global_store_byte v[0:1], v3, off
.LBB216_229:
	s_mov_b64 s[46:47], 0
	s_mov_b64 s[38:39], -1
.LBB216_230:
	s_andn2_b64 vcc, exec, s[46:47]
	s_cbranch_vccnz .LBB216_238
; %bb.231:
	s_cmp_gt_i32 s53, 14
	s_mov_b64 s[46:47], -1
	s_cbranch_scc0 .LBB216_235
; %bb.232:
	s_cmp_eq_u32 s53, 15
	s_mov_b64 s[0:1], -1
	s_cbranch_scc0 .LBB216_234
; %bb.233:
	v_cvt_f32_f16_e32 v3, v2
	s_movk_i32 s0, 0x7fff
	v_cmp_o_f16_e32 vcc, v2, v2
	v_mov_b32_e32 v4, 0x7fc0
	v_bfe_u32 v5, v3, 16, 1
	v_add3_u32 v3, v3, v5, s0
	v_cndmask_b32_sdwa v3, v4, v3, vcc dst_sel:DWORD dst_unused:UNUSED_PAD src0_sel:DWORD src1_sel:WORD_1
	global_store_short v[0:1], v3, off
	s_mov_b64 s[38:39], -1
	s_mov_b64 s[0:1], 0
.LBB216_234:
	s_mov_b64 s[46:47], 0
.LBB216_235:
	s_and_b64 vcc, exec, s[46:47]
	s_cbranch_vccz .LBB216_238
; %bb.236:
	s_cmp_eq_u32 s53, 11
	s_mov_b64 s[0:1], -1
	s_cbranch_scc0 .LBB216_238
; %bb.237:
	v_and_b32_e32 v3, 0x7fff, v2
	v_cmp_ne_u16_e32 vcc, 0, v3
	v_cndmask_b32_e64 v3, 0, 1, vcc
	s_mov_b64 s[38:39], -1
	s_mov_b64 s[0:1], 0
	global_store_byte v[0:1], v3, off
.LBB216_238:
	s_mov_b64 s[46:47], 0
.LBB216_239:
	s_and_b64 vcc, exec, s[46:47]
	s_cbranch_vccz .LBB216_278
; %bb.240:
	s_and_b32 s46, 0xffff, s52
	s_cmp_lt_i32 s46, 5
	s_mov_b64 s[38:39], -1
	s_cbranch_scc1 .LBB216_261
; %bb.241:
	s_cmp_lt_i32 s46, 8
	s_cbranch_scc1 .LBB216_251
; %bb.242:
	s_cmp_lt_i32 s46, 9
	s_cbranch_scc1 .LBB216_248
; %bb.243:
	s_cmp_gt_i32 s46, 9
	s_cbranch_scc0 .LBB216_245
; %bb.244:
	v_cvt_f32_f16_e32 v3, v2
	v_mov_b32_e32 v5, 0
	v_mov_b32_e32 v6, v5
	s_mov_b64 s[38:39], 0
	v_cvt_f64_f32_e32 v[3:4], v3
	global_store_dwordx4 v[0:1], v[3:6], off
.LBB216_245:
	s_andn2_b64 vcc, exec, s[38:39]
	s_cbranch_vccnz .LBB216_247
; %bb.246:
	v_cvt_f32_f16_e32 v3, v2
	v_mov_b32_e32 v4, 0
	global_store_dwordx2 v[0:1], v[3:4], off
.LBB216_247:
	s_mov_b64 s[38:39], 0
.LBB216_248:
	s_andn2_b64 vcc, exec, s[38:39]
	s_cbranch_vccnz .LBB216_250
; %bb.249:
	v_and_b32_e32 v3, 0xffff, v2
	global_store_dword v[0:1], v3, off
.LBB216_250:
	s_mov_b64 s[38:39], 0
.LBB216_251:
	s_andn2_b64 vcc, exec, s[38:39]
	s_cbranch_vccnz .LBB216_260
; %bb.252:
	s_cmp_lt_i32 s46, 6
	s_mov_b64 s[38:39], -1
	s_cbranch_scc1 .LBB216_258
; %bb.253:
	s_cmp_gt_i32 s46, 6
	s_cbranch_scc0 .LBB216_255
; %bb.254:
	v_cvt_f32_f16_e32 v3, v2
	s_mov_b64 s[38:39], 0
	v_cvt_f64_f32_e32 v[3:4], v3
	global_store_dwordx2 v[0:1], v[3:4], off
.LBB216_255:
	s_andn2_b64 vcc, exec, s[38:39]
	s_cbranch_vccnz .LBB216_257
; %bb.256:
	v_cvt_f32_f16_e32 v3, v2
	global_store_dword v[0:1], v3, off
.LBB216_257:
	s_mov_b64 s[38:39], 0
.LBB216_258:
	s_andn2_b64 vcc, exec, s[38:39]
	s_cbranch_vccnz .LBB216_260
; %bb.259:
	global_store_short v[0:1], v2, off
.LBB216_260:
	s_mov_b64 s[38:39], 0
.LBB216_261:
	s_andn2_b64 vcc, exec, s[38:39]
	s_cbranch_vccnz .LBB216_277
; %bb.262:
	s_cmp_lt_i32 s46, 2
	s_mov_b64 s[38:39], -1
	s_cbranch_scc1 .LBB216_272
; %bb.263:
	s_cmp_lt_i32 s46, 3
	s_cbranch_scc1 .LBB216_269
; %bb.264:
	s_cmp_gt_i32 s46, 3
	s_cbranch_scc0 .LBB216_266
; %bb.265:
	v_cvt_f32_f16_e32 v3, v2
	s_mov_b64 s[38:39], 0
	v_cvt_i32_f32_e32 v3, v3
	v_ashrrev_i32_e32 v4, 31, v3
	global_store_dwordx2 v[0:1], v[3:4], off
.LBB216_266:
	s_andn2_b64 vcc, exec, s[38:39]
	s_cbranch_vccnz .LBB216_268
; %bb.267:
	v_cvt_f32_f16_e32 v3, v2
	v_cvt_i32_f32_e32 v3, v3
	global_store_dword v[0:1], v3, off
.LBB216_268:
	s_mov_b64 s[38:39], 0
.LBB216_269:
	s_andn2_b64 vcc, exec, s[38:39]
	s_cbranch_vccnz .LBB216_271
; %bb.270:
	v_cvt_i16_f16_e32 v3, v2
	global_store_short v[0:1], v3, off
.LBB216_271:
	s_mov_b64 s[38:39], 0
.LBB216_272:
	s_andn2_b64 vcc, exec, s[38:39]
	s_cbranch_vccnz .LBB216_277
; %bb.273:
	s_cmp_gt_i32 s46, 0
	s_mov_b64 s[38:39], -1
	s_cbranch_scc0 .LBB216_275
; %bb.274:
	v_cvt_i16_f16_e32 v3, v2
	global_store_byte v[0:1], v3, off
	s_mov_b64 s[38:39], 0
.LBB216_275:
	s_andn2_b64 vcc, exec, s[38:39]
	s_cbranch_vccnz .LBB216_277
; %bb.276:
	v_cvt_f32_f16_e32 v2, v2
	v_cvt_i32_f32_e32 v2, v2
	global_store_byte v[0:1], v2, off
.LBB216_277:
	s_mov_b64 s[38:39], -1
.LBB216_278:
	s_andn2_b64 vcc, exec, s[38:39]
	s_cbranch_vccnz .LBB216_280
; %bb.279:
	v_add_u32_e32 v8, 0x80, v8
	s_mov_b64 s[46:47], -1
	s_branch .LBB216_393
.LBB216_280:
	s_mov_b64 s[46:47], 0
                                        ; implicit-def: $vgpr8
	s_branch .LBB216_393
.LBB216_281:
	s_mov_b64 s[40:41], -1
                                        ; implicit-def: $vgpr3
.LBB216_282:
	s_mov_b64 s[38:39], 0
.LBB216_283:
	s_and_b64 vcc, exec, s[38:39]
	s_cbranch_vccz .LBB216_287
; %bb.284:
	s_cmp_eq_u32 s51, 29
	s_cbranch_scc0 .LBB216_286
; %bb.285:
	global_load_dwordx2 v[3:4], v[1:2], off
	s_mov_b64 s[0:1], -1
	s_mov_b64 s[40:41], 0
	s_mov_b64 s[38:39], 0
	s_waitcnt vmcnt(0)
	v_ffbh_u32_e32 v6, v4
	v_min_u32_e32 v6, 32, v6
	v_lshlrev_b64 v[3:4], v6, v[3:4]
	v_min_u32_e32 v3, 1, v3
	v_or_b32_e32 v3, v4, v3
	v_cvt_f32_u32_e32 v3, v3
	v_sub_u32_e32 v4, 32, v6
	v_ldexp_f32 v3, v3, v4
	v_cvt_f16_f32_e32 v3, v3
	s_branch .LBB216_288
.LBB216_286:
	s_mov_b64 s[40:41], -1
                                        ; implicit-def: $vgpr3
.LBB216_287:
	s_mov_b64 s[38:39], 0
.LBB216_288:
	s_and_b64 vcc, exec, s[38:39]
	s_cbranch_vccz .LBB216_306
; %bb.289:
	s_cmp_lt_i32 s51, 27
	s_cbranch_scc1 .LBB216_292
; %bb.290:
	s_cmp_gt_i32 s51, 27
	s_cbranch_scc0 .LBB216_293
; %bb.291:
	global_load_dword v3, v[1:2], off
	s_mov_b64 s[0:1], 0
	s_waitcnt vmcnt(0)
	v_cvt_f32_u32_e32 v3, v3
	v_cvt_f16_f32_e32 v3, v3
	s_branch .LBB216_294
.LBB216_292:
	s_mov_b64 s[0:1], -1
                                        ; implicit-def: $vgpr3
	s_branch .LBB216_297
.LBB216_293:
	s_mov_b64 s[0:1], -1
                                        ; implicit-def: $vgpr3
.LBB216_294:
	s_andn2_b64 vcc, exec, s[0:1]
	s_cbranch_vccnz .LBB216_296
; %bb.295:
	global_load_ushort v3, v[1:2], off
	s_waitcnt vmcnt(0)
	v_cvt_f16_u16_e32 v3, v3
.LBB216_296:
	s_mov_b64 s[0:1], 0
.LBB216_297:
	s_andn2_b64 vcc, exec, s[0:1]
	s_cbranch_vccnz .LBB216_305
; %bb.298:
	global_load_ubyte v4, v[1:2], off
	s_movk_i32 s0, 0x7f
	s_waitcnt vmcnt(0)
	v_cmp_lt_i16_e32 vcc, s0, v4
	s_mov_b64 s[0:1], 0
	s_and_saveexec_b64 s[38:39], vcc
	s_xor_b64 s[38:39], exec, s[38:39]
	s_cbranch_execz .LBB216_319
; %bb.299:
	s_movk_i32 s0, 0x80
	v_cmp_eq_u16_e32 vcc, s0, v4
	s_mov_b64 s[0:1], -1
	s_and_saveexec_b64 s[46:47], vcc
; %bb.300:
	s_xor_b64 s[0:1], exec, -1
; %bb.301:
	s_or_b64 exec, exec, s[46:47]
	s_and_b64 s[0:1], s[0:1], exec
	s_or_saveexec_b64 s[38:39], s[38:39]
	v_mov_b32_e32 v3, 0x7e00
	s_xor_b64 exec, exec, s[38:39]
	s_cbranch_execnz .LBB216_320
.LBB216_302:
	s_or_b64 exec, exec, s[38:39]
	s_and_saveexec_b64 s[38:39], s[0:1]
	s_cbranch_execz .LBB216_304
.LBB216_303:
	v_lshlrev_b32_e32 v3, 24, v4
	v_and_b32_e32 v4, 0xffff, v4
	v_and_b32_e32 v6, 7, v4
	v_ffbh_u32_e32 v9, v6
	v_min_u32_e32 v9, 32, v9
	v_subrev_u32_e32 v10, 28, v9
	v_bfe_u32 v7, v4, 3, 4
	v_lshlrev_b32_e32 v4, v10, v4
	v_sub_u32_e32 v9, 29, v9
	v_and_b32_e32 v4, 7, v4
	v_cmp_eq_u32_e32 vcc, 0, v7
	v_cndmask_b32_e32 v7, v7, v9, vcc
	v_cndmask_b32_e32 v4, v6, v4, vcc
	v_mov_b32_e32 v6, 0x3b800000
	v_lshlrev_b32_e32 v4, 20, v4
	v_and_b32_e32 v3, 0x80000000, v3
	v_lshl_add_u32 v6, v7, 23, v6
	v_or3_b32 v3, v3, v6, v4
	v_cvt_f16_f32_e32 v3, v3
.LBB216_304:
	s_or_b64 exec, exec, s[38:39]
.LBB216_305:
	s_mov_b64 s[0:1], -1
.LBB216_306:
	s_mov_b64 s[38:39], 0
.LBB216_307:
	s_and_b64 vcc, exec, s[38:39]
	s_cbranch_vccz .LBB216_342
; %bb.308:
	s_cmp_gt_i32 s51, 22
	s_cbranch_scc0 .LBB216_318
; %bb.309:
	s_cmp_lt_i32 s51, 24
	s_cbranch_scc1 .LBB216_321
; %bb.310:
	s_cmp_gt_i32 s51, 24
	s_cbranch_scc0 .LBB216_322
; %bb.311:
	global_load_ubyte v4, v[1:2], off
	s_movk_i32 s0, 0x7f
	s_waitcnt vmcnt(0)
	v_cmp_lt_i16_e32 vcc, s0, v4
	s_mov_b64 s[0:1], 0
	s_and_saveexec_b64 s[38:39], vcc
	s_xor_b64 s[38:39], exec, s[38:39]
	s_cbranch_execz .LBB216_334
; %bb.312:
	s_movk_i32 s0, 0x80
	v_cmp_eq_u16_e32 vcc, s0, v4
	s_mov_b64 s[0:1], -1
	s_and_saveexec_b64 s[46:47], vcc
; %bb.313:
	s_xor_b64 s[0:1], exec, -1
; %bb.314:
	s_or_b64 exec, exec, s[46:47]
	s_and_b64 s[0:1], s[0:1], exec
	s_or_saveexec_b64 s[38:39], s[38:39]
	v_mov_b32_e32 v3, 0x7e00
	s_xor_b64 exec, exec, s[38:39]
	s_cbranch_execnz .LBB216_335
.LBB216_315:
	s_or_b64 exec, exec, s[38:39]
	s_and_saveexec_b64 s[38:39], s[0:1]
	s_cbranch_execz .LBB216_317
.LBB216_316:
	v_lshlrev_b32_e32 v3, 24, v4
	v_and_b32_e32 v4, 0xffff, v4
	v_and_b32_e32 v6, 3, v4
	v_ffbh_u32_e32 v9, v6
	v_min_u32_e32 v9, 32, v9
	v_subrev_u32_e32 v10, 29, v9
	v_bfe_u32 v7, v4, 2, 5
	v_lshlrev_b32_e32 v4, v10, v4
	v_sub_u32_e32 v9, 30, v9
	v_and_b32_e32 v4, 3, v4
	v_cmp_eq_u32_e32 vcc, 0, v7
	v_cndmask_b32_e32 v7, v7, v9, vcc
	v_cndmask_b32_e32 v4, v6, v4, vcc
	v_mov_b32_e32 v6, 0x37800000
	v_lshlrev_b32_e32 v4, 21, v4
	v_and_b32_e32 v3, 0x80000000, v3
	v_lshl_add_u32 v6, v7, 23, v6
	v_or3_b32 v3, v3, v6, v4
	v_cvt_f16_f32_e32 v3, v3
.LBB216_317:
	s_or_b64 exec, exec, s[38:39]
	s_mov_b64 s[0:1], 0
	s_branch .LBB216_323
.LBB216_318:
	s_mov_b64 s[38:39], -1
                                        ; implicit-def: $vgpr3
	s_branch .LBB216_329
.LBB216_319:
	s_or_saveexec_b64 s[38:39], s[38:39]
	v_mov_b32_e32 v3, 0x7e00
	s_xor_b64 exec, exec, s[38:39]
	s_cbranch_execz .LBB216_302
.LBB216_320:
	v_cmp_ne_u16_e32 vcc, 0, v4
	s_andn2_b64 s[0:1], s[0:1], exec
	s_and_b64 s[46:47], vcc, exec
	s_or_b64 s[0:1], s[0:1], s[46:47]
	v_mov_b32_e32 v3, v4
	s_or_b64 exec, exec, s[38:39]
	s_and_saveexec_b64 s[38:39], s[0:1]
	s_cbranch_execnz .LBB216_303
	s_branch .LBB216_304
.LBB216_321:
	s_mov_b64 s[0:1], -1
                                        ; implicit-def: $vgpr3
	s_branch .LBB216_326
.LBB216_322:
	s_mov_b64 s[0:1], -1
                                        ; implicit-def: $vgpr3
.LBB216_323:
	s_and_b64 vcc, exec, s[0:1]
	s_cbranch_vccz .LBB216_325
; %bb.324:
	global_load_ubyte v3, v[1:2], off
	s_mov_b32 s0, 0x7f800000
	s_waitcnt vmcnt(0)
	v_lshlrev_b32_e32 v3, 24, v3
	v_and_b32_e32 v4, 0x7f000000, v3
	v_ffbh_u32_e32 v6, v4
	v_min_u32_e32 v6, 32, v6
	v_sub_u32_e64 v6, v6, 4 clamp
	v_lshlrev_b32_e32 v9, v6, v4
	v_lshlrev_b32_e32 v6, 23, v6
	v_lshrrev_b32_e32 v9, 4, v9
	v_add_u32_e32 v7, 0x1000000, v4
	v_sub_u32_e32 v6, v9, v6
	v_ashrrev_i32_e32 v7, 8, v7
	v_add_u32_e32 v6, 0x3c000000, v6
	v_and_or_b32 v6, v7, s0, v6
	v_cmp_ne_u32_e32 vcc, 0, v4
	v_cndmask_b32_e32 v4, 0, v6, vcc
	s_brev_b32 s0, 1
	v_and_or_b32 v3, v3, s0, v4
	v_cvt_f16_f32_e32 v3, v3
.LBB216_325:
	s_mov_b64 s[0:1], 0
.LBB216_326:
	s_andn2_b64 vcc, exec, s[0:1]
	s_cbranch_vccnz .LBB216_328
; %bb.327:
	global_load_ubyte v3, v[1:2], off
	s_movk_i32 s0, 0x7f00
	s_brev_b32 s1, 16
	s_waitcnt vmcnt(0)
	v_lshlrev_b16_e32 v4, 8, v3
	v_lshlrev_b32_e32 v3, 25, v3
	v_lshrrev_b32_e32 v6, 4, v3
	v_and_or_b32 v7, v4, s0, 0.5
	v_or_b32_e32 v6, 0x70000000, v6
	v_add_f32_e32 v7, -0.5, v7
	v_mul_f32_e32 v6, 0x7800000, v6
	v_cmp_gt_u32_e32 vcc, s1, v3
	v_bfe_i32 v4, v4, 0, 16
	v_cndmask_b32_e32 v3, v6, v7, vcc
	s_brev_b32 s0, 1
	v_and_or_b32 v3, v4, s0, v3
	v_cvt_f16_f32_e32 v3, v3
.LBB216_328:
	s_mov_b64 s[38:39], 0
	s_mov_b64 s[0:1], -1
.LBB216_329:
	s_andn2_b64 vcc, exec, s[38:39]
	s_cbranch_vccnz .LBB216_342
; %bb.330:
	s_cmp_gt_i32 s51, 14
	s_cbranch_scc0 .LBB216_333
; %bb.331:
	s_cmp_eq_u32 s51, 15
	s_cbranch_scc0 .LBB216_336
; %bb.332:
	global_load_ushort v3, v[1:2], off
	s_mov_b64 s[0:1], -1
	s_mov_b64 s[40:41], 0
	s_waitcnt vmcnt(0)
	v_lshlrev_b32_e32 v3, 16, v3
	v_cvt_f16_f32_e32 v3, v3
	s_branch .LBB216_337
.LBB216_333:
	s_mov_b64 s[38:39], -1
                                        ; implicit-def: $vgpr3
	s_branch .LBB216_338
.LBB216_334:
	s_or_saveexec_b64 s[38:39], s[38:39]
	v_mov_b32_e32 v3, 0x7e00
	s_xor_b64 exec, exec, s[38:39]
	s_cbranch_execz .LBB216_315
.LBB216_335:
	v_cmp_ne_u16_e32 vcc, 0, v4
	s_andn2_b64 s[0:1], s[0:1], exec
	s_and_b64 s[46:47], vcc, exec
	s_or_b64 s[0:1], s[0:1], s[46:47]
	v_mov_b32_e32 v3, v4
	s_or_b64 exec, exec, s[38:39]
	s_and_saveexec_b64 s[38:39], s[0:1]
	s_cbranch_execnz .LBB216_316
	s_branch .LBB216_317
.LBB216_336:
	s_mov_b64 s[40:41], -1
                                        ; implicit-def: $vgpr3
.LBB216_337:
	s_mov_b64 s[38:39], 0
.LBB216_338:
	s_and_b64 vcc, exec, s[38:39]
	s_cbranch_vccz .LBB216_342
; %bb.339:
	s_cmp_eq_u32 s51, 11
	s_cbranch_scc0 .LBB216_341
; %bb.340:
	global_load_ubyte v3, v[1:2], off
	v_mov_b32_e32 v4, 0x3c00
	s_mov_b64 s[0:1], -1
	s_mov_b64 s[40:41], 0
	s_waitcnt vmcnt(0)
	v_cmp_ne_u16_e32 vcc, 0, v3
	v_cndmask_b32_e32 v3, 0, v4, vcc
	s_branch .LBB216_342
.LBB216_341:
	s_mov_b64 s[40:41], -1
                                        ; implicit-def: $vgpr3
.LBB216_342:
	s_branch .LBB216_31
.LBB216_343:
	s_and_b32 s38, 0xffff, s50
	s_cmp_lt_i32 s38, 5
	s_cbranch_scc1 .LBB216_348
; %bb.344:
	s_cmp_lt_i32 s38, 8
	s_cbranch_scc1 .LBB216_349
; %bb.345:
	;; [unrolled: 3-line block ×3, first 2 shown]
	s_cmp_gt_i32 s38, 9
	s_cbranch_scc0 .LBB216_351
; %bb.347:
	global_load_dwordx2 v[3:4], v[1:2], off
	s_movk_i32 s0, 0x1ff
	s_movk_i32 s1, 0xffe
	v_mov_b32_e32 v6, 0x7c00
	v_mov_b32_e32 v7, 0x7e00
	s_movk_i32 s39, 0x40f
	s_mov_b32 s46, 0x8000
	s_waitcnt vmcnt(0)
	v_and_or_b32 v3, v4, s0, v3
	v_cmp_ne_u32_e32 vcc, 0, v3
	v_lshrrev_b32_e32 v9, 8, v4
	v_bfe_u32 v10, v4, 20, 11
	v_cndmask_b32_e64 v3, 0, 1, vcc
	v_sub_u32_e32 v11, 0x3f1, v10
	v_and_or_b32 v3, v9, s1, v3
	v_add_u32_e32 v10, 0xfffffc10, v10
	v_med3_i32 v9, v11, 0, 13
	v_or_b32_e32 v11, 0x1000, v3
	v_cmp_ne_u32_e32 vcc, 0, v3
	v_lshl_or_b32 v12, v10, 12, v3
	v_cndmask_b32_e32 v3, v6, v7, vcc
	v_lshrrev_b32_e32 v7, v9, v11
	v_lshlrev_b32_e32 v9, v9, v7
	v_cmp_ne_u32_e32 vcc, v9, v11
	v_cndmask_b32_e64 v9, 0, 1, vcc
	v_or_b32_e32 v7, v7, v9
	v_cmp_gt_i32_e32 vcc, 1, v10
	v_cndmask_b32_e32 v7, v12, v7, vcc
	v_and_b32_e32 v9, 7, v7
	v_cmp_lt_i32_e32 vcc, 5, v9
	v_cndmask_b32_e64 v11, 0, 1, vcc
	v_cmp_eq_u32_e32 vcc, 3, v9
	v_cndmask_b32_e64 v9, 0, 1, vcc
	v_lshrrev_b32_e32 v7, 2, v7
	v_or_b32_e32 v9, v9, v11
	v_add_u32_e32 v7, v7, v9
	v_cmp_gt_i32_e32 vcc, 31, v10
	v_cndmask_b32_e32 v6, v6, v7, vcc
	v_cmp_eq_u32_e32 vcc, s39, v10
	v_lshrrev_b32_e32 v4, 16, v4
	v_cndmask_b32_e32 v3, v6, v3, vcc
	v_and_or_b32 v3, v4, s46, v3
	s_mov_b64 s[0:1], 0
	s_branch .LBB216_352
.LBB216_348:
	s_mov_b64 s[0:1], -1
                                        ; implicit-def: $vgpr3
	s_branch .LBB216_370
.LBB216_349:
	s_mov_b64 s[0:1], -1
                                        ; implicit-def: $vgpr3
	s_branch .LBB216_358
.LBB216_350:
	s_mov_b64 s[0:1], -1
                                        ; implicit-def: $vgpr3
	s_branch .LBB216_355
.LBB216_351:
	s_mov_b64 s[0:1], -1
                                        ; implicit-def: $vgpr3
.LBB216_352:
	s_andn2_b64 vcc, exec, s[0:1]
	s_cbranch_vccnz .LBB216_354
; %bb.353:
	global_load_dword v3, v[1:2], off
	s_waitcnt vmcnt(0)
	v_cvt_f16_f32_e32 v3, v3
.LBB216_354:
	s_mov_b64 s[0:1], 0
.LBB216_355:
	s_andn2_b64 vcc, exec, s[0:1]
	s_cbranch_vccnz .LBB216_357
; %bb.356:
	global_load_dword v3, v[1:2], off
.LBB216_357:
	s_mov_b64 s[0:1], 0
.LBB216_358:
	s_andn2_b64 vcc, exec, s[0:1]
	s_cbranch_vccnz .LBB216_369
; %bb.359:
	s_cmp_lt_i32 s38, 6
	s_cbranch_scc1 .LBB216_362
; %bb.360:
	s_cmp_gt_i32 s38, 6
	s_cbranch_scc0 .LBB216_363
; %bb.361:
	global_load_dwordx2 v[3:4], v[1:2], off
	s_movk_i32 s0, 0x1ff
	s_movk_i32 s1, 0xffe
	v_mov_b32_e32 v6, 0x7c00
	v_mov_b32_e32 v7, 0x7e00
	s_movk_i32 s39, 0x40f
	s_mov_b32 s46, 0x8000
	s_waitcnt vmcnt(0)
	v_and_or_b32 v3, v4, s0, v3
	v_cmp_ne_u32_e32 vcc, 0, v3
	v_lshrrev_b32_e32 v9, 8, v4
	v_bfe_u32 v10, v4, 20, 11
	v_cndmask_b32_e64 v3, 0, 1, vcc
	v_sub_u32_e32 v11, 0x3f1, v10
	v_and_or_b32 v3, v9, s1, v3
	v_add_u32_e32 v10, 0xfffffc10, v10
	v_med3_i32 v9, v11, 0, 13
	v_or_b32_e32 v11, 0x1000, v3
	v_cmp_ne_u32_e32 vcc, 0, v3
	v_lshl_or_b32 v12, v10, 12, v3
	v_cndmask_b32_e32 v3, v6, v7, vcc
	v_lshrrev_b32_e32 v7, v9, v11
	v_lshlrev_b32_e32 v9, v9, v7
	v_cmp_ne_u32_e32 vcc, v9, v11
	v_cndmask_b32_e64 v9, 0, 1, vcc
	v_or_b32_e32 v7, v7, v9
	v_cmp_gt_i32_e32 vcc, 1, v10
	v_cndmask_b32_e32 v7, v12, v7, vcc
	v_and_b32_e32 v9, 7, v7
	v_cmp_lt_i32_e32 vcc, 5, v9
	v_cndmask_b32_e64 v11, 0, 1, vcc
	v_cmp_eq_u32_e32 vcc, 3, v9
	v_cndmask_b32_e64 v9, 0, 1, vcc
	v_lshrrev_b32_e32 v7, 2, v7
	v_or_b32_e32 v9, v9, v11
	v_add_u32_e32 v7, v7, v9
	v_cmp_gt_i32_e32 vcc, 31, v10
	v_cndmask_b32_e32 v6, v6, v7, vcc
	v_cmp_eq_u32_e32 vcc, s39, v10
	v_lshrrev_b32_e32 v4, 16, v4
	v_cndmask_b32_e32 v3, v6, v3, vcc
	v_and_or_b32 v3, v4, s46, v3
	s_mov_b64 s[0:1], 0
	s_branch .LBB216_364
.LBB216_362:
	s_mov_b64 s[0:1], -1
                                        ; implicit-def: $vgpr3
	s_branch .LBB216_367
.LBB216_363:
	s_mov_b64 s[0:1], -1
                                        ; implicit-def: $vgpr3
.LBB216_364:
	s_andn2_b64 vcc, exec, s[0:1]
	s_cbranch_vccnz .LBB216_366
; %bb.365:
	global_load_dword v3, v[1:2], off
	s_waitcnt vmcnt(0)
	v_cvt_f16_f32_e32 v3, v3
.LBB216_366:
	s_mov_b64 s[0:1], 0
.LBB216_367:
	s_andn2_b64 vcc, exec, s[0:1]
	s_cbranch_vccnz .LBB216_369
; %bb.368:
	global_load_ushort v3, v[1:2], off
.LBB216_369:
	s_mov_b64 s[0:1], 0
.LBB216_370:
	s_andn2_b64 vcc, exec, s[0:1]
	s_cbranch_vccnz .LBB216_390
; %bb.371:
	s_cmp_lt_i32 s38, 2
	s_cbranch_scc1 .LBB216_375
; %bb.372:
	s_cmp_lt_i32 s38, 3
	s_cbranch_scc1 .LBB216_376
; %bb.373:
	s_cmp_gt_i32 s38, 3
	s_cbranch_scc0 .LBB216_377
; %bb.374:
	global_load_dwordx2 v[3:4], v[1:2], off
	s_mov_b64 s[0:1], 0
	s_waitcnt vmcnt(0)
	v_xor_b32_e32 v7, v3, v4
	v_ffbh_i32_e32 v6, v4
	v_ashrrev_i32_e32 v7, 31, v7
	v_add_u32_e32 v6, -1, v6
	v_add_u32_e32 v7, 32, v7
	v_min_u32_e32 v6, v6, v7
	v_lshlrev_b64 v[3:4], v6, v[3:4]
	v_min_u32_e32 v3, 1, v3
	v_or_b32_e32 v3, v4, v3
	v_cvt_f32_i32_e32 v3, v3
	v_sub_u32_e32 v4, 32, v6
	v_ldexp_f32 v3, v3, v4
	v_cvt_f16_f32_e32 v3, v3
	s_branch .LBB216_378
.LBB216_375:
	s_mov_b64 s[0:1], -1
                                        ; implicit-def: $vgpr3
	s_branch .LBB216_384
.LBB216_376:
	s_mov_b64 s[0:1], -1
                                        ; implicit-def: $vgpr3
	s_branch .LBB216_381
.LBB216_377:
	s_mov_b64 s[0:1], -1
                                        ; implicit-def: $vgpr3
.LBB216_378:
	s_andn2_b64 vcc, exec, s[0:1]
	s_cbranch_vccnz .LBB216_380
; %bb.379:
	global_load_dword v3, v[1:2], off
	s_waitcnt vmcnt(0)
	v_cvt_f32_i32_e32 v3, v3
	v_cvt_f16_f32_e32 v3, v3
.LBB216_380:
	s_mov_b64 s[0:1], 0
.LBB216_381:
	s_andn2_b64 vcc, exec, s[0:1]
	s_cbranch_vccnz .LBB216_383
; %bb.382:
	global_load_ushort v3, v[1:2], off
	s_waitcnt vmcnt(0)
	v_cvt_f16_i16_e32 v3, v3
.LBB216_383:
	s_mov_b64 s[0:1], 0
.LBB216_384:
	s_andn2_b64 vcc, exec, s[0:1]
	s_cbranch_vccnz .LBB216_390
; %bb.385:
	s_cmp_gt_i32 s38, 0
	s_cbranch_scc0 .LBB216_387
; %bb.386:
	global_load_sbyte v3, v[1:2], off
	s_mov_b64 s[0:1], 0
	s_waitcnt vmcnt(0)
	v_cvt_f16_i16_e32 v3, v3
	s_branch .LBB216_388
.LBB216_387:
	s_mov_b64 s[0:1], -1
                                        ; implicit-def: $vgpr3
.LBB216_388:
	s_andn2_b64 vcc, exec, s[0:1]
	s_cbranch_vccnz .LBB216_390
; %bb.389:
	global_load_ubyte v1, v[1:2], off
	s_waitcnt vmcnt(0)
	v_cvt_f16_u16_e32 v3, v1
.LBB216_390:
	s_branch .LBB216_32
.LBB216_391:
	s_mov_b64 s[0:1], 0
.LBB216_392:
                                        ; implicit-def: $vgpr8
	s_mov_b64 s[46:47], 0
.LBB216_393:
	s_and_b64 s[38:39], s[0:1], exec
	s_and_b64 s[40:41], s[40:41], exec
	;; [unrolled: 1-line block ×3, first 2 shown]
	s_orn2_b64 s[0:1], s[46:47], exec
.LBB216_394:
	s_or_b64 exec, exec, s[44:45]
	s_mov_b64 s[52:53], 0
	s_mov_b64 s[50:51], 0
                                        ; implicit-def: $sgpr75
                                        ; implicit-def: $vgpr3_vgpr4
                                        ; implicit-def: $vgpr0
                                        ; implicit-def: $vgpr2
                                        ; implicit-def: $vgpr5
	s_and_saveexec_b64 s[44:45], s[0:1]
	s_cbranch_execz .LBB216_402
; %bb.395:
	v_cmp_gt_i32_e32 vcc, s68, v8
	s_mov_b64 s[0:1], -1
	s_mov_b64 s[46:47], s[42:43]
	s_mov_b64 s[48:49], s[40:41]
	;; [unrolled: 1-line block ×3, first 2 shown]
	s_and_saveexec_b64 s[52:53], vcc
	s_cbranch_execz .LBB216_795
; %bb.396:
	s_andn2_b64 vcc, exec, s[24:25]
	s_cbranch_vccnz .LBB216_405
; %bb.397:
	s_andn2_b64 vcc, exec, s[36:37]
	s_cbranch_vccnz .LBB216_406
; %bb.398:
	s_add_i32 s0, s74, 1
	s_and_b32 s46, s0, 30
	s_add_u32 s0, s2, 0xffffffe8
	s_addc_u32 s1, s3, -1
	v_mov_b32_e32 v2, 0
	v_mov_b32_e32 v4, 0
	;; [unrolled: 1-line block ×4, first 2 shown]
.LBB216_399:                            ; =>This Inner Loop Header: Depth=1
	s_load_dwordx4 s[48:51], s[0:1], 0x1c
	s_load_dwordx2 s[54:55], s[0:1], 0x2c
	s_load_dwordx2 s[60:61], s[0:1], 0xec
	s_load_dwordx4 s[56:59], s[0:1], 0xdc
	s_add_u32 s0, s0, 24
	s_waitcnt vmcnt(0) lgkmcnt(0)
	v_mul_hi_u32 v3, s49, v1
	s_addc_u32 s1, s1, 0
	s_add_i32 s46, s46, -2
	s_cmp_eq_u32 s46, 0
	v_add_u32_e32 v3, v1, v3
	v_lshrrev_b32_e32 v3, s50, v3
	v_mul_lo_u32 v5, v3, s48
	v_mul_hi_u32 v6, s54, v3
	v_sub_u32_e32 v5, v1, v5
	v_add_u32_e32 v1, v3, v6
	v_lshrrev_b32_e32 v1, s55, v1
	v_mul_lo_u32 v9, v1, s51
	v_mul_lo_u32 v6, v5, s56
	;; [unrolled: 1-line block ×4, first 2 shown]
	v_sub_u32_e32 v3, v3, v9
	v_mul_lo_u32 v9, v3, s59
	v_mul_lo_u32 v10, v3, s60
	;; [unrolled: 1-line block ×3, first 2 shown]
	v_add3_u32 v0, v6, v0, v9
	v_add3_u32 v4, v7, v4, v10
	;; [unrolled: 1-line block ×3, first 2 shown]
	s_cbranch_scc0 .LBB216_399
; %bb.400:
	s_bitcmp1_b32 s74, 0
	s_cselect_b64 s[46:47], -1, 0
	s_and_b64 vcc, exec, s[46:47]
	s_cbranch_vccnz .LBB216_407
; %bb.401:
	s_load_dwordx2 s[46:47], s[0:1], 0x1c
	s_load_dword s50, s[0:1], 0x24
	s_load_dwordx2 s[48:49], s[0:1], 0xdc
	s_waitcnt lgkmcnt(0)
	v_mul_hi_u32 v3, s47, v1
	v_add_u32_e32 v3, v1, v3
	v_lshrrev_b32_e32 v3, s50, v3
	v_mul_lo_u32 v3, v3, s46
	s_load_dword s46, s[0:1], 0xe4
	v_sub_u32_e32 v3, v1, v3
	v_mad_u64_u32 v[0:1], s[0:1], v3, s48, v[0:1]
	v_mad_u64_u32 v[4:5], s[0:1], v3, s49, v[4:5]
	s_waitcnt lgkmcnt(0)
	v_mad_u64_u32 v[2:3], s[0:1], v3, s46, v[2:3]
	s_branch .LBB216_407
.LBB216_402:
	s_or_b64 exec, exec, s[44:45]
	s_mov_b64 s[10:11], 0
	s_and_saveexec_b64 s[0:1], s[42:43]
	s_cbranch_execnz .LBB216_1293
.LBB216_403:
	s_or_b64 exec, exec, s[0:1]
	s_and_saveexec_b64 s[0:1], s[48:49]
	s_xor_b64 s[0:1], exec, s[0:1]
	s_cbranch_execz .LBB216_1294
.LBB216_404:
	s_waitcnt vmcnt(0)
	global_load_ubyte v1, v[3:4], off
	v_mov_b32_e32 v5, 0x3c00
	s_or_b64 s[50:51], s[50:51], exec
	s_waitcnt vmcnt(0)
	v_cmp_ne_u16_e32 vcc, 0, v1
	v_cndmask_b32_e32 v5, 0, v5, vcc
	s_or_b64 exec, exec, s[0:1]
	s_and_saveexec_b64 s[0:1], s[52:53]
	s_cbranch_execz .LBB216_1340
	s_branch .LBB216_1295
.LBB216_405:
                                        ; implicit-def: $vgpr0
                                        ; implicit-def: $vgpr4
                                        ; implicit-def: $vgpr2
	s_andn2_b64 vcc, exec, s[0:1]
	s_cbranch_vccz .LBB216_408
	s_branch .LBB216_410
.LBB216_406:
	v_mov_b32_e32 v0, 0
	v_mov_b32_e32 v4, 0
	;; [unrolled: 1-line block ×3, first 2 shown]
.LBB216_407:
	s_cbranch_execnz .LBB216_410
.LBB216_408:
	v_mul_hi_u32 v0, s17, v8
	s_andn2_b64 vcc, exec, s[34:35]
	v_add_u32_e32 v0, v8, v0
	v_lshrrev_b32_e32 v1, s18, v0
	v_mul_lo_u32 v0, v1, s16
	v_sub_u32_e32 v2, v8, v0
	v_mul_lo_u32 v0, v2, s20
	v_mul_lo_u32 v4, v2, s21
	;; [unrolled: 1-line block ×3, first 2 shown]
	s_cbranch_vccnz .LBB216_410
; %bb.409:
	s_waitcnt vmcnt(0)
	v_mul_hi_u32 v3, s30, v1
	v_add_u32_e32 v3, v1, v3
	v_lshrrev_b32_e32 v3, s31, v3
	v_mul_lo_u32 v3, v3, s19
	v_sub_u32_e32 v3, v1, v3
	v_mad_u64_u32 v[0:1], s[0:1], v3, s23, v[0:1]
	v_mad_u64_u32 v[4:5], s[0:1], v3, s28, v[4:5]
	;; [unrolled: 1-line block ×3, first 2 shown]
.LBB216_410:
	v_mov_b32_e32 v1, s11
	s_and_b32 s54, s73, 0xff
	s_waitcnt vmcnt(0)
	v_add_co_u32_e32 v3, vcc, s10, v4
	s_cmp_lt_i32 s54, 11
	v_addc_co_u32_e32 v4, vcc, 0, v1, vcc
	s_cbranch_scc1 .LBB216_417
; %bb.411:
	s_and_b32 s55, 0xffff, s54
	s_cmp_gt_i32 s55, 25
	s_cbranch_scc0 .LBB216_426
; %bb.412:
	s_cmp_gt_i32 s55, 28
	s_cbranch_scc0 .LBB216_428
; %bb.413:
	;; [unrolled: 3-line block ×4, first 2 shown]
	s_cmp_eq_u32 s55, 46
	s_mov_b64 s[48:49], 0
	s_cbranch_scc0 .LBB216_436
; %bb.416:
	global_load_dword v1, v[3:4], off
	s_mov_b64 s[0:1], -1
	s_mov_b64 s[46:47], 0
	s_waitcnt vmcnt(0)
	v_lshlrev_b32_e32 v1, 16, v1
	v_cvt_f16_f32_e32 v5, v1
	s_branch .LBB216_437
.LBB216_417:
	s_mov_b64 s[0:1], 0
                                        ; implicit-def: $vgpr5
	s_mov_b64 s[46:47], s[42:43]
	s_cbranch_execnz .LBB216_503
.LBB216_418:
	s_andn2_b64 vcc, exec, s[0:1]
	s_cbranch_vccnz .LBB216_551
.LBB216_419:
	v_mov_b32_e32 v3, s13
	s_and_b32 s56, s72, 0xff
	v_add_co_u32_e32 v1, vcc, s12, v2
	s_cmp_lt_i32 s56, 11
	v_addc_co_u32_e32 v2, vcc, 0, v3, vcc
	s_cbranch_scc1 .LBB216_427
; %bb.420:
	s_and_b32 s57, 0xffff, s56
	s_cmp_gt_i32 s57, 25
	s_cbranch_scc0 .LBB216_429
; %bb.421:
	s_cmp_gt_i32 s57, 28
	s_cbranch_scc0 .LBB216_431
; %bb.422:
	;; [unrolled: 3-line block ×4, first 2 shown]
	s_cmp_eq_u32 s57, 46
	s_mov_b64 s[50:51], 0
	s_cbranch_scc0 .LBB216_555
; %bb.425:
	global_load_dword v3, v[1:2], off
	s_mov_b64 s[0:1], -1
	s_mov_b64 s[48:49], 0
	s_waitcnt vmcnt(0)
	v_lshlrev_b32_e32 v3, 16, v3
	v_cvt_f16_f32_e32 v3, v3
	s_branch .LBB216_556
.LBB216_426:
	s_mov_b64 s[48:49], -1
	s_mov_b64 s[0:1], 0
	s_mov_b64 s[46:47], s[42:43]
                                        ; implicit-def: $vgpr5
	s_branch .LBB216_467
.LBB216_427:
	s_mov_b64 s[50:51], -1
	s_mov_b64 s[0:1], 0
                                        ; implicit-def: $vgpr3
	s_mov_b64 s[48:49], s[40:41]
	s_branch .LBB216_621
.LBB216_428:
	s_mov_b64 s[48:49], -1
	s_mov_b64 s[0:1], 0
	s_mov_b64 s[46:47], s[42:43]
                                        ; implicit-def: $vgpr5
	s_branch .LBB216_448
.LBB216_429:
	s_mov_b64 s[50:51], -1
	s_mov_b64 s[0:1], 0
	s_mov_b64 s[48:49], s[40:41]
                                        ; implicit-def: $vgpr3
	s_branch .LBB216_585
.LBB216_430:
	s_mov_b64 s[48:49], -1
	s_mov_b64 s[0:1], 0
	s_mov_b64 s[46:47], s[42:43]
                                        ; implicit-def: $vgpr5
	s_branch .LBB216_443
.LBB216_431:
	s_mov_b64 s[50:51], -1
	s_mov_b64 s[0:1], 0
	s_mov_b64 s[48:49], s[40:41]
                                        ; implicit-def: $vgpr3
	s_branch .LBB216_566
.LBB216_432:
	s_mov_b64 s[48:49], -1
	s_mov_b64 s[0:1], 0
	s_mov_b64 s[46:47], s[42:43]
                                        ; implicit-def: $vgpr5
	s_branch .LBB216_437
.LBB216_433:
	s_mov_b64 s[50:51], -1
	s_mov_b64 s[0:1], 0
	s_mov_b64 s[48:49], s[40:41]
                                        ; implicit-def: $vgpr3
	s_branch .LBB216_561
.LBB216_434:
	s_andn2_saveexec_b64 s[50:51], s[50:51]
	s_cbranch_execz .LBB216_191
.LBB216_435:
	s_mov_b32 s54, 0x46000000
	v_add_f32_e64 v4, |v3|, s54
	v_and_b32_e32 v4, 0xff, v4
	v_cmp_ne_u32_e32 vcc, 0, v4
	s_andn2_b64 s[46:47], s[46:47], exec
	s_and_b64 s[54:55], vcc, exec
	s_or_b64 s[46:47], s[46:47], s[54:55]
	s_or_b64 exec, exec, s[50:51]
	v_mov_b32_e32 v5, 0
	s_and_saveexec_b64 s[50:51], s[46:47]
	s_cbranch_execnz .LBB216_192
	s_branch .LBB216_193
.LBB216_436:
	s_mov_b64 s[46:47], -1
                                        ; implicit-def: $vgpr5
	s_mov_b64 s[0:1], 0
.LBB216_437:
	s_and_b64 vcc, exec, s[48:49]
	s_cbranch_vccz .LBB216_442
; %bb.438:
	s_cmp_eq_u32 s55, 44
	s_cbranch_scc0 .LBB216_441
; %bb.439:
	global_load_ubyte v1, v[3:4], off
	s_movk_i32 s46, 0xff
	v_mov_b32_e32 v6, 0x7e00
	s_mov_b64 s[0:1], -1
	s_waitcnt vmcnt(0)
	v_lshlrev_b32_e32 v5, 23, v1
	v_cvt_f16_f32_e32 v5, v5
	v_cmp_ne_u32_e32 vcc, s46, v1
	s_mov_b64 s[46:47], 0
	v_cndmask_b32_e32 v5, v6, v5, vcc
	v_cmp_ne_u32_e32 vcc, 0, v1
	v_cndmask_b32_e32 v5, 0, v5, vcc
	s_branch .LBB216_442
.LBB216_440:
	s_mov_b64 s[50:51], -1
	s_mov_b64 s[0:1], 0
	s_mov_b64 s[48:49], s[40:41]
                                        ; implicit-def: $vgpr3
	s_branch .LBB216_556
.LBB216_441:
	s_mov_b64 s[46:47], -1
                                        ; implicit-def: $vgpr5
.LBB216_442:
	s_mov_b64 s[48:49], 0
.LBB216_443:
	s_and_b64 vcc, exec, s[48:49]
	s_cbranch_vccz .LBB216_447
; %bb.444:
	s_cmp_eq_u32 s55, 29
	s_cbranch_scc0 .LBB216_446
; %bb.445:
	global_load_dwordx2 v[5:6], v[3:4], off
	s_mov_b64 s[0:1], -1
	s_mov_b64 s[46:47], 0
	s_mov_b64 s[48:49], 0
	s_waitcnt vmcnt(0)
	v_ffbh_u32_e32 v1, v6
	v_min_u32_e32 v1, 32, v1
	v_lshlrev_b64 v[5:6], v1, v[5:6]
	v_sub_u32_e32 v1, 32, v1
	v_min_u32_e32 v5, 1, v5
	v_or_b32_e32 v5, v6, v5
	v_cvt_f32_u32_e32 v5, v5
	v_ldexp_f32 v1, v5, v1
	v_cvt_f16_f32_e32 v5, v1
	s_branch .LBB216_448
.LBB216_446:
	s_mov_b64 s[46:47], -1
                                        ; implicit-def: $vgpr5
.LBB216_447:
	s_mov_b64 s[48:49], 0
.LBB216_448:
	s_and_b64 vcc, exec, s[48:49]
	s_cbranch_vccz .LBB216_466
; %bb.449:
	s_cmp_lt_i32 s55, 27
	s_cbranch_scc1 .LBB216_452
; %bb.450:
	s_cmp_gt_i32 s55, 27
	s_cbranch_scc0 .LBB216_453
; %bb.451:
	global_load_dword v1, v[3:4], off
	s_mov_b64 s[0:1], 0
	s_waitcnt vmcnt(0)
	v_cvt_f32_u32_e32 v1, v1
	v_cvt_f16_f32_e32 v5, v1
	s_branch .LBB216_454
.LBB216_452:
	s_mov_b64 s[0:1], -1
                                        ; implicit-def: $vgpr5
	s_branch .LBB216_457
.LBB216_453:
	s_mov_b64 s[0:1], -1
                                        ; implicit-def: $vgpr5
.LBB216_454:
	s_andn2_b64 vcc, exec, s[0:1]
	s_cbranch_vccnz .LBB216_456
; %bb.455:
	global_load_ushort v1, v[3:4], off
	s_waitcnt vmcnt(0)
	v_cvt_f16_u16_e32 v5, v1
.LBB216_456:
	s_mov_b64 s[0:1], 0
.LBB216_457:
	s_andn2_b64 vcc, exec, s[0:1]
	s_cbranch_vccnz .LBB216_465
; %bb.458:
	global_load_ubyte v1, v[3:4], off
	s_movk_i32 s0, 0x7f
	s_waitcnt vmcnt(0)
	v_cmp_lt_i16_e32 vcc, s0, v1
	s_mov_b64 s[0:1], 0
	s_and_saveexec_b64 s[48:49], vcc
	s_xor_b64 s[48:49], exec, s[48:49]
	s_cbranch_execz .LBB216_479
; %bb.459:
	s_movk_i32 s0, 0x80
	v_cmp_eq_u16_e32 vcc, s0, v1
	s_mov_b64 s[0:1], -1
	s_and_saveexec_b64 s[50:51], vcc
; %bb.460:
	s_xor_b64 s[0:1], exec, -1
; %bb.461:
	s_or_b64 exec, exec, s[50:51]
	s_and_b64 s[0:1], s[0:1], exec
	s_or_saveexec_b64 s[48:49], s[48:49]
	v_mov_b32_e32 v5, 0x7e00
	s_xor_b64 exec, exec, s[48:49]
	s_cbranch_execnz .LBB216_480
.LBB216_462:
	s_or_b64 exec, exec, s[48:49]
	s_and_saveexec_b64 s[48:49], s[0:1]
	s_cbranch_execz .LBB216_464
.LBB216_463:
	v_lshlrev_b32_e32 v5, 24, v1
	v_and_b32_e32 v1, 0xffff, v1
	v_and_b32_e32 v6, 7, v1
	v_ffbh_u32_e32 v9, v6
	v_min_u32_e32 v9, 32, v9
	v_subrev_u32_e32 v10, 28, v9
	v_bfe_u32 v7, v1, 3, 4
	v_lshlrev_b32_e32 v1, v10, v1
	v_sub_u32_e32 v9, 29, v9
	v_and_b32_e32 v1, 7, v1
	v_cmp_eq_u32_e32 vcc, 0, v7
	v_cndmask_b32_e32 v7, v7, v9, vcc
	v_cndmask_b32_e32 v1, v6, v1, vcc
	v_mov_b32_e32 v6, 0x3b800000
	v_lshlrev_b32_e32 v1, 20, v1
	v_and_b32_e32 v5, 0x80000000, v5
	v_lshl_add_u32 v6, v7, 23, v6
	v_or3_b32 v1, v5, v6, v1
	v_cvt_f16_f32_e32 v5, v1
.LBB216_464:
	s_or_b64 exec, exec, s[48:49]
.LBB216_465:
	s_mov_b64 s[0:1], -1
.LBB216_466:
	s_mov_b64 s[48:49], 0
.LBB216_467:
	s_and_b64 vcc, exec, s[48:49]
	s_cbranch_vccz .LBB216_502
; %bb.468:
	s_cmp_gt_i32 s55, 22
	s_cbranch_scc0 .LBB216_478
; %bb.469:
	s_cmp_lt_i32 s55, 24
	s_cbranch_scc1 .LBB216_481
; %bb.470:
	s_cmp_gt_i32 s55, 24
	s_cbranch_scc0 .LBB216_482
; %bb.471:
	global_load_ubyte v1, v[3:4], off
	s_movk_i32 s0, 0x7f
	s_waitcnt vmcnt(0)
	v_cmp_lt_i16_e32 vcc, s0, v1
	s_mov_b64 s[0:1], 0
	s_and_saveexec_b64 s[48:49], vcc
	s_xor_b64 s[48:49], exec, s[48:49]
	s_cbranch_execz .LBB216_494
; %bb.472:
	s_movk_i32 s0, 0x80
	v_cmp_eq_u16_e32 vcc, s0, v1
	s_mov_b64 s[0:1], -1
	s_and_saveexec_b64 s[50:51], vcc
; %bb.473:
	s_xor_b64 s[0:1], exec, -1
; %bb.474:
	s_or_b64 exec, exec, s[50:51]
	s_and_b64 s[0:1], s[0:1], exec
	s_or_saveexec_b64 s[48:49], s[48:49]
	v_mov_b32_e32 v5, 0x7e00
	s_xor_b64 exec, exec, s[48:49]
	s_cbranch_execnz .LBB216_495
.LBB216_475:
	s_or_b64 exec, exec, s[48:49]
	s_and_saveexec_b64 s[48:49], s[0:1]
	s_cbranch_execz .LBB216_477
.LBB216_476:
	v_lshlrev_b32_e32 v5, 24, v1
	v_and_b32_e32 v1, 0xffff, v1
	v_and_b32_e32 v6, 3, v1
	v_ffbh_u32_e32 v9, v6
	v_min_u32_e32 v9, 32, v9
	v_subrev_u32_e32 v10, 29, v9
	v_bfe_u32 v7, v1, 2, 5
	v_lshlrev_b32_e32 v1, v10, v1
	v_sub_u32_e32 v9, 30, v9
	v_and_b32_e32 v1, 3, v1
	v_cmp_eq_u32_e32 vcc, 0, v7
	v_cndmask_b32_e32 v7, v7, v9, vcc
	v_cndmask_b32_e32 v1, v6, v1, vcc
	v_mov_b32_e32 v6, 0x37800000
	v_lshlrev_b32_e32 v1, 21, v1
	v_and_b32_e32 v5, 0x80000000, v5
	v_lshl_add_u32 v6, v7, 23, v6
	v_or3_b32 v1, v5, v6, v1
	v_cvt_f16_f32_e32 v5, v1
.LBB216_477:
	s_or_b64 exec, exec, s[48:49]
	s_mov_b64 s[0:1], 0
	s_branch .LBB216_483
.LBB216_478:
	s_mov_b64 s[48:49], -1
                                        ; implicit-def: $vgpr5
	s_branch .LBB216_489
.LBB216_479:
	s_or_saveexec_b64 s[48:49], s[48:49]
	v_mov_b32_e32 v5, 0x7e00
	s_xor_b64 exec, exec, s[48:49]
	s_cbranch_execz .LBB216_462
.LBB216_480:
	v_cmp_ne_u16_e32 vcc, 0, v1
	s_andn2_b64 s[0:1], s[0:1], exec
	s_and_b64 s[50:51], vcc, exec
	s_or_b64 s[0:1], s[0:1], s[50:51]
	v_mov_b32_e32 v5, v1
	s_or_b64 exec, exec, s[48:49]
	s_and_saveexec_b64 s[48:49], s[0:1]
	s_cbranch_execnz .LBB216_463
	s_branch .LBB216_464
.LBB216_481:
	s_mov_b64 s[0:1], -1
                                        ; implicit-def: $vgpr5
	s_branch .LBB216_486
.LBB216_482:
	s_mov_b64 s[0:1], -1
                                        ; implicit-def: $vgpr5
.LBB216_483:
	s_and_b64 vcc, exec, s[0:1]
	s_cbranch_vccz .LBB216_485
; %bb.484:
	global_load_ubyte v1, v[3:4], off
	s_mov_b32 s0, 0x7f800000
	s_waitcnt vmcnt(0)
	v_lshlrev_b32_e32 v1, 24, v1
	v_and_b32_e32 v5, 0x7f000000, v1
	v_ffbh_u32_e32 v6, v5
	v_min_u32_e32 v6, 32, v6
	v_sub_u32_e64 v6, v6, 4 clamp
	v_lshlrev_b32_e32 v9, v6, v5
	v_lshlrev_b32_e32 v6, 23, v6
	v_lshrrev_b32_e32 v9, 4, v9
	v_add_u32_e32 v7, 0x1000000, v5
	v_sub_u32_e32 v6, v9, v6
	v_ashrrev_i32_e32 v7, 8, v7
	v_add_u32_e32 v6, 0x3c000000, v6
	v_and_or_b32 v6, v7, s0, v6
	v_cmp_ne_u32_e32 vcc, 0, v5
	v_cndmask_b32_e32 v5, 0, v6, vcc
	s_brev_b32 s0, 1
	v_and_or_b32 v1, v1, s0, v5
	v_cvt_f16_f32_e32 v5, v1
.LBB216_485:
	s_mov_b64 s[0:1], 0
.LBB216_486:
	s_andn2_b64 vcc, exec, s[0:1]
	s_cbranch_vccnz .LBB216_488
; %bb.487:
	global_load_ubyte v1, v[3:4], off
	s_movk_i32 s0, 0x7f00
	s_brev_b32 s1, 16
	s_waitcnt vmcnt(0)
	v_lshlrev_b16_e32 v5, 8, v1
	v_lshlrev_b32_e32 v1, 25, v1
	v_lshrrev_b32_e32 v6, 4, v1
	v_and_or_b32 v7, v5, s0, 0.5
	v_or_b32_e32 v6, 0x70000000, v6
	v_add_f32_e32 v7, -0.5, v7
	v_mul_f32_e32 v6, 0x7800000, v6
	v_cmp_gt_u32_e32 vcc, s1, v1
	v_bfe_i32 v5, v5, 0, 16
	v_cndmask_b32_e32 v1, v6, v7, vcc
	s_brev_b32 s0, 1
	v_and_or_b32 v1, v5, s0, v1
	v_cvt_f16_f32_e32 v5, v1
.LBB216_488:
	s_mov_b64 s[48:49], 0
	s_mov_b64 s[0:1], -1
.LBB216_489:
	s_andn2_b64 vcc, exec, s[48:49]
	s_cbranch_vccnz .LBB216_502
; %bb.490:
	s_cmp_gt_i32 s55, 14
	s_cbranch_scc0 .LBB216_493
; %bb.491:
	s_cmp_eq_u32 s55, 15
	s_cbranch_scc0 .LBB216_496
; %bb.492:
	global_load_ushort v1, v[3:4], off
	s_mov_b64 s[0:1], -1
	s_mov_b64 s[46:47], 0
	s_waitcnt vmcnt(0)
	v_lshlrev_b32_e32 v1, 16, v1
	v_cvt_f16_f32_e32 v5, v1
	s_branch .LBB216_497
.LBB216_493:
	s_mov_b64 s[48:49], -1
                                        ; implicit-def: $vgpr5
	s_branch .LBB216_498
.LBB216_494:
	s_or_saveexec_b64 s[48:49], s[48:49]
	v_mov_b32_e32 v5, 0x7e00
	s_xor_b64 exec, exec, s[48:49]
	s_cbranch_execz .LBB216_475
.LBB216_495:
	v_cmp_ne_u16_e32 vcc, 0, v1
	s_andn2_b64 s[0:1], s[0:1], exec
	s_and_b64 s[50:51], vcc, exec
	s_or_b64 s[0:1], s[0:1], s[50:51]
	v_mov_b32_e32 v5, v1
	s_or_b64 exec, exec, s[48:49]
	s_and_saveexec_b64 s[48:49], s[0:1]
	s_cbranch_execnz .LBB216_476
	s_branch .LBB216_477
.LBB216_496:
	s_mov_b64 s[46:47], -1
                                        ; implicit-def: $vgpr5
.LBB216_497:
	s_mov_b64 s[48:49], 0
.LBB216_498:
	s_and_b64 vcc, exec, s[48:49]
	s_cbranch_vccz .LBB216_502
; %bb.499:
	s_cmp_eq_u32 s55, 11
	s_cbranch_scc0 .LBB216_501
; %bb.500:
	global_load_ubyte v1, v[3:4], off
	v_mov_b32_e32 v5, 0x3c00
	s_mov_b64 s[0:1], -1
	s_mov_b64 s[46:47], 0
	s_waitcnt vmcnt(0)
	v_cmp_ne_u16_e32 vcc, 0, v1
	v_cndmask_b32_e32 v5, 0, v5, vcc
	s_branch .LBB216_502
.LBB216_501:
	s_mov_b64 s[46:47], -1
                                        ; implicit-def: $vgpr5
.LBB216_502:
	s_branch .LBB216_418
.LBB216_503:
	s_and_b32 s48, 0xffff, s54
	s_cmp_lt_i32 s48, 5
	s_cbranch_scc1 .LBB216_508
; %bb.504:
	s_cmp_lt_i32 s48, 8
	s_cbranch_scc1 .LBB216_509
; %bb.505:
	;; [unrolled: 3-line block ×3, first 2 shown]
	s_cmp_gt_i32 s48, 9
	s_cbranch_scc0 .LBB216_511
; %bb.507:
	global_load_dwordx2 v[5:6], v[3:4], off
	s_movk_i32 s0, 0x1ff
	s_movk_i32 s1, 0xffe
	v_mov_b32_e32 v1, 0x7c00
	v_mov_b32_e32 v7, 0x7e00
	s_movk_i32 s49, 0x40f
	s_mov_b32 s50, 0x8000
	s_waitcnt vmcnt(0)
	v_and_or_b32 v5, v6, s0, v5
	v_cmp_ne_u32_e32 vcc, 0, v5
	v_lshrrev_b32_e32 v9, 8, v6
	v_bfe_u32 v10, v6, 20, 11
	v_cndmask_b32_e64 v5, 0, 1, vcc
	v_sub_u32_e32 v11, 0x3f1, v10
	v_and_or_b32 v5, v9, s1, v5
	v_add_u32_e32 v10, 0xfffffc10, v10
	v_med3_i32 v9, v11, 0, 13
	v_or_b32_e32 v11, 0x1000, v5
	v_cmp_ne_u32_e32 vcc, 0, v5
	v_lshl_or_b32 v12, v10, 12, v5
	v_cndmask_b32_e32 v5, v1, v7, vcc
	v_lshrrev_b32_e32 v7, v9, v11
	v_lshlrev_b32_e32 v9, v9, v7
	v_cmp_ne_u32_e32 vcc, v9, v11
	v_cndmask_b32_e64 v9, 0, 1, vcc
	v_or_b32_e32 v7, v7, v9
	v_cmp_gt_i32_e32 vcc, 1, v10
	v_cndmask_b32_e32 v7, v12, v7, vcc
	v_and_b32_e32 v9, 7, v7
	v_cmp_lt_i32_e32 vcc, 5, v9
	v_cndmask_b32_e64 v11, 0, 1, vcc
	v_cmp_eq_u32_e32 vcc, 3, v9
	v_cndmask_b32_e64 v9, 0, 1, vcc
	v_lshrrev_b32_e32 v7, 2, v7
	v_or_b32_e32 v9, v9, v11
	v_add_u32_e32 v7, v7, v9
	v_cmp_gt_i32_e32 vcc, 31, v10
	v_cndmask_b32_e32 v1, v1, v7, vcc
	v_cmp_eq_u32_e32 vcc, s49, v10
	v_lshrrev_b32_e32 v6, 16, v6
	v_cndmask_b32_e32 v1, v1, v5, vcc
	v_and_or_b32 v5, v6, s50, v1
	s_mov_b64 s[0:1], 0
	s_branch .LBB216_512
.LBB216_508:
	s_mov_b64 s[0:1], -1
                                        ; implicit-def: $vgpr5
	s_branch .LBB216_530
.LBB216_509:
	s_mov_b64 s[0:1], -1
                                        ; implicit-def: $vgpr5
	s_branch .LBB216_518
.LBB216_510:
	s_mov_b64 s[0:1], -1
                                        ; implicit-def: $vgpr5
	s_branch .LBB216_515
.LBB216_511:
	s_mov_b64 s[0:1], -1
                                        ; implicit-def: $vgpr5
.LBB216_512:
	s_andn2_b64 vcc, exec, s[0:1]
	s_cbranch_vccnz .LBB216_514
; %bb.513:
	global_load_dword v1, v[3:4], off
	s_waitcnt vmcnt(0)
	v_cvt_f16_f32_e32 v5, v1
.LBB216_514:
	s_mov_b64 s[0:1], 0
.LBB216_515:
	s_andn2_b64 vcc, exec, s[0:1]
	s_cbranch_vccnz .LBB216_517
; %bb.516:
	global_load_dword v5, v[3:4], off
.LBB216_517:
	s_mov_b64 s[0:1], 0
.LBB216_518:
	s_andn2_b64 vcc, exec, s[0:1]
	s_cbranch_vccnz .LBB216_529
; %bb.519:
	s_cmp_lt_i32 s48, 6
	s_cbranch_scc1 .LBB216_522
; %bb.520:
	s_cmp_gt_i32 s48, 6
	s_cbranch_scc0 .LBB216_523
; %bb.521:
	global_load_dwordx2 v[5:6], v[3:4], off
	s_movk_i32 s0, 0x1ff
	s_movk_i32 s1, 0xffe
	v_mov_b32_e32 v1, 0x7c00
	v_mov_b32_e32 v7, 0x7e00
	s_movk_i32 s49, 0x40f
	s_mov_b32 s50, 0x8000
	s_waitcnt vmcnt(0)
	v_and_or_b32 v5, v6, s0, v5
	v_cmp_ne_u32_e32 vcc, 0, v5
	v_lshrrev_b32_e32 v9, 8, v6
	v_bfe_u32 v10, v6, 20, 11
	v_cndmask_b32_e64 v5, 0, 1, vcc
	v_sub_u32_e32 v11, 0x3f1, v10
	v_and_or_b32 v5, v9, s1, v5
	v_add_u32_e32 v10, 0xfffffc10, v10
	v_med3_i32 v9, v11, 0, 13
	v_or_b32_e32 v11, 0x1000, v5
	v_cmp_ne_u32_e32 vcc, 0, v5
	v_lshl_or_b32 v12, v10, 12, v5
	v_cndmask_b32_e32 v5, v1, v7, vcc
	v_lshrrev_b32_e32 v7, v9, v11
	v_lshlrev_b32_e32 v9, v9, v7
	v_cmp_ne_u32_e32 vcc, v9, v11
	v_cndmask_b32_e64 v9, 0, 1, vcc
	v_or_b32_e32 v7, v7, v9
	v_cmp_gt_i32_e32 vcc, 1, v10
	v_cndmask_b32_e32 v7, v12, v7, vcc
	v_and_b32_e32 v9, 7, v7
	v_cmp_lt_i32_e32 vcc, 5, v9
	v_cndmask_b32_e64 v11, 0, 1, vcc
	v_cmp_eq_u32_e32 vcc, 3, v9
	v_cndmask_b32_e64 v9, 0, 1, vcc
	v_lshrrev_b32_e32 v7, 2, v7
	v_or_b32_e32 v9, v9, v11
	v_add_u32_e32 v7, v7, v9
	v_cmp_gt_i32_e32 vcc, 31, v10
	v_cndmask_b32_e32 v1, v1, v7, vcc
	v_cmp_eq_u32_e32 vcc, s49, v10
	v_lshrrev_b32_e32 v6, 16, v6
	v_cndmask_b32_e32 v1, v1, v5, vcc
	v_and_or_b32 v5, v6, s50, v1
	s_mov_b64 s[0:1], 0
	s_branch .LBB216_524
.LBB216_522:
	s_mov_b64 s[0:1], -1
                                        ; implicit-def: $vgpr5
	s_branch .LBB216_527
.LBB216_523:
	s_mov_b64 s[0:1], -1
                                        ; implicit-def: $vgpr5
.LBB216_524:
	s_andn2_b64 vcc, exec, s[0:1]
	s_cbranch_vccnz .LBB216_526
; %bb.525:
	global_load_dword v1, v[3:4], off
	s_waitcnt vmcnt(0)
	v_cvt_f16_f32_e32 v5, v1
.LBB216_526:
	s_mov_b64 s[0:1], 0
.LBB216_527:
	s_andn2_b64 vcc, exec, s[0:1]
	s_cbranch_vccnz .LBB216_529
; %bb.528:
	global_load_ushort v5, v[3:4], off
.LBB216_529:
	s_mov_b64 s[0:1], 0
.LBB216_530:
	s_andn2_b64 vcc, exec, s[0:1]
	s_cbranch_vccnz .LBB216_550
; %bb.531:
	s_cmp_lt_i32 s48, 2
	s_cbranch_scc1 .LBB216_535
; %bb.532:
	s_cmp_lt_i32 s48, 3
	s_cbranch_scc1 .LBB216_536
; %bb.533:
	s_cmp_gt_i32 s48, 3
	s_cbranch_scc0 .LBB216_537
; %bb.534:
	global_load_dwordx2 v[5:6], v[3:4], off
	s_mov_b64 s[0:1], 0
	s_waitcnt vmcnt(0)
	v_xor_b32_e32 v7, v5, v6
	v_ffbh_i32_e32 v1, v6
	v_ashrrev_i32_e32 v7, 31, v7
	v_add_u32_e32 v1, -1, v1
	v_add_u32_e32 v7, 32, v7
	v_min_u32_e32 v1, v1, v7
	v_lshlrev_b64 v[5:6], v1, v[5:6]
	v_sub_u32_e32 v1, 32, v1
	v_min_u32_e32 v5, 1, v5
	v_or_b32_e32 v5, v6, v5
	v_cvt_f32_i32_e32 v5, v5
	v_ldexp_f32 v1, v5, v1
	v_cvt_f16_f32_e32 v5, v1
	s_branch .LBB216_538
.LBB216_535:
	s_mov_b64 s[0:1], -1
                                        ; implicit-def: $vgpr5
	s_branch .LBB216_544
.LBB216_536:
	s_mov_b64 s[0:1], -1
                                        ; implicit-def: $vgpr5
	s_branch .LBB216_541
.LBB216_537:
	s_mov_b64 s[0:1], -1
                                        ; implicit-def: $vgpr5
.LBB216_538:
	s_andn2_b64 vcc, exec, s[0:1]
	s_cbranch_vccnz .LBB216_540
; %bb.539:
	global_load_dword v1, v[3:4], off
	s_waitcnt vmcnt(0)
	v_cvt_f32_i32_e32 v1, v1
	v_cvt_f16_f32_e32 v5, v1
.LBB216_540:
	s_mov_b64 s[0:1], 0
.LBB216_541:
	s_andn2_b64 vcc, exec, s[0:1]
	s_cbranch_vccnz .LBB216_543
; %bb.542:
	global_load_ushort v1, v[3:4], off
	s_waitcnt vmcnt(0)
	v_cvt_f16_i16_e32 v5, v1
.LBB216_543:
	s_mov_b64 s[0:1], 0
.LBB216_544:
	s_andn2_b64 vcc, exec, s[0:1]
	s_cbranch_vccnz .LBB216_550
; %bb.545:
	s_cmp_gt_i32 s48, 0
	s_cbranch_scc0 .LBB216_547
; %bb.546:
	global_load_sbyte v1, v[3:4], off
	s_mov_b64 s[0:1], 0
	s_waitcnt vmcnt(0)
	v_cvt_f16_i16_e32 v5, v1
	s_branch .LBB216_548
.LBB216_547:
	s_mov_b64 s[0:1], -1
                                        ; implicit-def: $vgpr5
.LBB216_548:
	s_andn2_b64 vcc, exec, s[0:1]
	s_cbranch_vccnz .LBB216_550
; %bb.549:
	global_load_ubyte v1, v[3:4], off
	s_waitcnt vmcnt(0)
	v_cvt_f16_u16_e32 v5, v1
.LBB216_550:
	s_branch .LBB216_419
.LBB216_551:
	s_mov_b64 s[54:55], 0
	s_mov_b64 s[0:1], s[38:39]
	;; [unrolled: 1-line block ×3, first 2 shown]
.LBB216_552:
                                        ; implicit-def: $vgpr8
	s_branch .LBB216_794
.LBB216_553:
	s_andn2_saveexec_b64 s[50:51], s[50:51]
	s_cbranch_execz .LBB216_204
.LBB216_554:
	s_mov_b32 s54, 0x42800000
	v_add_f32_e64 v4, |v3|, s54
	v_and_b32_e32 v4, 0xff, v4
	v_cmp_ne_u32_e32 vcc, 0, v4
	s_andn2_b64 s[46:47], s[46:47], exec
	s_and_b64 s[54:55], vcc, exec
	s_or_b64 s[46:47], s[46:47], s[54:55]
	s_or_b64 exec, exec, s[50:51]
	v_mov_b32_e32 v5, 0
	s_and_saveexec_b64 s[50:51], s[46:47]
	s_cbranch_execnz .LBB216_205
	s_branch .LBB216_206
.LBB216_555:
	s_mov_b64 s[48:49], -1
                                        ; implicit-def: $vgpr3
	s_mov_b64 s[0:1], 0
.LBB216_556:
	s_and_b64 vcc, exec, s[50:51]
	s_cbranch_vccz .LBB216_560
; %bb.557:
	s_cmp_eq_u32 s57, 44
	s_cbranch_scc0 .LBB216_559
; %bb.558:
	global_load_ubyte v3, v[1:2], off
	s_movk_i32 s48, 0xff
	v_mov_b32_e32 v6, 0x7e00
	s_mov_b64 s[0:1], -1
	s_waitcnt vmcnt(0)
	v_lshlrev_b32_e32 v4, 23, v3
	v_cvt_f16_f32_e32 v4, v4
	v_cmp_ne_u32_e32 vcc, s48, v3
	s_mov_b64 s[48:49], 0
	v_cndmask_b32_e32 v4, v6, v4, vcc
	v_cmp_ne_u32_e32 vcc, 0, v3
	v_cndmask_b32_e32 v3, 0, v4, vcc
	s_branch .LBB216_560
.LBB216_559:
	s_mov_b64 s[48:49], -1
                                        ; implicit-def: $vgpr3
.LBB216_560:
	s_mov_b64 s[50:51], 0
.LBB216_561:
	s_and_b64 vcc, exec, s[50:51]
	s_cbranch_vccz .LBB216_565
; %bb.562:
	s_cmp_eq_u32 s57, 29
	s_cbranch_scc0 .LBB216_564
; %bb.563:
	global_load_dwordx2 v[3:4], v[1:2], off
	s_mov_b64 s[0:1], -1
	s_mov_b64 s[48:49], 0
	s_mov_b64 s[50:51], 0
	s_waitcnt vmcnt(0)
	v_ffbh_u32_e32 v6, v4
	v_min_u32_e32 v6, 32, v6
	v_lshlrev_b64 v[3:4], v6, v[3:4]
	v_min_u32_e32 v3, 1, v3
	v_or_b32_e32 v3, v4, v3
	v_cvt_f32_u32_e32 v3, v3
	v_sub_u32_e32 v4, 32, v6
	v_ldexp_f32 v3, v3, v4
	v_cvt_f16_f32_e32 v3, v3
	s_branch .LBB216_566
.LBB216_564:
	s_mov_b64 s[48:49], -1
                                        ; implicit-def: $vgpr3
.LBB216_565:
	s_mov_b64 s[50:51], 0
.LBB216_566:
	s_and_b64 vcc, exec, s[50:51]
	s_cbranch_vccz .LBB216_584
; %bb.567:
	s_cmp_lt_i32 s57, 27
	s_cbranch_scc1 .LBB216_570
; %bb.568:
	s_cmp_gt_i32 s57, 27
	s_cbranch_scc0 .LBB216_571
; %bb.569:
	global_load_dword v3, v[1:2], off
	s_mov_b64 s[0:1], 0
	s_waitcnt vmcnt(0)
	v_cvt_f32_u32_e32 v3, v3
	v_cvt_f16_f32_e32 v3, v3
	s_branch .LBB216_572
.LBB216_570:
	s_mov_b64 s[0:1], -1
                                        ; implicit-def: $vgpr3
	s_branch .LBB216_575
.LBB216_571:
	s_mov_b64 s[0:1], -1
                                        ; implicit-def: $vgpr3
.LBB216_572:
	s_andn2_b64 vcc, exec, s[0:1]
	s_cbranch_vccnz .LBB216_574
; %bb.573:
	global_load_ushort v3, v[1:2], off
	s_waitcnt vmcnt(0)
	v_cvt_f16_u16_e32 v3, v3
.LBB216_574:
	s_mov_b64 s[0:1], 0
.LBB216_575:
	s_andn2_b64 vcc, exec, s[0:1]
	s_cbranch_vccnz .LBB216_583
; %bb.576:
	global_load_ubyte v4, v[1:2], off
	s_movk_i32 s0, 0x7f
	s_waitcnt vmcnt(0)
	v_cmp_lt_i16_e32 vcc, s0, v4
	s_mov_b64 s[0:1], 0
	s_and_saveexec_b64 s[50:51], vcc
	s_xor_b64 s[50:51], exec, s[50:51]
	s_cbranch_execz .LBB216_597
; %bb.577:
	s_movk_i32 s0, 0x80
	v_cmp_eq_u16_e32 vcc, s0, v4
	s_mov_b64 s[0:1], -1
	s_and_saveexec_b64 s[54:55], vcc
; %bb.578:
	s_xor_b64 s[0:1], exec, -1
; %bb.579:
	s_or_b64 exec, exec, s[54:55]
	s_and_b64 s[0:1], s[0:1], exec
	s_or_saveexec_b64 s[50:51], s[50:51]
	v_mov_b32_e32 v3, 0x7e00
	s_xor_b64 exec, exec, s[50:51]
	s_cbranch_execnz .LBB216_598
.LBB216_580:
	s_or_b64 exec, exec, s[50:51]
	s_and_saveexec_b64 s[50:51], s[0:1]
	s_cbranch_execz .LBB216_582
.LBB216_581:
	v_lshlrev_b32_e32 v3, 24, v4
	v_and_b32_e32 v4, 0xffff, v4
	v_and_b32_e32 v6, 7, v4
	v_ffbh_u32_e32 v9, v6
	v_min_u32_e32 v9, 32, v9
	v_subrev_u32_e32 v10, 28, v9
	v_bfe_u32 v7, v4, 3, 4
	v_lshlrev_b32_e32 v4, v10, v4
	v_sub_u32_e32 v9, 29, v9
	v_and_b32_e32 v4, 7, v4
	v_cmp_eq_u32_e32 vcc, 0, v7
	v_cndmask_b32_e32 v7, v7, v9, vcc
	v_cndmask_b32_e32 v4, v6, v4, vcc
	v_mov_b32_e32 v6, 0x3b800000
	v_lshlrev_b32_e32 v4, 20, v4
	v_and_b32_e32 v3, 0x80000000, v3
	v_lshl_add_u32 v6, v7, 23, v6
	v_or3_b32 v3, v3, v6, v4
	v_cvt_f16_f32_e32 v3, v3
.LBB216_582:
	s_or_b64 exec, exec, s[50:51]
.LBB216_583:
	s_mov_b64 s[0:1], -1
.LBB216_584:
	s_mov_b64 s[50:51], 0
.LBB216_585:
	s_and_b64 vcc, exec, s[50:51]
	s_cbranch_vccz .LBB216_620
; %bb.586:
	s_cmp_gt_i32 s57, 22
	s_cbranch_scc0 .LBB216_596
; %bb.587:
	s_cmp_lt_i32 s57, 24
	s_cbranch_scc1 .LBB216_599
; %bb.588:
	s_cmp_gt_i32 s57, 24
	s_cbranch_scc0 .LBB216_600
; %bb.589:
	global_load_ubyte v4, v[1:2], off
	s_movk_i32 s0, 0x7f
	s_waitcnt vmcnt(0)
	v_cmp_lt_i16_e32 vcc, s0, v4
	s_mov_b64 s[0:1], 0
	s_and_saveexec_b64 s[50:51], vcc
	s_xor_b64 s[50:51], exec, s[50:51]
	s_cbranch_execz .LBB216_612
; %bb.590:
	s_movk_i32 s0, 0x80
	v_cmp_eq_u16_e32 vcc, s0, v4
	s_mov_b64 s[0:1], -1
	s_and_saveexec_b64 s[54:55], vcc
; %bb.591:
	s_xor_b64 s[0:1], exec, -1
; %bb.592:
	s_or_b64 exec, exec, s[54:55]
	s_and_b64 s[0:1], s[0:1], exec
	s_or_saveexec_b64 s[50:51], s[50:51]
	v_mov_b32_e32 v3, 0x7e00
	s_xor_b64 exec, exec, s[50:51]
	s_cbranch_execnz .LBB216_613
.LBB216_593:
	s_or_b64 exec, exec, s[50:51]
	s_and_saveexec_b64 s[50:51], s[0:1]
	s_cbranch_execz .LBB216_595
.LBB216_594:
	v_lshlrev_b32_e32 v3, 24, v4
	v_and_b32_e32 v4, 0xffff, v4
	v_and_b32_e32 v6, 3, v4
	v_ffbh_u32_e32 v9, v6
	v_min_u32_e32 v9, 32, v9
	v_subrev_u32_e32 v10, 29, v9
	v_bfe_u32 v7, v4, 2, 5
	v_lshlrev_b32_e32 v4, v10, v4
	v_sub_u32_e32 v9, 30, v9
	v_and_b32_e32 v4, 3, v4
	v_cmp_eq_u32_e32 vcc, 0, v7
	v_cndmask_b32_e32 v7, v7, v9, vcc
	v_cndmask_b32_e32 v4, v6, v4, vcc
	v_mov_b32_e32 v6, 0x37800000
	v_lshlrev_b32_e32 v4, 21, v4
	v_and_b32_e32 v3, 0x80000000, v3
	v_lshl_add_u32 v6, v7, 23, v6
	v_or3_b32 v3, v3, v6, v4
	v_cvt_f16_f32_e32 v3, v3
.LBB216_595:
	s_or_b64 exec, exec, s[50:51]
	s_mov_b64 s[0:1], 0
	s_branch .LBB216_601
.LBB216_596:
	s_mov_b64 s[50:51], -1
                                        ; implicit-def: $vgpr3
	s_branch .LBB216_607
.LBB216_597:
	s_or_saveexec_b64 s[50:51], s[50:51]
	v_mov_b32_e32 v3, 0x7e00
	s_xor_b64 exec, exec, s[50:51]
	s_cbranch_execz .LBB216_580
.LBB216_598:
	v_cmp_ne_u16_e32 vcc, 0, v4
	s_andn2_b64 s[0:1], s[0:1], exec
	s_and_b64 s[54:55], vcc, exec
	s_or_b64 s[0:1], s[0:1], s[54:55]
	v_mov_b32_e32 v3, v4
	s_or_b64 exec, exec, s[50:51]
	s_and_saveexec_b64 s[50:51], s[0:1]
	s_cbranch_execnz .LBB216_581
	s_branch .LBB216_582
.LBB216_599:
	s_mov_b64 s[0:1], -1
                                        ; implicit-def: $vgpr3
	s_branch .LBB216_604
.LBB216_600:
	s_mov_b64 s[0:1], -1
                                        ; implicit-def: $vgpr3
.LBB216_601:
	s_and_b64 vcc, exec, s[0:1]
	s_cbranch_vccz .LBB216_603
; %bb.602:
	global_load_ubyte v3, v[1:2], off
	s_mov_b32 s0, 0x7f800000
	s_waitcnt vmcnt(0)
	v_lshlrev_b32_e32 v3, 24, v3
	v_and_b32_e32 v4, 0x7f000000, v3
	v_ffbh_u32_e32 v6, v4
	v_min_u32_e32 v6, 32, v6
	v_sub_u32_e64 v6, v6, 4 clamp
	v_lshlrev_b32_e32 v9, v6, v4
	v_lshlrev_b32_e32 v6, 23, v6
	v_lshrrev_b32_e32 v9, 4, v9
	v_add_u32_e32 v7, 0x1000000, v4
	v_sub_u32_e32 v6, v9, v6
	v_ashrrev_i32_e32 v7, 8, v7
	v_add_u32_e32 v6, 0x3c000000, v6
	v_and_or_b32 v6, v7, s0, v6
	v_cmp_ne_u32_e32 vcc, 0, v4
	v_cndmask_b32_e32 v4, 0, v6, vcc
	s_brev_b32 s0, 1
	v_and_or_b32 v3, v3, s0, v4
	v_cvt_f16_f32_e32 v3, v3
.LBB216_603:
	s_mov_b64 s[0:1], 0
.LBB216_604:
	s_andn2_b64 vcc, exec, s[0:1]
	s_cbranch_vccnz .LBB216_606
; %bb.605:
	global_load_ubyte v3, v[1:2], off
	s_movk_i32 s0, 0x7f00
	s_brev_b32 s1, 16
	s_waitcnt vmcnt(0)
	v_lshlrev_b16_e32 v4, 8, v3
	v_lshlrev_b32_e32 v3, 25, v3
	v_lshrrev_b32_e32 v6, 4, v3
	v_and_or_b32 v7, v4, s0, 0.5
	v_or_b32_e32 v6, 0x70000000, v6
	v_add_f32_e32 v7, -0.5, v7
	v_mul_f32_e32 v6, 0x7800000, v6
	v_cmp_gt_u32_e32 vcc, s1, v3
	v_bfe_i32 v4, v4, 0, 16
	v_cndmask_b32_e32 v3, v6, v7, vcc
	s_brev_b32 s0, 1
	v_and_or_b32 v3, v4, s0, v3
	v_cvt_f16_f32_e32 v3, v3
.LBB216_606:
	s_mov_b64 s[50:51], 0
	s_mov_b64 s[0:1], -1
.LBB216_607:
	s_andn2_b64 vcc, exec, s[50:51]
	s_cbranch_vccnz .LBB216_620
; %bb.608:
	s_cmp_gt_i32 s57, 14
	s_cbranch_scc0 .LBB216_611
; %bb.609:
	s_cmp_eq_u32 s57, 15
	s_cbranch_scc0 .LBB216_614
; %bb.610:
	global_load_ushort v3, v[1:2], off
	s_mov_b64 s[0:1], -1
	s_mov_b64 s[48:49], 0
	s_waitcnt vmcnt(0)
	v_lshlrev_b32_e32 v3, 16, v3
	v_cvt_f16_f32_e32 v3, v3
	s_branch .LBB216_615
.LBB216_611:
	s_mov_b64 s[50:51], -1
                                        ; implicit-def: $vgpr3
	s_branch .LBB216_616
.LBB216_612:
	s_or_saveexec_b64 s[50:51], s[50:51]
	v_mov_b32_e32 v3, 0x7e00
	s_xor_b64 exec, exec, s[50:51]
	s_cbranch_execz .LBB216_593
.LBB216_613:
	v_cmp_ne_u16_e32 vcc, 0, v4
	s_andn2_b64 s[0:1], s[0:1], exec
	s_and_b64 s[54:55], vcc, exec
	s_or_b64 s[0:1], s[0:1], s[54:55]
	v_mov_b32_e32 v3, v4
	s_or_b64 exec, exec, s[50:51]
	s_and_saveexec_b64 s[50:51], s[0:1]
	s_cbranch_execnz .LBB216_594
	s_branch .LBB216_595
.LBB216_614:
	s_mov_b64 s[48:49], -1
                                        ; implicit-def: $vgpr3
.LBB216_615:
	s_mov_b64 s[50:51], 0
.LBB216_616:
	s_and_b64 vcc, exec, s[50:51]
	s_cbranch_vccz .LBB216_620
; %bb.617:
	s_cmp_eq_u32 s57, 11
	s_cbranch_scc0 .LBB216_619
; %bb.618:
	global_load_ubyte v3, v[1:2], off
	v_mov_b32_e32 v4, 0x3c00
	s_mov_b64 s[0:1], -1
	s_mov_b64 s[48:49], 0
	s_waitcnt vmcnt(0)
	v_cmp_ne_u16_e32 vcc, 0, v3
	v_cndmask_b32_e32 v3, 0, v4, vcc
	s_branch .LBB216_620
.LBB216_619:
	s_mov_b64 s[48:49], -1
                                        ; implicit-def: $vgpr3
.LBB216_620:
	s_mov_b64 s[50:51], 0
.LBB216_621:
	s_and_b64 vcc, exec, s[50:51]
	s_cbranch_vccz .LBB216_670
; %bb.622:
	s_and_b32 s50, 0xffff, s56
	s_cmp_lt_i32 s50, 5
	s_cbranch_scc1 .LBB216_627
; %bb.623:
	s_cmp_lt_i32 s50, 8
	s_cbranch_scc1 .LBB216_628
; %bb.624:
	;; [unrolled: 3-line block ×3, first 2 shown]
	s_cmp_gt_i32 s50, 9
	s_cbranch_scc0 .LBB216_630
; %bb.626:
	global_load_dwordx2 v[3:4], v[1:2], off
	s_movk_i32 s0, 0x1ff
	s_movk_i32 s1, 0xffe
	v_mov_b32_e32 v6, 0x7c00
	v_mov_b32_e32 v7, 0x7e00
	s_movk_i32 s51, 0x40f
	s_mov_b32 s54, 0x8000
	s_waitcnt vmcnt(0)
	v_and_or_b32 v3, v4, s0, v3
	v_cmp_ne_u32_e32 vcc, 0, v3
	v_lshrrev_b32_e32 v9, 8, v4
	v_bfe_u32 v10, v4, 20, 11
	v_cndmask_b32_e64 v3, 0, 1, vcc
	v_sub_u32_e32 v11, 0x3f1, v10
	v_and_or_b32 v3, v9, s1, v3
	v_add_u32_e32 v10, 0xfffffc10, v10
	v_med3_i32 v9, v11, 0, 13
	v_or_b32_e32 v11, 0x1000, v3
	v_cmp_ne_u32_e32 vcc, 0, v3
	v_lshl_or_b32 v12, v10, 12, v3
	v_cndmask_b32_e32 v3, v6, v7, vcc
	v_lshrrev_b32_e32 v7, v9, v11
	v_lshlrev_b32_e32 v9, v9, v7
	v_cmp_ne_u32_e32 vcc, v9, v11
	v_cndmask_b32_e64 v9, 0, 1, vcc
	v_or_b32_e32 v7, v7, v9
	v_cmp_gt_i32_e32 vcc, 1, v10
	v_cndmask_b32_e32 v7, v12, v7, vcc
	v_and_b32_e32 v9, 7, v7
	v_cmp_lt_i32_e32 vcc, 5, v9
	v_cndmask_b32_e64 v11, 0, 1, vcc
	v_cmp_eq_u32_e32 vcc, 3, v9
	v_cndmask_b32_e64 v9, 0, 1, vcc
	v_lshrrev_b32_e32 v7, 2, v7
	v_or_b32_e32 v9, v9, v11
	v_add_u32_e32 v7, v7, v9
	v_cmp_gt_i32_e32 vcc, 31, v10
	v_cndmask_b32_e32 v6, v6, v7, vcc
	v_cmp_eq_u32_e32 vcc, s51, v10
	v_lshrrev_b32_e32 v4, 16, v4
	v_cndmask_b32_e32 v3, v6, v3, vcc
	v_and_or_b32 v3, v4, s54, v3
	s_mov_b64 s[0:1], 0
	s_branch .LBB216_631
.LBB216_627:
	s_mov_b64 s[0:1], -1
                                        ; implicit-def: $vgpr3
	s_branch .LBB216_649
.LBB216_628:
	s_mov_b64 s[0:1], -1
                                        ; implicit-def: $vgpr3
	s_branch .LBB216_637
.LBB216_629:
	s_mov_b64 s[0:1], -1
                                        ; implicit-def: $vgpr3
	s_branch .LBB216_634
.LBB216_630:
	s_mov_b64 s[0:1], -1
                                        ; implicit-def: $vgpr3
.LBB216_631:
	s_andn2_b64 vcc, exec, s[0:1]
	s_cbranch_vccnz .LBB216_633
; %bb.632:
	global_load_dword v3, v[1:2], off
	s_waitcnt vmcnt(0)
	v_cvt_f16_f32_e32 v3, v3
.LBB216_633:
	s_mov_b64 s[0:1], 0
.LBB216_634:
	s_andn2_b64 vcc, exec, s[0:1]
	s_cbranch_vccnz .LBB216_636
; %bb.635:
	global_load_dword v3, v[1:2], off
.LBB216_636:
	s_mov_b64 s[0:1], 0
.LBB216_637:
	s_andn2_b64 vcc, exec, s[0:1]
	s_cbranch_vccnz .LBB216_648
; %bb.638:
	s_cmp_lt_i32 s50, 6
	s_cbranch_scc1 .LBB216_641
; %bb.639:
	s_cmp_gt_i32 s50, 6
	s_cbranch_scc0 .LBB216_642
; %bb.640:
	global_load_dwordx2 v[3:4], v[1:2], off
	s_movk_i32 s0, 0x1ff
	s_movk_i32 s1, 0xffe
	v_mov_b32_e32 v6, 0x7c00
	v_mov_b32_e32 v7, 0x7e00
	s_movk_i32 s51, 0x40f
	s_mov_b32 s54, 0x8000
	s_waitcnt vmcnt(0)
	v_and_or_b32 v3, v4, s0, v3
	v_cmp_ne_u32_e32 vcc, 0, v3
	v_lshrrev_b32_e32 v9, 8, v4
	v_bfe_u32 v10, v4, 20, 11
	v_cndmask_b32_e64 v3, 0, 1, vcc
	v_sub_u32_e32 v11, 0x3f1, v10
	v_and_or_b32 v3, v9, s1, v3
	v_add_u32_e32 v10, 0xfffffc10, v10
	v_med3_i32 v9, v11, 0, 13
	v_or_b32_e32 v11, 0x1000, v3
	v_cmp_ne_u32_e32 vcc, 0, v3
	v_lshl_or_b32 v12, v10, 12, v3
	v_cndmask_b32_e32 v3, v6, v7, vcc
	v_lshrrev_b32_e32 v7, v9, v11
	v_lshlrev_b32_e32 v9, v9, v7
	v_cmp_ne_u32_e32 vcc, v9, v11
	v_cndmask_b32_e64 v9, 0, 1, vcc
	v_or_b32_e32 v7, v7, v9
	v_cmp_gt_i32_e32 vcc, 1, v10
	v_cndmask_b32_e32 v7, v12, v7, vcc
	v_and_b32_e32 v9, 7, v7
	v_cmp_lt_i32_e32 vcc, 5, v9
	v_cndmask_b32_e64 v11, 0, 1, vcc
	v_cmp_eq_u32_e32 vcc, 3, v9
	v_cndmask_b32_e64 v9, 0, 1, vcc
	v_lshrrev_b32_e32 v7, 2, v7
	v_or_b32_e32 v9, v9, v11
	v_add_u32_e32 v7, v7, v9
	v_cmp_gt_i32_e32 vcc, 31, v10
	v_cndmask_b32_e32 v6, v6, v7, vcc
	v_cmp_eq_u32_e32 vcc, s51, v10
	v_lshrrev_b32_e32 v4, 16, v4
	v_cndmask_b32_e32 v3, v6, v3, vcc
	v_and_or_b32 v3, v4, s54, v3
	s_mov_b64 s[0:1], 0
	s_branch .LBB216_643
.LBB216_641:
	s_mov_b64 s[0:1], -1
                                        ; implicit-def: $vgpr3
	s_branch .LBB216_646
.LBB216_642:
	s_mov_b64 s[0:1], -1
                                        ; implicit-def: $vgpr3
.LBB216_643:
	s_andn2_b64 vcc, exec, s[0:1]
	s_cbranch_vccnz .LBB216_645
; %bb.644:
	global_load_dword v3, v[1:2], off
	s_waitcnt vmcnt(0)
	v_cvt_f16_f32_e32 v3, v3
.LBB216_645:
	s_mov_b64 s[0:1], 0
.LBB216_646:
	s_andn2_b64 vcc, exec, s[0:1]
	s_cbranch_vccnz .LBB216_648
; %bb.647:
	global_load_ushort v3, v[1:2], off
.LBB216_648:
	s_mov_b64 s[0:1], 0
.LBB216_649:
	s_andn2_b64 vcc, exec, s[0:1]
	s_cbranch_vccnz .LBB216_669
; %bb.650:
	s_cmp_lt_i32 s50, 2
	s_cbranch_scc1 .LBB216_654
; %bb.651:
	s_cmp_lt_i32 s50, 3
	s_cbranch_scc1 .LBB216_655
; %bb.652:
	s_cmp_gt_i32 s50, 3
	s_cbranch_scc0 .LBB216_656
; %bb.653:
	global_load_dwordx2 v[3:4], v[1:2], off
	s_mov_b64 s[0:1], 0
	s_waitcnt vmcnt(0)
	v_xor_b32_e32 v7, v3, v4
	v_ffbh_i32_e32 v6, v4
	v_ashrrev_i32_e32 v7, 31, v7
	v_add_u32_e32 v6, -1, v6
	v_add_u32_e32 v7, 32, v7
	v_min_u32_e32 v6, v6, v7
	v_lshlrev_b64 v[3:4], v6, v[3:4]
	v_min_u32_e32 v3, 1, v3
	v_or_b32_e32 v3, v4, v3
	v_cvt_f32_i32_e32 v3, v3
	v_sub_u32_e32 v4, 32, v6
	v_ldexp_f32 v3, v3, v4
	v_cvt_f16_f32_e32 v3, v3
	s_branch .LBB216_657
.LBB216_654:
	s_mov_b64 s[0:1], -1
                                        ; implicit-def: $vgpr3
	s_branch .LBB216_663
.LBB216_655:
	s_mov_b64 s[0:1], -1
                                        ; implicit-def: $vgpr3
	s_branch .LBB216_660
.LBB216_656:
	s_mov_b64 s[0:1], -1
                                        ; implicit-def: $vgpr3
.LBB216_657:
	s_andn2_b64 vcc, exec, s[0:1]
	s_cbranch_vccnz .LBB216_659
; %bb.658:
	global_load_dword v3, v[1:2], off
	s_waitcnt vmcnt(0)
	v_cvt_f32_i32_e32 v3, v3
	v_cvt_f16_f32_e32 v3, v3
.LBB216_659:
	s_mov_b64 s[0:1], 0
.LBB216_660:
	s_andn2_b64 vcc, exec, s[0:1]
	s_cbranch_vccnz .LBB216_662
; %bb.661:
	global_load_ushort v3, v[1:2], off
	s_waitcnt vmcnt(0)
	v_cvt_f16_i16_e32 v3, v3
.LBB216_662:
	s_mov_b64 s[0:1], 0
.LBB216_663:
	s_andn2_b64 vcc, exec, s[0:1]
	s_cbranch_vccnz .LBB216_669
; %bb.664:
	s_cmp_gt_i32 s50, 0
	s_cbranch_scc0 .LBB216_666
; %bb.665:
	global_load_sbyte v3, v[1:2], off
	s_mov_b64 s[0:1], 0
	s_waitcnt vmcnt(0)
	v_cvt_f16_i16_e32 v3, v3
	s_branch .LBB216_667
.LBB216_666:
	s_mov_b64 s[0:1], -1
                                        ; implicit-def: $vgpr3
.LBB216_667:
	s_andn2_b64 vcc, exec, s[0:1]
	s_cbranch_vccnz .LBB216_669
; %bb.668:
	global_load_ubyte v1, v[1:2], off
	s_waitcnt vmcnt(0)
	v_cvt_f16_u16_e32 v3, v1
.LBB216_669:
	s_mov_b64 s[0:1], -1
.LBB216_670:
	s_andn2_b64 vcc, exec, s[0:1]
	s_cbranch_vccnz .LBB216_678
; %bb.671:
	v_mov_b32_e32 v1, s71
	s_waitcnt vmcnt(0)
	v_cmp_ge_f16_e32 vcc, s14, v5
	v_cndmask_b32_e32 v2, v3, v1, vcc
	v_mov_b32_e32 v1, s9
	s_and_b32 s58, s15, 0xff
	v_add_co_u32_e32 v0, vcc, s8, v0
	s_cmp_lt_i32 s58, 11
	v_addc_co_u32_e32 v1, vcc, 0, v1, vcc
	s_cbranch_scc1 .LBB216_679
; %bb.672:
	s_and_b32 s59, 0xffff, s58
	s_cmp_gt_i32 s59, 25
	s_cbranch_scc0 .LBB216_680
; %bb.673:
	s_cmp_gt_i32 s59, 28
	s_cbranch_scc0 .LBB216_681
; %bb.674:
	;; [unrolled: 3-line block ×4, first 2 shown]
	s_mov_b64 s[54:55], 0
	s_mov_b64 s[0:1], -1
	s_cmp_eq_u32 s59, 46
	s_mov_b64 s[50:51], 0
	s_cbranch_scc0 .LBB216_684
; %bb.677:
	v_cvt_f32_f16_e32 v3, v2
	s_movk_i32 s0, 0x7fff
	v_cmp_o_f16_e32 vcc, v2, v2
	v_mov_b32_e32 v4, 0x7fc0
	v_bfe_u32 v5, v3, 16, 1
	v_add3_u32 v3, v3, v5, s0
	v_cndmask_b32_sdwa v3, v4, v3, vcc dst_sel:DWORD dst_unused:UNUSED_PAD src0_sel:DWORD src1_sel:WORD_1
	global_store_dword v[0:1], v3, off
	s_mov_b64 s[50:51], -1
	s_mov_b64 s[0:1], 0
	s_branch .LBB216_684
.LBB216_678:
	s_mov_b64 s[54:55], 0
                                        ; implicit-def: $vgpr8
	s_mov_b64 s[0:1], s[38:39]
	s_branch .LBB216_794
.LBB216_679:
	s_mov_b64 s[54:55], -1
	s_mov_b64 s[50:51], 0
	s_mov_b64 s[0:1], s[38:39]
	s_branch .LBB216_753
.LBB216_680:
	s_mov_b64 s[54:55], -1
	s_mov_b64 s[50:51], 0
	s_mov_b64 s[0:1], s[38:39]
	s_branch .LBB216_711
.LBB216_681:
	s_mov_b64 s[54:55], -1
	s_mov_b64 s[50:51], 0
	s_mov_b64 s[0:1], s[38:39]
	s_branch .LBB216_694
.LBB216_682:
	s_mov_b64 s[54:55], -1
	s_mov_b64 s[50:51], 0
	s_mov_b64 s[0:1], s[38:39]
	s_branch .LBB216_690
.LBB216_683:
	s_mov_b64 s[54:55], -1
	s_mov_b64 s[50:51], 0
	s_mov_b64 s[0:1], s[38:39]
.LBB216_684:
	s_and_b64 vcc, exec, s[54:55]
	s_cbranch_vccz .LBB216_689
; %bb.685:
	s_cmp_eq_u32 s59, 44
	s_mov_b64 s[0:1], -1
	s_cbranch_scc0 .LBB216_689
; %bb.686:
	v_cvt_f32_f16_e32 v3, v2
	s_movk_i32 s0, 0xff
	v_mov_b32_e32 v5, 0xff
	v_bfe_u32 v4, v3, 23, 8
	v_cmp_ne_u32_e32 vcc, s0, v4
	s_and_saveexec_b64 s[50:51], vcc
; %bb.687:
	s_mov_b32 s0, 0x3fffff
	v_lshrrev_b32_e32 v5, 23, v3
	v_and_b32_e32 v6, 0x400000, v3
	v_and_or_b32 v3, v3, s0, v4
	v_cmp_ne_u32_e32 vcc, 0, v6
	v_cmp_ne_u32_e64 s[0:1], 0, v3
	s_and_b64 s[0:1], vcc, s[0:1]
	v_cndmask_b32_e64 v3, 0, 1, s[0:1]
	v_add_u32_e32 v5, v5, v3
; %bb.688:
	s_or_b64 exec, exec, s[50:51]
	s_mov_b64 s[50:51], -1
	s_mov_b64 s[0:1], 0
	global_store_byte v[0:1], v5, off
.LBB216_689:
	s_mov_b64 s[54:55], 0
.LBB216_690:
	s_and_b64 vcc, exec, s[54:55]
	s_cbranch_vccz .LBB216_693
; %bb.691:
	s_cmp_eq_u32 s59, 29
	s_mov_b64 s[0:1], -1
	s_cbranch_scc0 .LBB216_693
; %bb.692:
	v_cvt_f32_f16_e32 v3, v2
	v_mov_b32_e32 v4, 0
	s_mov_b64 s[50:51], -1
	s_mov_b64 s[0:1], 0
	v_cvt_u32_f32_e32 v3, v3
	s_mov_b64 s[54:55], 0
	global_store_dwordx2 v[0:1], v[3:4], off
	s_branch .LBB216_694
.LBB216_693:
	s_mov_b64 s[54:55], 0
.LBB216_694:
	s_and_b64 vcc, exec, s[54:55]
	s_cbranch_vccz .LBB216_710
; %bb.695:
	s_cmp_lt_i32 s59, 27
	s_mov_b64 s[50:51], -1
	s_cbranch_scc1 .LBB216_701
; %bb.696:
	s_cmp_gt_i32 s59, 27
	s_cbranch_scc0 .LBB216_698
; %bb.697:
	v_cvt_f32_f16_e32 v3, v2
	s_mov_b64 s[50:51], 0
	v_cvt_u32_f32_e32 v3, v3
	global_store_dword v[0:1], v3, off
.LBB216_698:
	s_andn2_b64 vcc, exec, s[50:51]
	s_cbranch_vccnz .LBB216_700
; %bb.699:
	v_cvt_u16_f16_e32 v3, v2
	global_store_short v[0:1], v3, off
.LBB216_700:
	s_mov_b64 s[50:51], 0
.LBB216_701:
	s_andn2_b64 vcc, exec, s[50:51]
	s_cbranch_vccnz .LBB216_709
; %bb.702:
	v_cvt_f32_f16_e32 v3, v2
	s_mov_b32 s50, 0x43800000
	v_mov_b32_e32 v5, 0x80
	v_and_b32_e32 v4, 0x7fffffff, v3
	v_cmp_gt_u32_e32 vcc, s50, v4
	s_and_saveexec_b64 s[50:51], vcc
	s_cbranch_execz .LBB216_708
; %bb.703:
	s_mov_b32 s54, 0x3bffffff
	v_cmp_lt_u32_e32 vcc, s54, v4
	s_mov_b64 s[54:55], 0
                                        ; implicit-def: $vgpr4
	s_and_saveexec_b64 s[56:57], vcc
	s_xor_b64 s[56:57], exec, s[56:57]
	s_cbranch_execz .LBB216_822
; %bb.704:
	v_bfe_u32 v4, v3, 20, 1
	s_mov_b32 s60, 0x487ffff
	v_add3_u32 v4, v3, v4, s60
	s_mov_b64 s[54:55], exec
	v_lshrrev_b32_e32 v4, 20, v4
	s_andn2_saveexec_b64 s[56:57], s[56:57]
	s_cbranch_execnz .LBB216_823
.LBB216_705:
	s_or_b64 exec, exec, s[56:57]
	v_mov_b32_e32 v5, 0
	s_and_saveexec_b64 s[56:57], s[54:55]
.LBB216_706:
	v_lshrrev_b32_e32 v3, 24, v3
	s_movk_i32 s54, 0x80
	v_and_or_b32 v5, v3, s54, v4
.LBB216_707:
	s_or_b64 exec, exec, s[56:57]
.LBB216_708:
	s_or_b64 exec, exec, s[50:51]
	global_store_byte v[0:1], v5, off
.LBB216_709:
	s_mov_b64 s[50:51], -1
.LBB216_710:
	s_mov_b64 s[54:55], 0
.LBB216_711:
	s_and_b64 vcc, exec, s[54:55]
	s_cbranch_vccz .LBB216_752
; %bb.712:
	s_cmp_gt_i32 s59, 22
	s_mov_b64 s[54:55], -1
	s_cbranch_scc0 .LBB216_744
; %bb.713:
	s_cmp_lt_i32 s59, 24
	s_mov_b64 s[50:51], -1
	s_cbranch_scc1 .LBB216_733
; %bb.714:
	s_cmp_gt_i32 s59, 24
	s_cbranch_scc0 .LBB216_722
; %bb.715:
	v_cvt_f32_f16_e32 v3, v2
	s_mov_b32 s50, 0x47800000
	v_mov_b32_e32 v5, 0x80
	v_and_b32_e32 v4, 0x7fffffff, v3
	v_cmp_gt_u32_e32 vcc, s50, v4
	s_and_saveexec_b64 s[50:51], vcc
	s_cbranch_execz .LBB216_721
; %bb.716:
	s_mov_b32 s54, 0x37ffffff
	v_cmp_lt_u32_e32 vcc, s54, v4
	s_mov_b64 s[54:55], 0
                                        ; implicit-def: $vgpr4
	s_and_saveexec_b64 s[56:57], vcc
	s_xor_b64 s[56:57], exec, s[56:57]
	s_cbranch_execz .LBB216_954
; %bb.717:
	v_bfe_u32 v4, v3, 21, 1
	s_mov_b32 s60, 0x88fffff
	v_add3_u32 v4, v3, v4, s60
	s_mov_b64 s[54:55], exec
	v_lshrrev_b32_e32 v4, 21, v4
	s_andn2_saveexec_b64 s[56:57], s[56:57]
	s_cbranch_execnz .LBB216_955
.LBB216_718:
	s_or_b64 exec, exec, s[56:57]
	v_mov_b32_e32 v5, 0
	s_and_saveexec_b64 s[56:57], s[54:55]
.LBB216_719:
	v_lshrrev_b32_e32 v3, 24, v3
	s_movk_i32 s54, 0x80
	v_and_or_b32 v5, v3, s54, v4
.LBB216_720:
	s_or_b64 exec, exec, s[56:57]
.LBB216_721:
	s_or_b64 exec, exec, s[50:51]
	s_mov_b64 s[50:51], 0
	global_store_byte v[0:1], v5, off
.LBB216_722:
	s_and_b64 vcc, exec, s[50:51]
	s_cbranch_vccz .LBB216_732
; %bb.723:
	v_cvt_f32_f16_e32 v3, v2
	s_mov_b32 s50, 0x43f00000
                                        ; implicit-def: $vgpr4
	v_and_b32_e32 v5, 0x7fffffff, v3
	v_cmp_gt_u32_e32 vcc, s50, v5
	s_and_saveexec_b64 s[50:51], vcc
	s_xor_b64 s[50:51], exec, s[50:51]
	s_cbranch_execz .LBB216_729
; %bb.724:
	s_mov_b32 s54, 0x3c7fffff
	v_cmp_lt_u32_e32 vcc, s54, v5
                                        ; implicit-def: $vgpr4
	s_and_saveexec_b64 s[54:55], vcc
	s_xor_b64 s[54:55], exec, s[54:55]
; %bb.725:
	v_bfe_u32 v4, v3, 20, 1
	s_mov_b32 s56, 0x407ffff
	v_add3_u32 v4, v3, v4, s56
	v_lshrrev_b32_e32 v5, 20, v4
	v_and_b32_e32 v4, 0xff00000, v4
	s_mov_b32 s56, 0x7f00000
	v_mov_b32_e32 v6, 0x7e
	v_cmp_ne_u32_e32 vcc, s56, v4
	v_cndmask_b32_e32 v4, v6, v5, vcc
; %bb.726:
	s_andn2_saveexec_b64 s[54:55], s[54:55]
; %bb.727:
	s_mov_b32 s56, 0x46800000
	v_add_f32_e64 v4, |v3|, s56
; %bb.728:
	s_or_b64 exec, exec, s[54:55]
                                        ; implicit-def: $vgpr5
.LBB216_729:
	s_andn2_saveexec_b64 s[50:51], s[50:51]
; %bb.730:
	s_mov_b32 s54, 0x7f800000
	v_mov_b32_e32 v4, 0x7e
	v_mov_b32_e32 v6, 0x7f
	v_cmp_lt_u32_e32 vcc, s54, v5
	v_cndmask_b32_e32 v4, v4, v6, vcc
; %bb.731:
	s_or_b64 exec, exec, s[50:51]
	v_lshrrev_b32_e32 v3, 24, v3
	s_movk_i32 s50, 0x80
	v_and_or_b32 v3, v3, s50, v4
	global_store_byte v[0:1], v3, off
.LBB216_732:
	s_mov_b64 s[50:51], 0
.LBB216_733:
	s_andn2_b64 vcc, exec, s[50:51]
	s_cbranch_vccnz .LBB216_743
; %bb.734:
	v_cvt_f32_f16_e32 v3, v2
	s_mov_b32 s50, 0x47800000
                                        ; implicit-def: $vgpr4
	v_and_b32_e32 v5, 0x7fffffff, v3
	v_cmp_gt_u32_e32 vcc, s50, v5
	s_and_saveexec_b64 s[50:51], vcc
	s_xor_b64 s[50:51], exec, s[50:51]
	s_cbranch_execz .LBB216_740
; %bb.735:
	s_mov_b32 s54, 0x387fffff
	v_cmp_lt_u32_e32 vcc, s54, v5
                                        ; implicit-def: $vgpr4
	s_and_saveexec_b64 s[54:55], vcc
	s_xor_b64 s[54:55], exec, s[54:55]
; %bb.736:
	v_bfe_u32 v4, v3, 21, 1
	s_mov_b32 s56, 0x80fffff
	v_add3_u32 v4, v3, v4, s56
	v_lshrrev_b32_e32 v4, 21, v4
; %bb.737:
	s_andn2_saveexec_b64 s[54:55], s[54:55]
; %bb.738:
	s_mov_b32 s56, 0x43000000
	v_add_f32_e64 v4, |v3|, s56
; %bb.739:
	s_or_b64 exec, exec, s[54:55]
                                        ; implicit-def: $vgpr5
.LBB216_740:
	s_andn2_saveexec_b64 s[50:51], s[50:51]
; %bb.741:
	s_mov_b32 s54, 0x7f800000
	v_mov_b32_e32 v4, 0x7c
	v_mov_b32_e32 v6, 0x7f
	v_cmp_lt_u32_e32 vcc, s54, v5
	v_cndmask_b32_e32 v4, v4, v6, vcc
; %bb.742:
	s_or_b64 exec, exec, s[50:51]
	v_lshrrev_b32_e32 v3, 24, v3
	s_movk_i32 s50, 0x80
	v_and_or_b32 v3, v3, s50, v4
	global_store_byte v[0:1], v3, off
.LBB216_743:
	s_mov_b64 s[54:55], 0
	s_mov_b64 s[50:51], -1
.LBB216_744:
	s_andn2_b64 vcc, exec, s[54:55]
	s_cbranch_vccnz .LBB216_752
; %bb.745:
	s_cmp_gt_i32 s59, 14
	s_mov_b64 s[54:55], -1
	s_cbranch_scc0 .LBB216_749
; %bb.746:
	s_cmp_eq_u32 s59, 15
	s_mov_b64 s[0:1], -1
	s_cbranch_scc0 .LBB216_748
; %bb.747:
	v_cvt_f32_f16_e32 v3, v2
	s_movk_i32 s0, 0x7fff
	v_cmp_o_f16_e32 vcc, v2, v2
	v_mov_b32_e32 v4, 0x7fc0
	v_bfe_u32 v5, v3, 16, 1
	v_add3_u32 v3, v3, v5, s0
	v_cndmask_b32_sdwa v3, v4, v3, vcc dst_sel:DWORD dst_unused:UNUSED_PAD src0_sel:DWORD src1_sel:WORD_1
	global_store_short v[0:1], v3, off
	s_mov_b64 s[50:51], -1
	s_mov_b64 s[0:1], 0
.LBB216_748:
	s_mov_b64 s[54:55], 0
.LBB216_749:
	s_and_b64 vcc, exec, s[54:55]
	s_cbranch_vccz .LBB216_752
; %bb.750:
	s_cmp_eq_u32 s59, 11
	s_mov_b64 s[0:1], -1
	s_cbranch_scc0 .LBB216_752
; %bb.751:
	v_and_b32_e32 v3, 0x7fff, v2
	v_cmp_ne_u16_e32 vcc, 0, v3
	v_cndmask_b32_e64 v3, 0, 1, vcc
	s_mov_b64 s[50:51], -1
	s_mov_b64 s[0:1], 0
	global_store_byte v[0:1], v3, off
.LBB216_752:
	s_mov_b64 s[54:55], 0
.LBB216_753:
	s_and_b64 vcc, exec, s[54:55]
	s_cbranch_vccz .LBB216_792
; %bb.754:
	s_and_b32 s54, 0xffff, s58
	s_cmp_lt_i32 s54, 5
	s_mov_b64 s[50:51], -1
	s_cbranch_scc1 .LBB216_775
; %bb.755:
	s_cmp_lt_i32 s54, 8
	s_cbranch_scc1 .LBB216_765
; %bb.756:
	s_cmp_lt_i32 s54, 9
	s_cbranch_scc1 .LBB216_762
; %bb.757:
	s_cmp_gt_i32 s54, 9
	s_cbranch_scc0 .LBB216_759
; %bb.758:
	v_cvt_f32_f16_e32 v3, v2
	v_mov_b32_e32 v5, 0
	v_mov_b32_e32 v6, v5
	s_mov_b64 s[50:51], 0
	v_cvt_f64_f32_e32 v[3:4], v3
	global_store_dwordx4 v[0:1], v[3:6], off
.LBB216_759:
	s_andn2_b64 vcc, exec, s[50:51]
	s_cbranch_vccnz .LBB216_761
; %bb.760:
	v_cvt_f32_f16_e32 v3, v2
	v_mov_b32_e32 v4, 0
	global_store_dwordx2 v[0:1], v[3:4], off
.LBB216_761:
	s_mov_b64 s[50:51], 0
.LBB216_762:
	s_andn2_b64 vcc, exec, s[50:51]
	s_cbranch_vccnz .LBB216_764
; %bb.763:
	v_and_b32_e32 v3, 0xffff, v2
	global_store_dword v[0:1], v3, off
.LBB216_764:
	s_mov_b64 s[50:51], 0
.LBB216_765:
	s_andn2_b64 vcc, exec, s[50:51]
	s_cbranch_vccnz .LBB216_774
; %bb.766:
	s_cmp_lt_i32 s54, 6
	s_mov_b64 s[50:51], -1
	s_cbranch_scc1 .LBB216_772
; %bb.767:
	s_cmp_gt_i32 s54, 6
	s_cbranch_scc0 .LBB216_769
; %bb.768:
	v_cvt_f32_f16_e32 v3, v2
	s_mov_b64 s[50:51], 0
	v_cvt_f64_f32_e32 v[3:4], v3
	global_store_dwordx2 v[0:1], v[3:4], off
.LBB216_769:
	s_andn2_b64 vcc, exec, s[50:51]
	s_cbranch_vccnz .LBB216_771
; %bb.770:
	v_cvt_f32_f16_e32 v3, v2
	global_store_dword v[0:1], v3, off
.LBB216_771:
	s_mov_b64 s[50:51], 0
.LBB216_772:
	s_andn2_b64 vcc, exec, s[50:51]
	s_cbranch_vccnz .LBB216_774
; %bb.773:
	global_store_short v[0:1], v2, off
.LBB216_774:
	s_mov_b64 s[50:51], 0
.LBB216_775:
	s_andn2_b64 vcc, exec, s[50:51]
	s_cbranch_vccnz .LBB216_791
; %bb.776:
	s_cmp_lt_i32 s54, 2
	s_mov_b64 s[50:51], -1
	s_cbranch_scc1 .LBB216_786
; %bb.777:
	s_cmp_lt_i32 s54, 3
	s_cbranch_scc1 .LBB216_783
; %bb.778:
	s_cmp_gt_i32 s54, 3
	s_cbranch_scc0 .LBB216_780
; %bb.779:
	v_cvt_f32_f16_e32 v3, v2
	s_mov_b64 s[50:51], 0
	v_cvt_i32_f32_e32 v3, v3
	v_ashrrev_i32_e32 v4, 31, v3
	global_store_dwordx2 v[0:1], v[3:4], off
.LBB216_780:
	s_andn2_b64 vcc, exec, s[50:51]
	s_cbranch_vccnz .LBB216_782
; %bb.781:
	v_cvt_f32_f16_e32 v3, v2
	v_cvt_i32_f32_e32 v3, v3
	global_store_dword v[0:1], v3, off
.LBB216_782:
	s_mov_b64 s[50:51], 0
.LBB216_783:
	s_andn2_b64 vcc, exec, s[50:51]
	s_cbranch_vccnz .LBB216_785
; %bb.784:
	v_cvt_i16_f16_e32 v3, v2
	global_store_short v[0:1], v3, off
.LBB216_785:
	s_mov_b64 s[50:51], 0
.LBB216_786:
	s_andn2_b64 vcc, exec, s[50:51]
	s_cbranch_vccnz .LBB216_791
; %bb.787:
	s_cmp_gt_i32 s54, 0
	s_mov_b64 s[50:51], -1
	s_cbranch_scc0 .LBB216_789
; %bb.788:
	v_cvt_i16_f16_e32 v3, v2
	s_mov_b64 s[50:51], 0
	global_store_byte v[0:1], v3, off
.LBB216_789:
	s_andn2_b64 vcc, exec, s[50:51]
	s_cbranch_vccnz .LBB216_791
; %bb.790:
	v_cvt_f32_f16_e32 v2, v2
	v_cvt_i32_f32_e32 v2, v2
	global_store_byte v[0:1], v2, off
.LBB216_791:
	s_mov_b64 s[50:51], -1
.LBB216_792:
	s_andn2_b64 vcc, exec, s[50:51]
	s_cbranch_vccnz .LBB216_804
; %bb.793:
	v_add_u32_e32 v8, 0x80, v8
	s_mov_b64 s[54:55], -1
.LBB216_794:
	s_andn2_b64 s[50:51], s[38:39], exec
	s_and_b64 s[0:1], s[0:1], exec
	s_or_b64 s[50:51], s[50:51], s[0:1]
	s_andn2_b64 s[0:1], s[40:41], exec
	s_and_b64 s[48:49], s[48:49], exec
	s_or_b64 s[48:49], s[0:1], s[48:49]
	;; [unrolled: 3-line block ×3, first 2 shown]
	s_orn2_b64 s[0:1], s[54:55], exec
.LBB216_795:
	s_or_b64 exec, exec, s[52:53]
	s_mov_b64 s[54:55], 0
	s_mov_b64 s[56:57], 0
	;; [unrolled: 1-line block ×3, first 2 shown]
                                        ; implicit-def: $sgpr75
                                        ; implicit-def: $vgpr3_vgpr4
                                        ; implicit-def: $vgpr0
                                        ; implicit-def: $vgpr2
                                        ; implicit-def: $vgpr5
	s_and_saveexec_b64 s[52:53], s[0:1]
	s_cbranch_execz .LBB216_1292
; %bb.796:
	v_cmp_gt_i32_e32 vcc, s68, v8
	s_mov_b64 s[66:67], -1
	s_mov_b64 s[0:1], s[46:47]
	s_mov_b64 s[58:59], s[48:49]
	s_mov_b64 s[60:61], s[50:51]
	s_and_saveexec_b64 s[54:55], vcc
	s_cbranch_execz .LBB216_1196
; %bb.797:
	s_andn2_b64 vcc, exec, s[24:25]
	s_cbranch_vccnz .LBB216_803
; %bb.798:
	s_andn2_b64 vcc, exec, s[36:37]
	s_cbranch_vccnz .LBB216_805
; %bb.799:
	s_add_i32 s0, s74, 1
	s_and_b32 s56, s0, 30
	s_add_u32 s0, s2, 0xffffffe8
	s_addc_u32 s1, s3, -1
	v_mov_b32_e32 v2, 0
	v_mov_b32_e32 v4, 0
	;; [unrolled: 1-line block ×4, first 2 shown]
.LBB216_800:                            ; =>This Inner Loop Header: Depth=1
	s_load_dwordx4 s[60:63], s[0:1], 0x1c
	s_load_dwordx2 s[58:59], s[0:1], 0x2c
	s_load_dwordx2 s[76:77], s[0:1], 0xec
	s_load_dwordx4 s[64:67], s[0:1], 0xdc
	s_add_u32 s0, s0, 24
	s_waitcnt vmcnt(0) lgkmcnt(0)
	v_mul_hi_u32 v3, s61, v1
	s_addc_u32 s1, s1, 0
	s_add_i32 s56, s56, -2
	s_cmp_eq_u32 s56, 0
	v_add_u32_e32 v3, v1, v3
	v_lshrrev_b32_e32 v3, s62, v3
	v_mul_lo_u32 v5, v3, s60
	v_mul_hi_u32 v6, s58, v3
	v_sub_u32_e32 v5, v1, v5
	v_add_u32_e32 v1, v3, v6
	v_lshrrev_b32_e32 v1, s59, v1
	v_mul_lo_u32 v9, v1, s63
	v_mul_lo_u32 v6, v5, s64
	;; [unrolled: 1-line block ×4, first 2 shown]
	v_sub_u32_e32 v3, v3, v9
	v_mul_lo_u32 v9, v3, s67
	v_mul_lo_u32 v10, v3, s76
	;; [unrolled: 1-line block ×3, first 2 shown]
	v_add3_u32 v0, v6, v0, v9
	v_add3_u32 v4, v7, v4, v10
	;; [unrolled: 1-line block ×3, first 2 shown]
	s_cbranch_scc0 .LBB216_800
; %bb.801:
	s_bitcmp1_b32 s74, 0
	s_cselect_b64 s[56:57], -1, 0
	s_and_b64 vcc, exec, s[56:57]
	s_cbranch_vccnz .LBB216_806
; %bb.802:
	s_load_dwordx2 s[56:57], s[0:1], 0x1c
	s_load_dword s60, s[0:1], 0x24
	s_load_dwordx2 s[58:59], s[0:1], 0xdc
	s_waitcnt lgkmcnt(0)
	v_mul_hi_u32 v3, s57, v1
	v_add_u32_e32 v3, v1, v3
	v_lshrrev_b32_e32 v3, s60, v3
	v_mul_lo_u32 v3, v3, s56
	s_load_dword s56, s[0:1], 0xe4
	v_sub_u32_e32 v3, v1, v3
	v_mad_u64_u32 v[0:1], s[0:1], v3, s58, v[0:1]
	v_mad_u64_u32 v[4:5], s[0:1], v3, s59, v[4:5]
	s_waitcnt lgkmcnt(0)
	v_mad_u64_u32 v[2:3], s[0:1], v3, s56, v[2:3]
	s_branch .LBB216_806
.LBB216_803:
	s_mov_b64 s[0:1], -1
                                        ; implicit-def: $vgpr0
                                        ; implicit-def: $vgpr4
                                        ; implicit-def: $vgpr2
	s_branch .LBB216_807
.LBB216_804:
	s_mov_b64 s[54:55], 0
	s_branch .LBB216_552
.LBB216_805:
	v_mov_b32_e32 v0, 0
	v_mov_b32_e32 v4, 0
	;; [unrolled: 1-line block ×3, first 2 shown]
.LBB216_806:
	s_mov_b64 s[0:1], 0
.LBB216_807:
	s_andn2_b64 vcc, exec, s[0:1]
	s_cbranch_vccnz .LBB216_810
; %bb.808:
	v_mul_hi_u32 v0, s17, v8
	s_andn2_b64 vcc, exec, s[34:35]
	v_add_u32_e32 v0, v8, v0
	v_lshrrev_b32_e32 v1, s18, v0
	v_mul_lo_u32 v0, v1, s16
	v_sub_u32_e32 v2, v8, v0
	v_mul_lo_u32 v0, v2, s20
	v_mul_lo_u32 v4, v2, s21
	;; [unrolled: 1-line block ×3, first 2 shown]
	s_cbranch_vccnz .LBB216_810
; %bb.809:
	s_waitcnt vmcnt(0)
	v_mul_hi_u32 v3, s30, v1
	v_add_u32_e32 v3, v1, v3
	v_lshrrev_b32_e32 v3, s31, v3
	v_mul_lo_u32 v3, v3, s19
	v_sub_u32_e32 v3, v1, v3
	v_mad_u64_u32 v[0:1], s[0:1], v3, s23, v[0:1]
	v_mad_u64_u32 v[4:5], s[0:1], v3, s28, v[4:5]
	;; [unrolled: 1-line block ×3, first 2 shown]
.LBB216_810:
	v_mov_b32_e32 v1, s11
	s_and_b32 s62, s73, 0xff
	s_waitcnt vmcnt(0)
	v_add_co_u32_e32 v3, vcc, s10, v4
	s_cmp_lt_i32 s62, 11
	v_addc_co_u32_e32 v4, vcc, 0, v1, vcc
	s_cbranch_scc1 .LBB216_817
; %bb.811:
	s_and_b32 s63, 0xffff, s62
	s_cmp_gt_i32 s63, 25
	s_cbranch_scc0 .LBB216_818
; %bb.812:
	s_cmp_gt_i32 s63, 28
	s_cbranch_scc0 .LBB216_819
; %bb.813:
	;; [unrolled: 3-line block ×4, first 2 shown]
	s_cmp_eq_u32 s63, 46
	s_mov_b64 s[58:59], 0
	s_cbranch_scc0 .LBB216_824
; %bb.816:
	global_load_dword v1, v[3:4], off
	s_mov_b64 s[0:1], -1
	s_mov_b64 s[56:57], 0
	s_waitcnt vmcnt(0)
	v_lshlrev_b32_e32 v1, 16, v1
	v_cvt_f16_f32_e32 v5, v1
	s_branch .LBB216_825
.LBB216_817:
	s_mov_b64 s[58:59], -1
	s_mov_b64 s[0:1], 0
                                        ; implicit-def: $vgpr5
	s_mov_b64 s[56:57], s[46:47]
	s_branch .LBB216_890
.LBB216_818:
	s_mov_b64 s[58:59], -1
	s_mov_b64 s[0:1], 0
	s_mov_b64 s[56:57], s[46:47]
                                        ; implicit-def: $vgpr5
	s_branch .LBB216_854
.LBB216_819:
	s_mov_b64 s[58:59], -1
	s_mov_b64 s[0:1], 0
	s_mov_b64 s[56:57], s[46:47]
                                        ; implicit-def: $vgpr5
	s_branch .LBB216_835
.LBB216_820:
	s_mov_b64 s[58:59], -1
	s_mov_b64 s[0:1], 0
	s_mov_b64 s[56:57], s[46:47]
                                        ; implicit-def: $vgpr5
	s_branch .LBB216_830
.LBB216_821:
	s_mov_b64 s[58:59], -1
	s_mov_b64 s[0:1], 0
	s_mov_b64 s[56:57], s[46:47]
                                        ; implicit-def: $vgpr5
	s_branch .LBB216_825
.LBB216_822:
	s_andn2_saveexec_b64 s[56:57], s[56:57]
	s_cbranch_execz .LBB216_705
.LBB216_823:
	s_mov_b32 s60, 0x46000000
	v_add_f32_e64 v4, |v3|, s60
	v_and_b32_e32 v4, 0xff, v4
	v_cmp_ne_u32_e32 vcc, 0, v4
	s_andn2_b64 s[54:55], s[54:55], exec
	s_and_b64 s[60:61], vcc, exec
	s_or_b64 s[54:55], s[54:55], s[60:61]
	s_or_b64 exec, exec, s[56:57]
	v_mov_b32_e32 v5, 0
	s_and_saveexec_b64 s[56:57], s[54:55]
	s_cbranch_execnz .LBB216_706
	s_branch .LBB216_707
.LBB216_824:
	s_mov_b64 s[56:57], -1
                                        ; implicit-def: $vgpr5
	s_mov_b64 s[0:1], 0
.LBB216_825:
	s_and_b64 vcc, exec, s[58:59]
	s_cbranch_vccz .LBB216_829
; %bb.826:
	s_cmp_eq_u32 s63, 44
	s_cbranch_scc0 .LBB216_828
; %bb.827:
	global_load_ubyte v1, v[3:4], off
	s_movk_i32 s56, 0xff
	v_mov_b32_e32 v6, 0x7e00
	s_mov_b64 s[0:1], -1
	s_waitcnt vmcnt(0)
	v_lshlrev_b32_e32 v5, 23, v1
	v_cvt_f16_f32_e32 v5, v5
	v_cmp_ne_u32_e32 vcc, s56, v1
	s_mov_b64 s[56:57], 0
	v_cndmask_b32_e32 v5, v6, v5, vcc
	v_cmp_ne_u32_e32 vcc, 0, v1
	v_cndmask_b32_e32 v5, 0, v5, vcc
	s_branch .LBB216_829
.LBB216_828:
	s_mov_b64 s[56:57], -1
                                        ; implicit-def: $vgpr5
.LBB216_829:
	s_mov_b64 s[58:59], 0
.LBB216_830:
	s_and_b64 vcc, exec, s[58:59]
	s_cbranch_vccz .LBB216_834
; %bb.831:
	s_cmp_eq_u32 s63, 29
	s_cbranch_scc0 .LBB216_833
; %bb.832:
	global_load_dwordx2 v[5:6], v[3:4], off
	s_mov_b64 s[0:1], -1
	s_mov_b64 s[56:57], 0
	s_mov_b64 s[58:59], 0
	s_waitcnt vmcnt(0)
	v_ffbh_u32_e32 v1, v6
	v_min_u32_e32 v1, 32, v1
	v_lshlrev_b64 v[5:6], v1, v[5:6]
	v_sub_u32_e32 v1, 32, v1
	v_min_u32_e32 v5, 1, v5
	v_or_b32_e32 v5, v6, v5
	v_cvt_f32_u32_e32 v5, v5
	v_ldexp_f32 v1, v5, v1
	v_cvt_f16_f32_e32 v5, v1
	s_branch .LBB216_835
.LBB216_833:
	s_mov_b64 s[56:57], -1
                                        ; implicit-def: $vgpr5
.LBB216_834:
	s_mov_b64 s[58:59], 0
.LBB216_835:
	s_and_b64 vcc, exec, s[58:59]
	s_cbranch_vccz .LBB216_853
; %bb.836:
	s_cmp_lt_i32 s63, 27
	s_cbranch_scc1 .LBB216_839
; %bb.837:
	s_cmp_gt_i32 s63, 27
	s_cbranch_scc0 .LBB216_840
; %bb.838:
	global_load_dword v1, v[3:4], off
	s_mov_b64 s[0:1], 0
	s_waitcnt vmcnt(0)
	v_cvt_f32_u32_e32 v1, v1
	v_cvt_f16_f32_e32 v5, v1
	s_branch .LBB216_841
.LBB216_839:
	s_mov_b64 s[0:1], -1
                                        ; implicit-def: $vgpr5
	s_branch .LBB216_844
.LBB216_840:
	s_mov_b64 s[0:1], -1
                                        ; implicit-def: $vgpr5
.LBB216_841:
	s_andn2_b64 vcc, exec, s[0:1]
	s_cbranch_vccnz .LBB216_843
; %bb.842:
	global_load_ushort v1, v[3:4], off
	s_waitcnt vmcnt(0)
	v_cvt_f16_u16_e32 v5, v1
.LBB216_843:
	s_mov_b64 s[0:1], 0
.LBB216_844:
	s_andn2_b64 vcc, exec, s[0:1]
	s_cbranch_vccnz .LBB216_852
; %bb.845:
	global_load_ubyte v1, v[3:4], off
	s_movk_i32 s0, 0x7f
	s_waitcnt vmcnt(0)
	v_cmp_lt_i16_e32 vcc, s0, v1
	s_mov_b64 s[0:1], 0
	s_and_saveexec_b64 s[58:59], vcc
	s_xor_b64 s[58:59], exec, s[58:59]
	s_cbranch_execz .LBB216_866
; %bb.846:
	s_movk_i32 s0, 0x80
	v_cmp_eq_u16_e32 vcc, s0, v1
	s_mov_b64 s[0:1], -1
	s_and_saveexec_b64 s[60:61], vcc
; %bb.847:
	s_xor_b64 s[0:1], exec, -1
; %bb.848:
	s_or_b64 exec, exec, s[60:61]
	s_and_b64 s[0:1], s[0:1], exec
	s_or_saveexec_b64 s[58:59], s[58:59]
	v_mov_b32_e32 v5, 0x7e00
	s_xor_b64 exec, exec, s[58:59]
	s_cbranch_execnz .LBB216_867
.LBB216_849:
	s_or_b64 exec, exec, s[58:59]
	s_and_saveexec_b64 s[58:59], s[0:1]
	s_cbranch_execz .LBB216_851
.LBB216_850:
	v_lshlrev_b32_e32 v5, 24, v1
	v_and_b32_e32 v1, 0xffff, v1
	v_and_b32_e32 v6, 7, v1
	v_ffbh_u32_e32 v9, v6
	v_min_u32_e32 v9, 32, v9
	v_subrev_u32_e32 v10, 28, v9
	v_bfe_u32 v7, v1, 3, 4
	v_lshlrev_b32_e32 v1, v10, v1
	v_sub_u32_e32 v9, 29, v9
	v_and_b32_e32 v1, 7, v1
	v_cmp_eq_u32_e32 vcc, 0, v7
	v_cndmask_b32_e32 v7, v7, v9, vcc
	v_cndmask_b32_e32 v1, v6, v1, vcc
	v_mov_b32_e32 v6, 0x3b800000
	v_lshlrev_b32_e32 v1, 20, v1
	v_and_b32_e32 v5, 0x80000000, v5
	v_lshl_add_u32 v6, v7, 23, v6
	v_or3_b32 v1, v5, v6, v1
	v_cvt_f16_f32_e32 v5, v1
.LBB216_851:
	s_or_b64 exec, exec, s[58:59]
.LBB216_852:
	s_mov_b64 s[0:1], -1
.LBB216_853:
	s_mov_b64 s[58:59], 0
.LBB216_854:
	s_and_b64 vcc, exec, s[58:59]
	s_cbranch_vccz .LBB216_889
; %bb.855:
	s_cmp_gt_i32 s63, 22
	s_cbranch_scc0 .LBB216_865
; %bb.856:
	s_cmp_lt_i32 s63, 24
	s_cbranch_scc1 .LBB216_868
; %bb.857:
	s_cmp_gt_i32 s63, 24
	s_cbranch_scc0 .LBB216_869
; %bb.858:
	global_load_ubyte v1, v[3:4], off
	s_movk_i32 s0, 0x7f
	s_waitcnt vmcnt(0)
	v_cmp_lt_i16_e32 vcc, s0, v1
	s_mov_b64 s[0:1], 0
	s_and_saveexec_b64 s[58:59], vcc
	s_xor_b64 s[58:59], exec, s[58:59]
	s_cbranch_execz .LBB216_881
; %bb.859:
	s_movk_i32 s0, 0x80
	v_cmp_eq_u16_e32 vcc, s0, v1
	s_mov_b64 s[0:1], -1
	s_and_saveexec_b64 s[60:61], vcc
; %bb.860:
	s_xor_b64 s[0:1], exec, -1
; %bb.861:
	s_or_b64 exec, exec, s[60:61]
	s_and_b64 s[0:1], s[0:1], exec
	s_or_saveexec_b64 s[58:59], s[58:59]
	v_mov_b32_e32 v5, 0x7e00
	s_xor_b64 exec, exec, s[58:59]
	s_cbranch_execnz .LBB216_882
.LBB216_862:
	s_or_b64 exec, exec, s[58:59]
	s_and_saveexec_b64 s[58:59], s[0:1]
	s_cbranch_execz .LBB216_864
.LBB216_863:
	v_lshlrev_b32_e32 v5, 24, v1
	v_and_b32_e32 v1, 0xffff, v1
	v_and_b32_e32 v6, 3, v1
	v_ffbh_u32_e32 v9, v6
	v_min_u32_e32 v9, 32, v9
	v_subrev_u32_e32 v10, 29, v9
	v_bfe_u32 v7, v1, 2, 5
	v_lshlrev_b32_e32 v1, v10, v1
	v_sub_u32_e32 v9, 30, v9
	v_and_b32_e32 v1, 3, v1
	v_cmp_eq_u32_e32 vcc, 0, v7
	v_cndmask_b32_e32 v7, v7, v9, vcc
	v_cndmask_b32_e32 v1, v6, v1, vcc
	v_mov_b32_e32 v6, 0x37800000
	v_lshlrev_b32_e32 v1, 21, v1
	v_and_b32_e32 v5, 0x80000000, v5
	v_lshl_add_u32 v6, v7, 23, v6
	v_or3_b32 v1, v5, v6, v1
	v_cvt_f16_f32_e32 v5, v1
.LBB216_864:
	s_or_b64 exec, exec, s[58:59]
	s_mov_b64 s[0:1], 0
	s_branch .LBB216_870
.LBB216_865:
	s_mov_b64 s[58:59], -1
                                        ; implicit-def: $vgpr5
	s_branch .LBB216_876
.LBB216_866:
	s_or_saveexec_b64 s[58:59], s[58:59]
	v_mov_b32_e32 v5, 0x7e00
	s_xor_b64 exec, exec, s[58:59]
	s_cbranch_execz .LBB216_849
.LBB216_867:
	v_cmp_ne_u16_e32 vcc, 0, v1
	s_andn2_b64 s[0:1], s[0:1], exec
	s_and_b64 s[60:61], vcc, exec
	s_or_b64 s[0:1], s[0:1], s[60:61]
	v_mov_b32_e32 v5, v1
	s_or_b64 exec, exec, s[58:59]
	s_and_saveexec_b64 s[58:59], s[0:1]
	s_cbranch_execnz .LBB216_850
	s_branch .LBB216_851
.LBB216_868:
	s_mov_b64 s[0:1], -1
                                        ; implicit-def: $vgpr5
	s_branch .LBB216_873
.LBB216_869:
	s_mov_b64 s[0:1], -1
                                        ; implicit-def: $vgpr5
.LBB216_870:
	s_and_b64 vcc, exec, s[0:1]
	s_cbranch_vccz .LBB216_872
; %bb.871:
	global_load_ubyte v1, v[3:4], off
	s_mov_b32 s0, 0x7f800000
	s_waitcnt vmcnt(0)
	v_lshlrev_b32_e32 v1, 24, v1
	v_and_b32_e32 v5, 0x7f000000, v1
	v_ffbh_u32_e32 v6, v5
	v_min_u32_e32 v6, 32, v6
	v_sub_u32_e64 v6, v6, 4 clamp
	v_lshlrev_b32_e32 v9, v6, v5
	v_lshlrev_b32_e32 v6, 23, v6
	v_lshrrev_b32_e32 v9, 4, v9
	v_add_u32_e32 v7, 0x1000000, v5
	v_sub_u32_e32 v6, v9, v6
	v_ashrrev_i32_e32 v7, 8, v7
	v_add_u32_e32 v6, 0x3c000000, v6
	v_and_or_b32 v6, v7, s0, v6
	v_cmp_ne_u32_e32 vcc, 0, v5
	v_cndmask_b32_e32 v5, 0, v6, vcc
	s_brev_b32 s0, 1
	v_and_or_b32 v1, v1, s0, v5
	v_cvt_f16_f32_e32 v5, v1
.LBB216_872:
	s_mov_b64 s[0:1], 0
.LBB216_873:
	s_andn2_b64 vcc, exec, s[0:1]
	s_cbranch_vccnz .LBB216_875
; %bb.874:
	global_load_ubyte v1, v[3:4], off
	s_movk_i32 s0, 0x7f00
	s_brev_b32 s1, 16
	s_waitcnt vmcnt(0)
	v_lshlrev_b16_e32 v5, 8, v1
	v_lshlrev_b32_e32 v1, 25, v1
	v_lshrrev_b32_e32 v6, 4, v1
	v_and_or_b32 v7, v5, s0, 0.5
	v_or_b32_e32 v6, 0x70000000, v6
	v_add_f32_e32 v7, -0.5, v7
	v_mul_f32_e32 v6, 0x7800000, v6
	v_cmp_gt_u32_e32 vcc, s1, v1
	v_bfe_i32 v5, v5, 0, 16
	v_cndmask_b32_e32 v1, v6, v7, vcc
	s_brev_b32 s0, 1
	v_and_or_b32 v1, v5, s0, v1
	v_cvt_f16_f32_e32 v5, v1
.LBB216_875:
	s_mov_b64 s[58:59], 0
	s_mov_b64 s[0:1], -1
.LBB216_876:
	s_andn2_b64 vcc, exec, s[58:59]
	s_cbranch_vccnz .LBB216_889
; %bb.877:
	s_cmp_gt_i32 s63, 14
	s_cbranch_scc0 .LBB216_880
; %bb.878:
	s_cmp_eq_u32 s63, 15
	s_cbranch_scc0 .LBB216_883
; %bb.879:
	global_load_ushort v1, v[3:4], off
	s_mov_b64 s[0:1], -1
	s_mov_b64 s[56:57], 0
	s_waitcnt vmcnt(0)
	v_lshlrev_b32_e32 v1, 16, v1
	v_cvt_f16_f32_e32 v5, v1
	s_branch .LBB216_884
.LBB216_880:
	s_mov_b64 s[58:59], -1
                                        ; implicit-def: $vgpr5
	s_branch .LBB216_885
.LBB216_881:
	s_or_saveexec_b64 s[58:59], s[58:59]
	v_mov_b32_e32 v5, 0x7e00
	s_xor_b64 exec, exec, s[58:59]
	s_cbranch_execz .LBB216_862
.LBB216_882:
	v_cmp_ne_u16_e32 vcc, 0, v1
	s_andn2_b64 s[0:1], s[0:1], exec
	s_and_b64 s[60:61], vcc, exec
	s_or_b64 s[0:1], s[0:1], s[60:61]
	v_mov_b32_e32 v5, v1
	s_or_b64 exec, exec, s[58:59]
	s_and_saveexec_b64 s[58:59], s[0:1]
	s_cbranch_execnz .LBB216_863
	s_branch .LBB216_864
.LBB216_883:
	s_mov_b64 s[56:57], -1
                                        ; implicit-def: $vgpr5
.LBB216_884:
	s_mov_b64 s[58:59], 0
.LBB216_885:
	s_and_b64 vcc, exec, s[58:59]
	s_cbranch_vccz .LBB216_889
; %bb.886:
	s_cmp_eq_u32 s63, 11
	s_cbranch_scc0 .LBB216_888
; %bb.887:
	global_load_ubyte v1, v[3:4], off
	v_mov_b32_e32 v5, 0x3c00
	s_mov_b64 s[0:1], -1
	s_mov_b64 s[56:57], 0
	s_waitcnt vmcnt(0)
	v_cmp_ne_u16_e32 vcc, 0, v1
	v_cndmask_b32_e32 v5, 0, v5, vcc
	s_branch .LBB216_889
.LBB216_888:
	s_mov_b64 s[56:57], -1
                                        ; implicit-def: $vgpr5
.LBB216_889:
	s_mov_b64 s[58:59], 0
.LBB216_890:
	s_and_b64 vcc, exec, s[58:59]
	s_cbranch_vccz .LBB216_939
; %bb.891:
	s_and_b32 s58, 0xffff, s62
	s_cmp_lt_i32 s58, 5
	s_cbranch_scc1 .LBB216_896
; %bb.892:
	s_cmp_lt_i32 s58, 8
	s_cbranch_scc1 .LBB216_897
; %bb.893:
	;; [unrolled: 3-line block ×3, first 2 shown]
	s_cmp_gt_i32 s58, 9
	s_cbranch_scc0 .LBB216_899
; %bb.895:
	global_load_dwordx2 v[5:6], v[3:4], off
	s_movk_i32 s0, 0x1ff
	s_movk_i32 s1, 0xffe
	v_mov_b32_e32 v1, 0x7c00
	v_mov_b32_e32 v7, 0x7e00
	s_movk_i32 s59, 0x40f
	s_mov_b32 s60, 0x8000
	s_waitcnt vmcnt(0)
	v_and_or_b32 v5, v6, s0, v5
	v_cmp_ne_u32_e32 vcc, 0, v5
	v_lshrrev_b32_e32 v9, 8, v6
	v_bfe_u32 v10, v6, 20, 11
	v_cndmask_b32_e64 v5, 0, 1, vcc
	v_sub_u32_e32 v11, 0x3f1, v10
	v_and_or_b32 v5, v9, s1, v5
	v_add_u32_e32 v10, 0xfffffc10, v10
	v_med3_i32 v9, v11, 0, 13
	v_or_b32_e32 v11, 0x1000, v5
	v_cmp_ne_u32_e32 vcc, 0, v5
	v_lshl_or_b32 v12, v10, 12, v5
	v_cndmask_b32_e32 v5, v1, v7, vcc
	v_lshrrev_b32_e32 v7, v9, v11
	v_lshlrev_b32_e32 v9, v9, v7
	v_cmp_ne_u32_e32 vcc, v9, v11
	v_cndmask_b32_e64 v9, 0, 1, vcc
	v_or_b32_e32 v7, v7, v9
	v_cmp_gt_i32_e32 vcc, 1, v10
	v_cndmask_b32_e32 v7, v12, v7, vcc
	v_and_b32_e32 v9, 7, v7
	v_cmp_lt_i32_e32 vcc, 5, v9
	v_cndmask_b32_e64 v11, 0, 1, vcc
	v_cmp_eq_u32_e32 vcc, 3, v9
	v_cndmask_b32_e64 v9, 0, 1, vcc
	v_lshrrev_b32_e32 v7, 2, v7
	v_or_b32_e32 v9, v9, v11
	v_add_u32_e32 v7, v7, v9
	v_cmp_gt_i32_e32 vcc, 31, v10
	v_cndmask_b32_e32 v1, v1, v7, vcc
	v_cmp_eq_u32_e32 vcc, s59, v10
	v_lshrrev_b32_e32 v6, 16, v6
	v_cndmask_b32_e32 v1, v1, v5, vcc
	v_and_or_b32 v5, v6, s60, v1
	s_mov_b64 s[0:1], 0
	s_branch .LBB216_900
.LBB216_896:
	s_mov_b64 s[0:1], -1
                                        ; implicit-def: $vgpr5
	s_branch .LBB216_918
.LBB216_897:
	s_mov_b64 s[0:1], -1
                                        ; implicit-def: $vgpr5
	s_branch .LBB216_906
.LBB216_898:
	s_mov_b64 s[0:1], -1
                                        ; implicit-def: $vgpr5
	s_branch .LBB216_903
.LBB216_899:
	s_mov_b64 s[0:1], -1
                                        ; implicit-def: $vgpr5
.LBB216_900:
	s_andn2_b64 vcc, exec, s[0:1]
	s_cbranch_vccnz .LBB216_902
; %bb.901:
	global_load_dword v1, v[3:4], off
	s_waitcnt vmcnt(0)
	v_cvt_f16_f32_e32 v5, v1
.LBB216_902:
	s_mov_b64 s[0:1], 0
.LBB216_903:
	s_andn2_b64 vcc, exec, s[0:1]
	s_cbranch_vccnz .LBB216_905
; %bb.904:
	global_load_dword v5, v[3:4], off
.LBB216_905:
	s_mov_b64 s[0:1], 0
.LBB216_906:
	s_andn2_b64 vcc, exec, s[0:1]
	s_cbranch_vccnz .LBB216_917
; %bb.907:
	s_cmp_lt_i32 s58, 6
	s_cbranch_scc1 .LBB216_910
; %bb.908:
	s_cmp_gt_i32 s58, 6
	s_cbranch_scc0 .LBB216_911
; %bb.909:
	global_load_dwordx2 v[5:6], v[3:4], off
	s_movk_i32 s0, 0x1ff
	s_movk_i32 s1, 0xffe
	v_mov_b32_e32 v1, 0x7c00
	v_mov_b32_e32 v7, 0x7e00
	s_movk_i32 s59, 0x40f
	s_mov_b32 s60, 0x8000
	s_waitcnt vmcnt(0)
	v_and_or_b32 v5, v6, s0, v5
	v_cmp_ne_u32_e32 vcc, 0, v5
	v_lshrrev_b32_e32 v9, 8, v6
	v_bfe_u32 v10, v6, 20, 11
	v_cndmask_b32_e64 v5, 0, 1, vcc
	v_sub_u32_e32 v11, 0x3f1, v10
	v_and_or_b32 v5, v9, s1, v5
	v_add_u32_e32 v10, 0xfffffc10, v10
	v_med3_i32 v9, v11, 0, 13
	v_or_b32_e32 v11, 0x1000, v5
	v_cmp_ne_u32_e32 vcc, 0, v5
	v_lshl_or_b32 v12, v10, 12, v5
	v_cndmask_b32_e32 v5, v1, v7, vcc
	v_lshrrev_b32_e32 v7, v9, v11
	v_lshlrev_b32_e32 v9, v9, v7
	v_cmp_ne_u32_e32 vcc, v9, v11
	v_cndmask_b32_e64 v9, 0, 1, vcc
	v_or_b32_e32 v7, v7, v9
	v_cmp_gt_i32_e32 vcc, 1, v10
	v_cndmask_b32_e32 v7, v12, v7, vcc
	v_and_b32_e32 v9, 7, v7
	v_cmp_lt_i32_e32 vcc, 5, v9
	v_cndmask_b32_e64 v11, 0, 1, vcc
	v_cmp_eq_u32_e32 vcc, 3, v9
	v_cndmask_b32_e64 v9, 0, 1, vcc
	v_lshrrev_b32_e32 v7, 2, v7
	v_or_b32_e32 v9, v9, v11
	v_add_u32_e32 v7, v7, v9
	v_cmp_gt_i32_e32 vcc, 31, v10
	v_cndmask_b32_e32 v1, v1, v7, vcc
	v_cmp_eq_u32_e32 vcc, s59, v10
	v_lshrrev_b32_e32 v6, 16, v6
	v_cndmask_b32_e32 v1, v1, v5, vcc
	v_and_or_b32 v5, v6, s60, v1
	s_mov_b64 s[0:1], 0
	s_branch .LBB216_912
.LBB216_910:
	s_mov_b64 s[0:1], -1
                                        ; implicit-def: $vgpr5
	s_branch .LBB216_915
.LBB216_911:
	s_mov_b64 s[0:1], -1
                                        ; implicit-def: $vgpr5
.LBB216_912:
	s_andn2_b64 vcc, exec, s[0:1]
	s_cbranch_vccnz .LBB216_914
; %bb.913:
	global_load_dword v1, v[3:4], off
	s_waitcnt vmcnt(0)
	v_cvt_f16_f32_e32 v5, v1
.LBB216_914:
	s_mov_b64 s[0:1], 0
.LBB216_915:
	s_andn2_b64 vcc, exec, s[0:1]
	s_cbranch_vccnz .LBB216_917
; %bb.916:
	global_load_ushort v5, v[3:4], off
.LBB216_917:
	s_mov_b64 s[0:1], 0
.LBB216_918:
	s_andn2_b64 vcc, exec, s[0:1]
	s_cbranch_vccnz .LBB216_938
; %bb.919:
	s_cmp_lt_i32 s58, 2
	s_cbranch_scc1 .LBB216_923
; %bb.920:
	s_cmp_lt_i32 s58, 3
	s_cbranch_scc1 .LBB216_924
; %bb.921:
	s_cmp_gt_i32 s58, 3
	s_cbranch_scc0 .LBB216_925
; %bb.922:
	global_load_dwordx2 v[5:6], v[3:4], off
	s_mov_b64 s[0:1], 0
	s_waitcnt vmcnt(0)
	v_xor_b32_e32 v7, v5, v6
	v_ffbh_i32_e32 v1, v6
	v_ashrrev_i32_e32 v7, 31, v7
	v_add_u32_e32 v1, -1, v1
	v_add_u32_e32 v7, 32, v7
	v_min_u32_e32 v1, v1, v7
	v_lshlrev_b64 v[5:6], v1, v[5:6]
	v_sub_u32_e32 v1, 32, v1
	v_min_u32_e32 v5, 1, v5
	v_or_b32_e32 v5, v6, v5
	v_cvt_f32_i32_e32 v5, v5
	v_ldexp_f32 v1, v5, v1
	v_cvt_f16_f32_e32 v5, v1
	s_branch .LBB216_926
.LBB216_923:
	s_mov_b64 s[0:1], -1
                                        ; implicit-def: $vgpr5
	s_branch .LBB216_932
.LBB216_924:
	s_mov_b64 s[0:1], -1
                                        ; implicit-def: $vgpr5
	s_branch .LBB216_929
.LBB216_925:
	s_mov_b64 s[0:1], -1
                                        ; implicit-def: $vgpr5
.LBB216_926:
	s_andn2_b64 vcc, exec, s[0:1]
	s_cbranch_vccnz .LBB216_928
; %bb.927:
	global_load_dword v1, v[3:4], off
	s_waitcnt vmcnt(0)
	v_cvt_f32_i32_e32 v1, v1
	v_cvt_f16_f32_e32 v5, v1
.LBB216_928:
	s_mov_b64 s[0:1], 0
.LBB216_929:
	s_andn2_b64 vcc, exec, s[0:1]
	s_cbranch_vccnz .LBB216_931
; %bb.930:
	global_load_ushort v1, v[3:4], off
	s_waitcnt vmcnt(0)
	v_cvt_f16_i16_e32 v5, v1
.LBB216_931:
	s_mov_b64 s[0:1], 0
.LBB216_932:
	s_andn2_b64 vcc, exec, s[0:1]
	s_cbranch_vccnz .LBB216_938
; %bb.933:
	s_cmp_gt_i32 s58, 0
	s_cbranch_scc0 .LBB216_935
; %bb.934:
	global_load_sbyte v1, v[3:4], off
	s_mov_b64 s[0:1], 0
	s_waitcnt vmcnt(0)
	v_cvt_f16_i16_e32 v5, v1
	s_branch .LBB216_936
.LBB216_935:
	s_mov_b64 s[0:1], -1
                                        ; implicit-def: $vgpr5
.LBB216_936:
	s_andn2_b64 vcc, exec, s[0:1]
	s_cbranch_vccnz .LBB216_938
; %bb.937:
	global_load_ubyte v1, v[3:4], off
	s_waitcnt vmcnt(0)
	v_cvt_f16_u16_e32 v5, v1
.LBB216_938:
	s_mov_b64 s[0:1], -1
.LBB216_939:
	s_andn2_b64 vcc, exec, s[0:1]
	s_cbranch_vccnz .LBB216_947
; %bb.940:
	v_mov_b32_e32 v3, s13
	s_and_b32 s64, s72, 0xff
	v_add_co_u32_e32 v1, vcc, s12, v2
	s_cmp_lt_i32 s64, 11
	v_addc_co_u32_e32 v2, vcc, 0, v3, vcc
	s_cbranch_scc1 .LBB216_949
; %bb.941:
	s_and_b32 s65, 0xffff, s64
	s_cmp_gt_i32 s65, 25
	s_cbranch_scc0 .LBB216_950
; %bb.942:
	s_cmp_gt_i32 s65, 28
	s_cbranch_scc0 .LBB216_951
; %bb.943:
	;; [unrolled: 3-line block ×4, first 2 shown]
	s_cmp_eq_u32 s65, 46
	s_mov_b64 s[60:61], 0
	s_cbranch_scc0 .LBB216_956
; %bb.946:
	global_load_dword v3, v[1:2], off
	s_mov_b64 s[0:1], -1
	s_mov_b64 s[58:59], 0
	s_waitcnt vmcnt(0)
	v_lshlrev_b32_e32 v3, 16, v3
	v_cvt_f16_f32_e32 v3, v3
	s_branch .LBB216_957
.LBB216_947:
	s_mov_b64 s[62:63], 0
	s_mov_b64 s[0:1], s[50:51]
	;; [unrolled: 1-line block ×3, first 2 shown]
.LBB216_948:
                                        ; implicit-def: $vgpr8
	s_branch .LBB216_1195
.LBB216_949:
	s_mov_b64 s[60:61], -1
	s_mov_b64 s[0:1], 0
                                        ; implicit-def: $vgpr3
	s_mov_b64 s[58:59], s[48:49]
	s_branch .LBB216_1022
.LBB216_950:
	s_mov_b64 s[60:61], -1
	s_mov_b64 s[0:1], 0
	s_mov_b64 s[58:59], s[48:49]
                                        ; implicit-def: $vgpr3
	s_branch .LBB216_986
.LBB216_951:
	s_mov_b64 s[60:61], -1
	s_mov_b64 s[0:1], 0
	s_mov_b64 s[58:59], s[48:49]
                                        ; implicit-def: $vgpr3
	s_branch .LBB216_967
.LBB216_952:
	s_mov_b64 s[60:61], -1
	s_mov_b64 s[0:1], 0
	s_mov_b64 s[58:59], s[48:49]
                                        ; implicit-def: $vgpr3
	s_branch .LBB216_962
.LBB216_953:
	s_mov_b64 s[60:61], -1
	s_mov_b64 s[0:1], 0
	s_mov_b64 s[58:59], s[48:49]
                                        ; implicit-def: $vgpr3
	s_branch .LBB216_957
.LBB216_954:
	s_andn2_saveexec_b64 s[56:57], s[56:57]
	s_cbranch_execz .LBB216_718
.LBB216_955:
	s_mov_b32 s60, 0x42800000
	v_add_f32_e64 v4, |v3|, s60
	v_and_b32_e32 v4, 0xff, v4
	v_cmp_ne_u32_e32 vcc, 0, v4
	s_andn2_b64 s[54:55], s[54:55], exec
	s_and_b64 s[60:61], vcc, exec
	s_or_b64 s[54:55], s[54:55], s[60:61]
	s_or_b64 exec, exec, s[56:57]
	v_mov_b32_e32 v5, 0
	s_and_saveexec_b64 s[56:57], s[54:55]
	s_cbranch_execnz .LBB216_719
	s_branch .LBB216_720
.LBB216_956:
	s_mov_b64 s[58:59], -1
                                        ; implicit-def: $vgpr3
	s_mov_b64 s[0:1], 0
.LBB216_957:
	s_and_b64 vcc, exec, s[60:61]
	s_cbranch_vccz .LBB216_961
; %bb.958:
	s_cmp_eq_u32 s65, 44
	s_cbranch_scc0 .LBB216_960
; %bb.959:
	global_load_ubyte v3, v[1:2], off
	s_movk_i32 s58, 0xff
	v_mov_b32_e32 v6, 0x7e00
	s_mov_b64 s[0:1], -1
	s_waitcnt vmcnt(0)
	v_lshlrev_b32_e32 v4, 23, v3
	v_cvt_f16_f32_e32 v4, v4
	v_cmp_ne_u32_e32 vcc, s58, v3
	s_mov_b64 s[58:59], 0
	v_cndmask_b32_e32 v4, v6, v4, vcc
	v_cmp_ne_u32_e32 vcc, 0, v3
	v_cndmask_b32_e32 v3, 0, v4, vcc
	s_branch .LBB216_961
.LBB216_960:
	s_mov_b64 s[58:59], -1
                                        ; implicit-def: $vgpr3
.LBB216_961:
	s_mov_b64 s[60:61], 0
.LBB216_962:
	s_and_b64 vcc, exec, s[60:61]
	s_cbranch_vccz .LBB216_966
; %bb.963:
	s_cmp_eq_u32 s65, 29
	s_cbranch_scc0 .LBB216_965
; %bb.964:
	global_load_dwordx2 v[3:4], v[1:2], off
	s_mov_b64 s[0:1], -1
	s_mov_b64 s[58:59], 0
	s_mov_b64 s[60:61], 0
	s_waitcnt vmcnt(0)
	v_ffbh_u32_e32 v6, v4
	v_min_u32_e32 v6, 32, v6
	v_lshlrev_b64 v[3:4], v6, v[3:4]
	v_min_u32_e32 v3, 1, v3
	v_or_b32_e32 v3, v4, v3
	v_cvt_f32_u32_e32 v3, v3
	v_sub_u32_e32 v4, 32, v6
	v_ldexp_f32 v3, v3, v4
	v_cvt_f16_f32_e32 v3, v3
	s_branch .LBB216_967
.LBB216_965:
	s_mov_b64 s[58:59], -1
                                        ; implicit-def: $vgpr3
.LBB216_966:
	s_mov_b64 s[60:61], 0
.LBB216_967:
	s_and_b64 vcc, exec, s[60:61]
	s_cbranch_vccz .LBB216_985
; %bb.968:
	s_cmp_lt_i32 s65, 27
	s_cbranch_scc1 .LBB216_971
; %bb.969:
	s_cmp_gt_i32 s65, 27
	s_cbranch_scc0 .LBB216_972
; %bb.970:
	global_load_dword v3, v[1:2], off
	s_mov_b64 s[0:1], 0
	s_waitcnt vmcnt(0)
	v_cvt_f32_u32_e32 v3, v3
	v_cvt_f16_f32_e32 v3, v3
	s_branch .LBB216_973
.LBB216_971:
	s_mov_b64 s[0:1], -1
                                        ; implicit-def: $vgpr3
	s_branch .LBB216_976
.LBB216_972:
	s_mov_b64 s[0:1], -1
                                        ; implicit-def: $vgpr3
.LBB216_973:
	s_andn2_b64 vcc, exec, s[0:1]
	s_cbranch_vccnz .LBB216_975
; %bb.974:
	global_load_ushort v3, v[1:2], off
	s_waitcnt vmcnt(0)
	v_cvt_f16_u16_e32 v3, v3
.LBB216_975:
	s_mov_b64 s[0:1], 0
.LBB216_976:
	s_andn2_b64 vcc, exec, s[0:1]
	s_cbranch_vccnz .LBB216_984
; %bb.977:
	global_load_ubyte v4, v[1:2], off
	s_movk_i32 s0, 0x7f
	s_waitcnt vmcnt(0)
	v_cmp_lt_i16_e32 vcc, s0, v4
	s_mov_b64 s[0:1], 0
	s_and_saveexec_b64 s[60:61], vcc
	s_xor_b64 s[60:61], exec, s[60:61]
	s_cbranch_execz .LBB216_998
; %bb.978:
	s_movk_i32 s0, 0x80
	v_cmp_eq_u16_e32 vcc, s0, v4
	s_mov_b64 s[0:1], -1
	s_and_saveexec_b64 s[62:63], vcc
; %bb.979:
	s_xor_b64 s[0:1], exec, -1
; %bb.980:
	s_or_b64 exec, exec, s[62:63]
	s_and_b64 s[0:1], s[0:1], exec
	s_or_saveexec_b64 s[60:61], s[60:61]
	v_mov_b32_e32 v3, 0x7e00
	s_xor_b64 exec, exec, s[60:61]
	s_cbranch_execnz .LBB216_999
.LBB216_981:
	s_or_b64 exec, exec, s[60:61]
	s_and_saveexec_b64 s[60:61], s[0:1]
	s_cbranch_execz .LBB216_983
.LBB216_982:
	v_lshlrev_b32_e32 v3, 24, v4
	v_and_b32_e32 v4, 0xffff, v4
	v_and_b32_e32 v6, 7, v4
	v_ffbh_u32_e32 v9, v6
	v_min_u32_e32 v9, 32, v9
	v_subrev_u32_e32 v10, 28, v9
	v_bfe_u32 v7, v4, 3, 4
	v_lshlrev_b32_e32 v4, v10, v4
	v_sub_u32_e32 v9, 29, v9
	v_and_b32_e32 v4, 7, v4
	v_cmp_eq_u32_e32 vcc, 0, v7
	v_cndmask_b32_e32 v7, v7, v9, vcc
	v_cndmask_b32_e32 v4, v6, v4, vcc
	v_mov_b32_e32 v6, 0x3b800000
	v_lshlrev_b32_e32 v4, 20, v4
	v_and_b32_e32 v3, 0x80000000, v3
	v_lshl_add_u32 v6, v7, 23, v6
	v_or3_b32 v3, v3, v6, v4
	v_cvt_f16_f32_e32 v3, v3
.LBB216_983:
	s_or_b64 exec, exec, s[60:61]
.LBB216_984:
	s_mov_b64 s[0:1], -1
.LBB216_985:
	s_mov_b64 s[60:61], 0
.LBB216_986:
	s_and_b64 vcc, exec, s[60:61]
	s_cbranch_vccz .LBB216_1021
; %bb.987:
	s_cmp_gt_i32 s65, 22
	s_cbranch_scc0 .LBB216_997
; %bb.988:
	s_cmp_lt_i32 s65, 24
	s_cbranch_scc1 .LBB216_1000
; %bb.989:
	s_cmp_gt_i32 s65, 24
	s_cbranch_scc0 .LBB216_1001
; %bb.990:
	global_load_ubyte v4, v[1:2], off
	s_movk_i32 s0, 0x7f
	s_waitcnt vmcnt(0)
	v_cmp_lt_i16_e32 vcc, s0, v4
	s_mov_b64 s[0:1], 0
	s_and_saveexec_b64 s[60:61], vcc
	s_xor_b64 s[60:61], exec, s[60:61]
	s_cbranch_execz .LBB216_1013
; %bb.991:
	s_movk_i32 s0, 0x80
	v_cmp_eq_u16_e32 vcc, s0, v4
	s_mov_b64 s[0:1], -1
	s_and_saveexec_b64 s[62:63], vcc
; %bb.992:
	s_xor_b64 s[0:1], exec, -1
; %bb.993:
	s_or_b64 exec, exec, s[62:63]
	s_and_b64 s[0:1], s[0:1], exec
	s_or_saveexec_b64 s[60:61], s[60:61]
	v_mov_b32_e32 v3, 0x7e00
	s_xor_b64 exec, exec, s[60:61]
	s_cbranch_execnz .LBB216_1014
.LBB216_994:
	s_or_b64 exec, exec, s[60:61]
	s_and_saveexec_b64 s[60:61], s[0:1]
	s_cbranch_execz .LBB216_996
.LBB216_995:
	v_lshlrev_b32_e32 v3, 24, v4
	v_and_b32_e32 v4, 0xffff, v4
	v_and_b32_e32 v6, 3, v4
	v_ffbh_u32_e32 v9, v6
	v_min_u32_e32 v9, 32, v9
	v_subrev_u32_e32 v10, 29, v9
	v_bfe_u32 v7, v4, 2, 5
	v_lshlrev_b32_e32 v4, v10, v4
	v_sub_u32_e32 v9, 30, v9
	v_and_b32_e32 v4, 3, v4
	v_cmp_eq_u32_e32 vcc, 0, v7
	v_cndmask_b32_e32 v7, v7, v9, vcc
	v_cndmask_b32_e32 v4, v6, v4, vcc
	v_mov_b32_e32 v6, 0x37800000
	v_lshlrev_b32_e32 v4, 21, v4
	v_and_b32_e32 v3, 0x80000000, v3
	v_lshl_add_u32 v6, v7, 23, v6
	v_or3_b32 v3, v3, v6, v4
	v_cvt_f16_f32_e32 v3, v3
.LBB216_996:
	s_or_b64 exec, exec, s[60:61]
	s_mov_b64 s[0:1], 0
	s_branch .LBB216_1002
.LBB216_997:
	s_mov_b64 s[60:61], -1
                                        ; implicit-def: $vgpr3
	s_branch .LBB216_1008
.LBB216_998:
	s_or_saveexec_b64 s[60:61], s[60:61]
	v_mov_b32_e32 v3, 0x7e00
	s_xor_b64 exec, exec, s[60:61]
	s_cbranch_execz .LBB216_981
.LBB216_999:
	v_cmp_ne_u16_e32 vcc, 0, v4
	s_andn2_b64 s[0:1], s[0:1], exec
	s_and_b64 s[62:63], vcc, exec
	s_or_b64 s[0:1], s[0:1], s[62:63]
	v_mov_b32_e32 v3, v4
	s_or_b64 exec, exec, s[60:61]
	s_and_saveexec_b64 s[60:61], s[0:1]
	s_cbranch_execnz .LBB216_982
	s_branch .LBB216_983
.LBB216_1000:
	s_mov_b64 s[0:1], -1
                                        ; implicit-def: $vgpr3
	s_branch .LBB216_1005
.LBB216_1001:
	s_mov_b64 s[0:1], -1
                                        ; implicit-def: $vgpr3
.LBB216_1002:
	s_and_b64 vcc, exec, s[0:1]
	s_cbranch_vccz .LBB216_1004
; %bb.1003:
	global_load_ubyte v3, v[1:2], off
	s_mov_b32 s0, 0x7f800000
	s_waitcnt vmcnt(0)
	v_lshlrev_b32_e32 v3, 24, v3
	v_and_b32_e32 v4, 0x7f000000, v3
	v_ffbh_u32_e32 v6, v4
	v_min_u32_e32 v6, 32, v6
	v_sub_u32_e64 v6, v6, 4 clamp
	v_lshlrev_b32_e32 v9, v6, v4
	v_lshlrev_b32_e32 v6, 23, v6
	v_lshrrev_b32_e32 v9, 4, v9
	v_add_u32_e32 v7, 0x1000000, v4
	v_sub_u32_e32 v6, v9, v6
	v_ashrrev_i32_e32 v7, 8, v7
	v_add_u32_e32 v6, 0x3c000000, v6
	v_and_or_b32 v6, v7, s0, v6
	v_cmp_ne_u32_e32 vcc, 0, v4
	v_cndmask_b32_e32 v4, 0, v6, vcc
	s_brev_b32 s0, 1
	v_and_or_b32 v3, v3, s0, v4
	v_cvt_f16_f32_e32 v3, v3
.LBB216_1004:
	s_mov_b64 s[0:1], 0
.LBB216_1005:
	s_andn2_b64 vcc, exec, s[0:1]
	s_cbranch_vccnz .LBB216_1007
; %bb.1006:
	global_load_ubyte v3, v[1:2], off
	s_movk_i32 s0, 0x7f00
	s_brev_b32 s1, 16
	s_waitcnt vmcnt(0)
	v_lshlrev_b16_e32 v4, 8, v3
	v_lshlrev_b32_e32 v3, 25, v3
	v_lshrrev_b32_e32 v6, 4, v3
	v_and_or_b32 v7, v4, s0, 0.5
	v_or_b32_e32 v6, 0x70000000, v6
	v_add_f32_e32 v7, -0.5, v7
	v_mul_f32_e32 v6, 0x7800000, v6
	v_cmp_gt_u32_e32 vcc, s1, v3
	v_bfe_i32 v4, v4, 0, 16
	v_cndmask_b32_e32 v3, v6, v7, vcc
	s_brev_b32 s0, 1
	v_and_or_b32 v3, v4, s0, v3
	v_cvt_f16_f32_e32 v3, v3
.LBB216_1007:
	s_mov_b64 s[60:61], 0
	s_mov_b64 s[0:1], -1
.LBB216_1008:
	s_andn2_b64 vcc, exec, s[60:61]
	s_cbranch_vccnz .LBB216_1021
; %bb.1009:
	s_cmp_gt_i32 s65, 14
	s_cbranch_scc0 .LBB216_1012
; %bb.1010:
	s_cmp_eq_u32 s65, 15
	s_cbranch_scc0 .LBB216_1015
; %bb.1011:
	global_load_ushort v3, v[1:2], off
	s_mov_b64 s[0:1], -1
	s_mov_b64 s[58:59], 0
	s_waitcnt vmcnt(0)
	v_lshlrev_b32_e32 v3, 16, v3
	v_cvt_f16_f32_e32 v3, v3
	s_branch .LBB216_1016
.LBB216_1012:
	s_mov_b64 s[60:61], -1
                                        ; implicit-def: $vgpr3
	s_branch .LBB216_1017
.LBB216_1013:
	s_or_saveexec_b64 s[60:61], s[60:61]
	v_mov_b32_e32 v3, 0x7e00
	s_xor_b64 exec, exec, s[60:61]
	s_cbranch_execz .LBB216_994
.LBB216_1014:
	v_cmp_ne_u16_e32 vcc, 0, v4
	s_andn2_b64 s[0:1], s[0:1], exec
	s_and_b64 s[62:63], vcc, exec
	s_or_b64 s[0:1], s[0:1], s[62:63]
	v_mov_b32_e32 v3, v4
	s_or_b64 exec, exec, s[60:61]
	s_and_saveexec_b64 s[60:61], s[0:1]
	s_cbranch_execnz .LBB216_995
	s_branch .LBB216_996
.LBB216_1015:
	s_mov_b64 s[58:59], -1
                                        ; implicit-def: $vgpr3
.LBB216_1016:
	s_mov_b64 s[60:61], 0
.LBB216_1017:
	s_and_b64 vcc, exec, s[60:61]
	s_cbranch_vccz .LBB216_1021
; %bb.1018:
	s_cmp_eq_u32 s65, 11
	s_cbranch_scc0 .LBB216_1020
; %bb.1019:
	global_load_ubyte v3, v[1:2], off
	v_mov_b32_e32 v4, 0x3c00
	s_mov_b64 s[0:1], -1
	s_mov_b64 s[58:59], 0
	s_waitcnt vmcnt(0)
	v_cmp_ne_u16_e32 vcc, 0, v3
	v_cndmask_b32_e32 v3, 0, v4, vcc
	s_branch .LBB216_1021
.LBB216_1020:
	s_mov_b64 s[58:59], -1
                                        ; implicit-def: $vgpr3
.LBB216_1021:
	s_mov_b64 s[60:61], 0
.LBB216_1022:
	s_and_b64 vcc, exec, s[60:61]
	s_cbranch_vccz .LBB216_1071
; %bb.1023:
	s_and_b32 s60, 0xffff, s64
	s_cmp_lt_i32 s60, 5
	s_cbranch_scc1 .LBB216_1028
; %bb.1024:
	s_cmp_lt_i32 s60, 8
	s_cbranch_scc1 .LBB216_1029
; %bb.1025:
	;; [unrolled: 3-line block ×3, first 2 shown]
	s_cmp_gt_i32 s60, 9
	s_cbranch_scc0 .LBB216_1031
; %bb.1027:
	global_load_dwordx2 v[3:4], v[1:2], off
	s_movk_i32 s0, 0x1ff
	s_movk_i32 s1, 0xffe
	v_mov_b32_e32 v6, 0x7c00
	v_mov_b32_e32 v7, 0x7e00
	s_movk_i32 s61, 0x40f
	s_mov_b32 s62, 0x8000
	s_waitcnt vmcnt(0)
	v_and_or_b32 v3, v4, s0, v3
	v_cmp_ne_u32_e32 vcc, 0, v3
	v_lshrrev_b32_e32 v9, 8, v4
	v_bfe_u32 v10, v4, 20, 11
	v_cndmask_b32_e64 v3, 0, 1, vcc
	v_sub_u32_e32 v11, 0x3f1, v10
	v_and_or_b32 v3, v9, s1, v3
	v_add_u32_e32 v10, 0xfffffc10, v10
	v_med3_i32 v9, v11, 0, 13
	v_or_b32_e32 v11, 0x1000, v3
	v_cmp_ne_u32_e32 vcc, 0, v3
	v_lshl_or_b32 v12, v10, 12, v3
	v_cndmask_b32_e32 v3, v6, v7, vcc
	v_lshrrev_b32_e32 v7, v9, v11
	v_lshlrev_b32_e32 v9, v9, v7
	v_cmp_ne_u32_e32 vcc, v9, v11
	v_cndmask_b32_e64 v9, 0, 1, vcc
	v_or_b32_e32 v7, v7, v9
	v_cmp_gt_i32_e32 vcc, 1, v10
	v_cndmask_b32_e32 v7, v12, v7, vcc
	v_and_b32_e32 v9, 7, v7
	v_cmp_lt_i32_e32 vcc, 5, v9
	v_cndmask_b32_e64 v11, 0, 1, vcc
	v_cmp_eq_u32_e32 vcc, 3, v9
	v_cndmask_b32_e64 v9, 0, 1, vcc
	v_lshrrev_b32_e32 v7, 2, v7
	v_or_b32_e32 v9, v9, v11
	v_add_u32_e32 v7, v7, v9
	v_cmp_gt_i32_e32 vcc, 31, v10
	v_cndmask_b32_e32 v6, v6, v7, vcc
	v_cmp_eq_u32_e32 vcc, s61, v10
	v_lshrrev_b32_e32 v4, 16, v4
	v_cndmask_b32_e32 v3, v6, v3, vcc
	v_and_or_b32 v3, v4, s62, v3
	s_mov_b64 s[0:1], 0
	s_branch .LBB216_1032
.LBB216_1028:
	s_mov_b64 s[0:1], -1
                                        ; implicit-def: $vgpr3
	s_branch .LBB216_1050
.LBB216_1029:
	s_mov_b64 s[0:1], -1
                                        ; implicit-def: $vgpr3
	s_branch .LBB216_1038
.LBB216_1030:
	s_mov_b64 s[0:1], -1
                                        ; implicit-def: $vgpr3
	s_branch .LBB216_1035
.LBB216_1031:
	s_mov_b64 s[0:1], -1
                                        ; implicit-def: $vgpr3
.LBB216_1032:
	s_andn2_b64 vcc, exec, s[0:1]
	s_cbranch_vccnz .LBB216_1034
; %bb.1033:
	global_load_dword v3, v[1:2], off
	s_waitcnt vmcnt(0)
	v_cvt_f16_f32_e32 v3, v3
.LBB216_1034:
	s_mov_b64 s[0:1], 0
.LBB216_1035:
	s_andn2_b64 vcc, exec, s[0:1]
	s_cbranch_vccnz .LBB216_1037
; %bb.1036:
	global_load_dword v3, v[1:2], off
.LBB216_1037:
	s_mov_b64 s[0:1], 0
.LBB216_1038:
	s_andn2_b64 vcc, exec, s[0:1]
	s_cbranch_vccnz .LBB216_1049
; %bb.1039:
	s_cmp_lt_i32 s60, 6
	s_cbranch_scc1 .LBB216_1042
; %bb.1040:
	s_cmp_gt_i32 s60, 6
	s_cbranch_scc0 .LBB216_1043
; %bb.1041:
	global_load_dwordx2 v[3:4], v[1:2], off
	s_movk_i32 s0, 0x1ff
	s_movk_i32 s1, 0xffe
	v_mov_b32_e32 v6, 0x7c00
	v_mov_b32_e32 v7, 0x7e00
	s_movk_i32 s61, 0x40f
	s_mov_b32 s62, 0x8000
	s_waitcnt vmcnt(0)
	v_and_or_b32 v3, v4, s0, v3
	v_cmp_ne_u32_e32 vcc, 0, v3
	v_lshrrev_b32_e32 v9, 8, v4
	v_bfe_u32 v10, v4, 20, 11
	v_cndmask_b32_e64 v3, 0, 1, vcc
	v_sub_u32_e32 v11, 0x3f1, v10
	v_and_or_b32 v3, v9, s1, v3
	v_add_u32_e32 v10, 0xfffffc10, v10
	v_med3_i32 v9, v11, 0, 13
	v_or_b32_e32 v11, 0x1000, v3
	v_cmp_ne_u32_e32 vcc, 0, v3
	v_lshl_or_b32 v12, v10, 12, v3
	v_cndmask_b32_e32 v3, v6, v7, vcc
	v_lshrrev_b32_e32 v7, v9, v11
	v_lshlrev_b32_e32 v9, v9, v7
	v_cmp_ne_u32_e32 vcc, v9, v11
	v_cndmask_b32_e64 v9, 0, 1, vcc
	v_or_b32_e32 v7, v7, v9
	v_cmp_gt_i32_e32 vcc, 1, v10
	v_cndmask_b32_e32 v7, v12, v7, vcc
	v_and_b32_e32 v9, 7, v7
	v_cmp_lt_i32_e32 vcc, 5, v9
	v_cndmask_b32_e64 v11, 0, 1, vcc
	v_cmp_eq_u32_e32 vcc, 3, v9
	v_cndmask_b32_e64 v9, 0, 1, vcc
	v_lshrrev_b32_e32 v7, 2, v7
	v_or_b32_e32 v9, v9, v11
	v_add_u32_e32 v7, v7, v9
	v_cmp_gt_i32_e32 vcc, 31, v10
	v_cndmask_b32_e32 v6, v6, v7, vcc
	v_cmp_eq_u32_e32 vcc, s61, v10
	v_lshrrev_b32_e32 v4, 16, v4
	v_cndmask_b32_e32 v3, v6, v3, vcc
	v_and_or_b32 v3, v4, s62, v3
	s_mov_b64 s[0:1], 0
	s_branch .LBB216_1044
.LBB216_1042:
	s_mov_b64 s[0:1], -1
                                        ; implicit-def: $vgpr3
	s_branch .LBB216_1047
.LBB216_1043:
	s_mov_b64 s[0:1], -1
                                        ; implicit-def: $vgpr3
.LBB216_1044:
	s_andn2_b64 vcc, exec, s[0:1]
	s_cbranch_vccnz .LBB216_1046
; %bb.1045:
	global_load_dword v3, v[1:2], off
	s_waitcnt vmcnt(0)
	v_cvt_f16_f32_e32 v3, v3
.LBB216_1046:
	s_mov_b64 s[0:1], 0
.LBB216_1047:
	s_andn2_b64 vcc, exec, s[0:1]
	s_cbranch_vccnz .LBB216_1049
; %bb.1048:
	global_load_ushort v3, v[1:2], off
.LBB216_1049:
	s_mov_b64 s[0:1], 0
.LBB216_1050:
	s_andn2_b64 vcc, exec, s[0:1]
	s_cbranch_vccnz .LBB216_1070
; %bb.1051:
	s_cmp_lt_i32 s60, 2
	s_cbranch_scc1 .LBB216_1055
; %bb.1052:
	s_cmp_lt_i32 s60, 3
	s_cbranch_scc1 .LBB216_1056
; %bb.1053:
	s_cmp_gt_i32 s60, 3
	s_cbranch_scc0 .LBB216_1057
; %bb.1054:
	global_load_dwordx2 v[3:4], v[1:2], off
	s_mov_b64 s[0:1], 0
	s_waitcnt vmcnt(0)
	v_xor_b32_e32 v7, v3, v4
	v_ffbh_i32_e32 v6, v4
	v_ashrrev_i32_e32 v7, 31, v7
	v_add_u32_e32 v6, -1, v6
	v_add_u32_e32 v7, 32, v7
	v_min_u32_e32 v6, v6, v7
	v_lshlrev_b64 v[3:4], v6, v[3:4]
	v_min_u32_e32 v3, 1, v3
	v_or_b32_e32 v3, v4, v3
	v_cvt_f32_i32_e32 v3, v3
	v_sub_u32_e32 v4, 32, v6
	v_ldexp_f32 v3, v3, v4
	v_cvt_f16_f32_e32 v3, v3
	s_branch .LBB216_1058
.LBB216_1055:
	s_mov_b64 s[0:1], -1
                                        ; implicit-def: $vgpr3
	s_branch .LBB216_1064
.LBB216_1056:
	s_mov_b64 s[0:1], -1
                                        ; implicit-def: $vgpr3
	s_branch .LBB216_1061
.LBB216_1057:
	s_mov_b64 s[0:1], -1
                                        ; implicit-def: $vgpr3
.LBB216_1058:
	s_andn2_b64 vcc, exec, s[0:1]
	s_cbranch_vccnz .LBB216_1060
; %bb.1059:
	global_load_dword v3, v[1:2], off
	s_waitcnt vmcnt(0)
	v_cvt_f32_i32_e32 v3, v3
	v_cvt_f16_f32_e32 v3, v3
.LBB216_1060:
	s_mov_b64 s[0:1], 0
.LBB216_1061:
	s_andn2_b64 vcc, exec, s[0:1]
	s_cbranch_vccnz .LBB216_1063
; %bb.1062:
	global_load_ushort v3, v[1:2], off
	s_waitcnt vmcnt(0)
	v_cvt_f16_i16_e32 v3, v3
.LBB216_1063:
	s_mov_b64 s[0:1], 0
.LBB216_1064:
	s_andn2_b64 vcc, exec, s[0:1]
	s_cbranch_vccnz .LBB216_1070
; %bb.1065:
	s_cmp_gt_i32 s60, 0
	s_cbranch_scc0 .LBB216_1067
; %bb.1066:
	global_load_sbyte v3, v[1:2], off
	s_mov_b64 s[0:1], 0
	s_waitcnt vmcnt(0)
	v_cvt_f16_i16_e32 v3, v3
	s_branch .LBB216_1068
.LBB216_1067:
	s_mov_b64 s[0:1], -1
                                        ; implicit-def: $vgpr3
.LBB216_1068:
	s_andn2_b64 vcc, exec, s[0:1]
	s_cbranch_vccnz .LBB216_1070
; %bb.1069:
	global_load_ubyte v1, v[1:2], off
	s_waitcnt vmcnt(0)
	v_cvt_f16_u16_e32 v3, v1
.LBB216_1070:
	s_mov_b64 s[0:1], -1
.LBB216_1071:
	s_andn2_b64 vcc, exec, s[0:1]
	s_cbranch_vccnz .LBB216_1079
; %bb.1072:
	v_mov_b32_e32 v1, s71
	s_waitcnt vmcnt(0)
	v_cmp_ge_f16_e32 vcc, s14, v5
	v_cndmask_b32_e32 v2, v3, v1, vcc
	v_mov_b32_e32 v1, s9
	s_and_b32 s66, s15, 0xff
	v_add_co_u32_e32 v0, vcc, s8, v0
	s_cmp_lt_i32 s66, 11
	v_addc_co_u32_e32 v1, vcc, 0, v1, vcc
	s_cbranch_scc1 .LBB216_1080
; %bb.1073:
	s_and_b32 s67, 0xffff, s66
	s_cmp_gt_i32 s67, 25
	s_cbranch_scc0 .LBB216_1081
; %bb.1074:
	s_cmp_gt_i32 s67, 28
	s_cbranch_scc0 .LBB216_1082
; %bb.1075:
	s_cmp_gt_i32 s67, 43
	s_cbranch_scc0 .LBB216_1083
; %bb.1076:
	s_cmp_gt_i32 s67, 45
	s_cbranch_scc0 .LBB216_1084
; %bb.1077:
	s_mov_b64 s[62:63], 0
	s_mov_b64 s[0:1], -1
	s_cmp_eq_u32 s67, 46
	s_mov_b64 s[60:61], 0
	s_cbranch_scc0 .LBB216_1085
; %bb.1078:
	v_cvt_f32_f16_e32 v3, v2
	s_movk_i32 s0, 0x7fff
	v_cmp_o_f16_e32 vcc, v2, v2
	v_mov_b32_e32 v4, 0x7fc0
	v_bfe_u32 v5, v3, 16, 1
	v_add3_u32 v3, v3, v5, s0
	v_cndmask_b32_sdwa v3, v4, v3, vcc dst_sel:DWORD dst_unused:UNUSED_PAD src0_sel:DWORD src1_sel:WORD_1
	global_store_dword v[0:1], v3, off
	s_mov_b64 s[60:61], -1
	s_mov_b64 s[0:1], 0
	s_branch .LBB216_1085
.LBB216_1079:
	s_mov_b64 s[62:63], 0
                                        ; implicit-def: $vgpr8
	s_mov_b64 s[0:1], s[50:51]
	s_branch .LBB216_1195
.LBB216_1080:
	s_mov_b64 s[62:63], -1
	s_mov_b64 s[60:61], 0
	s_mov_b64 s[0:1], s[50:51]
	s_branch .LBB216_1154
.LBB216_1081:
	s_mov_b64 s[62:63], -1
	s_mov_b64 s[60:61], 0
	s_mov_b64 s[0:1], s[50:51]
	s_branch .LBB216_1112
.LBB216_1082:
	s_mov_b64 s[62:63], -1
	s_mov_b64 s[60:61], 0
	s_mov_b64 s[0:1], s[50:51]
	s_branch .LBB216_1095
.LBB216_1083:
	s_mov_b64 s[62:63], -1
	s_mov_b64 s[60:61], 0
	s_mov_b64 s[0:1], s[50:51]
	s_branch .LBB216_1091
.LBB216_1084:
	s_mov_b64 s[62:63], -1
	s_mov_b64 s[60:61], 0
	s_mov_b64 s[0:1], s[50:51]
.LBB216_1085:
	s_and_b64 vcc, exec, s[62:63]
	s_cbranch_vccz .LBB216_1090
; %bb.1086:
	s_cmp_eq_u32 s67, 44
	s_mov_b64 s[0:1], -1
	s_cbranch_scc0 .LBB216_1090
; %bb.1087:
	v_cvt_f32_f16_e32 v3, v2
	s_movk_i32 s0, 0xff
	v_mov_b32_e32 v5, 0xff
	v_bfe_u32 v4, v3, 23, 8
	v_cmp_ne_u32_e32 vcc, s0, v4
	s_and_saveexec_b64 s[60:61], vcc
; %bb.1088:
	s_mov_b32 s0, 0x3fffff
	v_lshrrev_b32_e32 v5, 23, v3
	v_and_b32_e32 v6, 0x400000, v3
	v_and_or_b32 v3, v3, s0, v4
	v_cmp_ne_u32_e32 vcc, 0, v6
	v_cmp_ne_u32_e64 s[0:1], 0, v3
	s_and_b64 s[0:1], vcc, s[0:1]
	v_cndmask_b32_e64 v3, 0, 1, s[0:1]
	v_add_u32_e32 v5, v5, v3
; %bb.1089:
	s_or_b64 exec, exec, s[60:61]
	s_mov_b64 s[60:61], -1
	s_mov_b64 s[0:1], 0
	global_store_byte v[0:1], v5, off
.LBB216_1090:
	s_mov_b64 s[62:63], 0
.LBB216_1091:
	s_and_b64 vcc, exec, s[62:63]
	s_cbranch_vccz .LBB216_1094
; %bb.1092:
	s_cmp_eq_u32 s67, 29
	s_mov_b64 s[0:1], -1
	s_cbranch_scc0 .LBB216_1094
; %bb.1093:
	v_cvt_f32_f16_e32 v3, v2
	v_mov_b32_e32 v4, 0
	s_mov_b64 s[60:61], -1
	s_mov_b64 s[0:1], 0
	v_cvt_u32_f32_e32 v3, v3
	s_mov_b64 s[62:63], 0
	global_store_dwordx2 v[0:1], v[3:4], off
	s_branch .LBB216_1095
.LBB216_1094:
	s_mov_b64 s[62:63], 0
.LBB216_1095:
	s_and_b64 vcc, exec, s[62:63]
	s_cbranch_vccz .LBB216_1111
; %bb.1096:
	s_cmp_lt_i32 s67, 27
	s_mov_b64 s[60:61], -1
	s_cbranch_scc1 .LBB216_1102
; %bb.1097:
	s_cmp_gt_i32 s67, 27
	s_cbranch_scc0 .LBB216_1099
; %bb.1098:
	v_cvt_f32_f16_e32 v3, v2
	s_mov_b64 s[60:61], 0
	v_cvt_u32_f32_e32 v3, v3
	global_store_dword v[0:1], v3, off
.LBB216_1099:
	s_andn2_b64 vcc, exec, s[60:61]
	s_cbranch_vccnz .LBB216_1101
; %bb.1100:
	v_cvt_u16_f16_e32 v3, v2
	global_store_short v[0:1], v3, off
.LBB216_1101:
	s_mov_b64 s[60:61], 0
.LBB216_1102:
	s_andn2_b64 vcc, exec, s[60:61]
	s_cbranch_vccnz .LBB216_1110
; %bb.1103:
	v_cvt_f32_f16_e32 v3, v2
	s_mov_b32 s60, 0x43800000
	v_mov_b32_e32 v5, 0x80
	v_and_b32_e32 v4, 0x7fffffff, v3
	v_cmp_gt_u32_e32 vcc, s60, v4
	s_and_saveexec_b64 s[60:61], vcc
	s_cbranch_execz .LBB216_1109
; %bb.1104:
	s_mov_b32 s62, 0x3bffffff
	v_cmp_lt_u32_e32 vcc, s62, v4
	s_mov_b64 s[62:63], 0
                                        ; implicit-def: $vgpr4
	s_and_saveexec_b64 s[64:65], vcc
	s_xor_b64 s[64:65], exec, s[64:65]
	s_cbranch_execz .LBB216_1223
; %bb.1105:
	v_bfe_u32 v4, v3, 20, 1
	s_mov_b32 s69, 0x487ffff
	v_add3_u32 v4, v3, v4, s69
	s_mov_b64 s[62:63], exec
	v_lshrrev_b32_e32 v4, 20, v4
	s_andn2_saveexec_b64 s[64:65], s[64:65]
	s_cbranch_execnz .LBB216_1224
.LBB216_1106:
	s_or_b64 exec, exec, s[64:65]
	v_mov_b32_e32 v5, 0
	s_and_saveexec_b64 s[64:65], s[62:63]
.LBB216_1107:
	v_lshrrev_b32_e32 v3, 24, v3
	s_movk_i32 s62, 0x80
	v_and_or_b32 v5, v3, s62, v4
.LBB216_1108:
	s_or_b64 exec, exec, s[64:65]
.LBB216_1109:
	s_or_b64 exec, exec, s[60:61]
	global_store_byte v[0:1], v5, off
.LBB216_1110:
	s_mov_b64 s[60:61], -1
.LBB216_1111:
	s_mov_b64 s[62:63], 0
.LBB216_1112:
	s_and_b64 vcc, exec, s[62:63]
	s_cbranch_vccz .LBB216_1153
; %bb.1113:
	s_cmp_gt_i32 s67, 22
	s_mov_b64 s[62:63], -1
	s_cbranch_scc0 .LBB216_1145
; %bb.1114:
	s_cmp_lt_i32 s67, 24
	s_mov_b64 s[60:61], -1
	s_cbranch_scc1 .LBB216_1134
; %bb.1115:
	s_cmp_gt_i32 s67, 24
	s_cbranch_scc0 .LBB216_1123
; %bb.1116:
	v_cvt_f32_f16_e32 v3, v2
	s_mov_b32 s60, 0x47800000
	v_mov_b32_e32 v5, 0x80
	v_and_b32_e32 v4, 0x7fffffff, v3
	v_cmp_gt_u32_e32 vcc, s60, v4
	s_and_saveexec_b64 s[60:61], vcc
	s_cbranch_execz .LBB216_1122
; %bb.1117:
	s_mov_b32 s62, 0x37ffffff
	v_cmp_lt_u32_e32 vcc, s62, v4
	s_mov_b64 s[62:63], 0
                                        ; implicit-def: $vgpr4
	s_and_saveexec_b64 s[64:65], vcc
	s_xor_b64 s[64:65], exec, s[64:65]
	s_cbranch_execz .LBB216_2289
; %bb.1118:
	v_bfe_u32 v4, v3, 21, 1
	s_mov_b32 s69, 0x88fffff
	v_add3_u32 v4, v3, v4, s69
	s_mov_b64 s[62:63], exec
	v_lshrrev_b32_e32 v4, 21, v4
	s_andn2_saveexec_b64 s[64:65], s[64:65]
	s_cbranch_execnz .LBB216_2290
.LBB216_1119:
	s_or_b64 exec, exec, s[64:65]
	v_mov_b32_e32 v5, 0
	s_and_saveexec_b64 s[64:65], s[62:63]
.LBB216_1120:
	v_lshrrev_b32_e32 v3, 24, v3
	s_movk_i32 s62, 0x80
	v_and_or_b32 v5, v3, s62, v4
.LBB216_1121:
	s_or_b64 exec, exec, s[64:65]
.LBB216_1122:
	s_or_b64 exec, exec, s[60:61]
	s_mov_b64 s[60:61], 0
	global_store_byte v[0:1], v5, off
.LBB216_1123:
	s_and_b64 vcc, exec, s[60:61]
	s_cbranch_vccz .LBB216_1133
; %bb.1124:
	v_cvt_f32_f16_e32 v3, v2
	s_mov_b32 s60, 0x43f00000
                                        ; implicit-def: $vgpr4
	v_and_b32_e32 v5, 0x7fffffff, v3
	v_cmp_gt_u32_e32 vcc, s60, v5
	s_and_saveexec_b64 s[60:61], vcc
	s_xor_b64 s[60:61], exec, s[60:61]
	s_cbranch_execz .LBB216_1130
; %bb.1125:
	s_mov_b32 s62, 0x3c7fffff
	v_cmp_lt_u32_e32 vcc, s62, v5
                                        ; implicit-def: $vgpr4
	s_and_saveexec_b64 s[62:63], vcc
	s_xor_b64 s[62:63], exec, s[62:63]
; %bb.1126:
	v_bfe_u32 v4, v3, 20, 1
	s_mov_b32 s64, 0x407ffff
	v_add3_u32 v4, v3, v4, s64
	v_lshrrev_b32_e32 v5, 20, v4
	v_and_b32_e32 v4, 0xff00000, v4
	s_mov_b32 s64, 0x7f00000
	v_mov_b32_e32 v6, 0x7e
	v_cmp_ne_u32_e32 vcc, s64, v4
	v_cndmask_b32_e32 v4, v6, v5, vcc
; %bb.1127:
	s_andn2_saveexec_b64 s[62:63], s[62:63]
; %bb.1128:
	s_mov_b32 s64, 0x46800000
	v_add_f32_e64 v4, |v3|, s64
; %bb.1129:
	s_or_b64 exec, exec, s[62:63]
                                        ; implicit-def: $vgpr5
.LBB216_1130:
	s_andn2_saveexec_b64 s[60:61], s[60:61]
; %bb.1131:
	s_mov_b32 s62, 0x7f800000
	v_mov_b32_e32 v4, 0x7e
	v_mov_b32_e32 v6, 0x7f
	v_cmp_lt_u32_e32 vcc, s62, v5
	v_cndmask_b32_e32 v4, v4, v6, vcc
; %bb.1132:
	s_or_b64 exec, exec, s[60:61]
	v_lshrrev_b32_e32 v3, 24, v3
	s_movk_i32 s60, 0x80
	v_and_or_b32 v3, v3, s60, v4
	global_store_byte v[0:1], v3, off
.LBB216_1133:
	s_mov_b64 s[60:61], 0
.LBB216_1134:
	s_andn2_b64 vcc, exec, s[60:61]
	s_cbranch_vccnz .LBB216_1144
; %bb.1135:
	v_cvt_f32_f16_e32 v3, v2
	s_mov_b32 s60, 0x47800000
                                        ; implicit-def: $vgpr4
	v_and_b32_e32 v5, 0x7fffffff, v3
	v_cmp_gt_u32_e32 vcc, s60, v5
	s_and_saveexec_b64 s[60:61], vcc
	s_xor_b64 s[60:61], exec, s[60:61]
	s_cbranch_execz .LBB216_1141
; %bb.1136:
	s_mov_b32 s62, 0x387fffff
	v_cmp_lt_u32_e32 vcc, s62, v5
                                        ; implicit-def: $vgpr4
	s_and_saveexec_b64 s[62:63], vcc
	s_xor_b64 s[62:63], exec, s[62:63]
; %bb.1137:
	v_bfe_u32 v4, v3, 21, 1
	s_mov_b32 s64, 0x80fffff
	v_add3_u32 v4, v3, v4, s64
	v_lshrrev_b32_e32 v4, 21, v4
; %bb.1138:
	s_andn2_saveexec_b64 s[62:63], s[62:63]
; %bb.1139:
	s_mov_b32 s64, 0x43000000
	v_add_f32_e64 v4, |v3|, s64
; %bb.1140:
	s_or_b64 exec, exec, s[62:63]
                                        ; implicit-def: $vgpr5
.LBB216_1141:
	s_andn2_saveexec_b64 s[60:61], s[60:61]
; %bb.1142:
	s_mov_b32 s62, 0x7f800000
	v_mov_b32_e32 v4, 0x7c
	v_mov_b32_e32 v6, 0x7f
	v_cmp_lt_u32_e32 vcc, s62, v5
	v_cndmask_b32_e32 v4, v4, v6, vcc
; %bb.1143:
	s_or_b64 exec, exec, s[60:61]
	v_lshrrev_b32_e32 v3, 24, v3
	s_movk_i32 s60, 0x80
	v_and_or_b32 v3, v3, s60, v4
	global_store_byte v[0:1], v3, off
.LBB216_1144:
	s_mov_b64 s[62:63], 0
	s_mov_b64 s[60:61], -1
.LBB216_1145:
	s_andn2_b64 vcc, exec, s[62:63]
	s_cbranch_vccnz .LBB216_1153
; %bb.1146:
	s_cmp_gt_i32 s67, 14
	s_mov_b64 s[62:63], -1
	s_cbranch_scc0 .LBB216_1150
; %bb.1147:
	s_cmp_eq_u32 s67, 15
	s_mov_b64 s[0:1], -1
	s_cbranch_scc0 .LBB216_1149
; %bb.1148:
	v_cvt_f32_f16_e32 v3, v2
	s_movk_i32 s0, 0x7fff
	v_cmp_o_f16_e32 vcc, v2, v2
	v_mov_b32_e32 v4, 0x7fc0
	v_bfe_u32 v5, v3, 16, 1
	v_add3_u32 v3, v3, v5, s0
	v_cndmask_b32_sdwa v3, v4, v3, vcc dst_sel:DWORD dst_unused:UNUSED_PAD src0_sel:DWORD src1_sel:WORD_1
	global_store_short v[0:1], v3, off
	s_mov_b64 s[60:61], -1
	s_mov_b64 s[0:1], 0
.LBB216_1149:
	s_mov_b64 s[62:63], 0
.LBB216_1150:
	s_and_b64 vcc, exec, s[62:63]
	s_cbranch_vccz .LBB216_1153
; %bb.1151:
	s_cmp_eq_u32 s67, 11
	s_mov_b64 s[0:1], -1
	s_cbranch_scc0 .LBB216_1153
; %bb.1152:
	v_and_b32_e32 v3, 0x7fff, v2
	v_cmp_ne_u16_e32 vcc, 0, v3
	v_cndmask_b32_e64 v3, 0, 1, vcc
	s_mov_b64 s[60:61], -1
	s_mov_b64 s[0:1], 0
	global_store_byte v[0:1], v3, off
.LBB216_1153:
	s_mov_b64 s[62:63], 0
.LBB216_1154:
	s_and_b64 vcc, exec, s[62:63]
	s_cbranch_vccz .LBB216_1193
; %bb.1155:
	s_and_b32 s62, 0xffff, s66
	s_cmp_lt_i32 s62, 5
	s_mov_b64 s[60:61], -1
	s_cbranch_scc1 .LBB216_1176
; %bb.1156:
	s_cmp_lt_i32 s62, 8
	s_cbranch_scc1 .LBB216_1166
; %bb.1157:
	s_cmp_lt_i32 s62, 9
	s_cbranch_scc1 .LBB216_1163
; %bb.1158:
	s_cmp_gt_i32 s62, 9
	s_cbranch_scc0 .LBB216_1160
; %bb.1159:
	v_cvt_f32_f16_e32 v3, v2
	v_mov_b32_e32 v5, 0
	v_mov_b32_e32 v6, v5
	s_mov_b64 s[60:61], 0
	v_cvt_f64_f32_e32 v[3:4], v3
	global_store_dwordx4 v[0:1], v[3:6], off
.LBB216_1160:
	s_andn2_b64 vcc, exec, s[60:61]
	s_cbranch_vccnz .LBB216_1162
; %bb.1161:
	v_cvt_f32_f16_e32 v3, v2
	v_mov_b32_e32 v4, 0
	global_store_dwordx2 v[0:1], v[3:4], off
.LBB216_1162:
	s_mov_b64 s[60:61], 0
.LBB216_1163:
	s_andn2_b64 vcc, exec, s[60:61]
	s_cbranch_vccnz .LBB216_1165
; %bb.1164:
	v_and_b32_e32 v3, 0xffff, v2
	global_store_dword v[0:1], v3, off
.LBB216_1165:
	s_mov_b64 s[60:61], 0
.LBB216_1166:
	s_andn2_b64 vcc, exec, s[60:61]
	s_cbranch_vccnz .LBB216_1175
; %bb.1167:
	s_cmp_lt_i32 s62, 6
	s_mov_b64 s[60:61], -1
	s_cbranch_scc1 .LBB216_1173
; %bb.1168:
	s_cmp_gt_i32 s62, 6
	s_cbranch_scc0 .LBB216_1170
; %bb.1169:
	v_cvt_f32_f16_e32 v3, v2
	s_mov_b64 s[60:61], 0
	v_cvt_f64_f32_e32 v[3:4], v3
	global_store_dwordx2 v[0:1], v[3:4], off
.LBB216_1170:
	s_andn2_b64 vcc, exec, s[60:61]
	s_cbranch_vccnz .LBB216_1172
; %bb.1171:
	v_cvt_f32_f16_e32 v3, v2
	global_store_dword v[0:1], v3, off
.LBB216_1172:
	s_mov_b64 s[60:61], 0
.LBB216_1173:
	s_andn2_b64 vcc, exec, s[60:61]
	s_cbranch_vccnz .LBB216_1175
; %bb.1174:
	global_store_short v[0:1], v2, off
.LBB216_1175:
	s_mov_b64 s[60:61], 0
.LBB216_1176:
	s_andn2_b64 vcc, exec, s[60:61]
	s_cbranch_vccnz .LBB216_1192
; %bb.1177:
	s_cmp_lt_i32 s62, 2
	s_mov_b64 s[60:61], -1
	s_cbranch_scc1 .LBB216_1187
; %bb.1178:
	s_cmp_lt_i32 s62, 3
	s_cbranch_scc1 .LBB216_1184
; %bb.1179:
	s_cmp_gt_i32 s62, 3
	s_cbranch_scc0 .LBB216_1181
; %bb.1180:
	v_cvt_f32_f16_e32 v3, v2
	s_mov_b64 s[60:61], 0
	v_cvt_i32_f32_e32 v3, v3
	v_ashrrev_i32_e32 v4, 31, v3
	global_store_dwordx2 v[0:1], v[3:4], off
.LBB216_1181:
	s_andn2_b64 vcc, exec, s[60:61]
	s_cbranch_vccnz .LBB216_1183
; %bb.1182:
	v_cvt_f32_f16_e32 v3, v2
	v_cvt_i32_f32_e32 v3, v3
	global_store_dword v[0:1], v3, off
.LBB216_1183:
	s_mov_b64 s[60:61], 0
.LBB216_1184:
	s_andn2_b64 vcc, exec, s[60:61]
	s_cbranch_vccnz .LBB216_1186
; %bb.1185:
	v_cvt_i16_f16_e32 v3, v2
	global_store_short v[0:1], v3, off
.LBB216_1186:
	s_mov_b64 s[60:61], 0
.LBB216_1187:
	s_andn2_b64 vcc, exec, s[60:61]
	s_cbranch_vccnz .LBB216_1192
; %bb.1188:
	s_cmp_gt_i32 s62, 0
	s_mov_b64 s[60:61], -1
	s_cbranch_scc0 .LBB216_1190
; %bb.1189:
	v_cvt_i16_f16_e32 v3, v2
	s_mov_b64 s[60:61], 0
	global_store_byte v[0:1], v3, off
.LBB216_1190:
	s_andn2_b64 vcc, exec, s[60:61]
	s_cbranch_vccnz .LBB216_1192
; %bb.1191:
	v_cvt_f32_f16_e32 v2, v2
	v_cvt_i32_f32_e32 v2, v2
	global_store_byte v[0:1], v2, off
.LBB216_1192:
	s_mov_b64 s[60:61], -1
.LBB216_1193:
	s_andn2_b64 vcc, exec, s[60:61]
	s_cbranch_vccnz .LBB216_1205
; %bb.1194:
	v_add_u32_e32 v8, 0x80, v8
	s_mov_b64 s[62:63], -1
.LBB216_1195:
	s_andn2_b64 s[60:61], s[50:51], exec
	s_and_b64 s[0:1], s[0:1], exec
	s_or_b64 s[60:61], s[60:61], s[0:1]
	s_andn2_b64 s[0:1], s[48:49], exec
	s_and_b64 s[58:59], s[58:59], exec
	s_or_b64 s[58:59], s[0:1], s[58:59]
	;; [unrolled: 3-line block ×3, first 2 shown]
	s_orn2_b64 s[66:67], s[62:63], exec
.LBB216_1196:
	s_or_b64 exec, exec, s[54:55]
	s_mov_b64 s[62:63], 0
	s_mov_b64 s[56:57], 0
	;; [unrolled: 1-line block ×3, first 2 shown]
                                        ; implicit-def: $sgpr75
                                        ; implicit-def: $vgpr3_vgpr4
                                        ; implicit-def: $vgpr0
                                        ; implicit-def: $vgpr2
                                        ; implicit-def: $vgpr5
	s_and_saveexec_b64 s[54:55], s[66:67]
	s_cbranch_execz .LBB216_1291
; %bb.1197:
	v_cmp_gt_i32_e32 vcc, s68, v8
	s_mov_b64 s[66:67], s[0:1]
	s_mov_b64 s[68:69], 0
                                        ; implicit-def: $sgpr75
                                        ; implicit-def: $vgpr3_vgpr4
                                        ; implicit-def: $vgpr0
                                        ; implicit-def: $vgpr2
                                        ; implicit-def: $vgpr5
	s_and_saveexec_b64 s[56:57], vcc
	s_cbranch_execz .LBB216_1290
; %bb.1198:
	s_andn2_b64 vcc, exec, s[24:25]
	s_cbranch_vccnz .LBB216_1204
; %bb.1199:
	s_andn2_b64 vcc, exec, s[36:37]
	s_cbranch_vccnz .LBB216_1206
; %bb.1200:
	s_add_i32 s36, s74, 1
	s_and_b32 s62, s36, 30
	s_add_u32 s36, s2, 0xffffffe8
	s_addc_u32 s37, s3, -1
	v_mov_b32_e32 v2, 0
	v_mov_b32_e32 v4, 0
	;; [unrolled: 1-line block ×4, first 2 shown]
.LBB216_1201:                           ; =>This Inner Loop Header: Depth=1
	s_load_dwordx4 s[64:67], s[36:37], 0x1c
	s_load_dwordx2 s[68:69], s[36:37], 0x2c
	s_load_dwordx2 s[80:81], s[36:37], 0xec
	s_load_dwordx4 s[76:79], s[36:37], 0xdc
	s_add_u32 s36, s36, 24
	s_waitcnt vmcnt(0) lgkmcnt(0)
	v_mul_hi_u32 v3, s65, v1
	s_addc_u32 s37, s37, 0
	s_add_i32 s62, s62, -2
	s_cmp_eq_u32 s62, 0
	v_add_u32_e32 v3, v1, v3
	v_lshrrev_b32_e32 v3, s66, v3
	v_mul_lo_u32 v5, v3, s64
	v_mul_hi_u32 v6, s68, v3
	v_sub_u32_e32 v5, v1, v5
	v_add_u32_e32 v1, v3, v6
	v_lshrrev_b32_e32 v1, s69, v1
	v_mul_lo_u32 v9, v1, s67
	v_mul_lo_u32 v6, v5, s76
	;; [unrolled: 1-line block ×4, first 2 shown]
	v_sub_u32_e32 v3, v3, v9
	v_mul_lo_u32 v9, v3, s79
	v_mul_lo_u32 v10, v3, s80
	;; [unrolled: 1-line block ×3, first 2 shown]
	v_add3_u32 v0, v6, v0, v9
	v_add3_u32 v4, v7, v4, v10
	;; [unrolled: 1-line block ×3, first 2 shown]
	s_cbranch_scc0 .LBB216_1201
; %bb.1202:
	s_bitcmp1_b32 s74, 0
	s_cselect_b64 s[62:63], -1, 0
	s_and_b64 vcc, exec, s[62:63]
	s_cbranch_vccnz .LBB216_1207
; %bb.1203:
	s_load_dwordx2 s[62:63], s[36:37], 0x1c
	s_load_dword s66, s[36:37], 0x24
	s_load_dwordx2 s[64:65], s[36:37], 0xdc
	s_waitcnt lgkmcnt(0)
	v_mul_hi_u32 v3, s63, v1
	v_add_u32_e32 v3, v1, v3
	v_lshrrev_b32_e32 v3, s66, v3
	v_mul_lo_u32 v3, v3, s62
	s_load_dword s62, s[36:37], 0xe4
	v_sub_u32_e32 v3, v1, v3
	v_mad_u64_u32 v[0:1], s[36:37], v3, s64, v[0:1]
	v_mad_u64_u32 v[4:5], s[36:37], v3, s65, v[4:5]
	s_waitcnt lgkmcnt(0)
	v_mad_u64_u32 v[2:3], s[36:37], v3, s62, v[2:3]
	s_branch .LBB216_1207
.LBB216_1204:
	s_mov_b64 s[36:37], -1
                                        ; implicit-def: $vgpr0
                                        ; implicit-def: $vgpr4
                                        ; implicit-def: $vgpr2
	s_branch .LBB216_1208
.LBB216_1205:
	s_mov_b64 s[62:63], 0
	s_branch .LBB216_948
.LBB216_1206:
	v_mov_b32_e32 v0, 0
	v_mov_b32_e32 v4, 0
	;; [unrolled: 1-line block ×3, first 2 shown]
.LBB216_1207:
	s_mov_b64 s[36:37], 0
.LBB216_1208:
	s_andn2_b64 vcc, exec, s[36:37]
	s_cbranch_vccnz .LBB216_1211
; %bb.1209:
	v_mul_hi_u32 v0, s17, v8
	s_andn2_b64 vcc, exec, s[34:35]
	v_add_u32_e32 v0, v8, v0
	v_lshrrev_b32_e32 v1, s18, v0
	v_mul_lo_u32 v0, v1, s16
	v_sub_u32_e32 v2, v8, v0
	v_mul_lo_u32 v0, v2, s20
	v_mul_lo_u32 v4, v2, s21
	;; [unrolled: 1-line block ×3, first 2 shown]
	s_cbranch_vccnz .LBB216_1211
; %bb.1210:
	s_waitcnt vmcnt(0)
	v_mul_hi_u32 v3, s30, v1
	v_add_u32_e32 v3, v1, v3
	v_lshrrev_b32_e32 v3, s31, v3
	v_mul_lo_u32 v3, v3, s19
	v_sub_u32_e32 v3, v1, v3
	v_mad_u64_u32 v[0:1], s[16:17], v3, s23, v[0:1]
	v_mad_u64_u32 v[4:5], s[16:17], v3, s28, v[4:5]
	;; [unrolled: 1-line block ×3, first 2 shown]
.LBB216_1211:
	v_mov_b32_e32 v1, s11
	s_and_b32 s75, s73, 0xff
	s_waitcnt vmcnt(0)
	v_add_co_u32_e32 v3, vcc, s10, v4
	s_cmp_lt_i32 s75, 11
	v_addc_co_u32_e32 v4, vcc, 0, v1, vcc
	s_cbranch_scc1 .LBB216_1218
; %bb.1212:
	s_and_b32 s28, 0xffff, s75
	s_cmp_gt_i32 s28, 25
	s_mov_b64 s[16:17], 0
	s_cbranch_scc0 .LBB216_1219
; %bb.1213:
	s_cmp_gt_i32 s28, 28
	s_cbranch_scc0 .LBB216_1220
; %bb.1214:
	s_cmp_gt_i32 s28, 43
	;; [unrolled: 3-line block ×3, first 2 shown]
	s_cbranch_scc0 .LBB216_1222
; %bb.1216:
	s_cmp_eq_u32 s28, 46
	s_mov_b64 s[20:21], 0
	s_cbranch_scc0 .LBB216_1225
; %bb.1217:
	global_load_dword v1, v[3:4], off
	s_mov_b64 s[10:11], 0
	s_mov_b64 s[18:19], -1
	s_waitcnt vmcnt(0)
	v_lshlrev_b32_e32 v1, 16, v1
	v_cvt_f16_f32_e32 v5, v1
	s_branch .LBB216_1226
.LBB216_1218:
	s_mov_b64 s[20:21], -1
	s_mov_b64 s[18:19], 0
	s_mov_b64 s[16:17], 0
	;; [unrolled: 1-line block ×3, first 2 shown]
                                        ; implicit-def: $vgpr5
	s_branch .LBB216_1289
.LBB216_1219:
	s_mov_b64 s[20:21], -1
	s_mov_b64 s[18:19], 0
	s_mov_b64 s[10:11], s[0:1]
                                        ; implicit-def: $vgpr5
	s_branch .LBB216_1255
.LBB216_1220:
	s_mov_b64 s[20:21], -1
	s_mov_b64 s[18:19], 0
	s_mov_b64 s[10:11], s[0:1]
                                        ; implicit-def: $vgpr5
	s_branch .LBB216_1236
.LBB216_1221:
	s_mov_b64 s[20:21], -1
	s_mov_b64 s[18:19], 0
	s_mov_b64 s[10:11], s[0:1]
                                        ; implicit-def: $vgpr5
	s_branch .LBB216_1231
.LBB216_1222:
	s_mov_b64 s[20:21], -1
	s_mov_b64 s[18:19], 0
	s_mov_b64 s[10:11], s[0:1]
                                        ; implicit-def: $vgpr5
	s_branch .LBB216_1226
.LBB216_1223:
	s_andn2_saveexec_b64 s[64:65], s[64:65]
	s_cbranch_execz .LBB216_1106
.LBB216_1224:
	s_mov_b32 s69, 0x46000000
	v_add_f32_e64 v4, |v3|, s69
	v_and_b32_e32 v4, 0xff, v4
	v_cmp_ne_u32_e32 vcc, 0, v4
	s_andn2_b64 s[62:63], s[62:63], exec
	s_and_b64 s[76:77], vcc, exec
	s_or_b64 s[62:63], s[62:63], s[76:77]
	s_or_b64 exec, exec, s[64:65]
	v_mov_b32_e32 v5, 0
	s_and_saveexec_b64 s[64:65], s[62:63]
	s_cbranch_execnz .LBB216_1107
	s_branch .LBB216_1108
.LBB216_1225:
	s_mov_b64 s[10:11], -1
                                        ; implicit-def: $vgpr5
	s_mov_b64 s[18:19], 0
.LBB216_1226:
	s_and_b64 vcc, exec, s[20:21]
	s_cbranch_vccz .LBB216_1230
; %bb.1227:
	s_cmp_eq_u32 s28, 44
	s_cbranch_scc0 .LBB216_1229
; %bb.1228:
	global_load_ubyte v1, v[3:4], off
	s_movk_i32 s18, 0xff
	v_mov_b32_e32 v6, 0x7e00
	s_mov_b64 s[10:11], 0
	s_waitcnt vmcnt(0)
	v_lshlrev_b32_e32 v5, 23, v1
	v_cvt_f16_f32_e32 v5, v5
	v_cmp_ne_u32_e32 vcc, s18, v1
	s_mov_b64 s[18:19], -1
	v_cndmask_b32_e32 v5, v6, v5, vcc
	v_cmp_ne_u32_e32 vcc, 0, v1
	v_cndmask_b32_e32 v5, 0, v5, vcc
	s_branch .LBB216_1230
.LBB216_1229:
	s_mov_b64 s[10:11], -1
                                        ; implicit-def: $vgpr5
.LBB216_1230:
	s_mov_b64 s[20:21], 0
.LBB216_1231:
	s_and_b64 vcc, exec, s[20:21]
	s_cbranch_vccz .LBB216_1235
; %bb.1232:
	s_cmp_eq_u32 s28, 29
	s_cbranch_scc0 .LBB216_1234
; %bb.1233:
	global_load_dwordx2 v[5:6], v[3:4], off
	s_mov_b64 s[10:11], 0
	s_mov_b64 s[18:19], -1
	s_mov_b64 s[20:21], 0
	s_waitcnt vmcnt(0)
	v_ffbh_u32_e32 v1, v6
	v_min_u32_e32 v1, 32, v1
	v_lshlrev_b64 v[5:6], v1, v[5:6]
	v_sub_u32_e32 v1, 32, v1
	v_min_u32_e32 v5, 1, v5
	v_or_b32_e32 v5, v6, v5
	v_cvt_f32_u32_e32 v5, v5
	v_ldexp_f32 v1, v5, v1
	v_cvt_f16_f32_e32 v5, v1
	s_branch .LBB216_1236
.LBB216_1234:
	s_mov_b64 s[10:11], -1
                                        ; implicit-def: $vgpr5
.LBB216_1235:
	s_mov_b64 s[20:21], 0
.LBB216_1236:
	s_and_b64 vcc, exec, s[20:21]
	s_cbranch_vccz .LBB216_1254
; %bb.1237:
	s_cmp_lt_i32 s28, 27
	s_cbranch_scc1 .LBB216_1240
; %bb.1238:
	s_cmp_gt_i32 s28, 27
	s_cbranch_scc0 .LBB216_1241
; %bb.1239:
	global_load_dword v1, v[3:4], off
	s_mov_b64 s[18:19], 0
	s_waitcnt vmcnt(0)
	v_cvt_f32_u32_e32 v1, v1
	v_cvt_f16_f32_e32 v5, v1
	s_branch .LBB216_1242
.LBB216_1240:
	s_mov_b64 s[18:19], -1
                                        ; implicit-def: $vgpr5
	s_branch .LBB216_1245
.LBB216_1241:
	s_mov_b64 s[18:19], -1
                                        ; implicit-def: $vgpr5
.LBB216_1242:
	s_andn2_b64 vcc, exec, s[18:19]
	s_cbranch_vccnz .LBB216_1244
; %bb.1243:
	global_load_ushort v1, v[3:4], off
	s_waitcnt vmcnt(0)
	v_cvt_f16_u16_e32 v5, v1
.LBB216_1244:
	s_mov_b64 s[18:19], 0
.LBB216_1245:
	s_andn2_b64 vcc, exec, s[18:19]
	s_cbranch_vccnz .LBB216_1253
; %bb.1246:
	global_load_ubyte v1, v[3:4], off
	s_movk_i32 s18, 0x7f
	s_waitcnt vmcnt(0)
	v_cmp_lt_i16_e32 vcc, s18, v1
	s_mov_b64 s[18:19], 0
	s_and_saveexec_b64 s[20:21], vcc
	s_xor_b64 s[20:21], exec, s[20:21]
	s_cbranch_execz .LBB216_1267
; %bb.1247:
	s_movk_i32 s18, 0x80
	v_cmp_eq_u16_e32 vcc, s18, v1
	s_mov_b64 s[18:19], -1
	s_and_saveexec_b64 s[22:23], vcc
; %bb.1248:
	s_xor_b64 s[18:19], exec, -1
; %bb.1249:
	s_or_b64 exec, exec, s[22:23]
	s_and_b64 s[18:19], s[18:19], exec
	s_or_saveexec_b64 s[20:21], s[20:21]
	v_mov_b32_e32 v5, 0x7e00
	s_xor_b64 exec, exec, s[20:21]
	s_cbranch_execnz .LBB216_1268
.LBB216_1250:
	s_or_b64 exec, exec, s[20:21]
	s_and_saveexec_b64 s[20:21], s[18:19]
	s_cbranch_execz .LBB216_1252
.LBB216_1251:
	v_lshlrev_b32_e32 v5, 24, v1
	v_and_b32_e32 v1, 0xffff, v1
	v_and_b32_e32 v6, 7, v1
	v_ffbh_u32_e32 v8, v6
	v_min_u32_e32 v8, 32, v8
	v_subrev_u32_e32 v9, 28, v8
	v_bfe_u32 v7, v1, 3, 4
	v_lshlrev_b32_e32 v1, v9, v1
	v_sub_u32_e32 v8, 29, v8
	v_and_b32_e32 v1, 7, v1
	v_cmp_eq_u32_e32 vcc, 0, v7
	v_cndmask_b32_e32 v7, v7, v8, vcc
	v_cndmask_b32_e32 v1, v6, v1, vcc
	v_mov_b32_e32 v6, 0x3b800000
	v_lshlrev_b32_e32 v1, 20, v1
	v_and_b32_e32 v5, 0x80000000, v5
	v_lshl_add_u32 v6, v7, 23, v6
	v_or3_b32 v1, v5, v6, v1
	v_cvt_f16_f32_e32 v5, v1
.LBB216_1252:
	s_or_b64 exec, exec, s[20:21]
.LBB216_1253:
	s_mov_b64 s[18:19], -1
.LBB216_1254:
	s_mov_b64 s[20:21], 0
.LBB216_1255:
	s_and_b64 vcc, exec, s[20:21]
	s_cbranch_vccz .LBB216_1288
; %bb.1256:
	s_cmp_gt_i32 s28, 22
	s_cbranch_scc0 .LBB216_1266
; %bb.1257:
	s_cmp_lt_i32 s28, 24
	s_cbranch_scc1 .LBB216_1269
; %bb.1258:
	s_cmp_gt_i32 s28, 24
	s_cbranch_scc0 .LBB216_1270
; %bb.1259:
	global_load_ubyte v1, v[3:4], off
	s_movk_i32 s16, 0x7f
	s_waitcnt vmcnt(0)
	v_cmp_lt_i16_e32 vcc, s16, v1
	s_mov_b64 s[16:17], 0
	s_and_saveexec_b64 s[18:19], vcc
	s_xor_b64 s[18:19], exec, s[18:19]
	s_cbranch_execz .LBB216_1282
; %bb.1260:
	s_movk_i32 s16, 0x80
	v_cmp_eq_u16_e32 vcc, s16, v1
	s_mov_b64 s[16:17], -1
	s_and_saveexec_b64 s[20:21], vcc
; %bb.1261:
	s_xor_b64 s[16:17], exec, -1
; %bb.1262:
	s_or_b64 exec, exec, s[20:21]
	s_and_b64 s[16:17], s[16:17], exec
	s_or_saveexec_b64 s[18:19], s[18:19]
	v_mov_b32_e32 v5, 0x7e00
	s_xor_b64 exec, exec, s[18:19]
	s_cbranch_execnz .LBB216_1283
.LBB216_1263:
	s_or_b64 exec, exec, s[18:19]
	s_and_saveexec_b64 s[18:19], s[16:17]
	s_cbranch_execz .LBB216_1265
.LBB216_1264:
	v_lshlrev_b32_e32 v5, 24, v1
	v_and_b32_e32 v1, 0xffff, v1
	v_and_b32_e32 v6, 3, v1
	v_ffbh_u32_e32 v8, v6
	v_min_u32_e32 v8, 32, v8
	v_subrev_u32_e32 v9, 29, v8
	v_bfe_u32 v7, v1, 2, 5
	v_lshlrev_b32_e32 v1, v9, v1
	v_sub_u32_e32 v8, 30, v8
	v_and_b32_e32 v1, 3, v1
	v_cmp_eq_u32_e32 vcc, 0, v7
	v_cndmask_b32_e32 v7, v7, v8, vcc
	v_cndmask_b32_e32 v1, v6, v1, vcc
	v_mov_b32_e32 v6, 0x37800000
	v_lshlrev_b32_e32 v1, 21, v1
	v_and_b32_e32 v5, 0x80000000, v5
	v_lshl_add_u32 v6, v7, 23, v6
	v_or3_b32 v1, v5, v6, v1
	v_cvt_f16_f32_e32 v5, v1
.LBB216_1265:
	s_or_b64 exec, exec, s[18:19]
	s_mov_b64 s[16:17], 0
	s_branch .LBB216_1271
.LBB216_1266:
	s_mov_b64 s[16:17], -1
                                        ; implicit-def: $vgpr5
	s_branch .LBB216_1277
.LBB216_1267:
	s_or_saveexec_b64 s[20:21], s[20:21]
	v_mov_b32_e32 v5, 0x7e00
	s_xor_b64 exec, exec, s[20:21]
	s_cbranch_execz .LBB216_1250
.LBB216_1268:
	v_cmp_ne_u16_e32 vcc, 0, v1
	s_andn2_b64 s[18:19], s[18:19], exec
	s_and_b64 s[22:23], vcc, exec
	s_or_b64 s[18:19], s[18:19], s[22:23]
	v_mov_b32_e32 v5, v1
	s_or_b64 exec, exec, s[20:21]
	s_and_saveexec_b64 s[20:21], s[18:19]
	s_cbranch_execnz .LBB216_1251
	s_branch .LBB216_1252
.LBB216_1269:
	s_mov_b64 s[16:17], -1
                                        ; implicit-def: $vgpr5
	s_branch .LBB216_1274
.LBB216_1270:
	s_mov_b64 s[16:17], -1
                                        ; implicit-def: $vgpr5
.LBB216_1271:
	s_and_b64 vcc, exec, s[16:17]
	s_cbranch_vccz .LBB216_1273
; %bb.1272:
	global_load_ubyte v1, v[3:4], off
	s_mov_b32 s16, 0x7f800000
	s_waitcnt vmcnt(0)
	v_lshlrev_b32_e32 v1, 24, v1
	v_and_b32_e32 v5, 0x7f000000, v1
	v_ffbh_u32_e32 v6, v5
	v_min_u32_e32 v6, 32, v6
	v_sub_u32_e64 v6, v6, 4 clamp
	v_lshlrev_b32_e32 v8, v6, v5
	v_lshlrev_b32_e32 v6, 23, v6
	v_lshrrev_b32_e32 v8, 4, v8
	v_add_u32_e32 v7, 0x1000000, v5
	v_sub_u32_e32 v6, v8, v6
	v_ashrrev_i32_e32 v7, 8, v7
	v_add_u32_e32 v6, 0x3c000000, v6
	v_and_or_b32 v6, v7, s16, v6
	v_cmp_ne_u32_e32 vcc, 0, v5
	v_cndmask_b32_e32 v5, 0, v6, vcc
	s_brev_b32 s16, 1
	v_and_or_b32 v1, v1, s16, v5
	v_cvt_f16_f32_e32 v5, v1
.LBB216_1273:
	s_mov_b64 s[16:17], 0
.LBB216_1274:
	s_andn2_b64 vcc, exec, s[16:17]
	s_cbranch_vccnz .LBB216_1276
; %bb.1275:
	global_load_ubyte v1, v[3:4], off
	s_movk_i32 s16, 0x7f00
	s_brev_b32 s17, 16
	s_waitcnt vmcnt(0)
	v_lshlrev_b16_e32 v5, 8, v1
	v_lshlrev_b32_e32 v1, 25, v1
	v_lshrrev_b32_e32 v6, 4, v1
	v_and_or_b32 v7, v5, s16, 0.5
	v_or_b32_e32 v6, 0x70000000, v6
	v_add_f32_e32 v7, -0.5, v7
	v_mul_f32_e32 v6, 0x7800000, v6
	v_cmp_gt_u32_e32 vcc, s17, v1
	v_bfe_i32 v5, v5, 0, 16
	v_cndmask_b32_e32 v1, v6, v7, vcc
	s_brev_b32 s16, 1
	v_and_or_b32 v1, v5, s16, v1
	v_cvt_f16_f32_e32 v5, v1
.LBB216_1276:
	s_mov_b64 s[16:17], 0
	s_mov_b64 s[18:19], -1
.LBB216_1277:
	s_andn2_b64 vcc, exec, s[16:17]
	s_mov_b64 s[16:17], 0
	s_cbranch_vccnz .LBB216_1288
; %bb.1278:
	s_cmp_gt_i32 s28, 14
	s_cbranch_scc0 .LBB216_1281
; %bb.1279:
	s_cmp_eq_u32 s28, 15
	s_cbranch_scc0 .LBB216_1284
; %bb.1280:
	global_load_ushort v1, v[3:4], off
	s_mov_b64 s[10:11], 0
	s_mov_b64 s[18:19], -1
	s_waitcnt vmcnt(0)
	v_lshlrev_b32_e32 v1, 16, v1
	v_cvt_f16_f32_e32 v5, v1
	s_branch .LBB216_1285
.LBB216_1281:
	s_mov_b64 s[20:21], -1
                                        ; implicit-def: $vgpr5
	s_branch .LBB216_1286
.LBB216_1282:
	s_or_saveexec_b64 s[18:19], s[18:19]
	v_mov_b32_e32 v5, 0x7e00
	s_xor_b64 exec, exec, s[18:19]
	s_cbranch_execz .LBB216_1263
.LBB216_1283:
	v_cmp_ne_u16_e32 vcc, 0, v1
	s_andn2_b64 s[16:17], s[16:17], exec
	s_and_b64 s[20:21], vcc, exec
	s_or_b64 s[16:17], s[16:17], s[20:21]
	v_mov_b32_e32 v5, v1
	s_or_b64 exec, exec, s[18:19]
	s_and_saveexec_b64 s[18:19], s[16:17]
	s_cbranch_execnz .LBB216_1264
	s_branch .LBB216_1265
.LBB216_1284:
	s_mov_b64 s[10:11], -1
                                        ; implicit-def: $vgpr5
.LBB216_1285:
	s_mov_b64 s[20:21], 0
.LBB216_1286:
	s_and_b64 vcc, exec, s[20:21]
	s_cbranch_vccz .LBB216_1288
; %bb.1287:
	s_cmp_lg_u32 s28, 11
	s_cselect_b64 s[20:21], -1, 0
	s_andn2_b64 s[10:11], s[10:11], exec
	s_and_b64 s[20:21], s[20:21], exec
	s_mov_b64 s[16:17], -1
	s_or_b64 s[10:11], s[10:11], s[20:21]
.LBB216_1288:
	s_mov_b64 s[20:21], 0
.LBB216_1289:
	s_and_b64 s[62:63], s[16:17], exec
	s_andn2_b64 s[16:17], s[0:1], exec
	s_and_b64 s[10:11], s[10:11], exec
	s_and_b64 s[64:65], s[18:19], exec
	;; [unrolled: 1-line block ×3, first 2 shown]
	s_or_b64 s[66:67], s[16:17], s[10:11]
.LBB216_1290:
	s_or_b64 exec, exec, s[56:57]
	s_andn2_b64 s[0:1], s[0:1], exec
	s_and_b64 s[10:11], s[66:67], exec
	s_and_b64 s[64:65], s[64:65], exec
	;; [unrolled: 1-line block ×4, first 2 shown]
	s_or_b64 s[0:1], s[0:1], s[10:11]
.LBB216_1291:
	s_or_b64 exec, exec, s[54:55]
	s_andn2_b64 s[10:11], s[50:51], exec
	s_and_b64 s[16:17], s[60:61], exec
	s_or_b64 s[50:51], s[10:11], s[16:17]
	s_andn2_b64 s[10:11], s[48:49], exec
	s_and_b64 s[16:17], s[58:59], exec
	s_or_b64 s[48:49], s[10:11], s[16:17]
	s_andn2_b64 s[10:11], s[46:47], exec
	s_and_b64 s[0:1], s[0:1], exec
	s_and_b64 s[58:59], s[64:65], exec
	;; [unrolled: 1-line block ×4, first 2 shown]
	s_or_b64 s[46:47], s[10:11], s[0:1]
.LBB216_1292:
	s_or_b64 exec, exec, s[52:53]
	s_andn2_b64 s[0:1], s[38:39], exec
	s_and_b64 s[10:11], s[50:51], exec
	s_or_b64 s[38:39], s[0:1], s[10:11]
	s_andn2_b64 s[0:1], s[40:41], exec
	s_and_b64 s[10:11], s[48:49], exec
	s_or_b64 s[40:41], s[0:1], s[10:11]
	s_andn2_b64 s[0:1], s[42:43], exec
	s_and_b64 s[10:11], s[46:47], exec
	s_and_b64 s[50:51], s[58:59], exec
	;; [unrolled: 1-line block ×4, first 2 shown]
	s_or_b64 s[42:43], s[0:1], s[10:11]
	s_or_b64 exec, exec, s[44:45]
	s_mov_b64 s[10:11], 0
	s_and_saveexec_b64 s[0:1], s[42:43]
	s_cbranch_execz .LBB216_403
.LBB216_1293:
	s_mov_b64 s[10:11], exec
	s_andn2_b64 s[48:49], s[48:49], exec
	s_trap 2
	s_or_b64 exec, exec, s[0:1]
	s_and_saveexec_b64 s[0:1], s[48:49]
	s_xor_b64 s[0:1], exec, s[0:1]
	s_cbranch_execnz .LBB216_404
.LBB216_1294:
	s_or_b64 exec, exec, s[0:1]
	s_and_saveexec_b64 s[0:1], s[52:53]
	s_cbranch_execz .LBB216_1340
.LBB216_1295:
	s_sext_i32_i16 s16, s75
	s_cmp_lt_i32 s16, 5
	s_cbranch_scc1 .LBB216_1300
; %bb.1296:
	s_cmp_lt_i32 s16, 8
	s_cbranch_scc1 .LBB216_1301
; %bb.1297:
	;; [unrolled: 3-line block ×3, first 2 shown]
	s_cmp_gt_i32 s16, 9
	s_cbranch_scc0 .LBB216_1303
; %bb.1299:
	s_waitcnt vmcnt(0)
	global_load_dwordx2 v[5:6], v[3:4], off
	s_movk_i32 s16, 0x1ff
	s_movk_i32 s17, 0xffe
	v_mov_b32_e32 v1, 0x7c00
	v_mov_b32_e32 v7, 0x7e00
	s_movk_i32 s18, 0x40f
	s_mov_b32 s19, 0x8000
	s_waitcnt vmcnt(0)
	v_and_or_b32 v5, v6, s16, v5
	v_cmp_ne_u32_e32 vcc, 0, v5
	v_lshrrev_b32_e32 v8, 8, v6
	v_bfe_u32 v9, v6, 20, 11
	v_cndmask_b32_e64 v5, 0, 1, vcc
	v_sub_u32_e32 v10, 0x3f1, v9
	v_and_or_b32 v5, v8, s17, v5
	v_add_u32_e32 v9, 0xfffffc10, v9
	v_med3_i32 v8, v10, 0, 13
	v_or_b32_e32 v10, 0x1000, v5
	v_cmp_ne_u32_e32 vcc, 0, v5
	v_lshl_or_b32 v11, v9, 12, v5
	v_cndmask_b32_e32 v5, v1, v7, vcc
	v_lshrrev_b32_e32 v7, v8, v10
	v_lshlrev_b32_e32 v8, v8, v7
	v_cmp_ne_u32_e32 vcc, v8, v10
	v_cndmask_b32_e64 v8, 0, 1, vcc
	v_or_b32_e32 v7, v7, v8
	v_cmp_gt_i32_e32 vcc, 1, v9
	v_cndmask_b32_e32 v7, v11, v7, vcc
	v_and_b32_e32 v8, 7, v7
	v_cmp_lt_i32_e32 vcc, 5, v8
	v_cndmask_b32_e64 v10, 0, 1, vcc
	v_cmp_eq_u32_e32 vcc, 3, v8
	v_cndmask_b32_e64 v8, 0, 1, vcc
	v_lshrrev_b32_e32 v7, 2, v7
	v_or_b32_e32 v8, v8, v10
	v_add_u32_e32 v7, v7, v8
	v_cmp_gt_i32_e32 vcc, 31, v9
	v_cndmask_b32_e32 v1, v1, v7, vcc
	v_cmp_eq_u32_e32 vcc, s18, v9
	v_lshrrev_b32_e32 v6, 16, v6
	v_cndmask_b32_e32 v1, v1, v5, vcc
	v_and_or_b32 v5, v6, s19, v1
	s_mov_b64 s[16:17], 0
	s_branch .LBB216_1304
.LBB216_1300:
                                        ; implicit-def: $vgpr5
	s_branch .LBB216_1321
.LBB216_1301:
                                        ; implicit-def: $vgpr5
	s_branch .LBB216_1310
.LBB216_1302:
	s_mov_b64 s[16:17], -1
                                        ; implicit-def: $vgpr5
	s_branch .LBB216_1307
.LBB216_1303:
	s_mov_b64 s[16:17], -1
                                        ; implicit-def: $vgpr5
.LBB216_1304:
	s_andn2_b64 vcc, exec, s[16:17]
	s_cbranch_vccnz .LBB216_1306
; %bb.1305:
	s_waitcnt vmcnt(0)
	global_load_dword v1, v[3:4], off
	s_waitcnt vmcnt(0)
	v_cvt_f16_f32_e32 v5, v1
.LBB216_1306:
	s_mov_b64 s[16:17], 0
.LBB216_1307:
	s_andn2_b64 vcc, exec, s[16:17]
	s_cbranch_vccnz .LBB216_1309
; %bb.1308:
	s_waitcnt vmcnt(0)
	global_load_dword v5, v[3:4], off
.LBB216_1309:
	s_cbranch_execnz .LBB216_1320
.LBB216_1310:
	s_sext_i32_i16 s16, s75
	s_cmp_lt_i32 s16, 6
	s_cbranch_scc1 .LBB216_1313
; %bb.1311:
	s_cmp_gt_i32 s16, 6
	s_cbranch_scc0 .LBB216_1314
; %bb.1312:
	s_waitcnt vmcnt(0)
	global_load_dwordx2 v[5:6], v[3:4], off
	s_movk_i32 s16, 0x1ff
	s_movk_i32 s17, 0xffe
	v_mov_b32_e32 v1, 0x7c00
	v_mov_b32_e32 v7, 0x7e00
	s_movk_i32 s18, 0x40f
	s_mov_b32 s19, 0x8000
	s_waitcnt vmcnt(0)
	v_and_or_b32 v5, v6, s16, v5
	v_cmp_ne_u32_e32 vcc, 0, v5
	v_lshrrev_b32_e32 v8, 8, v6
	v_bfe_u32 v9, v6, 20, 11
	v_cndmask_b32_e64 v5, 0, 1, vcc
	v_sub_u32_e32 v10, 0x3f1, v9
	v_and_or_b32 v5, v8, s17, v5
	v_add_u32_e32 v9, 0xfffffc10, v9
	v_med3_i32 v8, v10, 0, 13
	v_or_b32_e32 v10, 0x1000, v5
	v_cmp_ne_u32_e32 vcc, 0, v5
	v_lshl_or_b32 v11, v9, 12, v5
	v_cndmask_b32_e32 v5, v1, v7, vcc
	v_lshrrev_b32_e32 v7, v8, v10
	v_lshlrev_b32_e32 v8, v8, v7
	v_cmp_ne_u32_e32 vcc, v8, v10
	v_cndmask_b32_e64 v8, 0, 1, vcc
	v_or_b32_e32 v7, v7, v8
	v_cmp_gt_i32_e32 vcc, 1, v9
	v_cndmask_b32_e32 v7, v11, v7, vcc
	v_and_b32_e32 v8, 7, v7
	v_cmp_lt_i32_e32 vcc, 5, v8
	v_cndmask_b32_e64 v10, 0, 1, vcc
	v_cmp_eq_u32_e32 vcc, 3, v8
	v_cndmask_b32_e64 v8, 0, 1, vcc
	v_lshrrev_b32_e32 v7, 2, v7
	v_or_b32_e32 v8, v8, v10
	v_add_u32_e32 v7, v7, v8
	v_cmp_gt_i32_e32 vcc, 31, v9
	v_cndmask_b32_e32 v1, v1, v7, vcc
	v_cmp_eq_u32_e32 vcc, s18, v9
	v_lshrrev_b32_e32 v6, 16, v6
	v_cndmask_b32_e32 v1, v1, v5, vcc
	v_and_or_b32 v5, v6, s19, v1
	s_mov_b64 s[16:17], 0
	s_branch .LBB216_1315
.LBB216_1313:
	s_mov_b64 s[16:17], -1
                                        ; implicit-def: $vgpr5
	s_branch .LBB216_1318
.LBB216_1314:
	s_mov_b64 s[16:17], -1
                                        ; implicit-def: $vgpr5
.LBB216_1315:
	s_andn2_b64 vcc, exec, s[16:17]
	s_cbranch_vccnz .LBB216_1317
; %bb.1316:
	s_waitcnt vmcnt(0)
	global_load_dword v1, v[3:4], off
	s_waitcnt vmcnt(0)
	v_cvt_f16_f32_e32 v5, v1
.LBB216_1317:
	s_mov_b64 s[16:17], 0
.LBB216_1318:
	s_andn2_b64 vcc, exec, s[16:17]
	s_cbranch_vccnz .LBB216_1320
; %bb.1319:
	s_waitcnt vmcnt(0)
	global_load_ushort v5, v[3:4], off
.LBB216_1320:
	s_cbranch_execnz .LBB216_1339
.LBB216_1321:
	s_sext_i32_i16 s16, s75
	s_cmp_lt_i32 s16, 2
	s_cbranch_scc1 .LBB216_1325
; %bb.1322:
	s_cmp_lt_i32 s16, 3
	s_cbranch_scc1 .LBB216_1326
; %bb.1323:
	s_cmp_gt_i32 s16, 3
	s_cbranch_scc0 .LBB216_1327
; %bb.1324:
	s_waitcnt vmcnt(0)
	global_load_dwordx2 v[5:6], v[3:4], off
	s_mov_b64 s[16:17], 0
	s_waitcnt vmcnt(0)
	v_xor_b32_e32 v7, v5, v6
	v_ffbh_i32_e32 v1, v6
	v_ashrrev_i32_e32 v7, 31, v7
	v_add_u32_e32 v1, -1, v1
	v_add_u32_e32 v7, 32, v7
	v_min_u32_e32 v1, v1, v7
	v_lshlrev_b64 v[5:6], v1, v[5:6]
	v_sub_u32_e32 v1, 32, v1
	v_min_u32_e32 v5, 1, v5
	v_or_b32_e32 v5, v6, v5
	v_cvt_f32_i32_e32 v5, v5
	v_ldexp_f32 v1, v5, v1
	v_cvt_f16_f32_e32 v5, v1
	s_branch .LBB216_1328
.LBB216_1325:
                                        ; implicit-def: $vgpr5
	s_branch .LBB216_1334
.LBB216_1326:
	s_mov_b64 s[16:17], -1
                                        ; implicit-def: $vgpr5
	s_branch .LBB216_1331
.LBB216_1327:
	s_mov_b64 s[16:17], -1
                                        ; implicit-def: $vgpr5
.LBB216_1328:
	s_andn2_b64 vcc, exec, s[16:17]
	s_cbranch_vccnz .LBB216_1330
; %bb.1329:
	s_waitcnt vmcnt(0)
	global_load_dword v1, v[3:4], off
	s_waitcnt vmcnt(0)
	v_cvt_f32_i32_e32 v1, v1
	v_cvt_f16_f32_e32 v5, v1
.LBB216_1330:
	s_mov_b64 s[16:17], 0
.LBB216_1331:
	s_andn2_b64 vcc, exec, s[16:17]
	s_cbranch_vccnz .LBB216_1333
; %bb.1332:
	s_waitcnt vmcnt(0)
	global_load_ushort v1, v[3:4], off
	s_waitcnt vmcnt(0)
	v_cvt_f16_i16_e32 v5, v1
.LBB216_1333:
	s_cbranch_execnz .LBB216_1339
.LBB216_1334:
	s_sext_i32_i16 s16, s75
	s_cmp_gt_i32 s16, 0
	s_cbranch_scc0 .LBB216_1336
; %bb.1335:
	s_waitcnt vmcnt(0)
	global_load_sbyte v1, v[3:4], off
	s_mov_b64 s[16:17], 0
	s_waitcnt vmcnt(0)
	v_cvt_f16_i16_e32 v5, v1
	s_branch .LBB216_1337
.LBB216_1336:
	s_mov_b64 s[16:17], -1
                                        ; implicit-def: $vgpr5
.LBB216_1337:
	s_andn2_b64 vcc, exec, s[16:17]
	s_cbranch_vccnz .LBB216_1339
; %bb.1338:
	s_waitcnt vmcnt(0)
	global_load_ubyte v1, v[3:4], off
	s_waitcnt vmcnt(0)
	v_cvt_f16_u16_e32 v5, v1
.LBB216_1339:
	s_or_b64 s[50:51], s[50:51], exec
.LBB216_1340:
	s_or_b64 exec, exec, s[0:1]
	s_mov_b64 s[18:19], 0
	s_mov_b64 s[20:21], 0
	;; [unrolled: 1-line block ×3, first 2 shown]
                                        ; implicit-def: $sgpr28
                                        ; implicit-def: $vgpr3_vgpr4
                                        ; implicit-def: $vgpr6
	s_and_saveexec_b64 s[0:1], s[50:51]
	s_cbranch_execz .LBB216_1348
; %bb.1341:
	v_mov_b32_e32 v1, s13
	s_and_b32 s28, s72, 0xff
	s_waitcnt vmcnt(0)
	v_add_co_u32_e32 v3, vcc, s12, v2
	s_cmp_lt_i32 s28, 11
	v_addc_co_u32_e32 v4, vcc, 0, v1, vcc
	s_cbranch_scc1 .LBB216_1351
; %bb.1342:
	s_and_b32 s29, 0xffff, s28
	s_cmp_gt_i32 s29, 25
	s_cbranch_scc0 .LBB216_1352
; %bb.1343:
	s_cmp_gt_i32 s29, 28
	s_cbranch_scc0 .LBB216_1353
; %bb.1344:
	;; [unrolled: 3-line block ×4, first 2 shown]
	s_cmp_eq_u32 s29, 46
	s_cbranch_scc0 .LBB216_1356
; %bb.1347:
	global_load_dword v1, v[3:4], off
	s_mov_b64 s[12:13], 0
	s_mov_b64 s[16:17], -1
	s_waitcnt vmcnt(0)
	v_lshlrev_b32_e32 v1, 16, v1
	v_cvt_f16_f32_e32 v6, v1
	s_branch .LBB216_1358
.LBB216_1348:
	s_or_b64 exec, exec, s[0:1]
	s_and_saveexec_b64 s[0:1], s[40:41]
	s_cbranch_execnz .LBB216_1421
.LBB216_1349:
	s_or_b64 exec, exec, s[0:1]
	s_and_saveexec_b64 s[0:1], s[18:19]
	s_xor_b64 s[0:1], exec, s[0:1]
	s_cbranch_execz .LBB216_1422
.LBB216_1350:
	s_waitcnt vmcnt(0)
	global_load_ubyte v1, v[3:4], off
	v_mov_b32_e32 v2, 0x3c00
	s_or_b64 s[16:17], s[16:17], exec
	s_waitcnt vmcnt(0)
	v_cmp_ne_u16_e32 vcc, 0, v1
	v_cndmask_b32_e32 v6, 0, v2, vcc
	s_or_b64 exec, exec, s[0:1]
	s_and_saveexec_b64 s[0:1], s[20:21]
	s_cbranch_execz .LBB216_1468
	s_branch .LBB216_1423
.LBB216_1351:
	s_mov_b64 s[20:21], -1
                                        ; implicit-def: $vgpr6
	s_mov_b64 s[12:13], s[40:41]
	s_branch .LBB216_1420
.LBB216_1352:
	s_mov_b64 s[12:13], s[40:41]
                                        ; implicit-def: $vgpr6
	s_cbranch_execnz .LBB216_1387
	s_branch .LBB216_1419
.LBB216_1353:
	s_mov_b64 s[20:21], -1
	s_mov_b64 s[12:13], s[40:41]
                                        ; implicit-def: $vgpr6
	s_branch .LBB216_1368
.LBB216_1354:
	s_mov_b64 s[20:21], -1
	s_mov_b64 s[12:13], s[40:41]
                                        ; implicit-def: $vgpr6
	s_branch .LBB216_1363
.LBB216_1355:
	s_mov_b64 s[20:21], -1
	s_mov_b64 s[12:13], s[40:41]
	s_branch .LBB216_1357
.LBB216_1356:
	s_mov_b64 s[12:13], -1
.LBB216_1357:
                                        ; implicit-def: $vgpr6
.LBB216_1358:
	s_and_b64 vcc, exec, s[20:21]
	s_cbranch_vccz .LBB216_1362
; %bb.1359:
	s_cmp_eq_u32 s29, 44
	s_cbranch_scc0 .LBB216_1361
; %bb.1360:
	global_load_ubyte v1, v[3:4], off
	s_movk_i32 s16, 0xff
	v_mov_b32_e32 v6, 0x7e00
	s_mov_b64 s[12:13], 0
	s_waitcnt vmcnt(0)
	v_lshlrev_b32_e32 v2, 23, v1
	v_cvt_f16_f32_e32 v2, v2
	v_cmp_ne_u32_e32 vcc, s16, v1
	s_mov_b64 s[16:17], -1
	v_cndmask_b32_e32 v2, v6, v2, vcc
	v_cmp_ne_u32_e32 vcc, 0, v1
	v_cndmask_b32_e32 v6, 0, v2, vcc
	s_branch .LBB216_1362
.LBB216_1361:
	s_mov_b64 s[12:13], -1
                                        ; implicit-def: $vgpr6
.LBB216_1362:
	s_mov_b64 s[20:21], 0
.LBB216_1363:
	s_and_b64 vcc, exec, s[20:21]
	s_cbranch_vccz .LBB216_1367
; %bb.1364:
	s_cmp_eq_u32 s29, 29
	s_cbranch_scc0 .LBB216_1366
; %bb.1365:
	global_load_dwordx2 v[1:2], v[3:4], off
	s_mov_b64 s[12:13], 0
	s_mov_b64 s[16:17], -1
	s_mov_b64 s[20:21], 0
	s_waitcnt vmcnt(0)
	v_ffbh_u32_e32 v6, v2
	v_min_u32_e32 v6, 32, v6
	v_lshlrev_b64 v[1:2], v6, v[1:2]
	v_min_u32_e32 v1, 1, v1
	v_or_b32_e32 v1, v2, v1
	v_cvt_f32_u32_e32 v1, v1
	v_sub_u32_e32 v2, 32, v6
	v_ldexp_f32 v1, v1, v2
	v_cvt_f16_f32_e32 v6, v1
	s_branch .LBB216_1368
.LBB216_1366:
	s_mov_b64 s[12:13], -1
                                        ; implicit-def: $vgpr6
.LBB216_1367:
	s_mov_b64 s[20:21], 0
.LBB216_1368:
	s_and_b64 vcc, exec, s[20:21]
	s_cbranch_vccz .LBB216_1386
; %bb.1369:
	s_cmp_lt_i32 s29, 27
	s_cbranch_scc1 .LBB216_1372
; %bb.1370:
	s_cmp_gt_i32 s29, 27
	s_cbranch_scc0 .LBB216_1373
; %bb.1371:
	global_load_dword v1, v[3:4], off
	s_mov_b64 s[16:17], 0
	s_waitcnt vmcnt(0)
	v_cvt_f32_u32_e32 v1, v1
	v_cvt_f16_f32_e32 v6, v1
	s_branch .LBB216_1374
.LBB216_1372:
	s_mov_b64 s[16:17], -1
                                        ; implicit-def: $vgpr6
	s_branch .LBB216_1377
.LBB216_1373:
	s_mov_b64 s[16:17], -1
                                        ; implicit-def: $vgpr6
.LBB216_1374:
	s_andn2_b64 vcc, exec, s[16:17]
	s_cbranch_vccnz .LBB216_1376
; %bb.1375:
	global_load_ushort v1, v[3:4], off
	s_waitcnt vmcnt(0)
	v_cvt_f16_u16_e32 v6, v1
.LBB216_1376:
	s_mov_b64 s[16:17], 0
.LBB216_1377:
	s_andn2_b64 vcc, exec, s[16:17]
	s_cbranch_vccnz .LBB216_1385
; %bb.1378:
	global_load_ubyte v1, v[3:4], off
	s_movk_i32 s16, 0x7f
	s_waitcnt vmcnt(0)
	v_cmp_lt_i16_e32 vcc, s16, v1
	s_mov_b64 s[16:17], 0
	s_and_saveexec_b64 s[20:21], vcc
	s_xor_b64 s[20:21], exec, s[20:21]
	s_cbranch_execz .LBB216_1398
; %bb.1379:
	s_movk_i32 s16, 0x80
	v_cmp_eq_u16_e32 vcc, s16, v1
	s_mov_b64 s[16:17], -1
	s_and_saveexec_b64 s[22:23], vcc
; %bb.1380:
	s_xor_b64 s[16:17], exec, -1
; %bb.1381:
	s_or_b64 exec, exec, s[22:23]
	s_and_b64 s[16:17], s[16:17], exec
	s_or_saveexec_b64 s[20:21], s[20:21]
	v_mov_b32_e32 v6, 0x7e00
	s_xor_b64 exec, exec, s[20:21]
	s_cbranch_execnz .LBB216_1399
.LBB216_1382:
	s_or_b64 exec, exec, s[20:21]
	s_and_saveexec_b64 s[20:21], s[16:17]
	s_cbranch_execz .LBB216_1384
.LBB216_1383:
	v_lshlrev_b32_e32 v2, 24, v1
	v_and_b32_e32 v1, 0xffff, v1
	v_and_b32_e32 v6, 7, v1
	v_ffbh_u32_e32 v8, v6
	v_min_u32_e32 v8, 32, v8
	v_subrev_u32_e32 v9, 28, v8
	v_bfe_u32 v7, v1, 3, 4
	v_lshlrev_b32_e32 v1, v9, v1
	v_sub_u32_e32 v8, 29, v8
	v_and_b32_e32 v1, 7, v1
	v_cmp_eq_u32_e32 vcc, 0, v7
	v_cndmask_b32_e32 v7, v7, v8, vcc
	v_cndmask_b32_e32 v1, v6, v1, vcc
	v_mov_b32_e32 v6, 0x3b800000
	v_lshlrev_b32_e32 v1, 20, v1
	v_and_b32_e32 v2, 0x80000000, v2
	v_lshl_add_u32 v6, v7, 23, v6
	v_or3_b32 v1, v2, v6, v1
	v_cvt_f16_f32_e32 v6, v1
.LBB216_1384:
	s_or_b64 exec, exec, s[20:21]
.LBB216_1385:
	s_mov_b64 s[16:17], -1
.LBB216_1386:
	s_branch .LBB216_1419
.LBB216_1387:
	s_cmp_gt_i32 s29, 22
	s_cbranch_scc0 .LBB216_1397
; %bb.1388:
	s_cmp_lt_i32 s29, 24
	s_cbranch_scc1 .LBB216_1400
; %bb.1389:
	s_cmp_gt_i32 s29, 24
	s_cbranch_scc0 .LBB216_1401
; %bb.1390:
	global_load_ubyte v1, v[3:4], off
	s_movk_i32 s16, 0x7f
	s_waitcnt vmcnt(0)
	v_cmp_lt_i16_e32 vcc, s16, v1
	s_mov_b64 s[16:17], 0
	s_and_saveexec_b64 s[18:19], vcc
	s_xor_b64 s[18:19], exec, s[18:19]
	s_cbranch_execz .LBB216_1413
; %bb.1391:
	s_movk_i32 s16, 0x80
	v_cmp_eq_u16_e32 vcc, s16, v1
	s_mov_b64 s[16:17], -1
	s_and_saveexec_b64 s[20:21], vcc
; %bb.1392:
	s_xor_b64 s[16:17], exec, -1
; %bb.1393:
	s_or_b64 exec, exec, s[20:21]
	s_and_b64 s[16:17], s[16:17], exec
	s_or_saveexec_b64 s[18:19], s[18:19]
	v_mov_b32_e32 v6, 0x7e00
	s_xor_b64 exec, exec, s[18:19]
	s_cbranch_execnz .LBB216_1414
.LBB216_1394:
	s_or_b64 exec, exec, s[18:19]
	s_and_saveexec_b64 s[18:19], s[16:17]
	s_cbranch_execz .LBB216_1396
.LBB216_1395:
	v_lshlrev_b32_e32 v2, 24, v1
	v_and_b32_e32 v1, 0xffff, v1
	v_and_b32_e32 v6, 3, v1
	v_ffbh_u32_e32 v8, v6
	v_min_u32_e32 v8, 32, v8
	v_subrev_u32_e32 v9, 29, v8
	v_bfe_u32 v7, v1, 2, 5
	v_lshlrev_b32_e32 v1, v9, v1
	v_sub_u32_e32 v8, 30, v8
	v_and_b32_e32 v1, 3, v1
	v_cmp_eq_u32_e32 vcc, 0, v7
	v_cndmask_b32_e32 v7, v7, v8, vcc
	v_cndmask_b32_e32 v1, v6, v1, vcc
	v_mov_b32_e32 v6, 0x37800000
	v_lshlrev_b32_e32 v1, 21, v1
	v_and_b32_e32 v2, 0x80000000, v2
	v_lshl_add_u32 v6, v7, 23, v6
	v_or3_b32 v1, v2, v6, v1
	v_cvt_f16_f32_e32 v6, v1
.LBB216_1396:
	s_or_b64 exec, exec, s[18:19]
	s_mov_b64 s[16:17], 0
	s_branch .LBB216_1402
.LBB216_1397:
	s_mov_b64 s[18:19], -1
                                        ; implicit-def: $vgpr6
	s_branch .LBB216_1408
.LBB216_1398:
	s_or_saveexec_b64 s[20:21], s[20:21]
	v_mov_b32_e32 v6, 0x7e00
	s_xor_b64 exec, exec, s[20:21]
	s_cbranch_execz .LBB216_1382
.LBB216_1399:
	v_cmp_ne_u16_e32 vcc, 0, v1
	s_andn2_b64 s[16:17], s[16:17], exec
	s_and_b64 s[22:23], vcc, exec
	s_or_b64 s[16:17], s[16:17], s[22:23]
	v_mov_b32_e32 v6, v1
	s_or_b64 exec, exec, s[20:21]
	s_and_saveexec_b64 s[20:21], s[16:17]
	s_cbranch_execnz .LBB216_1383
	s_branch .LBB216_1384
.LBB216_1400:
	s_mov_b64 s[16:17], -1
                                        ; implicit-def: $vgpr6
	s_branch .LBB216_1405
.LBB216_1401:
	s_mov_b64 s[16:17], -1
                                        ; implicit-def: $vgpr6
.LBB216_1402:
	s_and_b64 vcc, exec, s[16:17]
	s_cbranch_vccz .LBB216_1404
; %bb.1403:
	global_load_ubyte v1, v[3:4], off
	s_mov_b32 s16, 0x7f800000
	s_waitcnt vmcnt(0)
	v_lshlrev_b32_e32 v1, 24, v1
	v_and_b32_e32 v2, 0x7f000000, v1
	v_ffbh_u32_e32 v6, v2
	v_min_u32_e32 v6, 32, v6
	v_sub_u32_e64 v6, v6, 4 clamp
	v_lshlrev_b32_e32 v8, v6, v2
	v_lshlrev_b32_e32 v6, 23, v6
	v_lshrrev_b32_e32 v8, 4, v8
	v_add_u32_e32 v7, 0x1000000, v2
	v_sub_u32_e32 v6, v8, v6
	v_ashrrev_i32_e32 v7, 8, v7
	v_add_u32_e32 v6, 0x3c000000, v6
	v_and_or_b32 v6, v7, s16, v6
	v_cmp_ne_u32_e32 vcc, 0, v2
	v_cndmask_b32_e32 v2, 0, v6, vcc
	s_brev_b32 s16, 1
	v_and_or_b32 v1, v1, s16, v2
	v_cvt_f16_f32_e32 v6, v1
.LBB216_1404:
	s_mov_b64 s[16:17], 0
.LBB216_1405:
	s_andn2_b64 vcc, exec, s[16:17]
	s_cbranch_vccnz .LBB216_1407
; %bb.1406:
	global_load_ubyte v1, v[3:4], off
	s_movk_i32 s16, 0x7f00
	s_brev_b32 s17, 16
	s_waitcnt vmcnt(0)
	v_lshlrev_b16_e32 v2, 8, v1
	v_lshlrev_b32_e32 v1, 25, v1
	v_lshrrev_b32_e32 v6, 4, v1
	v_and_or_b32 v7, v2, s16, 0.5
	v_or_b32_e32 v6, 0x70000000, v6
	v_add_f32_e32 v7, -0.5, v7
	v_mul_f32_e32 v6, 0x7800000, v6
	v_cmp_gt_u32_e32 vcc, s17, v1
	v_bfe_i32 v2, v2, 0, 16
	v_cndmask_b32_e32 v1, v6, v7, vcc
	s_brev_b32 s16, 1
	v_and_or_b32 v1, v2, s16, v1
	v_cvt_f16_f32_e32 v6, v1
.LBB216_1407:
	s_mov_b64 s[18:19], 0
	s_mov_b64 s[16:17], -1
.LBB216_1408:
	s_andn2_b64 vcc, exec, s[18:19]
	s_mov_b64 s[18:19], 0
	s_cbranch_vccnz .LBB216_1419
; %bb.1409:
	s_cmp_gt_i32 s29, 14
	s_cbranch_scc0 .LBB216_1412
; %bb.1410:
	s_cmp_eq_u32 s29, 15
	s_cbranch_scc0 .LBB216_1415
; %bb.1411:
	global_load_ushort v1, v[3:4], off
	s_mov_b64 s[12:13], 0
	s_mov_b64 s[16:17], -1
	s_waitcnt vmcnt(0)
	v_lshlrev_b32_e32 v1, 16, v1
	v_cvt_f16_f32_e32 v6, v1
	s_branch .LBB216_1416
.LBB216_1412:
	s_mov_b64 s[20:21], -1
                                        ; implicit-def: $vgpr6
	s_branch .LBB216_1417
.LBB216_1413:
	s_or_saveexec_b64 s[18:19], s[18:19]
	v_mov_b32_e32 v6, 0x7e00
	s_xor_b64 exec, exec, s[18:19]
	s_cbranch_execz .LBB216_1394
.LBB216_1414:
	v_cmp_ne_u16_e32 vcc, 0, v1
	s_andn2_b64 s[16:17], s[16:17], exec
	s_and_b64 s[20:21], vcc, exec
	s_or_b64 s[16:17], s[16:17], s[20:21]
	v_mov_b32_e32 v6, v1
	s_or_b64 exec, exec, s[18:19]
	s_and_saveexec_b64 s[18:19], s[16:17]
	s_cbranch_execnz .LBB216_1395
	s_branch .LBB216_1396
.LBB216_1415:
	s_mov_b64 s[12:13], -1
                                        ; implicit-def: $vgpr6
.LBB216_1416:
	s_mov_b64 s[20:21], 0
.LBB216_1417:
	s_and_b64 vcc, exec, s[20:21]
	s_cbranch_vccz .LBB216_1419
; %bb.1418:
	s_cmp_lg_u32 s29, 11
	s_cselect_b64 s[20:21], -1, 0
	s_andn2_b64 s[12:13], s[12:13], exec
	s_and_b64 s[20:21], s[20:21], exec
	s_mov_b64 s[18:19], -1
	s_or_b64 s[12:13], s[12:13], s[20:21]
.LBB216_1419:
	s_mov_b64 s[20:21], 0
.LBB216_1420:
	s_andn2_b64 s[22:23], s[40:41], exec
	s_and_b64 s[12:13], s[12:13], exec
	s_and_b64 s[16:17], s[16:17], exec
	;; [unrolled: 1-line block ×4, first 2 shown]
	s_or_b64 s[40:41], s[22:23], s[12:13]
	s_or_b64 exec, exec, s[0:1]
	s_and_saveexec_b64 s[0:1], s[40:41]
	s_cbranch_execz .LBB216_1349
.LBB216_1421:
	s_or_b64 s[10:11], s[10:11], exec
	s_andn2_b64 s[18:19], s[18:19], exec
	s_trap 2
	s_or_b64 exec, exec, s[0:1]
	s_and_saveexec_b64 s[0:1], s[18:19]
	s_xor_b64 s[0:1], exec, s[0:1]
	s_cbranch_execnz .LBB216_1350
.LBB216_1422:
	s_or_b64 exec, exec, s[0:1]
	s_and_saveexec_b64 s[0:1], s[20:21]
	s_cbranch_execz .LBB216_1468
.LBB216_1423:
	s_sext_i32_i16 s12, s28
	s_cmp_lt_i32 s12, 5
	s_cbranch_scc1 .LBB216_1428
; %bb.1424:
	s_cmp_lt_i32 s12, 8
	s_cbranch_scc1 .LBB216_1429
; %bb.1425:
	;; [unrolled: 3-line block ×3, first 2 shown]
	s_cmp_gt_i32 s12, 9
	s_cbranch_scc0 .LBB216_1431
; %bb.1427:
	s_waitcnt vmcnt(0)
	global_load_dwordx2 v[1:2], v[3:4], off
	s_movk_i32 s12, 0x1ff
	s_movk_i32 s13, 0xffe
	v_mov_b32_e32 v6, 0x7c00
	v_mov_b32_e32 v7, 0x7e00
	s_movk_i32 s18, 0x40f
	s_mov_b32 s19, 0x8000
	s_waitcnt vmcnt(0)
	v_and_or_b32 v1, v2, s12, v1
	v_cmp_ne_u32_e32 vcc, 0, v1
	v_lshrrev_b32_e32 v8, 8, v2
	v_bfe_u32 v9, v2, 20, 11
	v_cndmask_b32_e64 v1, 0, 1, vcc
	v_sub_u32_e32 v10, 0x3f1, v9
	v_and_or_b32 v1, v8, s13, v1
	v_add_u32_e32 v9, 0xfffffc10, v9
	v_med3_i32 v8, v10, 0, 13
	v_or_b32_e32 v10, 0x1000, v1
	v_cmp_ne_u32_e32 vcc, 0, v1
	v_lshl_or_b32 v11, v9, 12, v1
	v_cndmask_b32_e32 v1, v6, v7, vcc
	v_lshrrev_b32_e32 v7, v8, v10
	v_lshlrev_b32_e32 v8, v8, v7
	v_cmp_ne_u32_e32 vcc, v8, v10
	v_cndmask_b32_e64 v8, 0, 1, vcc
	v_or_b32_e32 v7, v7, v8
	v_cmp_gt_i32_e32 vcc, 1, v9
	v_cndmask_b32_e32 v7, v11, v7, vcc
	v_and_b32_e32 v8, 7, v7
	v_cmp_lt_i32_e32 vcc, 5, v8
	v_cndmask_b32_e64 v10, 0, 1, vcc
	v_cmp_eq_u32_e32 vcc, 3, v8
	v_cndmask_b32_e64 v8, 0, 1, vcc
	v_lshrrev_b32_e32 v7, 2, v7
	v_or_b32_e32 v8, v8, v10
	v_add_u32_e32 v7, v7, v8
	v_cmp_gt_i32_e32 vcc, 31, v9
	v_cndmask_b32_e32 v6, v6, v7, vcc
	v_cmp_eq_u32_e32 vcc, s18, v9
	v_lshrrev_b32_e32 v2, 16, v2
	v_cndmask_b32_e32 v1, v6, v1, vcc
	v_and_or_b32 v6, v2, s19, v1
	s_mov_b64 s[12:13], 0
	s_branch .LBB216_1432
.LBB216_1428:
                                        ; implicit-def: $vgpr6
	s_branch .LBB216_1449
.LBB216_1429:
                                        ; implicit-def: $vgpr6
	s_branch .LBB216_1438
.LBB216_1430:
	s_mov_b64 s[12:13], -1
                                        ; implicit-def: $vgpr6
	s_branch .LBB216_1435
.LBB216_1431:
	s_mov_b64 s[12:13], -1
                                        ; implicit-def: $vgpr6
.LBB216_1432:
	s_andn2_b64 vcc, exec, s[12:13]
	s_cbranch_vccnz .LBB216_1434
; %bb.1433:
	s_waitcnt vmcnt(0)
	global_load_dword v1, v[3:4], off
	s_waitcnt vmcnt(0)
	v_cvt_f16_f32_e32 v6, v1
.LBB216_1434:
	s_mov_b64 s[12:13], 0
.LBB216_1435:
	s_andn2_b64 vcc, exec, s[12:13]
	s_cbranch_vccnz .LBB216_1437
; %bb.1436:
	s_waitcnt vmcnt(0)
	global_load_dword v6, v[3:4], off
.LBB216_1437:
	s_cbranch_execnz .LBB216_1448
.LBB216_1438:
	s_sext_i32_i16 s12, s28
	s_cmp_lt_i32 s12, 6
	s_cbranch_scc1 .LBB216_1441
; %bb.1439:
	s_cmp_gt_i32 s12, 6
	s_cbranch_scc0 .LBB216_1442
; %bb.1440:
	s_waitcnt vmcnt(0)
	global_load_dwordx2 v[1:2], v[3:4], off
	s_movk_i32 s12, 0x1ff
	s_movk_i32 s13, 0xffe
	v_mov_b32_e32 v6, 0x7c00
	v_mov_b32_e32 v7, 0x7e00
	s_movk_i32 s18, 0x40f
	s_mov_b32 s19, 0x8000
	s_waitcnt vmcnt(0)
	v_and_or_b32 v1, v2, s12, v1
	v_cmp_ne_u32_e32 vcc, 0, v1
	v_lshrrev_b32_e32 v8, 8, v2
	v_bfe_u32 v9, v2, 20, 11
	v_cndmask_b32_e64 v1, 0, 1, vcc
	v_sub_u32_e32 v10, 0x3f1, v9
	v_and_or_b32 v1, v8, s13, v1
	v_add_u32_e32 v9, 0xfffffc10, v9
	v_med3_i32 v8, v10, 0, 13
	v_or_b32_e32 v10, 0x1000, v1
	v_cmp_ne_u32_e32 vcc, 0, v1
	v_lshl_or_b32 v11, v9, 12, v1
	v_cndmask_b32_e32 v1, v6, v7, vcc
	v_lshrrev_b32_e32 v7, v8, v10
	v_lshlrev_b32_e32 v8, v8, v7
	v_cmp_ne_u32_e32 vcc, v8, v10
	v_cndmask_b32_e64 v8, 0, 1, vcc
	v_or_b32_e32 v7, v7, v8
	v_cmp_gt_i32_e32 vcc, 1, v9
	v_cndmask_b32_e32 v7, v11, v7, vcc
	v_and_b32_e32 v8, 7, v7
	v_cmp_lt_i32_e32 vcc, 5, v8
	v_cndmask_b32_e64 v10, 0, 1, vcc
	v_cmp_eq_u32_e32 vcc, 3, v8
	v_cndmask_b32_e64 v8, 0, 1, vcc
	v_lshrrev_b32_e32 v7, 2, v7
	v_or_b32_e32 v8, v8, v10
	v_add_u32_e32 v7, v7, v8
	v_cmp_gt_i32_e32 vcc, 31, v9
	v_cndmask_b32_e32 v6, v6, v7, vcc
	v_cmp_eq_u32_e32 vcc, s18, v9
	v_lshrrev_b32_e32 v2, 16, v2
	v_cndmask_b32_e32 v1, v6, v1, vcc
	v_and_or_b32 v6, v2, s19, v1
	s_mov_b64 s[12:13], 0
	s_branch .LBB216_1443
.LBB216_1441:
	s_mov_b64 s[12:13], -1
                                        ; implicit-def: $vgpr6
	s_branch .LBB216_1446
.LBB216_1442:
	s_mov_b64 s[12:13], -1
                                        ; implicit-def: $vgpr6
.LBB216_1443:
	s_andn2_b64 vcc, exec, s[12:13]
	s_cbranch_vccnz .LBB216_1445
; %bb.1444:
	s_waitcnt vmcnt(0)
	global_load_dword v1, v[3:4], off
	s_waitcnt vmcnt(0)
	v_cvt_f16_f32_e32 v6, v1
.LBB216_1445:
	s_mov_b64 s[12:13], 0
.LBB216_1446:
	s_andn2_b64 vcc, exec, s[12:13]
	s_cbranch_vccnz .LBB216_1448
; %bb.1447:
	s_waitcnt vmcnt(0)
	global_load_ushort v6, v[3:4], off
.LBB216_1448:
	s_cbranch_execnz .LBB216_1467
.LBB216_1449:
	s_sext_i32_i16 s12, s28
	s_cmp_lt_i32 s12, 2
	s_cbranch_scc1 .LBB216_1453
; %bb.1450:
	s_cmp_lt_i32 s12, 3
	s_cbranch_scc1 .LBB216_1454
; %bb.1451:
	s_cmp_gt_i32 s12, 3
	s_cbranch_scc0 .LBB216_1455
; %bb.1452:
	s_waitcnt vmcnt(0)
	global_load_dwordx2 v[1:2], v[3:4], off
	s_mov_b64 s[12:13], 0
	s_waitcnt vmcnt(0)
	v_xor_b32_e32 v7, v1, v2
	v_ffbh_i32_e32 v6, v2
	v_ashrrev_i32_e32 v7, 31, v7
	v_add_u32_e32 v6, -1, v6
	v_add_u32_e32 v7, 32, v7
	v_min_u32_e32 v6, v6, v7
	v_lshlrev_b64 v[1:2], v6, v[1:2]
	v_min_u32_e32 v1, 1, v1
	v_or_b32_e32 v1, v2, v1
	v_cvt_f32_i32_e32 v1, v1
	v_sub_u32_e32 v2, 32, v6
	v_ldexp_f32 v1, v1, v2
	v_cvt_f16_f32_e32 v6, v1
	s_branch .LBB216_1456
.LBB216_1453:
                                        ; implicit-def: $vgpr6
	s_branch .LBB216_1462
.LBB216_1454:
	s_mov_b64 s[12:13], -1
                                        ; implicit-def: $vgpr6
	s_branch .LBB216_1459
.LBB216_1455:
	s_mov_b64 s[12:13], -1
                                        ; implicit-def: $vgpr6
.LBB216_1456:
	s_andn2_b64 vcc, exec, s[12:13]
	s_cbranch_vccnz .LBB216_1458
; %bb.1457:
	s_waitcnt vmcnt(0)
	global_load_dword v1, v[3:4], off
	s_waitcnt vmcnt(0)
	v_cvt_f32_i32_e32 v1, v1
	v_cvt_f16_f32_e32 v6, v1
.LBB216_1458:
	s_mov_b64 s[12:13], 0
.LBB216_1459:
	s_andn2_b64 vcc, exec, s[12:13]
	s_cbranch_vccnz .LBB216_1461
; %bb.1460:
	s_waitcnt vmcnt(0)
	global_load_ushort v1, v[3:4], off
	s_waitcnt vmcnt(0)
	v_cvt_f16_i16_e32 v6, v1
.LBB216_1461:
	s_cbranch_execnz .LBB216_1467
.LBB216_1462:
	s_sext_i32_i16 s12, s28
	s_cmp_gt_i32 s12, 0
	s_cbranch_scc0 .LBB216_1464
; %bb.1463:
	s_waitcnt vmcnt(0)
	global_load_sbyte v1, v[3:4], off
	s_mov_b64 s[12:13], 0
	s_waitcnt vmcnt(0)
	v_cvt_f16_i16_e32 v6, v1
	s_branch .LBB216_1465
.LBB216_1464:
	s_mov_b64 s[12:13], -1
                                        ; implicit-def: $vgpr6
.LBB216_1465:
	s_andn2_b64 vcc, exec, s[12:13]
	s_cbranch_vccnz .LBB216_1467
; %bb.1466:
	s_waitcnt vmcnt(0)
	global_load_ubyte v1, v[3:4], off
	s_waitcnt vmcnt(0)
	v_cvt_f16_u16_e32 v6, v1
.LBB216_1467:
	s_or_b64 s[16:17], s[16:17], exec
.LBB216_1468:
	s_or_b64 exec, exec, s[0:1]
	s_mov_b64 s[20:21], 0
	s_mov_b64 s[18:19], 0
                                        ; implicit-def: $sgpr22
                                        ; implicit-def: $vgpr1_vgpr2
                                        ; implicit-def: $vgpr3
	s_and_saveexec_b64 s[12:13], s[16:17]
	s_cbranch_execz .LBB216_1486
; %bb.1469:
	v_mov_b32_e32 v1, s71
	s_waitcnt vmcnt(0)
	v_cmp_ge_f16_e32 vcc, s14, v5
	v_cndmask_b32_e32 v3, v6, v1, vcc
	v_mov_b32_e32 v2, s9
	s_and_b32 s22, s15, 0xff
	v_add_co_u32_e32 v1, vcc, s8, v0
	s_cmp_lt_i32 s22, 11
	v_addc_co_u32_e32 v2, vcc, 0, v2, vcc
	s_cbranch_scc1 .LBB216_1489
; %bb.1470:
	s_and_b32 s20, 0xffff, s22
	s_mov_b64 s[14:15], -1
	s_cmp_gt_i32 s20, 25
	s_mov_b64 s[0:1], s[38:39]
	s_cbranch_scc0 .LBB216_1507
; %bb.1471:
	s_mov_b64 s[8:9], -1
	s_cmp_gt_i32 s20, 28
	s_mov_b64 s[0:1], s[38:39]
	s_cbranch_scc0 .LBB216_1491
; %bb.1472:
	s_cmp_gt_i32 s20, 43
	s_mov_b64 s[0:1], s[38:39]
	s_cbranch_scc0 .LBB216_1483
; %bb.1473:
	;; [unrolled: 4-line block ×3, first 2 shown]
	s_cmp_eq_u32 s20, 46
	s_mov_b64 s[0:1], -1
	s_cbranch_scc0 .LBB216_1476
; %bb.1475:
	v_cvt_f32_f16_e32 v0, v3
	s_movk_i32 s0, 0x7fff
	v_cmp_o_f16_e32 vcc, v3, v3
	v_mov_b32_e32 v4, 0x7fc0
	v_bfe_u32 v5, v0, 16, 1
	v_add3_u32 v0, v0, v5, s0
	v_cndmask_b32_sdwa v0, v4, v0, vcc dst_sel:DWORD dst_unused:UNUSED_PAD src0_sel:DWORD src1_sel:WORD_1
	global_store_dword v[1:2], v0, off
	s_mov_b64 s[0:1], 0
.LBB216_1476:
	s_mov_b64 s[8:9], 0
.LBB216_1477:
	s_and_b64 vcc, exec, s[8:9]
	s_cbranch_vccz .LBB216_1482
; %bb.1478:
	s_cmp_eq_u32 s20, 44
	s_mov_b64 s[0:1], -1
	s_cbranch_scc0 .LBB216_1482
; %bb.1479:
	v_cvt_f32_f16_e32 v0, v3
	s_movk_i32 s0, 0xff
	v_mov_b32_e32 v5, 0xff
	v_bfe_u32 v4, v0, 23, 8
	v_cmp_ne_u32_e32 vcc, s0, v4
	s_and_saveexec_b64 s[8:9], vcc
; %bb.1480:
	s_mov_b32 s0, 0x3fffff
	v_lshrrev_b32_e32 v5, 23, v0
	v_and_b32_e32 v6, 0x400000, v0
	v_and_or_b32 v0, v0, s0, v4
	v_cmp_ne_u32_e32 vcc, 0, v6
	v_cmp_ne_u32_e64 s[0:1], 0, v0
	s_and_b64 s[0:1], vcc, s[0:1]
	v_cndmask_b32_e64 v0, 0, 1, s[0:1]
	v_add_u32_e32 v5, v5, v0
; %bb.1481:
	s_or_b64 exec, exec, s[8:9]
	s_mov_b64 s[0:1], 0
	global_store_byte v[1:2], v5, off
.LBB216_1482:
	s_mov_b64 s[8:9], 0
.LBB216_1483:
	s_and_b64 vcc, exec, s[8:9]
	s_cbranch_vccz .LBB216_1490
; %bb.1484:
	s_cmp_eq_u32 s20, 29
	s_mov_b64 s[0:1], -1
	s_cbranch_scc0 .LBB216_1490
; %bb.1485:
	v_cvt_f32_f16_e32 v0, v3
	v_mov_b32_e32 v5, 0
	s_mov_b64 s[0:1], 0
	s_mov_b64 s[8:9], 0
	v_cvt_u32_f32_e32 v4, v0
	global_store_dwordx2 v[1:2], v[4:5], off
	s_branch .LBB216_1491
.LBB216_1486:
	s_or_b64 exec, exec, s[12:13]
	s_and_saveexec_b64 s[0:1], s[38:39]
	s_cbranch_execnz .LBB216_1549
.LBB216_1487:
	s_or_b64 exec, exec, s[0:1]
	s_and_saveexec_b64 s[0:1], s[20:21]
	s_xor_b64 s[0:1], exec, s[0:1]
	s_cbranch_execz .LBB216_1550
.LBB216_1488:
	s_waitcnt vmcnt(0)
	v_and_b32_e32 v0, 0x7fff, v3
	v_cmp_ne_u16_e32 vcc, 0, v0
	v_cndmask_b32_e64 v0, 0, 1, vcc
	global_store_byte v[1:2], v0, off
	s_or_b64 exec, exec, s[0:1]
	s_and_saveexec_b64 s[0:1], s[18:19]
	s_xor_b64 s[0:1], exec, s[0:1]
	s_cbranch_execz .LBB216_1588
	s_branch .LBB216_1551
.LBB216_1489:
	s_mov_b64 s[14:15], 0
	s_mov_b64 s[8:9], -1
	s_mov_b64 s[0:1], s[38:39]
	s_branch .LBB216_1548
.LBB216_1490:
	s_mov_b64 s[8:9], 0
.LBB216_1491:
	s_and_b64 vcc, exec, s[8:9]
	s_cbranch_vccz .LBB216_1506
; %bb.1492:
	s_cmp_lt_i32 s20, 27
	s_mov_b64 s[8:9], -1
	s_cbranch_scc1 .LBB216_1498
; %bb.1493:
	s_cmp_gt_i32 s20, 27
	s_cbranch_scc0 .LBB216_1495
; %bb.1494:
	v_cvt_f32_f16_e32 v0, v3
	s_mov_b64 s[8:9], 0
	v_cvt_u32_f32_e32 v0, v0
	global_store_dword v[1:2], v0, off
.LBB216_1495:
	s_andn2_b64 vcc, exec, s[8:9]
	s_cbranch_vccnz .LBB216_1497
; %bb.1496:
	v_cvt_u16_f16_e32 v0, v3
	global_store_short v[1:2], v0, off
.LBB216_1497:
	s_mov_b64 s[8:9], 0
.LBB216_1498:
	s_andn2_b64 vcc, exec, s[8:9]
	s_cbranch_vccnz .LBB216_1506
; %bb.1499:
	v_cvt_f32_f16_e32 v0, v3
	s_mov_b32 s8, 0x43800000
	v_mov_b32_e32 v5, 0x80
	v_and_b32_e32 v4, 0x7fffffff, v0
	v_cmp_gt_u32_e32 vcc, s8, v4
	s_and_saveexec_b64 s[8:9], vcc
	s_cbranch_execz .LBB216_1505
; %bb.1500:
	s_mov_b32 s14, 0x3bffffff
	v_cmp_lt_u32_e32 vcc, s14, v4
	s_mov_b64 s[14:15], 0
                                        ; implicit-def: $vgpr4
	s_and_saveexec_b64 s[16:17], vcc
	s_xor_b64 s[16:17], exec, s[16:17]
	s_cbranch_execz .LBB216_1647
; %bb.1501:
	v_bfe_u32 v4, v0, 20, 1
	s_mov_b32 s18, 0x487ffff
	v_add3_u32 v4, v0, v4, s18
	s_mov_b64 s[14:15], exec
	v_lshrrev_b32_e32 v4, 20, v4
	s_andn2_saveexec_b64 s[16:17], s[16:17]
	s_cbranch_execnz .LBB216_1648
.LBB216_1502:
	s_or_b64 exec, exec, s[16:17]
	v_mov_b32_e32 v5, 0
	s_and_saveexec_b64 s[16:17], s[14:15]
.LBB216_1503:
	v_lshrrev_b32_e32 v0, 24, v0
	s_movk_i32 s14, 0x80
	v_and_or_b32 v5, v0, s14, v4
.LBB216_1504:
	s_or_b64 exec, exec, s[16:17]
.LBB216_1505:
	s_or_b64 exec, exec, s[8:9]
	global_store_byte v[1:2], v5, off
.LBB216_1506:
	s_mov_b64 s[14:15], 0
.LBB216_1507:
	s_mov_b64 s[8:9], 0
	s_and_b64 vcc, exec, s[14:15]
	s_cbranch_vccz .LBB216_1547
; %bb.1508:
	s_cmp_gt_i32 s20, 22
	s_mov_b64 s[14:15], -1
	s_cbranch_scc0 .LBB216_1540
; %bb.1509:
	s_cmp_lt_i32 s20, 24
	s_cbranch_scc1 .LBB216_1529
; %bb.1510:
	s_cmp_gt_i32 s20, 24
	s_cbranch_scc0 .LBB216_1518
; %bb.1511:
	v_cvt_f32_f16_e32 v0, v3
	s_mov_b32 s14, 0x47800000
	v_mov_b32_e32 v5, 0x80
	v_and_b32_e32 v4, 0x7fffffff, v0
	v_cmp_gt_u32_e32 vcc, s14, v4
	s_and_saveexec_b64 s[14:15], vcc
	s_cbranch_execz .LBB216_1517
; %bb.1512:
	s_mov_b32 s16, 0x37ffffff
	v_cmp_lt_u32_e32 vcc, s16, v4
	s_mov_b64 s[16:17], 0
                                        ; implicit-def: $vgpr4
	s_and_saveexec_b64 s[18:19], vcc
	s_xor_b64 s[18:19], exec, s[18:19]
	s_cbranch_execz .LBB216_1772
; %bb.1513:
	v_bfe_u32 v4, v0, 21, 1
	s_mov_b32 s21, 0x88fffff
	v_add3_u32 v4, v0, v4, s21
	s_mov_b64 s[16:17], exec
	v_lshrrev_b32_e32 v4, 21, v4
	s_andn2_saveexec_b64 s[18:19], s[18:19]
	s_cbranch_execnz .LBB216_1773
.LBB216_1514:
	s_or_b64 exec, exec, s[18:19]
	v_mov_b32_e32 v5, 0
	s_and_saveexec_b64 s[18:19], s[16:17]
.LBB216_1515:
	v_lshrrev_b32_e32 v0, 24, v0
	s_movk_i32 s16, 0x80
	v_and_or_b32 v5, v0, s16, v4
.LBB216_1516:
	s_or_b64 exec, exec, s[18:19]
.LBB216_1517:
	s_or_b64 exec, exec, s[14:15]
	s_mov_b64 s[14:15], 0
	global_store_byte v[1:2], v5, off
.LBB216_1518:
	s_and_b64 vcc, exec, s[14:15]
	s_cbranch_vccz .LBB216_1528
; %bb.1519:
	v_cvt_f32_f16_e32 v0, v3
	s_mov_b32 s14, 0x43f00000
                                        ; implicit-def: $vgpr4
	v_and_b32_e32 v5, 0x7fffffff, v0
	v_cmp_gt_u32_e32 vcc, s14, v5
	s_and_saveexec_b64 s[14:15], vcc
	s_xor_b64 s[14:15], exec, s[14:15]
	s_cbranch_execz .LBB216_1525
; %bb.1520:
	s_mov_b32 s16, 0x3c7fffff
	v_cmp_lt_u32_e32 vcc, s16, v5
                                        ; implicit-def: $vgpr4
	s_and_saveexec_b64 s[16:17], vcc
	s_xor_b64 s[16:17], exec, s[16:17]
; %bb.1521:
	v_bfe_u32 v4, v0, 20, 1
	s_mov_b32 s18, 0x407ffff
	v_add3_u32 v4, v0, v4, s18
	v_lshrrev_b32_e32 v5, 20, v4
	v_and_b32_e32 v4, 0xff00000, v4
	s_mov_b32 s18, 0x7f00000
	v_mov_b32_e32 v6, 0x7e
	v_cmp_ne_u32_e32 vcc, s18, v4
	v_cndmask_b32_e32 v4, v6, v5, vcc
; %bb.1522:
	s_andn2_saveexec_b64 s[16:17], s[16:17]
; %bb.1523:
	s_mov_b32 s18, 0x46800000
	v_add_f32_e64 v4, |v0|, s18
; %bb.1524:
	s_or_b64 exec, exec, s[16:17]
                                        ; implicit-def: $vgpr5
.LBB216_1525:
	s_andn2_saveexec_b64 s[14:15], s[14:15]
; %bb.1526:
	s_mov_b32 s16, 0x7f800000
	v_mov_b32_e32 v4, 0x7e
	v_mov_b32_e32 v6, 0x7f
	v_cmp_lt_u32_e32 vcc, s16, v5
	v_cndmask_b32_e32 v4, v4, v6, vcc
; %bb.1527:
	s_or_b64 exec, exec, s[14:15]
	v_lshrrev_b32_e32 v0, 24, v0
	s_movk_i32 s14, 0x80
	v_and_or_b32 v0, v0, s14, v4
	global_store_byte v[1:2], v0, off
.LBB216_1528:
	s_mov_b64 s[14:15], 0
.LBB216_1529:
	s_andn2_b64 vcc, exec, s[14:15]
	s_cbranch_vccnz .LBB216_1539
; %bb.1530:
	v_cvt_f32_f16_e32 v0, v3
	s_mov_b32 s14, 0x47800000
                                        ; implicit-def: $vgpr4
	v_and_b32_e32 v5, 0x7fffffff, v0
	v_cmp_gt_u32_e32 vcc, s14, v5
	s_and_saveexec_b64 s[14:15], vcc
	s_xor_b64 s[14:15], exec, s[14:15]
	s_cbranch_execz .LBB216_1536
; %bb.1531:
	s_mov_b32 s16, 0x387fffff
	v_cmp_lt_u32_e32 vcc, s16, v5
                                        ; implicit-def: $vgpr4
	s_and_saveexec_b64 s[16:17], vcc
	s_xor_b64 s[16:17], exec, s[16:17]
; %bb.1532:
	v_bfe_u32 v4, v0, 21, 1
	s_mov_b32 s18, 0x80fffff
	v_add3_u32 v4, v0, v4, s18
	v_lshrrev_b32_e32 v4, 21, v4
; %bb.1533:
	s_andn2_saveexec_b64 s[16:17], s[16:17]
; %bb.1534:
	s_mov_b32 s18, 0x43000000
	v_add_f32_e64 v4, |v0|, s18
; %bb.1535:
	s_or_b64 exec, exec, s[16:17]
                                        ; implicit-def: $vgpr5
.LBB216_1536:
	s_andn2_saveexec_b64 s[14:15], s[14:15]
; %bb.1537:
	s_mov_b32 s16, 0x7f800000
	v_mov_b32_e32 v4, 0x7c
	v_mov_b32_e32 v6, 0x7f
	v_cmp_lt_u32_e32 vcc, s16, v5
	v_cndmask_b32_e32 v4, v4, v6, vcc
; %bb.1538:
	s_or_b64 exec, exec, s[14:15]
	v_lshrrev_b32_e32 v0, 24, v0
	s_movk_i32 s14, 0x80
	v_and_or_b32 v0, v0, s14, v4
	global_store_byte v[1:2], v0, off
.LBB216_1539:
	s_mov_b64 s[14:15], 0
.LBB216_1540:
	s_andn2_b64 vcc, exec, s[14:15]
	s_mov_b64 s[14:15], 0
	s_cbranch_vccnz .LBB216_1548
; %bb.1541:
	s_cmp_gt_i32 s20, 14
	s_mov_b64 s[16:17], -1
	s_cbranch_scc0 .LBB216_1545
; %bb.1542:
	s_cmp_eq_u32 s20, 15
	s_mov_b64 s[0:1], -1
	s_cbranch_scc0 .LBB216_1544
; %bb.1543:
	v_cvt_f32_f16_e32 v0, v3
	s_movk_i32 s0, 0x7fff
	v_cmp_o_f16_e32 vcc, v3, v3
	v_mov_b32_e32 v4, 0x7fc0
	v_bfe_u32 v5, v0, 16, 1
	v_add3_u32 v0, v0, v5, s0
	v_cndmask_b32_sdwa v0, v4, v0, vcc dst_sel:DWORD dst_unused:UNUSED_PAD src0_sel:DWORD src1_sel:WORD_1
	global_store_short v[1:2], v0, off
	s_mov_b64 s[0:1], 0
.LBB216_1544:
	s_mov_b64 s[16:17], 0
.LBB216_1545:
	s_and_b64 vcc, exec, s[16:17]
	s_cbranch_vccz .LBB216_1548
; %bb.1546:
	s_cmp_lg_u32 s20, 11
	s_cselect_b64 s[16:17], -1, 0
	s_andn2_b64 s[0:1], s[0:1], exec
	s_and_b64 s[16:17], s[16:17], exec
	s_mov_b64 s[14:15], -1
	s_or_b64 s[0:1], s[0:1], s[16:17]
	s_branch .LBB216_1548
.LBB216_1547:
	s_mov_b64 s[14:15], 0
.LBB216_1548:
	s_and_b64 s[18:19], s[8:9], exec
	s_andn2_b64 s[8:9], s[38:39], exec
	s_and_b64 s[0:1], s[0:1], exec
	s_and_b64 s[20:21], s[14:15], exec
	s_or_b64 s[38:39], s[8:9], s[0:1]
	s_or_b64 exec, exec, s[12:13]
	s_and_saveexec_b64 s[0:1], s[38:39]
	s_cbranch_execz .LBB216_1487
.LBB216_1549:
	s_or_b64 s[10:11], s[10:11], exec
	s_andn2_b64 s[20:21], s[20:21], exec
	s_trap 2
	s_or_b64 exec, exec, s[0:1]
	s_and_saveexec_b64 s[0:1], s[20:21]
	s_xor_b64 s[0:1], exec, s[0:1]
	s_cbranch_execnz .LBB216_1488
.LBB216_1550:
	s_or_b64 exec, exec, s[0:1]
	s_and_saveexec_b64 s[0:1], s[18:19]
	s_xor_b64 s[0:1], exec, s[0:1]
	s_cbranch_execz .LBB216_1588
.LBB216_1551:
	s_sext_i32_i16 s12, s22
	s_cmp_lt_i32 s12, 5
	s_mov_b64 s[8:9], -1
	s_cbranch_scc1 .LBB216_1572
; %bb.1552:
	s_cmp_lt_i32 s12, 8
	s_cbranch_scc1 .LBB216_1562
; %bb.1553:
	s_cmp_lt_i32 s12, 9
	s_cbranch_scc1 .LBB216_1559
; %bb.1554:
	s_cmp_gt_i32 s12, 9
	s_cbranch_scc0 .LBB216_1556
; %bb.1555:
	s_waitcnt vmcnt(0)
	v_cvt_f32_f16_e32 v0, v3
	v_mov_b32_e32 v6, 0
	v_mov_b32_e32 v7, v6
	s_mov_b64 s[8:9], 0
	v_cvt_f64_f32_e32 v[4:5], v0
	global_store_dwordx4 v[1:2], v[4:7], off
.LBB216_1556:
	s_andn2_b64 vcc, exec, s[8:9]
	s_cbranch_vccnz .LBB216_1558
; %bb.1557:
	s_waitcnt vmcnt(0)
	v_cvt_f32_f16_e32 v4, v3
	v_mov_b32_e32 v5, 0
	global_store_dwordx2 v[1:2], v[4:5], off
.LBB216_1558:
	s_mov_b64 s[8:9], 0
.LBB216_1559:
	s_andn2_b64 vcc, exec, s[8:9]
	s_cbranch_vccnz .LBB216_1561
; %bb.1560:
	s_waitcnt vmcnt(0)
	v_and_b32_e32 v0, 0xffff, v3
	global_store_dword v[1:2], v0, off
.LBB216_1561:
	s_mov_b64 s[8:9], 0
.LBB216_1562:
	s_andn2_b64 vcc, exec, s[8:9]
	s_cbranch_vccnz .LBB216_1571
; %bb.1563:
	s_sext_i32_i16 s12, s22
	s_cmp_lt_i32 s12, 6
	s_mov_b64 s[8:9], -1
	s_cbranch_scc1 .LBB216_1569
; %bb.1564:
	s_cmp_gt_i32 s12, 6
	s_cbranch_scc0 .LBB216_1566
; %bb.1565:
	s_waitcnt vmcnt(0)
	v_cvt_f32_f16_e32 v0, v3
	s_mov_b64 s[8:9], 0
	v_cvt_f64_f32_e32 v[4:5], v0
	global_store_dwordx2 v[1:2], v[4:5], off
.LBB216_1566:
	s_andn2_b64 vcc, exec, s[8:9]
	s_cbranch_vccnz .LBB216_1568
; %bb.1567:
	s_waitcnt vmcnt(0)
	v_cvt_f32_f16_e32 v0, v3
	global_store_dword v[1:2], v0, off
.LBB216_1568:
	s_mov_b64 s[8:9], 0
.LBB216_1569:
	s_andn2_b64 vcc, exec, s[8:9]
	s_cbranch_vccnz .LBB216_1571
; %bb.1570:
	s_waitcnt vmcnt(0)
	global_store_short v[1:2], v3, off
.LBB216_1571:
	s_mov_b64 s[8:9], 0
.LBB216_1572:
	s_andn2_b64 vcc, exec, s[8:9]
	s_cbranch_vccnz .LBB216_1588
; %bb.1573:
	s_sext_i32_i16 s12, s22
	s_cmp_lt_i32 s12, 2
	s_mov_b64 s[8:9], -1
	s_cbranch_scc1 .LBB216_1583
; %bb.1574:
	s_cmp_lt_i32 s12, 3
	s_cbranch_scc1 .LBB216_1580
; %bb.1575:
	s_cmp_gt_i32 s12, 3
	s_cbranch_scc0 .LBB216_1577
; %bb.1576:
	s_waitcnt vmcnt(0)
	v_cvt_f32_f16_e32 v0, v3
	s_mov_b64 s[8:9], 0
	v_cvt_i32_f32_e32 v4, v0
	v_ashrrev_i32_e32 v5, 31, v4
	global_store_dwordx2 v[1:2], v[4:5], off
.LBB216_1577:
	s_andn2_b64 vcc, exec, s[8:9]
	s_cbranch_vccnz .LBB216_1579
; %bb.1578:
	s_waitcnt vmcnt(0)
	v_cvt_f32_f16_e32 v0, v3
	v_cvt_i32_f32_e32 v0, v0
	global_store_dword v[1:2], v0, off
.LBB216_1579:
	s_mov_b64 s[8:9], 0
.LBB216_1580:
	s_andn2_b64 vcc, exec, s[8:9]
	s_cbranch_vccnz .LBB216_1582
; %bb.1581:
	s_waitcnt vmcnt(0)
	v_cvt_i16_f16_e32 v0, v3
	global_store_short v[1:2], v0, off
.LBB216_1582:
	s_mov_b64 s[8:9], 0
.LBB216_1583:
	s_andn2_b64 vcc, exec, s[8:9]
	s_cbranch_vccnz .LBB216_1588
; %bb.1584:
	s_sext_i32_i16 s8, s22
	s_cmp_gt_i32 s8, 0
	s_mov_b64 s[8:9], -1
	s_cbranch_scc0 .LBB216_1586
; %bb.1585:
	s_waitcnt vmcnt(0)
	v_cvt_i16_f16_e32 v0, v3
	s_mov_b64 s[8:9], 0
	global_store_byte v[1:2], v0, off
.LBB216_1586:
	s_andn2_b64 vcc, exec, s[8:9]
	s_cbranch_vccnz .LBB216_1588
; %bb.1587:
	s_waitcnt vmcnt(0)
	v_cvt_f32_f16_e32 v0, v3
	v_cvt_i32_f32_e32 v0, v0
	global_store_byte v[1:2], v0, off
.LBB216_1588:
	s_or_b64 exec, exec, s[0:1]
	s_and_b64 s[12:13], s[10:11], exec
                                        ; implicit-def: $vgpr23
                                        ; implicit-def: $vgpr8
.LBB216_1589:
	s_or_saveexec_b64 s[14:15], s[26:27]
	s_mov_b64 s[0:1], 0
                                        ; implicit-def: $vgpr0_vgpr1
                                        ; implicit-def: $sgpr20
                                        ; implicit-def: $vgpr2
	s_xor_b64 exec, exec, s[14:15]
	s_cbranch_execz .LBB216_3103
; %bb.1590:
	v_cndmask_b32_e64 v0, 0, 1, s[24:25]
	v_cmp_ne_u32_e64 s[0:1], 1, v0
	s_andn2_b64 vcc, exec, s[24:25]
	s_cbranch_vccnz .LBB216_1596
; %bb.1591:
	s_cmp_lg_u32 s33, 0
	s_cbranch_scc0 .LBB216_1597
; %bb.1592:
	s_min_u32 s8, s70, 15
	s_add_i32 s6, s8, 1
	s_and_b32 s9, s6, 30
	s_add_u32 s6, s2, 0xffffffe8
	s_addc_u32 s7, s3, -1
	v_mov_b32_e32 v19, 0
	v_mov_b32_e32 v21, 0
	s_waitcnt vmcnt(0)
	v_mov_b32_e32 v6, 0
	v_mov_b32_e32 v0, v8
.LBB216_1593:                           ; =>This Inner Loop Header: Depth=1
	s_load_dwordx4 s[16:19], s[6:7], 0x1c
	s_load_dwordx2 s[10:11], s[6:7], 0x2c
	s_load_dwordx2 s[24:25], s[6:7], 0xec
	s_load_dwordx4 s[20:23], s[6:7], 0xdc
	s_add_u32 s6, s6, 24
	s_waitcnt lgkmcnt(0)
	v_mul_hi_u32 v1, s17, v0
	s_addc_u32 s7, s7, 0
	s_add_i32 s9, s9, -2
	s_cmp_lg_u32 s9, 0
	v_add_u32_e32 v1, v0, v1
	v_lshrrev_b32_e32 v1, s18, v1
	v_mul_lo_u32 v2, v1, s16
	v_mul_hi_u32 v3, s10, v1
	v_sub_u32_e32 v2, v0, v2
	v_add_u32_e32 v0, v1, v3
	v_lshrrev_b32_e32 v0, s11, v0
	v_mul_lo_u32 v5, v0, s19
	v_mul_lo_u32 v3, v2, s20
	;; [unrolled: 1-line block ×4, first 2 shown]
	v_sub_u32_e32 v1, v1, v5
	v_mul_lo_u32 v5, v1, s23
	v_mul_lo_u32 v7, v1, s24
	;; [unrolled: 1-line block ×3, first 2 shown]
	v_add3_u32 v6, v3, v6, v5
	v_add3_u32 v21, v4, v21, v7
	;; [unrolled: 1-line block ×3, first 2 shown]
	s_cbranch_scc1 .LBB216_1593
; %bb.1594:
	s_bitcmp1_b32 s8, 0
	s_cselect_b64 s[8:9], -1, 0
	s_and_b64 vcc, exec, s[8:9]
	s_cbranch_vccnz .LBB216_1598
; %bb.1595:
	s_load_dwordx2 s[8:9], s[6:7], 0x1c
	s_load_dword s16, s[6:7], 0x24
	s_load_dwordx2 s[10:11], s[6:7], 0xdc
	s_waitcnt lgkmcnt(0)
	v_mul_hi_u32 v1, s9, v0
	v_add_u32_e32 v1, v0, v1
	v_lshrrev_b32_e32 v1, s16, v1
	v_mul_lo_u32 v1, v1, s8
	s_load_dword s8, s[6:7], 0xe4
	v_sub_u32_e32 v0, v0, v1
	v_mad_u64_u32 v[6:7], s[6:7], v0, s10, v[6:7]
	v_mad_u64_u32 v[21:22], s[6:7], v0, s11, v[21:22]
	s_waitcnt lgkmcnt(0)
	v_mad_u64_u32 v[19:20], s[6:7], v0, s8, v[19:20]
	s_cbranch_execz .LBB216_1599
	s_branch .LBB216_1601
.LBB216_1596:
                                        ; implicit-def: $vgpr6
                                        ; implicit-def: $vgpr21
                                        ; implicit-def: $vgpr19
	s_branch .LBB216_1599
.LBB216_1597:
	s_waitcnt vmcnt(0)
	v_mov_b32_e32 v6, 0
	v_mov_b32_e32 v21, 0
	;; [unrolled: 1-line block ×3, first 2 shown]
.LBB216_1598:
	s_cbranch_execnz .LBB216_1601
.LBB216_1599:
	s_load_dwordx4 s[8:11], s[2:3], 0x4
	s_load_dwordx4 s[16:19], s[2:3], 0xc4
	s_cmp_lt_u32 s33, 2
	s_waitcnt lgkmcnt(0)
	v_mul_hi_u32 v0, s9, v8
	v_add_u32_e32 v0, v8, v0
	v_lshrrev_b32_e32 v0, s10, v0
	v_mul_lo_u32 v1, v0, s8
	v_sub_u32_e32 v1, v8, v1
	s_waitcnt vmcnt(0)
	v_mul_lo_u32 v6, v1, s16
	v_mul_lo_u32 v21, v1, s17
	;; [unrolled: 1-line block ×3, first 2 shown]
	s_cbranch_scc1 .LBB216_1601
; %bb.1600:
	s_load_dwordx4 s[8:11], s[2:3], 0x10
	s_load_dwordx4 s[16:19], s[2:3], 0xd0
	s_waitcnt lgkmcnt(0)
	v_mul_hi_u32 v1, s9, v0
	v_add_u32_e32 v1, v0, v1
	v_lshrrev_b32_e32 v1, s10, v1
	v_mul_lo_u32 v1, v1, s8
	v_sub_u32_e32 v0, v0, v1
	v_mad_u64_u32 v[6:7], s[6:7], v0, s16, v[6:7]
	v_mad_u64_u32 v[21:22], s[6:7], v0, s17, v[21:22]
	;; [unrolled: 1-line block ×3, first 2 shown]
.LBB216_1601:
	s_and_b64 vcc, exec, s[0:1]
	v_add_u32_e32 v0, 0x80, v8
	s_cbranch_vccnz .LBB216_1607
; %bb.1602:
	s_cmp_lg_u32 s33, 0
	s_cbranch_scc0 .LBB216_1608
; %bb.1603:
	s_min_u32 s8, s70, 15
	s_add_i32 s6, s8, 1
	s_and_b32 s9, s6, 30
	s_add_u32 s6, s2, 0xffffffe8
	s_addc_u32 s7, s3, -1
	v_mov_b32_e32 v15, 0
	v_mov_b32_e32 v17, 0
	;; [unrolled: 1-line block ×4, first 2 shown]
.LBB216_1604:                           ; =>This Inner Loop Header: Depth=1
	s_load_dwordx4 s[16:19], s[6:7], 0x1c
	s_load_dwordx2 s[10:11], s[6:7], 0x2c
	s_load_dwordx2 s[24:25], s[6:7], 0xec
	s_load_dwordx4 s[20:23], s[6:7], 0xdc
	s_add_u32 s6, s6, 24
	s_waitcnt lgkmcnt(0)
	v_mul_hi_u32 v2, s17, v1
	s_addc_u32 s7, s7, 0
	s_add_i32 s9, s9, -2
	s_cmp_lg_u32 s9, 0
	v_add_u32_e32 v2, v1, v2
	v_lshrrev_b32_e32 v2, s18, v2
	s_waitcnt vmcnt(0)
	v_mul_lo_u32 v3, v2, s16
	v_mul_hi_u32 v5, s10, v2
	v_sub_u32_e32 v3, v1, v3
	v_add_u32_e32 v1, v2, v5
	v_lshrrev_b32_e32 v1, s11, v1
	v_mul_lo_u32 v9, v1, s19
	v_mul_lo_u32 v5, v3, s20
	;; [unrolled: 1-line block ×4, first 2 shown]
	v_sub_u32_e32 v2, v2, v9
	v_mul_lo_u32 v9, v2, s23
	v_mul_lo_u32 v10, v2, s24
	;; [unrolled: 1-line block ×3, first 2 shown]
	v_add3_u32 v4, v5, v4, v9
	v_add3_u32 v17, v7, v17, v10
	;; [unrolled: 1-line block ×3, first 2 shown]
	s_cbranch_scc1 .LBB216_1604
; %bb.1605:
	s_bitcmp1_b32 s8, 0
	s_cselect_b64 s[8:9], -1, 0
	s_and_b64 vcc, exec, s[8:9]
	s_cbranch_vccnz .LBB216_1609
; %bb.1606:
	s_load_dwordx2 s[8:9], s[6:7], 0x1c
	s_load_dword s16, s[6:7], 0x24
	s_load_dwordx2 s[10:11], s[6:7], 0xdc
	s_waitcnt lgkmcnt(0)
	v_mul_hi_u32 v2, s9, v1
	v_add_u32_e32 v2, v1, v2
	v_lshrrev_b32_e32 v2, s16, v2
	v_mul_lo_u32 v2, v2, s8
	s_load_dword s8, s[6:7], 0xe4
	v_sub_u32_e32 v1, v1, v2
	v_mad_u64_u32 v[4:5], s[6:7], v1, s10, v[4:5]
	v_mad_u64_u32 v[17:18], s[6:7], v1, s11, v[17:18]
	s_waitcnt lgkmcnt(0)
	v_mad_u64_u32 v[15:16], s[6:7], v1, s8, v[15:16]
	s_cbranch_execz .LBB216_1610
	s_branch .LBB216_1612
.LBB216_1607:
                                        ; implicit-def: $vgpr4
                                        ; implicit-def: $vgpr17
                                        ; implicit-def: $vgpr15
	s_branch .LBB216_1610
.LBB216_1608:
	v_mov_b32_e32 v4, 0
	v_mov_b32_e32 v17, 0
	;; [unrolled: 1-line block ×3, first 2 shown]
.LBB216_1609:
	s_cbranch_execnz .LBB216_1612
.LBB216_1610:
	s_load_dwordx4 s[8:11], s[2:3], 0x4
	s_load_dwordx4 s[16:19], s[2:3], 0xc4
	s_cmp_lt_u32 s33, 2
	s_waitcnt lgkmcnt(0)
	v_mul_hi_u32 v1, s9, v0
	v_add_u32_e32 v1, v0, v1
	v_lshrrev_b32_e32 v1, s10, v1
	v_mul_lo_u32 v2, v1, s8
	v_sub_u32_e32 v0, v0, v2
	v_mul_lo_u32 v4, v0, s16
	v_mul_lo_u32 v17, v0, s17
	;; [unrolled: 1-line block ×3, first 2 shown]
	s_cbranch_scc1 .LBB216_1612
; %bb.1611:
	s_load_dwordx4 s[8:11], s[2:3], 0x10
	s_load_dwordx4 s[16:19], s[2:3], 0xd0
	s_waitcnt lgkmcnt(0)
	v_mul_hi_u32 v0, s9, v1
	v_add_u32_e32 v0, v1, v0
	v_lshrrev_b32_e32 v0, s10, v0
	v_mul_lo_u32 v0, v0, s8
	v_sub_u32_e32 v0, v1, v0
	s_waitcnt vmcnt(0)
	v_mad_u64_u32 v[4:5], s[6:7], v0, s16, v[4:5]
	v_mad_u64_u32 v[17:18], s[6:7], v0, s17, v[17:18]
	;; [unrolled: 1-line block ×3, first 2 shown]
.LBB216_1612:
	s_and_b64 vcc, exec, s[0:1]
	v_add_u32_e32 v0, 0x100, v8
	s_cbranch_vccnz .LBB216_1618
; %bb.1613:
	s_cmp_lg_u32 s33, 0
	s_cbranch_scc0 .LBB216_1619
; %bb.1614:
	s_min_u32 s8, s70, 15
	s_add_i32 s6, s8, 1
	s_and_b32 s9, s6, 30
	s_add_u32 s6, s2, 0xffffffe8
	s_addc_u32 s7, s3, -1
	v_mov_b32_e32 v11, 0
	v_mov_b32_e32 v13, 0
	;; [unrolled: 1-line block ×4, first 2 shown]
.LBB216_1615:                           ; =>This Inner Loop Header: Depth=1
	s_load_dwordx4 s[16:19], s[6:7], 0x1c
	s_load_dwordx2 s[10:11], s[6:7], 0x2c
	s_load_dwordx2 s[24:25], s[6:7], 0xec
	s_load_dwordx4 s[20:23], s[6:7], 0xdc
	s_add_u32 s6, s6, 24
	s_waitcnt vmcnt(0) lgkmcnt(0)
	v_mul_hi_u32 v3, s17, v1
	s_addc_u32 s7, s7, 0
	s_add_i32 s9, s9, -2
	s_cmp_lg_u32 s9, 0
	v_add_u32_e32 v3, v1, v3
	v_lshrrev_b32_e32 v3, s18, v3
	v_mul_lo_u32 v5, v3, s16
	v_mul_hi_u32 v7, s10, v3
	v_sub_u32_e32 v5, v1, v5
	v_add_u32_e32 v1, v3, v7
	v_lshrrev_b32_e32 v1, s11, v1
	v_mul_lo_u32 v9, v1, s19
	v_mul_lo_u32 v7, v5, s20
	;; [unrolled: 1-line block ×4, first 2 shown]
	v_sub_u32_e32 v3, v3, v9
	v_mul_lo_u32 v9, v3, s23
	v_mul_lo_u32 v10, v3, s24
	;; [unrolled: 1-line block ×3, first 2 shown]
	v_add3_u32 v2, v7, v2, v9
	v_add3_u32 v13, v8, v13, v10
	;; [unrolled: 1-line block ×3, first 2 shown]
	s_cbranch_scc1 .LBB216_1615
; %bb.1616:
	s_bitcmp1_b32 s8, 0
	s_cselect_b64 s[8:9], -1, 0
	s_and_b64 vcc, exec, s[8:9]
	s_cbranch_vccnz .LBB216_1620
; %bb.1617:
	s_load_dwordx2 s[8:9], s[6:7], 0x1c
	s_load_dword s16, s[6:7], 0x24
	s_load_dwordx2 s[10:11], s[6:7], 0xdc
	s_waitcnt lgkmcnt(0)
	v_mul_hi_u32 v3, s9, v1
	v_add_u32_e32 v3, v1, v3
	v_lshrrev_b32_e32 v3, s16, v3
	v_mul_lo_u32 v3, v3, s8
	s_load_dword s8, s[6:7], 0xe4
	v_sub_u32_e32 v1, v1, v3
	v_mad_u64_u32 v[2:3], s[6:7], v1, s10, v[2:3]
	v_mad_u64_u32 v[13:14], s[6:7], v1, s11, v[13:14]
	s_waitcnt lgkmcnt(0)
	v_mad_u64_u32 v[11:12], s[6:7], v1, s8, v[11:12]
	s_cbranch_execz .LBB216_1621
	s_branch .LBB216_1623
.LBB216_1618:
                                        ; implicit-def: $vgpr2
                                        ; implicit-def: $vgpr13
                                        ; implicit-def: $vgpr11
	s_branch .LBB216_1621
.LBB216_1619:
	v_mov_b32_e32 v2, 0
	v_mov_b32_e32 v13, 0
	;; [unrolled: 1-line block ×3, first 2 shown]
.LBB216_1620:
	s_cbranch_execnz .LBB216_1623
.LBB216_1621:
	s_load_dwordx4 s[8:11], s[2:3], 0x4
	s_load_dwordx4 s[16:19], s[2:3], 0xc4
	s_cmp_lt_u32 s33, 2
	s_waitcnt lgkmcnt(0)
	v_mul_hi_u32 v1, s9, v0
	v_add_u32_e32 v1, v0, v1
	v_lshrrev_b32_e32 v1, s10, v1
	v_mul_lo_u32 v2, v1, s8
	v_sub_u32_e32 v0, v0, v2
	v_mul_lo_u32 v2, v0, s16
	v_mul_lo_u32 v13, v0, s17
	;; [unrolled: 1-line block ×3, first 2 shown]
	s_cbranch_scc1 .LBB216_1623
; %bb.1622:
	s_load_dwordx4 s[8:11], s[2:3], 0x10
	s_load_dwordx4 s[16:19], s[2:3], 0xd0
	s_waitcnt lgkmcnt(0)
	v_mul_hi_u32 v0, s9, v1
	v_add_u32_e32 v0, v1, v0
	v_lshrrev_b32_e32 v0, s10, v0
	v_mul_lo_u32 v0, v0, s8
	v_sub_u32_e32 v0, v1, v0
	s_waitcnt vmcnt(0)
	v_mad_u64_u32 v[2:3], s[6:7], v0, s16, v[2:3]
	v_mad_u64_u32 v[13:14], s[6:7], v0, s17, v[13:14]
	;; [unrolled: 1-line block ×3, first 2 shown]
.LBB216_1623:
	s_and_b64 vcc, exec, s[0:1]
	s_cbranch_vccnz .LBB216_1629
; %bb.1624:
	s_cmp_lg_u32 s33, 0
	s_cbranch_scc0 .LBB216_1630
; %bb.1625:
	s_min_u32 s6, s70, 15
	s_add_i32 s0, s6, 1
	s_and_b32 s7, s0, 30
	s_add_u32 s0, s2, 0xffffffe8
	s_addc_u32 s1, s3, -1
	v_mov_b32_e32 v7, 0
	v_mov_b32_e32 v9, 0
	;; [unrolled: 1-line block ×4, first 2 shown]
.LBB216_1626:                           ; =>This Inner Loop Header: Depth=1
	s_load_dwordx4 s[8:11], s[0:1], 0x1c
	s_load_dwordx2 s[20:21], s[0:1], 0x2c
	s_load_dwordx2 s[22:23], s[0:1], 0xec
	s_load_dwordx4 s[16:19], s[0:1], 0xdc
	s_add_u32 s0, s0, 24
	s_waitcnt vmcnt(0) lgkmcnt(0)
	v_mul_hi_u32 v3, s9, v1
	s_addc_u32 s1, s1, 0
	s_add_i32 s7, s7, -2
	s_cmp_lg_u32 s7, 0
	v_add_u32_e32 v3, v1, v3
	v_lshrrev_b32_e32 v3, s10, v3
	v_mul_lo_u32 v5, v3, s8
	v_mul_hi_u32 v8, s20, v3
	v_sub_u32_e32 v5, v1, v5
	v_add_u32_e32 v1, v3, v8
	v_lshrrev_b32_e32 v1, s21, v1
	v_mul_lo_u32 v12, v1, s11
	v_mul_lo_u32 v8, v5, s16
	v_mul_lo_u32 v10, v5, s17
	v_mul_lo_u32 v5, v5, s18
	v_sub_u32_e32 v3, v3, v12
	v_mul_lo_u32 v12, v3, s19
	v_mul_lo_u32 v14, v3, s22
	;; [unrolled: 1-line block ×3, first 2 shown]
	v_add3_u32 v0, v8, v0, v12
	v_add3_u32 v9, v10, v9, v14
	;; [unrolled: 1-line block ×3, first 2 shown]
	s_cbranch_scc1 .LBB216_1626
; %bb.1627:
	s_bitcmp1_b32 s6, 0
	s_cselect_b64 s[6:7], -1, 0
	s_and_b64 vcc, exec, s[6:7]
	s_cbranch_vccnz .LBB216_1631
; %bb.1628:
	s_load_dwordx2 s[6:7], s[0:1], 0x1c
	s_load_dword s10, s[0:1], 0x24
	s_load_dwordx2 s[8:9], s[0:1], 0xdc
	s_waitcnt lgkmcnt(0)
	v_mul_hi_u32 v3, s7, v1
	v_add_u32_e32 v3, v1, v3
	v_lshrrev_b32_e32 v3, s10, v3
	v_mul_lo_u32 v3, v3, s6
	s_load_dword s6, s[0:1], 0xe4
	v_sub_u32_e32 v3, v1, v3
	v_mad_u64_u32 v[0:1], s[0:1], v3, s8, v[0:1]
	v_mad_u64_u32 v[9:10], s[0:1], v3, s9, v[9:10]
	s_waitcnt lgkmcnt(0)
	v_mad_u64_u32 v[7:8], s[0:1], v3, s6, v[7:8]
	s_cbranch_execz .LBB216_1632
	s_branch .LBB216_1634
.LBB216_1629:
                                        ; implicit-def: $vgpr0
                                        ; implicit-def: $vgpr9
                                        ; implicit-def: $vgpr7
	s_branch .LBB216_1632
.LBB216_1630:
	v_mov_b32_e32 v0, 0
	v_mov_b32_e32 v9, 0
	;; [unrolled: 1-line block ×3, first 2 shown]
.LBB216_1631:
	s_cbranch_execnz .LBB216_1634
.LBB216_1632:
	s_load_dwordx4 s[8:11], s[2:3], 0x4
	s_load_dwordx4 s[16:19], s[2:3], 0xc4
	s_cmp_lt_u32 s33, 2
	s_waitcnt lgkmcnt(0)
	v_mul_hi_u32 v0, s9, v23
	v_add_u32_e32 v0, v23, v0
	v_lshrrev_b32_e32 v1, s10, v0
	v_mul_lo_u32 v0, v1, s8
	s_waitcnt vmcnt(0)
	v_sub_u32_e32 v3, v23, v0
	v_mul_lo_u32 v0, v3, s16
	v_mul_lo_u32 v9, v3, s17
	;; [unrolled: 1-line block ×3, first 2 shown]
	s_cbranch_scc1 .LBB216_1634
; %bb.1633:
	s_load_dwordx4 s[8:11], s[2:3], 0x10
	s_load_dwordx4 s[16:19], s[2:3], 0xd0
	s_waitcnt lgkmcnt(0)
	v_mul_hi_u32 v3, s9, v1
	v_add_u32_e32 v3, v1, v3
	v_lshrrev_b32_e32 v3, s10, v3
	v_mul_lo_u32 v3, v3, s8
	v_sub_u32_e32 v3, v1, v3
	v_mad_u64_u32 v[0:1], s[0:1], v3, s16, v[0:1]
	v_mad_u64_u32 v[9:10], s[0:1], v3, s17, v[9:10]
	;; [unrolled: 1-line block ×3, first 2 shown]
.LBB216_1634:
	s_load_dwordx4 s[8:11], s[2:3], 0x188
	s_load_dword s25, s[4:5], 0x1ac
	s_waitcnt lgkmcnt(0)
	v_mov_b32_e32 v1, s11
	s_bfe_u32 s20, s25, 0x80008
	v_add_co_u32_e32 v20, vcc, s10, v21
	s_cmp_lt_i32 s20, 11
	v_addc_co_u32_e32 v21, vcc, 0, v1, vcc
	s_cbranch_scc1 .LBB216_1641
; %bb.1635:
	s_and_b32 s21, 0xffff, s20
	s_cmp_gt_i32 s21, 25
	s_mov_b64 s[6:7], 0
	s_cbranch_scc0 .LBB216_1643
; %bb.1636:
	s_cmp_gt_i32 s21, 28
	s_cbranch_scc0 .LBB216_1644
; %bb.1637:
	s_cmp_gt_i32 s21, 43
	;; [unrolled: 3-line block ×3, first 2 shown]
	s_cbranch_scc0 .LBB216_1646
; %bb.1639:
	s_cmp_eq_u32 s21, 46
	s_mov_b64 s[4:5], 0
	s_cbranch_scc0 .LBB216_1649
; %bb.1640:
	global_load_dword v1, v[20:21], off
	s_mov_b64 s[0:1], 0
	s_mov_b64 s[16:17], -1
	s_waitcnt vmcnt(0)
	v_lshlrev_b32_e32 v1, 16, v1
	v_cvt_f16_f32_e32 v1, v1
	s_branch .LBB216_1650
.LBB216_1641:
	s_mov_b64 s[16:17], 0
                                        ; implicit-def: $vgpr1
	s_mov_b64 s[4:5], s[12:13]
	s_cbranch_execnz .LBB216_1713
.LBB216_1642:
	s_andn2_b64 vcc, exec, s[16:17]
	s_cbranch_vccz .LBB216_1758
	s_branch .LBB216_3101
.LBB216_1643:
	s_mov_b64 s[16:17], 0
	s_mov_b64 s[0:1], 0
                                        ; implicit-def: $vgpr1
	s_cbranch_execnz .LBB216_1678
	s_branch .LBB216_1709
.LBB216_1644:
	s_mov_b64 s[4:5], -1
	s_mov_b64 s[16:17], 0
	s_mov_b64 s[0:1], 0
                                        ; implicit-def: $vgpr1
	s_branch .LBB216_1659
.LBB216_1645:
	s_mov_b64 s[16:17], 0
	s_mov_b64 s[0:1], 0
                                        ; implicit-def: $vgpr1
	s_cbranch_execnz .LBB216_1655
	s_branch .LBB216_1658
.LBB216_1646:
	s_mov_b64 s[4:5], -1
	s_mov_b64 s[16:17], 0
	s_mov_b64 s[0:1], 0
                                        ; implicit-def: $vgpr1
	s_branch .LBB216_1650
.LBB216_1647:
	s_andn2_saveexec_b64 s[16:17], s[16:17]
	s_cbranch_execz .LBB216_1502
.LBB216_1648:
	s_mov_b32 s18, 0x46000000
	v_add_f32_e64 v4, |v0|, s18
	v_and_b32_e32 v4, 0xff, v4
	v_cmp_ne_u32_e32 vcc, 0, v4
	s_andn2_b64 s[14:15], s[14:15], exec
	s_and_b64 s[18:19], vcc, exec
	s_or_b64 s[14:15], s[14:15], s[18:19]
	s_or_b64 exec, exec, s[16:17]
	v_mov_b32_e32 v5, 0
	s_and_saveexec_b64 s[16:17], s[14:15]
	s_cbranch_execnz .LBB216_1503
	s_branch .LBB216_1504
.LBB216_1649:
	s_mov_b64 s[0:1], -1
                                        ; implicit-def: $vgpr1
	s_mov_b64 s[16:17], 0
.LBB216_1650:
	s_and_b64 vcc, exec, s[4:5]
	s_cbranch_vccz .LBB216_1653
; %bb.1651:
	s_cmp_eq_u32 s21, 44
	s_cbranch_scc0 .LBB216_1654
; %bb.1652:
	global_load_ubyte v1, v[20:21], off
	s_movk_i32 s4, 0xff
	s_waitcnt vmcnt(1)
	v_mov_b32_e32 v5, 0x7e00
	s_mov_b64 s[0:1], 0
	s_mov_b64 s[16:17], -1
	s_waitcnt vmcnt(0)
	v_lshlrev_b32_e32 v3, 23, v1
	v_cvt_f16_f32_e32 v3, v3
	v_cmp_ne_u32_e32 vcc, s4, v1
	v_cndmask_b32_e32 v3, v5, v3, vcc
	v_cmp_ne_u32_e32 vcc, 0, v1
	v_cndmask_b32_e32 v1, 0, v3, vcc
.LBB216_1653:
	s_branch .LBB216_1658
.LBB216_1654:
	s_mov_b64 s[0:1], -1
                                        ; implicit-def: $vgpr1
	s_branch .LBB216_1658
.LBB216_1655:
	s_cmp_eq_u32 s21, 29
	s_cbranch_scc0 .LBB216_1657
; %bb.1656:
	global_load_dwordx2 v[22:23], v[20:21], off
	s_mov_b64 s[0:1], 0
	s_mov_b64 s[16:17], -1
	s_mov_b64 s[4:5], 0
	s_waitcnt vmcnt(0)
	v_ffbh_u32_e32 v1, v23
	v_min_u32_e32 v1, 32, v1
	v_lshlrev_b64 v[22:23], v1, v[22:23]
	v_sub_u32_e32 v1, 32, v1
	v_min_u32_e32 v3, 1, v22
	v_or_b32_e32 v3, v23, v3
	v_cvt_f32_u32_e32 v3, v3
	v_ldexp_f32 v1, v3, v1
	v_cvt_f16_f32_e32 v1, v1
	s_branch .LBB216_1659
.LBB216_1657:
	s_mov_b64 s[0:1], -1
                                        ; implicit-def: $vgpr1
.LBB216_1658:
	s_mov_b64 s[4:5], 0
.LBB216_1659:
	s_and_b64 vcc, exec, s[4:5]
	s_cbranch_vccz .LBB216_1677
; %bb.1660:
	s_cmp_lt_i32 s21, 27
	s_cbranch_scc1 .LBB216_1663
; %bb.1661:
	s_cmp_gt_i32 s21, 27
	s_cbranch_scc0 .LBB216_1664
; %bb.1662:
	global_load_dword v1, v[20:21], off
	s_mov_b64 s[4:5], 0
	s_waitcnt vmcnt(0)
	v_cvt_f32_u32_e32 v1, v1
	v_cvt_f16_f32_e32 v1, v1
	s_branch .LBB216_1665
.LBB216_1663:
	s_mov_b64 s[4:5], -1
                                        ; implicit-def: $vgpr1
	s_branch .LBB216_1668
.LBB216_1664:
	s_mov_b64 s[4:5], -1
                                        ; implicit-def: $vgpr1
.LBB216_1665:
	s_andn2_b64 vcc, exec, s[4:5]
	s_cbranch_vccnz .LBB216_1667
; %bb.1666:
	global_load_ushort v1, v[20:21], off
	s_waitcnt vmcnt(0)
	v_cvt_f16_u16_e32 v1, v1
.LBB216_1667:
	s_mov_b64 s[4:5], 0
.LBB216_1668:
	s_andn2_b64 vcc, exec, s[4:5]
	s_cbranch_vccnz .LBB216_1676
; %bb.1669:
	global_load_ubyte v3, v[20:21], off
	s_movk_i32 s4, 0x7f
	s_waitcnt vmcnt(0)
	v_cmp_lt_i16_e32 vcc, s4, v3
	s_mov_b64 s[4:5], 0
	s_and_saveexec_b64 s[16:17], vcc
	s_xor_b64 s[16:17], exec, s[16:17]
	s_cbranch_execz .LBB216_1689
; %bb.1670:
	s_movk_i32 s4, 0x80
	v_cmp_eq_u16_e32 vcc, s4, v3
	s_mov_b64 s[4:5], -1
	s_and_saveexec_b64 s[18:19], vcc
; %bb.1671:
	s_xor_b64 s[4:5], exec, -1
; %bb.1672:
	s_or_b64 exec, exec, s[18:19]
	s_and_b64 s[4:5], s[4:5], exec
	s_or_saveexec_b64 s[16:17], s[16:17]
	v_mov_b32_e32 v1, 0x7e00
	s_xor_b64 exec, exec, s[16:17]
	s_cbranch_execnz .LBB216_1690
.LBB216_1673:
	s_or_b64 exec, exec, s[16:17]
	s_and_saveexec_b64 s[16:17], s[4:5]
	s_cbranch_execz .LBB216_1675
.LBB216_1674:
	v_lshlrev_b32_e32 v1, 24, v3
	v_and_b32_e32 v3, 0xffff, v3
	v_and_b32_e32 v5, 7, v3
	v_ffbh_u32_e32 v10, v5
	v_min_u32_e32 v10, 32, v10
	v_subrev_u32_e32 v12, 28, v10
	v_bfe_u32 v8, v3, 3, 4
	v_lshlrev_b32_e32 v3, v12, v3
	v_sub_u32_e32 v10, 29, v10
	v_and_b32_e32 v3, 7, v3
	v_cmp_eq_u32_e32 vcc, 0, v8
	v_cndmask_b32_e32 v8, v8, v10, vcc
	v_cndmask_b32_e32 v3, v5, v3, vcc
	v_mov_b32_e32 v5, 0x3b800000
	v_lshlrev_b32_e32 v3, 20, v3
	v_and_b32_e32 v1, 0x80000000, v1
	v_lshl_add_u32 v5, v8, 23, v5
	v_or3_b32 v1, v1, v5, v3
	v_cvt_f16_f32_e32 v1, v1
.LBB216_1675:
	s_or_b64 exec, exec, s[16:17]
.LBB216_1676:
	s_mov_b64 s[16:17], -1
.LBB216_1677:
	s_branch .LBB216_1709
.LBB216_1678:
	s_cmp_gt_i32 s21, 22
	s_cbranch_scc0 .LBB216_1688
; %bb.1679:
	s_cmp_lt_i32 s21, 24
	s_cbranch_scc1 .LBB216_1691
; %bb.1680:
	s_cmp_gt_i32 s21, 24
	s_cbranch_scc0 .LBB216_1692
; %bb.1681:
	global_load_ubyte v3, v[20:21], off
	s_movk_i32 s4, 0x7f
	s_waitcnt vmcnt(0)
	v_cmp_lt_i16_e32 vcc, s4, v3
	s_mov_b64 s[4:5], 0
	s_and_saveexec_b64 s[6:7], vcc
	s_xor_b64 s[6:7], exec, s[6:7]
	s_cbranch_execz .LBB216_1703
; %bb.1682:
	s_movk_i32 s4, 0x80
	v_cmp_eq_u16_e32 vcc, s4, v3
	s_mov_b64 s[4:5], -1
	s_and_saveexec_b64 s[16:17], vcc
; %bb.1683:
	s_xor_b64 s[4:5], exec, -1
; %bb.1684:
	s_or_b64 exec, exec, s[16:17]
	s_and_b64 s[4:5], s[4:5], exec
	s_or_saveexec_b64 s[6:7], s[6:7]
	v_mov_b32_e32 v1, 0x7e00
	s_xor_b64 exec, exec, s[6:7]
	s_cbranch_execnz .LBB216_1704
.LBB216_1685:
	s_or_b64 exec, exec, s[6:7]
	s_and_saveexec_b64 s[6:7], s[4:5]
	s_cbranch_execz .LBB216_1687
.LBB216_1686:
	v_lshlrev_b32_e32 v1, 24, v3
	v_and_b32_e32 v3, 0xffff, v3
	v_and_b32_e32 v5, 3, v3
	v_ffbh_u32_e32 v10, v5
	v_min_u32_e32 v10, 32, v10
	v_subrev_u32_e32 v12, 29, v10
	v_bfe_u32 v8, v3, 2, 5
	v_lshlrev_b32_e32 v3, v12, v3
	v_sub_u32_e32 v10, 30, v10
	v_and_b32_e32 v3, 3, v3
	v_cmp_eq_u32_e32 vcc, 0, v8
	v_cndmask_b32_e32 v8, v8, v10, vcc
	v_cndmask_b32_e32 v3, v5, v3, vcc
	v_mov_b32_e32 v5, 0x37800000
	v_lshlrev_b32_e32 v3, 21, v3
	v_and_b32_e32 v1, 0x80000000, v1
	v_lshl_add_u32 v5, v8, 23, v5
	v_or3_b32 v1, v1, v5, v3
	v_cvt_f16_f32_e32 v1, v1
.LBB216_1687:
	s_or_b64 exec, exec, s[6:7]
	s_mov_b64 s[4:5], 0
	s_branch .LBB216_1693
.LBB216_1688:
                                        ; implicit-def: $vgpr1
	s_mov_b64 s[6:7], 0
	s_branch .LBB216_1699
.LBB216_1689:
	s_or_saveexec_b64 s[16:17], s[16:17]
	v_mov_b32_e32 v1, 0x7e00
	s_xor_b64 exec, exec, s[16:17]
	s_cbranch_execz .LBB216_1673
.LBB216_1690:
	v_cmp_ne_u16_e32 vcc, 0, v3
	s_andn2_b64 s[4:5], s[4:5], exec
	s_and_b64 s[18:19], vcc, exec
	s_or_b64 s[4:5], s[4:5], s[18:19]
	v_mov_b32_e32 v1, v3
	s_or_b64 exec, exec, s[16:17]
	s_and_saveexec_b64 s[16:17], s[4:5]
	s_cbranch_execnz .LBB216_1674
	s_branch .LBB216_1675
.LBB216_1691:
	s_mov_b64 s[4:5], -1
                                        ; implicit-def: $vgpr1
	s_branch .LBB216_1696
.LBB216_1692:
	s_mov_b64 s[4:5], -1
                                        ; implicit-def: $vgpr1
.LBB216_1693:
	s_and_b64 vcc, exec, s[4:5]
	s_cbranch_vccz .LBB216_1695
; %bb.1694:
	global_load_ubyte v1, v[20:21], off
	s_mov_b32 s4, 0x7f800000
	s_waitcnt vmcnt(0)
	v_lshlrev_b32_e32 v1, 24, v1
	v_and_b32_e32 v3, 0x7f000000, v1
	v_ffbh_u32_e32 v5, v3
	v_min_u32_e32 v5, 32, v5
	v_sub_u32_e64 v5, v5, 4 clamp
	v_lshlrev_b32_e32 v10, v5, v3
	v_lshlrev_b32_e32 v5, 23, v5
	v_lshrrev_b32_e32 v10, 4, v10
	v_add_u32_e32 v8, 0x1000000, v3
	v_sub_u32_e32 v5, v10, v5
	v_ashrrev_i32_e32 v8, 8, v8
	v_add_u32_e32 v5, 0x3c000000, v5
	v_and_or_b32 v5, v8, s4, v5
	v_cmp_ne_u32_e32 vcc, 0, v3
	v_cndmask_b32_e32 v3, 0, v5, vcc
	s_brev_b32 s4, 1
	v_and_or_b32 v1, v1, s4, v3
	v_cvt_f16_f32_e32 v1, v1
.LBB216_1695:
	s_mov_b64 s[4:5], 0
.LBB216_1696:
	s_andn2_b64 vcc, exec, s[4:5]
	s_cbranch_vccnz .LBB216_1698
; %bb.1697:
	global_load_ubyte v1, v[20:21], off
	s_movk_i32 s4, 0x7f00
	s_brev_b32 s5, 16
	s_waitcnt vmcnt(0)
	v_lshlrev_b16_e32 v3, 8, v1
	v_lshlrev_b32_e32 v1, 25, v1
	v_lshrrev_b32_e32 v5, 4, v1
	v_and_or_b32 v8, v3, s4, 0.5
	v_or_b32_e32 v5, 0x70000000, v5
	v_add_f32_e32 v8, -0.5, v8
	v_mul_f32_e32 v5, 0x7800000, v5
	v_cmp_gt_u32_e32 vcc, s5, v1
	v_bfe_i32 v3, v3, 0, 16
	v_cndmask_b32_e32 v1, v5, v8, vcc
	s_brev_b32 s4, 1
	v_and_or_b32 v1, v3, s4, v1
	v_cvt_f16_f32_e32 v1, v1
.LBB216_1698:
	s_mov_b64 s[16:17], -1
	s_mov_b64 s[6:7], 0
	s_cbranch_execnz .LBB216_1709
.LBB216_1699:
	s_cmp_gt_i32 s21, 14
	s_cbranch_scc0 .LBB216_1702
; %bb.1700:
	s_cmp_eq_u32 s21, 15
	s_cbranch_scc0 .LBB216_1705
; %bb.1701:
	global_load_ushort v1, v[20:21], off
	s_mov_b64 s[0:1], 0
	s_mov_b64 s[16:17], -1
	s_waitcnt vmcnt(0)
	v_lshlrev_b32_e32 v1, 16, v1
	v_cvt_f16_f32_e32 v1, v1
	s_branch .LBB216_1706
.LBB216_1702:
	s_mov_b64 s[4:5], -1
                                        ; implicit-def: $vgpr1
	s_branch .LBB216_1707
.LBB216_1703:
	s_or_saveexec_b64 s[6:7], s[6:7]
	v_mov_b32_e32 v1, 0x7e00
	s_xor_b64 exec, exec, s[6:7]
	s_cbranch_execz .LBB216_1685
.LBB216_1704:
	v_cmp_ne_u16_e32 vcc, 0, v3
	s_andn2_b64 s[4:5], s[4:5], exec
	s_and_b64 s[16:17], vcc, exec
	s_or_b64 s[4:5], s[4:5], s[16:17]
	v_mov_b32_e32 v1, v3
	s_or_b64 exec, exec, s[6:7]
	s_and_saveexec_b64 s[6:7], s[4:5]
	s_cbranch_execnz .LBB216_1686
	s_branch .LBB216_1687
.LBB216_1705:
	s_mov_b64 s[0:1], -1
                                        ; implicit-def: $vgpr1
.LBB216_1706:
	s_mov_b64 s[4:5], 0
.LBB216_1707:
	s_and_b64 vcc, exec, s[4:5]
	s_cbranch_vccz .LBB216_1709
; %bb.1708:
	s_cmp_lg_u32 s21, 11
	s_mov_b64 s[6:7], -1
	s_cselect_b64 s[0:1], -1, 0
.LBB216_1709:
	s_and_b64 vcc, exec, s[0:1]
	s_mov_b64 s[4:5], s[12:13]
	s_cbranch_vccnz .LBB216_1770
; %bb.1710:
	s_andn2_b64 vcc, exec, s[6:7]
	s_cbranch_vccnz .LBB216_1712
.LBB216_1711:
	global_load_ubyte v1, v[20:21], off
	s_waitcnt vmcnt(1)
	v_mov_b32_e32 v3, 0x3c00
	s_mov_b64 s[16:17], -1
	s_waitcnt vmcnt(0)
	v_cmp_ne_u16_e32 vcc, 0, v1
	v_cndmask_b32_e32 v1, 0, v3, vcc
.LBB216_1712:
	s_branch .LBB216_1642
.LBB216_1713:
	s_and_b32 s6, 0xffff, s20
	s_cmp_lt_i32 s6, 5
	s_cbranch_scc1 .LBB216_1718
; %bb.1714:
	s_cmp_lt_i32 s6, 8
	s_cbranch_scc1 .LBB216_1719
; %bb.1715:
	;; [unrolled: 3-line block ×3, first 2 shown]
	s_cmp_gt_i32 s6, 9
	s_cbranch_scc0 .LBB216_1721
; %bb.1717:
	global_load_dwordx2 v[22:23], v[20:21], off
	s_movk_i32 s0, 0x1ff
	s_movk_i32 s1, 0xffe
	v_mov_b32_e32 v1, 0x7c00
	s_waitcnt vmcnt(1)
	v_mov_b32_e32 v3, 0x7e00
	s_movk_i32 s7, 0x40f
	s_mov_b32 s16, 0x8000
	s_waitcnt vmcnt(0)
	v_and_or_b32 v5, v23, s0, v22
	v_cmp_ne_u32_e32 vcc, 0, v5
	v_lshrrev_b32_e32 v8, 8, v23
	v_bfe_u32 v10, v23, 20, 11
	v_cndmask_b32_e64 v5, 0, 1, vcc
	v_sub_u32_e32 v14, 0x3f1, v10
	v_and_or_b32 v5, v8, s1, v5
	v_add_u32_e32 v10, 0xfffffc10, v10
	v_med3_i32 v8, v14, 0, 13
	v_or_b32_e32 v14, 0x1000, v5
	v_lshl_or_b32 v16, v10, 12, v5
	v_cmp_ne_u32_e32 vcc, 0, v5
	v_lshrrev_b32_e32 v5, v8, v14
	v_lshlrev_b32_e32 v8, v8, v5
	v_cndmask_b32_e32 v3, v1, v3, vcc
	v_cmp_ne_u32_e32 vcc, v8, v14
	v_cndmask_b32_e64 v8, 0, 1, vcc
	v_or_b32_e32 v5, v5, v8
	v_cmp_gt_i32_e32 vcc, 1, v10
	v_cndmask_b32_e32 v5, v16, v5, vcc
	v_and_b32_e32 v8, 7, v5
	v_cmp_lt_i32_e32 vcc, 5, v8
	v_cndmask_b32_e64 v14, 0, 1, vcc
	v_cmp_eq_u32_e32 vcc, 3, v8
	v_cndmask_b32_e64 v8, 0, 1, vcc
	v_lshrrev_b32_e32 v5, 2, v5
	v_or_b32_e32 v8, v8, v14
	v_add_u32_e32 v5, v5, v8
	v_cmp_gt_i32_e32 vcc, 31, v10
	v_cndmask_b32_e32 v1, v1, v5, vcc
	v_cmp_eq_u32_e32 vcc, s7, v10
	v_lshrrev_b32_e32 v12, 16, v23
	v_cndmask_b32_e32 v1, v1, v3, vcc
	v_and_or_b32 v1, v12, s16, v1
	s_mov_b64 s[0:1], 0
	s_branch .LBB216_1722
.LBB216_1718:
                                        ; implicit-def: $vgpr1
	s_branch .LBB216_1739
.LBB216_1719:
                                        ; implicit-def: $vgpr1
	s_branch .LBB216_1728
.LBB216_1720:
	s_mov_b64 s[0:1], -1
                                        ; implicit-def: $vgpr1
	s_branch .LBB216_1725
.LBB216_1721:
	s_mov_b64 s[0:1], -1
                                        ; implicit-def: $vgpr1
.LBB216_1722:
	s_andn2_b64 vcc, exec, s[0:1]
	s_cbranch_vccnz .LBB216_1724
; %bb.1723:
	global_load_dword v1, v[20:21], off
	s_waitcnt vmcnt(0)
	v_cvt_f16_f32_e32 v1, v1
.LBB216_1724:
	s_mov_b64 s[0:1], 0
.LBB216_1725:
	s_andn2_b64 vcc, exec, s[0:1]
	s_cbranch_vccnz .LBB216_1727
; %bb.1726:
	global_load_dword v1, v[20:21], off
.LBB216_1727:
	s_cbranch_execnz .LBB216_1738
.LBB216_1728:
	s_cmp_lt_i32 s6, 6
	s_cbranch_scc1 .LBB216_1731
; %bb.1729:
	s_cmp_gt_i32 s6, 6
	s_cbranch_scc0 .LBB216_1732
; %bb.1730:
	global_load_dwordx2 v[22:23], v[20:21], off
	s_movk_i32 s0, 0x1ff
	s_movk_i32 s1, 0xffe
	s_waitcnt vmcnt(1)
	v_mov_b32_e32 v1, 0x7c00
	v_mov_b32_e32 v3, 0x7e00
	s_movk_i32 s7, 0x40f
	s_mov_b32 s16, 0x8000
	s_waitcnt vmcnt(0)
	v_and_or_b32 v5, v23, s0, v22
	v_cmp_ne_u32_e32 vcc, 0, v5
	v_lshrrev_b32_e32 v8, 8, v23
	v_bfe_u32 v10, v23, 20, 11
	v_cndmask_b32_e64 v5, 0, 1, vcc
	v_sub_u32_e32 v14, 0x3f1, v10
	v_and_or_b32 v5, v8, s1, v5
	v_add_u32_e32 v10, 0xfffffc10, v10
	v_med3_i32 v8, v14, 0, 13
	v_or_b32_e32 v14, 0x1000, v5
	v_lshl_or_b32 v16, v10, 12, v5
	v_cmp_ne_u32_e32 vcc, 0, v5
	v_lshrrev_b32_e32 v5, v8, v14
	v_lshlrev_b32_e32 v8, v8, v5
	v_cndmask_b32_e32 v3, v1, v3, vcc
	v_cmp_ne_u32_e32 vcc, v8, v14
	v_cndmask_b32_e64 v8, 0, 1, vcc
	v_or_b32_e32 v5, v5, v8
	v_cmp_gt_i32_e32 vcc, 1, v10
	v_cndmask_b32_e32 v5, v16, v5, vcc
	v_and_b32_e32 v8, 7, v5
	v_cmp_lt_i32_e32 vcc, 5, v8
	v_cndmask_b32_e64 v14, 0, 1, vcc
	v_cmp_eq_u32_e32 vcc, 3, v8
	v_cndmask_b32_e64 v8, 0, 1, vcc
	v_lshrrev_b32_e32 v5, 2, v5
	v_or_b32_e32 v8, v8, v14
	v_add_u32_e32 v5, v5, v8
	v_cmp_gt_i32_e32 vcc, 31, v10
	v_cndmask_b32_e32 v1, v1, v5, vcc
	v_cmp_eq_u32_e32 vcc, s7, v10
	v_lshrrev_b32_e32 v12, 16, v23
	v_cndmask_b32_e32 v1, v1, v3, vcc
	v_and_or_b32 v1, v12, s16, v1
	s_mov_b64 s[0:1], 0
	s_branch .LBB216_1733
.LBB216_1731:
	s_mov_b64 s[0:1], -1
                                        ; implicit-def: $vgpr1
	s_branch .LBB216_1736
.LBB216_1732:
	s_mov_b64 s[0:1], -1
                                        ; implicit-def: $vgpr1
.LBB216_1733:
	s_andn2_b64 vcc, exec, s[0:1]
	s_cbranch_vccnz .LBB216_1735
; %bb.1734:
	global_load_dword v1, v[20:21], off
	s_waitcnt vmcnt(0)
	v_cvt_f16_f32_e32 v1, v1
.LBB216_1735:
	s_mov_b64 s[0:1], 0
.LBB216_1736:
	s_andn2_b64 vcc, exec, s[0:1]
	s_cbranch_vccnz .LBB216_1738
; %bb.1737:
	global_load_ushort v1, v[20:21], off
.LBB216_1738:
	s_cbranch_execnz .LBB216_1757
.LBB216_1739:
	s_cmp_lt_i32 s6, 2
	s_cbranch_scc1 .LBB216_1743
; %bb.1740:
	s_cmp_lt_i32 s6, 3
	s_cbranch_scc1 .LBB216_1744
; %bb.1741:
	s_cmp_gt_i32 s6, 3
	s_cbranch_scc0 .LBB216_1745
; %bb.1742:
	global_load_dwordx2 v[22:23], v[20:21], off
	s_mov_b64 s[0:1], 0
	s_waitcnt vmcnt(0)
	v_xor_b32_e32 v3, v22, v23
	v_ffbh_i32_e32 v1, v23
	v_ashrrev_i32_e32 v3, 31, v3
	v_add_u32_e32 v1, -1, v1
	v_add_u32_e32 v3, 32, v3
	v_min_u32_e32 v1, v1, v3
	v_lshlrev_b64 v[22:23], v1, v[22:23]
	v_sub_u32_e32 v1, 32, v1
	v_min_u32_e32 v3, 1, v22
	v_or_b32_e32 v3, v23, v3
	v_cvt_f32_i32_e32 v3, v3
	v_ldexp_f32 v1, v3, v1
	v_cvt_f16_f32_e32 v1, v1
	s_branch .LBB216_1746
.LBB216_1743:
                                        ; implicit-def: $vgpr1
	s_branch .LBB216_1752
.LBB216_1744:
	s_mov_b64 s[0:1], -1
                                        ; implicit-def: $vgpr1
	s_branch .LBB216_1749
.LBB216_1745:
	s_mov_b64 s[0:1], -1
                                        ; implicit-def: $vgpr1
.LBB216_1746:
	s_andn2_b64 vcc, exec, s[0:1]
	s_cbranch_vccnz .LBB216_1748
; %bb.1747:
	global_load_dword v1, v[20:21], off
	s_waitcnt vmcnt(0)
	v_cvt_f32_i32_e32 v1, v1
	v_cvt_f16_f32_e32 v1, v1
.LBB216_1748:
	s_mov_b64 s[0:1], 0
.LBB216_1749:
	s_andn2_b64 vcc, exec, s[0:1]
	s_cbranch_vccnz .LBB216_1751
; %bb.1750:
	global_load_ushort v1, v[20:21], off
	s_waitcnt vmcnt(0)
	v_cvt_f16_i16_e32 v1, v1
.LBB216_1751:
	s_cbranch_execnz .LBB216_1757
.LBB216_1752:
	s_cmp_gt_i32 s6, 0
	s_cbranch_scc0 .LBB216_1754
; %bb.1753:
	global_load_sbyte v1, v[20:21], off
	s_mov_b64 s[0:1], 0
	s_waitcnt vmcnt(0)
	v_cvt_f16_i16_e32 v1, v1
	s_branch .LBB216_1755
.LBB216_1754:
	s_mov_b64 s[0:1], -1
                                        ; implicit-def: $vgpr1
.LBB216_1755:
	s_andn2_b64 vcc, exec, s[0:1]
	s_cbranch_vccnz .LBB216_1757
; %bb.1756:
	global_load_ubyte v1, v[20:21], off
	s_waitcnt vmcnt(0)
	v_cvt_f16_u16_e32 v1, v1
.LBB216_1757:
.LBB216_1758:
	s_load_dwordx2 s[0:1], s[2:3], 0x198
	s_bfe_u32 s24, s25, 0x80010
	s_cmp_lt_i32 s24, 11
	s_waitcnt vmcnt(0) lgkmcnt(0)
	v_mov_b32_e32 v3, s1
	v_add_co_u32_e32 v18, vcc, s0, v19
	v_addc_co_u32_e32 v19, vcc, 0, v3, vcc
	s_cbranch_scc1 .LBB216_1765
; %bb.1759:
	s_and_b32 s26, 0xffff, s24
	s_cmp_gt_i32 s26, 25
	s_mov_b64 s[16:17], 0
	s_cbranch_scc0 .LBB216_1767
; %bb.1760:
	s_cmp_gt_i32 s26, 28
	s_cbranch_scc0 .LBB216_1768
; %bb.1761:
	s_cmp_gt_i32 s26, 43
	;; [unrolled: 3-line block ×3, first 2 shown]
	s_cbranch_scc0 .LBB216_1771
; %bb.1763:
	s_cmp_eq_u32 s26, 46
	s_mov_b64 s[20:21], 0
	s_cbranch_scc0 .LBB216_1774
; %bb.1764:
	global_load_dword v3, v[18:19], off
	s_mov_b64 s[6:7], 0
	s_mov_b64 s[18:19], -1
	s_waitcnt vmcnt(0)
	v_lshlrev_b32_e32 v3, 16, v3
	v_cvt_f16_f32_e32 v3, v3
	s_branch .LBB216_1775
.LBB216_1765:
	s_mov_b64 s[18:19], 0
                                        ; implicit-def: $vgpr3
	s_cbranch_execnz .LBB216_1840
.LBB216_1766:
	s_andn2_b64 vcc, exec, s[18:19]
	s_cbranch_vccnz .LBB216_3101
	s_branch .LBB216_1887
.LBB216_1767:
	s_mov_b64 s[18:19], 0
	s_mov_b64 s[6:7], 0
                                        ; implicit-def: $vgpr3
	s_cbranch_execnz .LBB216_1804
	s_branch .LBB216_1836
.LBB216_1768:
	s_mov_b64 s[20:21], -1
	s_mov_b64 s[18:19], 0
	s_mov_b64 s[6:7], 0
                                        ; implicit-def: $vgpr3
	s_branch .LBB216_1785
.LBB216_1769:
	s_mov_b64 s[20:21], -1
	s_mov_b64 s[18:19], 0
	s_mov_b64 s[6:7], 0
                                        ; implicit-def: $vgpr3
	s_branch .LBB216_1780
.LBB216_1770:
	s_or_b64 s[4:5], s[12:13], exec
	s_trap 2
	s_cbranch_execz .LBB216_1711
	s_branch .LBB216_1712
.LBB216_1771:
	s_mov_b64 s[20:21], -1
	s_mov_b64 s[18:19], 0
	s_mov_b64 s[6:7], 0
                                        ; implicit-def: $vgpr3
	s_branch .LBB216_1775
.LBB216_1772:
	s_andn2_saveexec_b64 s[18:19], s[18:19]
	s_cbranch_execz .LBB216_1514
.LBB216_1773:
	s_mov_b32 s21, 0x42800000
	v_add_f32_e64 v4, |v0|, s21
	v_and_b32_e32 v4, 0xff, v4
	v_cmp_ne_u32_e32 vcc, 0, v4
	s_andn2_b64 s[16:17], s[16:17], exec
	s_and_b64 s[28:29], vcc, exec
	s_or_b64 s[16:17], s[16:17], s[28:29]
	s_or_b64 exec, exec, s[18:19]
	v_mov_b32_e32 v5, 0
	s_and_saveexec_b64 s[18:19], s[16:17]
	s_cbranch_execnz .LBB216_1515
	s_branch .LBB216_1516
.LBB216_1774:
	s_mov_b64 s[6:7], -1
                                        ; implicit-def: $vgpr3
	s_mov_b64 s[18:19], 0
.LBB216_1775:
	s_and_b64 vcc, exec, s[20:21]
	s_cbranch_vccz .LBB216_1779
; %bb.1776:
	s_cmp_eq_u32 s26, 44
	s_cbranch_scc0 .LBB216_1778
; %bb.1777:
	global_load_ubyte v3, v[18:19], off
	s_movk_i32 s18, 0xff
	v_mov_b32_e32 v8, 0x7e00
	s_mov_b64 s[6:7], 0
	s_waitcnt vmcnt(0)
	v_lshlrev_b32_e32 v5, 23, v3
	v_cvt_f16_f32_e32 v5, v5
	v_cmp_ne_u32_e32 vcc, s18, v3
	s_mov_b64 s[18:19], -1
	v_cndmask_b32_e32 v5, v8, v5, vcc
	v_cmp_ne_u32_e32 vcc, 0, v3
	v_cndmask_b32_e32 v3, 0, v5, vcc
	s_branch .LBB216_1779
.LBB216_1778:
	s_mov_b64 s[6:7], -1
                                        ; implicit-def: $vgpr3
.LBB216_1779:
	s_mov_b64 s[20:21], 0
.LBB216_1780:
	s_and_b64 vcc, exec, s[20:21]
	s_cbranch_vccz .LBB216_1784
; %bb.1781:
	s_cmp_eq_u32 s26, 29
	s_cbranch_scc0 .LBB216_1783
; %bb.1782:
	global_load_dwordx2 v[20:21], v[18:19], off
	s_mov_b64 s[6:7], 0
	s_mov_b64 s[18:19], -1
	s_mov_b64 s[20:21], 0
	s_waitcnt vmcnt(0)
	v_ffbh_u32_e32 v3, v21
	v_min_u32_e32 v3, 32, v3
	v_lshlrev_b64 v[20:21], v3, v[20:21]
	v_sub_u32_e32 v3, 32, v3
	v_min_u32_e32 v5, 1, v20
	v_or_b32_e32 v5, v21, v5
	v_cvt_f32_u32_e32 v5, v5
	v_ldexp_f32 v3, v5, v3
	v_cvt_f16_f32_e32 v3, v3
	s_branch .LBB216_1785
.LBB216_1783:
	s_mov_b64 s[6:7], -1
                                        ; implicit-def: $vgpr3
.LBB216_1784:
	s_mov_b64 s[20:21], 0
.LBB216_1785:
	s_and_b64 vcc, exec, s[20:21]
	s_cbranch_vccz .LBB216_1803
; %bb.1786:
	s_cmp_lt_i32 s26, 27
	s_cbranch_scc1 .LBB216_1789
; %bb.1787:
	s_cmp_gt_i32 s26, 27
	s_cbranch_scc0 .LBB216_1790
; %bb.1788:
	global_load_dword v3, v[18:19], off
	s_mov_b64 s[18:19], 0
	s_waitcnt vmcnt(0)
	v_cvt_f32_u32_e32 v3, v3
	v_cvt_f16_f32_e32 v3, v3
	s_branch .LBB216_1791
.LBB216_1789:
	s_mov_b64 s[18:19], -1
                                        ; implicit-def: $vgpr3
	s_branch .LBB216_1794
.LBB216_1790:
	s_mov_b64 s[18:19], -1
                                        ; implicit-def: $vgpr3
.LBB216_1791:
	s_andn2_b64 vcc, exec, s[18:19]
	s_cbranch_vccnz .LBB216_1793
; %bb.1792:
	global_load_ushort v3, v[18:19], off
	s_waitcnt vmcnt(0)
	v_cvt_f16_u16_e32 v3, v3
.LBB216_1793:
	s_mov_b64 s[18:19], 0
.LBB216_1794:
	s_andn2_b64 vcc, exec, s[18:19]
	s_cbranch_vccnz .LBB216_1802
; %bb.1795:
	global_load_ubyte v5, v[18:19], off
	s_movk_i32 s18, 0x7f
	s_waitcnt vmcnt(0)
	v_cmp_lt_i16_e32 vcc, s18, v5
	s_mov_b64 s[18:19], 0
	s_and_saveexec_b64 s[20:21], vcc
	s_xor_b64 s[20:21], exec, s[20:21]
	s_cbranch_execz .LBB216_1815
; %bb.1796:
	s_movk_i32 s18, 0x80
	v_cmp_eq_u16_e32 vcc, s18, v5
	s_mov_b64 s[18:19], -1
	s_and_saveexec_b64 s[22:23], vcc
; %bb.1797:
	s_xor_b64 s[18:19], exec, -1
; %bb.1798:
	s_or_b64 exec, exec, s[22:23]
	s_and_b64 s[18:19], s[18:19], exec
	s_or_saveexec_b64 s[20:21], s[20:21]
	v_mov_b32_e32 v3, 0x7e00
	s_xor_b64 exec, exec, s[20:21]
	s_cbranch_execnz .LBB216_1816
.LBB216_1799:
	s_or_b64 exec, exec, s[20:21]
	s_and_saveexec_b64 s[20:21], s[18:19]
	s_cbranch_execz .LBB216_1801
.LBB216_1800:
	v_lshlrev_b32_e32 v3, 24, v5
	v_and_b32_e32 v5, 0xffff, v5
	v_and_b32_e32 v8, 7, v5
	v_ffbh_u32_e32 v12, v8
	v_min_u32_e32 v12, 32, v12
	v_subrev_u32_e32 v14, 28, v12
	v_bfe_u32 v10, v5, 3, 4
	v_lshlrev_b32_e32 v5, v14, v5
	v_sub_u32_e32 v12, 29, v12
	v_and_b32_e32 v5, 7, v5
	v_cmp_eq_u32_e32 vcc, 0, v10
	v_cndmask_b32_e32 v10, v10, v12, vcc
	v_cndmask_b32_e32 v5, v8, v5, vcc
	v_mov_b32_e32 v8, 0x3b800000
	v_lshlrev_b32_e32 v5, 20, v5
	v_and_b32_e32 v3, 0x80000000, v3
	v_lshl_add_u32 v8, v10, 23, v8
	v_or3_b32 v3, v3, v8, v5
	v_cvt_f16_f32_e32 v3, v3
.LBB216_1801:
	s_or_b64 exec, exec, s[20:21]
.LBB216_1802:
	s_mov_b64 s[18:19], -1
.LBB216_1803:
	s_branch .LBB216_1836
.LBB216_1804:
	s_cmp_gt_i32 s26, 22
	s_cbranch_scc0 .LBB216_1814
; %bb.1805:
	s_cmp_lt_i32 s26, 24
	s_cbranch_scc1 .LBB216_1817
; %bb.1806:
	s_cmp_gt_i32 s26, 24
	s_cbranch_scc0 .LBB216_1818
; %bb.1807:
	global_load_ubyte v5, v[18:19], off
	s_movk_i32 s16, 0x7f
	s_waitcnt vmcnt(0)
	v_cmp_lt_i16_e32 vcc, s16, v5
	s_mov_b64 s[16:17], 0
	s_and_saveexec_b64 s[18:19], vcc
	s_xor_b64 s[18:19], exec, s[18:19]
	s_cbranch_execz .LBB216_1830
; %bb.1808:
	s_movk_i32 s16, 0x80
	v_cmp_eq_u16_e32 vcc, s16, v5
	s_mov_b64 s[16:17], -1
	s_and_saveexec_b64 s[20:21], vcc
; %bb.1809:
	s_xor_b64 s[16:17], exec, -1
; %bb.1810:
	s_or_b64 exec, exec, s[20:21]
	s_and_b64 s[16:17], s[16:17], exec
	s_or_saveexec_b64 s[18:19], s[18:19]
	v_mov_b32_e32 v3, 0x7e00
	s_xor_b64 exec, exec, s[18:19]
	s_cbranch_execnz .LBB216_1831
.LBB216_1811:
	s_or_b64 exec, exec, s[18:19]
	s_and_saveexec_b64 s[18:19], s[16:17]
	s_cbranch_execz .LBB216_1813
.LBB216_1812:
	v_lshlrev_b32_e32 v3, 24, v5
	v_and_b32_e32 v5, 0xffff, v5
	v_and_b32_e32 v8, 3, v5
	v_ffbh_u32_e32 v12, v8
	v_min_u32_e32 v12, 32, v12
	v_subrev_u32_e32 v14, 29, v12
	v_bfe_u32 v10, v5, 2, 5
	v_lshlrev_b32_e32 v5, v14, v5
	v_sub_u32_e32 v12, 30, v12
	v_and_b32_e32 v5, 3, v5
	v_cmp_eq_u32_e32 vcc, 0, v10
	v_cndmask_b32_e32 v10, v10, v12, vcc
	v_cndmask_b32_e32 v5, v8, v5, vcc
	v_mov_b32_e32 v8, 0x37800000
	v_lshlrev_b32_e32 v5, 21, v5
	v_and_b32_e32 v3, 0x80000000, v3
	v_lshl_add_u32 v8, v10, 23, v8
	v_or3_b32 v3, v3, v8, v5
	v_cvt_f16_f32_e32 v3, v3
.LBB216_1813:
	s_or_b64 exec, exec, s[18:19]
	s_mov_b64 s[16:17], 0
	s_branch .LBB216_1819
.LBB216_1814:
	s_mov_b64 s[16:17], -1
                                        ; implicit-def: $vgpr3
	s_branch .LBB216_1825
.LBB216_1815:
	s_or_saveexec_b64 s[20:21], s[20:21]
	v_mov_b32_e32 v3, 0x7e00
	s_xor_b64 exec, exec, s[20:21]
	s_cbranch_execz .LBB216_1799
.LBB216_1816:
	v_cmp_ne_u16_e32 vcc, 0, v5
	s_andn2_b64 s[18:19], s[18:19], exec
	s_and_b64 s[22:23], vcc, exec
	s_or_b64 s[18:19], s[18:19], s[22:23]
	v_mov_b32_e32 v3, v5
	s_or_b64 exec, exec, s[20:21]
	s_and_saveexec_b64 s[20:21], s[18:19]
	s_cbranch_execnz .LBB216_1800
	s_branch .LBB216_1801
.LBB216_1817:
	s_mov_b64 s[16:17], -1
                                        ; implicit-def: $vgpr3
	s_branch .LBB216_1822
.LBB216_1818:
	s_mov_b64 s[16:17], -1
                                        ; implicit-def: $vgpr3
.LBB216_1819:
	s_and_b64 vcc, exec, s[16:17]
	s_cbranch_vccz .LBB216_1821
; %bb.1820:
	global_load_ubyte v3, v[18:19], off
	s_mov_b32 s16, 0x7f800000
	s_waitcnt vmcnt(0)
	v_lshlrev_b32_e32 v3, 24, v3
	v_and_b32_e32 v5, 0x7f000000, v3
	v_ffbh_u32_e32 v8, v5
	v_min_u32_e32 v8, 32, v8
	v_sub_u32_e64 v8, v8, 4 clamp
	v_lshlrev_b32_e32 v12, v8, v5
	v_lshlrev_b32_e32 v8, 23, v8
	v_lshrrev_b32_e32 v12, 4, v12
	v_add_u32_e32 v10, 0x1000000, v5
	v_sub_u32_e32 v8, v12, v8
	v_ashrrev_i32_e32 v10, 8, v10
	v_add_u32_e32 v8, 0x3c000000, v8
	v_and_or_b32 v8, v10, s16, v8
	v_cmp_ne_u32_e32 vcc, 0, v5
	v_cndmask_b32_e32 v5, 0, v8, vcc
	s_brev_b32 s16, 1
	v_and_or_b32 v3, v3, s16, v5
	v_cvt_f16_f32_e32 v3, v3
.LBB216_1821:
	s_mov_b64 s[16:17], 0
.LBB216_1822:
	s_andn2_b64 vcc, exec, s[16:17]
	s_cbranch_vccnz .LBB216_1824
; %bb.1823:
	global_load_ubyte v3, v[18:19], off
	s_movk_i32 s16, 0x7f00
	s_brev_b32 s17, 16
	s_waitcnt vmcnt(0)
	v_lshlrev_b16_e32 v5, 8, v3
	v_lshlrev_b32_e32 v3, 25, v3
	v_lshrrev_b32_e32 v8, 4, v3
	v_and_or_b32 v10, v5, s16, 0.5
	v_or_b32_e32 v8, 0x70000000, v8
	v_add_f32_e32 v10, -0.5, v10
	v_mul_f32_e32 v8, 0x7800000, v8
	v_cmp_gt_u32_e32 vcc, s17, v3
	v_bfe_i32 v5, v5, 0, 16
	v_cndmask_b32_e32 v3, v8, v10, vcc
	s_brev_b32 s16, 1
	v_and_or_b32 v3, v5, s16, v3
	v_cvt_f16_f32_e32 v3, v3
.LBB216_1824:
	s_mov_b64 s[16:17], 0
	s_mov_b64 s[18:19], -1
.LBB216_1825:
	s_andn2_b64 vcc, exec, s[16:17]
	s_mov_b64 s[16:17], 0
	s_cbranch_vccnz .LBB216_1836
; %bb.1826:
	s_cmp_gt_i32 s26, 14
	s_cbranch_scc0 .LBB216_1829
; %bb.1827:
	s_cmp_eq_u32 s26, 15
	s_cbranch_scc0 .LBB216_1832
; %bb.1828:
	global_load_ushort v3, v[18:19], off
	s_mov_b64 s[6:7], 0
	s_mov_b64 s[18:19], -1
	s_waitcnt vmcnt(0)
	v_lshlrev_b32_e32 v3, 16, v3
	v_cvt_f16_f32_e32 v3, v3
	s_branch .LBB216_1833
.LBB216_1829:
	s_mov_b64 s[20:21], -1
                                        ; implicit-def: $vgpr3
	s_branch .LBB216_1834
.LBB216_1830:
	s_or_saveexec_b64 s[18:19], s[18:19]
	v_mov_b32_e32 v3, 0x7e00
	s_xor_b64 exec, exec, s[18:19]
	s_cbranch_execz .LBB216_1811
.LBB216_1831:
	v_cmp_ne_u16_e32 vcc, 0, v5
	s_andn2_b64 s[16:17], s[16:17], exec
	s_and_b64 s[20:21], vcc, exec
	s_or_b64 s[16:17], s[16:17], s[20:21]
	v_mov_b32_e32 v3, v5
	s_or_b64 exec, exec, s[18:19]
	s_and_saveexec_b64 s[18:19], s[16:17]
	s_cbranch_execnz .LBB216_1812
	s_branch .LBB216_1813
.LBB216_1832:
	s_mov_b64 s[6:7], -1
                                        ; implicit-def: $vgpr3
.LBB216_1833:
	s_mov_b64 s[20:21], 0
.LBB216_1834:
	s_and_b64 vcc, exec, s[20:21]
	s_cbranch_vccz .LBB216_1836
; %bb.1835:
	s_cmp_lg_u32 s26, 11
	s_mov_b64 s[16:17], -1
	s_cselect_b64 s[6:7], -1, 0
.LBB216_1836:
	s_and_b64 vcc, exec, s[6:7]
	s_cbranch_vccnz .LBB216_1899
; %bb.1837:
	s_andn2_b64 vcc, exec, s[16:17]
	s_cbranch_vccnz .LBB216_1839
.LBB216_1838:
	global_load_ubyte v3, v[18:19], off
	v_mov_b32_e32 v5, 0x3c00
	s_mov_b64 s[18:19], -1
	s_waitcnt vmcnt(0)
	v_cmp_ne_u16_e32 vcc, 0, v3
	v_cndmask_b32_e32 v3, 0, v5, vcc
.LBB216_1839:
	s_branch .LBB216_1766
.LBB216_1840:
	s_and_b32 s16, 0xffff, s24
	s_cmp_lt_i32 s16, 5
	s_cbranch_scc1 .LBB216_1845
; %bb.1841:
	s_cmp_lt_i32 s16, 8
	s_cbranch_scc1 .LBB216_1846
; %bb.1842:
	;; [unrolled: 3-line block ×3, first 2 shown]
	s_cmp_gt_i32 s16, 9
	s_cbranch_scc0 .LBB216_1848
; %bb.1844:
	global_load_dwordx2 v[20:21], v[18:19], off
	s_movk_i32 s6, 0x1ff
	s_movk_i32 s7, 0xffe
	v_mov_b32_e32 v3, 0x7c00
	v_mov_b32_e32 v5, 0x7e00
	s_movk_i32 s17, 0x40f
	s_mov_b32 s18, 0x8000
	s_waitcnt vmcnt(0)
	v_and_or_b32 v8, v21, s6, v20
	v_cmp_ne_u32_e32 vcc, 0, v8
	v_lshrrev_b32_e32 v10, 8, v21
	v_bfe_u32 v12, v21, 20, 11
	v_cndmask_b32_e64 v8, 0, 1, vcc
	v_sub_u32_e32 v16, 0x3f1, v12
	v_and_or_b32 v8, v10, s7, v8
	v_add_u32_e32 v12, 0xfffffc10, v12
	v_med3_i32 v10, v16, 0, 13
	v_or_b32_e32 v16, 0x1000, v8
	v_lshl_or_b32 v20, v12, 12, v8
	v_cmp_ne_u32_e32 vcc, 0, v8
	v_lshrrev_b32_e32 v8, v10, v16
	v_lshlrev_b32_e32 v10, v10, v8
	v_cndmask_b32_e32 v5, v3, v5, vcc
	v_cmp_ne_u32_e32 vcc, v10, v16
	v_cndmask_b32_e64 v10, 0, 1, vcc
	v_or_b32_e32 v8, v8, v10
	v_cmp_gt_i32_e32 vcc, 1, v12
	v_cndmask_b32_e32 v8, v20, v8, vcc
	v_and_b32_e32 v10, 7, v8
	v_cmp_lt_i32_e32 vcc, 5, v10
	v_cndmask_b32_e64 v16, 0, 1, vcc
	v_cmp_eq_u32_e32 vcc, 3, v10
	v_cndmask_b32_e64 v10, 0, 1, vcc
	v_lshrrev_b32_e32 v8, 2, v8
	v_or_b32_e32 v10, v10, v16
	v_add_u32_e32 v8, v8, v10
	v_cmp_gt_i32_e32 vcc, 31, v12
	v_cndmask_b32_e32 v3, v3, v8, vcc
	v_cmp_eq_u32_e32 vcc, s17, v12
	v_lshrrev_b32_e32 v14, 16, v21
	v_cndmask_b32_e32 v3, v3, v5, vcc
	v_and_or_b32 v3, v14, s18, v3
	s_mov_b64 s[6:7], 0
	s_branch .LBB216_1849
.LBB216_1845:
                                        ; implicit-def: $vgpr3
	s_branch .LBB216_1867
.LBB216_1846:
	s_mov_b64 s[6:7], -1
                                        ; implicit-def: $vgpr3
	s_branch .LBB216_1855
.LBB216_1847:
	s_mov_b64 s[6:7], -1
                                        ; implicit-def: $vgpr3
	s_branch .LBB216_1852
.LBB216_1848:
	s_mov_b64 s[6:7], -1
                                        ; implicit-def: $vgpr3
.LBB216_1849:
	s_andn2_b64 vcc, exec, s[6:7]
	s_cbranch_vccnz .LBB216_1851
; %bb.1850:
	global_load_dword v3, v[18:19], off
	s_waitcnt vmcnt(0)
	v_cvt_f16_f32_e32 v3, v3
.LBB216_1851:
	s_mov_b64 s[6:7], 0
.LBB216_1852:
	s_andn2_b64 vcc, exec, s[6:7]
	s_cbranch_vccnz .LBB216_1854
; %bb.1853:
	global_load_dword v3, v[18:19], off
.LBB216_1854:
	s_mov_b64 s[6:7], 0
.LBB216_1855:
	s_andn2_b64 vcc, exec, s[6:7]
	s_cbranch_vccnz .LBB216_1866
; %bb.1856:
	s_cmp_lt_i32 s16, 6
	s_cbranch_scc1 .LBB216_1859
; %bb.1857:
	s_cmp_gt_i32 s16, 6
	s_cbranch_scc0 .LBB216_1860
; %bb.1858:
	global_load_dwordx2 v[20:21], v[18:19], off
	s_movk_i32 s6, 0x1ff
	s_movk_i32 s7, 0xffe
	s_waitcnt vmcnt(1)
	v_mov_b32_e32 v3, 0x7c00
	v_mov_b32_e32 v5, 0x7e00
	s_movk_i32 s17, 0x40f
	s_mov_b32 s18, 0x8000
	s_waitcnt vmcnt(0)
	v_and_or_b32 v8, v21, s6, v20
	v_cmp_ne_u32_e32 vcc, 0, v8
	v_lshrrev_b32_e32 v10, 8, v21
	v_bfe_u32 v12, v21, 20, 11
	v_cndmask_b32_e64 v8, 0, 1, vcc
	v_sub_u32_e32 v16, 0x3f1, v12
	v_and_or_b32 v8, v10, s7, v8
	v_add_u32_e32 v12, 0xfffffc10, v12
	v_med3_i32 v10, v16, 0, 13
	v_or_b32_e32 v16, 0x1000, v8
	v_lshl_or_b32 v20, v12, 12, v8
	v_cmp_ne_u32_e32 vcc, 0, v8
	v_lshrrev_b32_e32 v8, v10, v16
	v_lshlrev_b32_e32 v10, v10, v8
	v_cndmask_b32_e32 v5, v3, v5, vcc
	v_cmp_ne_u32_e32 vcc, v10, v16
	v_cndmask_b32_e64 v10, 0, 1, vcc
	v_or_b32_e32 v8, v8, v10
	v_cmp_gt_i32_e32 vcc, 1, v12
	v_cndmask_b32_e32 v8, v20, v8, vcc
	v_and_b32_e32 v10, 7, v8
	v_cmp_lt_i32_e32 vcc, 5, v10
	v_cndmask_b32_e64 v16, 0, 1, vcc
	v_cmp_eq_u32_e32 vcc, 3, v10
	v_cndmask_b32_e64 v10, 0, 1, vcc
	v_lshrrev_b32_e32 v8, 2, v8
	v_or_b32_e32 v10, v10, v16
	v_add_u32_e32 v8, v8, v10
	v_cmp_gt_i32_e32 vcc, 31, v12
	v_cndmask_b32_e32 v3, v3, v8, vcc
	v_cmp_eq_u32_e32 vcc, s17, v12
	v_lshrrev_b32_e32 v14, 16, v21
	v_cndmask_b32_e32 v3, v3, v5, vcc
	v_and_or_b32 v3, v14, s18, v3
	s_mov_b64 s[6:7], 0
	s_branch .LBB216_1861
.LBB216_1859:
	s_mov_b64 s[6:7], -1
                                        ; implicit-def: $vgpr3
	s_branch .LBB216_1864
.LBB216_1860:
	s_mov_b64 s[6:7], -1
                                        ; implicit-def: $vgpr3
.LBB216_1861:
	s_andn2_b64 vcc, exec, s[6:7]
	s_cbranch_vccnz .LBB216_1863
; %bb.1862:
	global_load_dword v3, v[18:19], off
	s_waitcnt vmcnt(0)
	v_cvt_f16_f32_e32 v3, v3
.LBB216_1863:
	s_mov_b64 s[6:7], 0
.LBB216_1864:
	s_andn2_b64 vcc, exec, s[6:7]
	s_cbranch_vccnz .LBB216_1866
; %bb.1865:
	global_load_ushort v3, v[18:19], off
.LBB216_1866:
	s_cbranch_execnz .LBB216_1886
.LBB216_1867:
	s_cmp_lt_i32 s16, 2
	s_cbranch_scc1 .LBB216_1871
; %bb.1868:
	s_cmp_lt_i32 s16, 3
	s_cbranch_scc1 .LBB216_1872
; %bb.1869:
	s_cmp_gt_i32 s16, 3
	s_cbranch_scc0 .LBB216_1873
; %bb.1870:
	global_load_dwordx2 v[20:21], v[18:19], off
	s_mov_b64 s[6:7], 0
	s_waitcnt vmcnt(0)
	v_xor_b32_e32 v5, v20, v21
	v_ffbh_i32_e32 v3, v21
	v_ashrrev_i32_e32 v5, 31, v5
	v_add_u32_e32 v3, -1, v3
	v_add_u32_e32 v5, 32, v5
	v_min_u32_e32 v3, v3, v5
	v_lshlrev_b64 v[20:21], v3, v[20:21]
	v_sub_u32_e32 v3, 32, v3
	v_min_u32_e32 v5, 1, v20
	v_or_b32_e32 v5, v21, v5
	v_cvt_f32_i32_e32 v5, v5
	v_ldexp_f32 v3, v5, v3
	v_cvt_f16_f32_e32 v3, v3
	s_branch .LBB216_1874
.LBB216_1871:
	s_mov_b64 s[6:7], -1
                                        ; implicit-def: $vgpr3
	s_branch .LBB216_1880
.LBB216_1872:
	s_mov_b64 s[6:7], -1
                                        ; implicit-def: $vgpr3
	s_branch .LBB216_1877
.LBB216_1873:
	s_mov_b64 s[6:7], -1
                                        ; implicit-def: $vgpr3
.LBB216_1874:
	s_andn2_b64 vcc, exec, s[6:7]
	s_cbranch_vccnz .LBB216_1876
; %bb.1875:
	global_load_dword v3, v[18:19], off
	s_waitcnt vmcnt(0)
	v_cvt_f32_i32_e32 v3, v3
	v_cvt_f16_f32_e32 v3, v3
.LBB216_1876:
	s_mov_b64 s[6:7], 0
.LBB216_1877:
	s_andn2_b64 vcc, exec, s[6:7]
	s_cbranch_vccnz .LBB216_1879
; %bb.1878:
	global_load_ushort v3, v[18:19], off
	s_waitcnt vmcnt(0)
	v_cvt_f16_i16_e32 v3, v3
.LBB216_1879:
	s_mov_b64 s[6:7], 0
.LBB216_1880:
	s_andn2_b64 vcc, exec, s[6:7]
	s_cbranch_vccnz .LBB216_1886
; %bb.1881:
	s_cmp_gt_i32 s16, 0
	s_cbranch_scc0 .LBB216_1883
; %bb.1882:
	global_load_sbyte v3, v[18:19], off
	s_mov_b64 s[6:7], 0
	s_waitcnt vmcnt(0)
	v_cvt_f16_i16_e32 v3, v3
	s_branch .LBB216_1884
.LBB216_1883:
	s_mov_b64 s[6:7], -1
                                        ; implicit-def: $vgpr3
.LBB216_1884:
	s_andn2_b64 vcc, exec, s[6:7]
	s_cbranch_vccnz .LBB216_1886
; %bb.1885:
	global_load_ubyte v3, v[18:19], off
	s_waitcnt vmcnt(0)
	v_cvt_f16_u16_e32 v3, v3
.LBB216_1886:
.LBB216_1887:
	s_lshr_b32 s6, s25, 8
	v_mov_b32_e32 v5, s11
	s_and_b32 s24, s6, 0xff
	v_add_co_u32_e32 v16, vcc, s10, v17
	s_cmp_lt_i32 s24, 11
	v_addc_co_u32_e32 v17, vcc, 0, v5, vcc
	s_cbranch_scc1 .LBB216_1894
; %bb.1888:
	s_and_b32 s26, 0xffff, s24
	s_cmp_gt_i32 s26, 25
	s_mov_b64 s[16:17], 0
	s_cbranch_scc0 .LBB216_1896
; %bb.1889:
	s_cmp_gt_i32 s26, 28
	s_cbranch_scc0 .LBB216_1897
; %bb.1890:
	s_cmp_gt_i32 s26, 43
	;; [unrolled: 3-line block ×3, first 2 shown]
	s_cbranch_scc0 .LBB216_1900
; %bb.1892:
	s_cmp_eq_u32 s26, 46
	s_mov_b64 s[20:21], 0
	s_cbranch_scc0 .LBB216_1901
; %bb.1893:
	global_load_dword v5, v[16:17], off
	s_mov_b64 s[6:7], 0
	s_mov_b64 s[18:19], -1
	s_waitcnt vmcnt(0)
	v_lshlrev_b32_e32 v5, 16, v5
	v_cvt_f16_f32_e32 v18, v5
	s_branch .LBB216_1902
.LBB216_1894:
	s_mov_b64 s[18:19], 0
                                        ; implicit-def: $vgpr18
	s_cbranch_execnz .LBB216_1968
.LBB216_1895:
	s_andn2_b64 vcc, exec, s[18:19]
	s_cbranch_vccnz .LBB216_3101
	s_branch .LBB216_2016
.LBB216_1896:
	s_mov_b64 s[20:21], -1
	s_mov_b64 s[18:19], 0
	s_mov_b64 s[6:7], 0
                                        ; implicit-def: $vgpr18
	s_branch .LBB216_1931
.LBB216_1897:
	s_mov_b64 s[20:21], -1
	s_mov_b64 s[18:19], 0
	s_mov_b64 s[6:7], 0
                                        ; implicit-def: $vgpr18
	s_branch .LBB216_1912
.LBB216_1898:
	s_mov_b64 s[20:21], -1
	s_mov_b64 s[18:19], 0
	s_mov_b64 s[6:7], 0
                                        ; implicit-def: $vgpr18
	s_branch .LBB216_1907
.LBB216_1899:
	s_trap 2
	s_or_b64 s[4:5], s[4:5], exec
	s_cbranch_execz .LBB216_1838
	s_branch .LBB216_1839
.LBB216_1900:
	s_mov_b64 s[20:21], -1
	s_mov_b64 s[18:19], 0
	s_mov_b64 s[6:7], 0
                                        ; implicit-def: $vgpr18
	s_branch .LBB216_1902
.LBB216_1901:
	s_mov_b64 s[6:7], -1
                                        ; implicit-def: $vgpr18
	s_mov_b64 s[18:19], 0
.LBB216_1902:
	s_and_b64 vcc, exec, s[20:21]
	s_cbranch_vccz .LBB216_1906
; %bb.1903:
	s_cmp_eq_u32 s26, 44
	s_cbranch_scc0 .LBB216_1905
; %bb.1904:
	global_load_ubyte v5, v[16:17], off
	s_movk_i32 s18, 0xff
	v_mov_b32_e32 v10, 0x7e00
	s_mov_b64 s[6:7], 0
	s_waitcnt vmcnt(0)
	v_lshlrev_b32_e32 v8, 23, v5
	v_cvt_f16_f32_e32 v8, v8
	v_cmp_ne_u32_e32 vcc, s18, v5
	s_mov_b64 s[18:19], -1
	v_cndmask_b32_e32 v8, v10, v8, vcc
	v_cmp_ne_u32_e32 vcc, 0, v5
	v_cndmask_b32_e32 v18, 0, v8, vcc
	s_branch .LBB216_1906
.LBB216_1905:
	s_mov_b64 s[6:7], -1
                                        ; implicit-def: $vgpr18
.LBB216_1906:
	s_mov_b64 s[20:21], 0
.LBB216_1907:
	s_and_b64 vcc, exec, s[20:21]
	s_cbranch_vccz .LBB216_1911
; %bb.1908:
	s_cmp_eq_u32 s26, 29
	s_cbranch_scc0 .LBB216_1910
; %bb.1909:
	global_load_dwordx2 v[18:19], v[16:17], off
	s_mov_b64 s[6:7], 0
	s_mov_b64 s[18:19], -1
	s_mov_b64 s[20:21], 0
	s_waitcnt vmcnt(0)
	v_ffbh_u32_e32 v5, v19
	v_min_u32_e32 v5, 32, v5
	v_lshlrev_b64 v[18:19], v5, v[18:19]
	v_sub_u32_e32 v5, 32, v5
	v_min_u32_e32 v8, 1, v18
	v_or_b32_e32 v8, v19, v8
	v_cvt_f32_u32_e32 v8, v8
	v_ldexp_f32 v5, v8, v5
	v_cvt_f16_f32_e32 v18, v5
	s_branch .LBB216_1912
.LBB216_1910:
	s_mov_b64 s[6:7], -1
                                        ; implicit-def: $vgpr18
.LBB216_1911:
	s_mov_b64 s[20:21], 0
.LBB216_1912:
	s_and_b64 vcc, exec, s[20:21]
	s_cbranch_vccz .LBB216_1930
; %bb.1913:
	s_cmp_lt_i32 s26, 27
	s_cbranch_scc1 .LBB216_1916
; %bb.1914:
	s_cmp_gt_i32 s26, 27
	s_cbranch_scc0 .LBB216_1917
; %bb.1915:
	global_load_dword v5, v[16:17], off
	s_mov_b64 s[18:19], 0
	s_waitcnt vmcnt(0)
	v_cvt_f32_u32_e32 v5, v5
	v_cvt_f16_f32_e32 v18, v5
	s_branch .LBB216_1918
.LBB216_1916:
	s_mov_b64 s[18:19], -1
                                        ; implicit-def: $vgpr18
	s_branch .LBB216_1921
.LBB216_1917:
	s_mov_b64 s[18:19], -1
                                        ; implicit-def: $vgpr18
.LBB216_1918:
	s_andn2_b64 vcc, exec, s[18:19]
	s_cbranch_vccnz .LBB216_1920
; %bb.1919:
	global_load_ushort v5, v[16:17], off
	s_waitcnt vmcnt(0)
	v_cvt_f16_u16_e32 v18, v5
.LBB216_1920:
	s_mov_b64 s[18:19], 0
.LBB216_1921:
	s_andn2_b64 vcc, exec, s[18:19]
	s_cbranch_vccnz .LBB216_1929
; %bb.1922:
	global_load_ubyte v5, v[16:17], off
	s_movk_i32 s18, 0x7f
	s_waitcnt vmcnt(0)
	v_cmp_lt_i16_e32 vcc, s18, v5
	s_mov_b64 s[18:19], 0
	s_and_saveexec_b64 s[20:21], vcc
	s_xor_b64 s[20:21], exec, s[20:21]
	s_cbranch_execz .LBB216_1943
; %bb.1923:
	s_movk_i32 s18, 0x80
	v_cmp_eq_u16_e32 vcc, s18, v5
	s_mov_b64 s[18:19], -1
	s_and_saveexec_b64 s[22:23], vcc
; %bb.1924:
	s_xor_b64 s[18:19], exec, -1
; %bb.1925:
	s_or_b64 exec, exec, s[22:23]
	s_and_b64 s[18:19], s[18:19], exec
	s_or_saveexec_b64 s[20:21], s[20:21]
	v_mov_b32_e32 v18, 0x7e00
	s_xor_b64 exec, exec, s[20:21]
	s_cbranch_execnz .LBB216_1944
.LBB216_1926:
	s_or_b64 exec, exec, s[20:21]
	s_and_saveexec_b64 s[20:21], s[18:19]
	s_cbranch_execz .LBB216_1928
.LBB216_1927:
	v_lshlrev_b32_e32 v8, 24, v5
	v_and_b32_e32 v5, 0xffff, v5
	v_and_b32_e32 v10, 7, v5
	v_ffbh_u32_e32 v14, v10
	v_min_u32_e32 v14, 32, v14
	v_subrev_u32_e32 v18, 28, v14
	v_bfe_u32 v12, v5, 3, 4
	v_lshlrev_b32_e32 v5, v18, v5
	v_sub_u32_e32 v14, 29, v14
	v_and_b32_e32 v5, 7, v5
	v_cmp_eq_u32_e32 vcc, 0, v12
	v_cndmask_b32_e32 v12, v12, v14, vcc
	v_cndmask_b32_e32 v5, v10, v5, vcc
	v_mov_b32_e32 v10, 0x3b800000
	v_lshlrev_b32_e32 v5, 20, v5
	v_and_b32_e32 v8, 0x80000000, v8
	v_lshl_add_u32 v10, v12, 23, v10
	v_or3_b32 v5, v8, v10, v5
	v_cvt_f16_f32_e32 v18, v5
.LBB216_1928:
	s_or_b64 exec, exec, s[20:21]
.LBB216_1929:
	s_mov_b64 s[18:19], -1
.LBB216_1930:
	s_mov_b64 s[20:21], 0
.LBB216_1931:
	s_and_b64 vcc, exec, s[20:21]
	s_cbranch_vccz .LBB216_1964
; %bb.1932:
	s_cmp_gt_i32 s26, 22
	s_cbranch_scc0 .LBB216_1942
; %bb.1933:
	s_cmp_lt_i32 s26, 24
	s_cbranch_scc1 .LBB216_1945
; %bb.1934:
	s_cmp_gt_i32 s26, 24
	s_cbranch_scc0 .LBB216_1946
; %bb.1935:
	global_load_ubyte v5, v[16:17], off
	s_movk_i32 s16, 0x7f
	s_waitcnt vmcnt(0)
	v_cmp_lt_i16_e32 vcc, s16, v5
	s_mov_b64 s[16:17], 0
	s_and_saveexec_b64 s[18:19], vcc
	s_xor_b64 s[18:19], exec, s[18:19]
	s_cbranch_execz .LBB216_1958
; %bb.1936:
	s_movk_i32 s16, 0x80
	v_cmp_eq_u16_e32 vcc, s16, v5
	s_mov_b64 s[16:17], -1
	s_and_saveexec_b64 s[20:21], vcc
; %bb.1937:
	s_xor_b64 s[16:17], exec, -1
; %bb.1938:
	s_or_b64 exec, exec, s[20:21]
	s_and_b64 s[16:17], s[16:17], exec
	s_or_saveexec_b64 s[18:19], s[18:19]
	v_mov_b32_e32 v18, 0x7e00
	s_xor_b64 exec, exec, s[18:19]
	s_cbranch_execnz .LBB216_1959
.LBB216_1939:
	s_or_b64 exec, exec, s[18:19]
	s_and_saveexec_b64 s[18:19], s[16:17]
	s_cbranch_execz .LBB216_1941
.LBB216_1940:
	v_lshlrev_b32_e32 v8, 24, v5
	v_and_b32_e32 v5, 0xffff, v5
	v_and_b32_e32 v10, 3, v5
	v_ffbh_u32_e32 v14, v10
	v_min_u32_e32 v14, 32, v14
	v_subrev_u32_e32 v18, 29, v14
	v_bfe_u32 v12, v5, 2, 5
	v_lshlrev_b32_e32 v5, v18, v5
	v_sub_u32_e32 v14, 30, v14
	v_and_b32_e32 v5, 3, v5
	v_cmp_eq_u32_e32 vcc, 0, v12
	v_cndmask_b32_e32 v12, v12, v14, vcc
	v_cndmask_b32_e32 v5, v10, v5, vcc
	v_mov_b32_e32 v10, 0x37800000
	v_lshlrev_b32_e32 v5, 21, v5
	v_and_b32_e32 v8, 0x80000000, v8
	v_lshl_add_u32 v10, v12, 23, v10
	v_or3_b32 v5, v8, v10, v5
	v_cvt_f16_f32_e32 v18, v5
.LBB216_1941:
	s_or_b64 exec, exec, s[18:19]
	s_mov_b64 s[16:17], 0
	s_branch .LBB216_1947
.LBB216_1942:
	s_mov_b64 s[16:17], -1
                                        ; implicit-def: $vgpr18
	s_branch .LBB216_1953
.LBB216_1943:
	s_or_saveexec_b64 s[20:21], s[20:21]
	v_mov_b32_e32 v18, 0x7e00
	s_xor_b64 exec, exec, s[20:21]
	s_cbranch_execz .LBB216_1926
.LBB216_1944:
	v_cmp_ne_u16_e32 vcc, 0, v5
	s_andn2_b64 s[18:19], s[18:19], exec
	s_and_b64 s[22:23], vcc, exec
	s_or_b64 s[18:19], s[18:19], s[22:23]
	v_mov_b32_e32 v18, v5
	s_or_b64 exec, exec, s[20:21]
	s_and_saveexec_b64 s[20:21], s[18:19]
	s_cbranch_execnz .LBB216_1927
	s_branch .LBB216_1928
.LBB216_1945:
	s_mov_b64 s[16:17], -1
                                        ; implicit-def: $vgpr18
	s_branch .LBB216_1950
.LBB216_1946:
	s_mov_b64 s[16:17], -1
                                        ; implicit-def: $vgpr18
.LBB216_1947:
	s_and_b64 vcc, exec, s[16:17]
	s_cbranch_vccz .LBB216_1949
; %bb.1948:
	global_load_ubyte v5, v[16:17], off
	s_mov_b32 s16, 0x7f800000
	s_waitcnt vmcnt(0)
	v_lshlrev_b32_e32 v5, 24, v5
	v_and_b32_e32 v8, 0x7f000000, v5
	v_ffbh_u32_e32 v10, v8
	v_min_u32_e32 v10, 32, v10
	v_sub_u32_e64 v10, v10, 4 clamp
	v_lshlrev_b32_e32 v14, v10, v8
	v_lshlrev_b32_e32 v10, 23, v10
	v_lshrrev_b32_e32 v14, 4, v14
	v_add_u32_e32 v12, 0x1000000, v8
	v_sub_u32_e32 v10, v14, v10
	v_ashrrev_i32_e32 v12, 8, v12
	v_add_u32_e32 v10, 0x3c000000, v10
	v_and_or_b32 v10, v12, s16, v10
	v_cmp_ne_u32_e32 vcc, 0, v8
	v_cndmask_b32_e32 v8, 0, v10, vcc
	s_brev_b32 s16, 1
	v_and_or_b32 v5, v5, s16, v8
	v_cvt_f16_f32_e32 v18, v5
.LBB216_1949:
	s_mov_b64 s[16:17], 0
.LBB216_1950:
	s_andn2_b64 vcc, exec, s[16:17]
	s_cbranch_vccnz .LBB216_1952
; %bb.1951:
	global_load_ubyte v5, v[16:17], off
	s_movk_i32 s16, 0x7f00
	s_brev_b32 s17, 16
	s_waitcnt vmcnt(0)
	v_lshlrev_b16_e32 v8, 8, v5
	v_lshlrev_b32_e32 v5, 25, v5
	v_lshrrev_b32_e32 v10, 4, v5
	v_and_or_b32 v12, v8, s16, 0.5
	v_or_b32_e32 v10, 0x70000000, v10
	v_add_f32_e32 v12, -0.5, v12
	v_mul_f32_e32 v10, 0x7800000, v10
	v_cmp_gt_u32_e32 vcc, s17, v5
	v_bfe_i32 v8, v8, 0, 16
	v_cndmask_b32_e32 v5, v10, v12, vcc
	s_brev_b32 s16, 1
	v_and_or_b32 v5, v8, s16, v5
	v_cvt_f16_f32_e32 v18, v5
.LBB216_1952:
	s_mov_b64 s[16:17], 0
	s_mov_b64 s[18:19], -1
.LBB216_1953:
	s_andn2_b64 vcc, exec, s[16:17]
	s_mov_b64 s[16:17], 0
	s_cbranch_vccnz .LBB216_1964
; %bb.1954:
	s_cmp_gt_i32 s26, 14
	s_cbranch_scc0 .LBB216_1957
; %bb.1955:
	s_cmp_eq_u32 s26, 15
	s_cbranch_scc0 .LBB216_1960
; %bb.1956:
	global_load_ushort v5, v[16:17], off
	s_mov_b64 s[6:7], 0
	s_mov_b64 s[18:19], -1
	s_waitcnt vmcnt(0)
	v_lshlrev_b32_e32 v5, 16, v5
	v_cvt_f16_f32_e32 v18, v5
	s_branch .LBB216_1961
.LBB216_1957:
	s_mov_b64 s[20:21], -1
                                        ; implicit-def: $vgpr18
	s_branch .LBB216_1962
.LBB216_1958:
	s_or_saveexec_b64 s[18:19], s[18:19]
	v_mov_b32_e32 v18, 0x7e00
	s_xor_b64 exec, exec, s[18:19]
	s_cbranch_execz .LBB216_1939
.LBB216_1959:
	v_cmp_ne_u16_e32 vcc, 0, v5
	s_andn2_b64 s[16:17], s[16:17], exec
	s_and_b64 s[20:21], vcc, exec
	s_or_b64 s[16:17], s[16:17], s[20:21]
	v_mov_b32_e32 v18, v5
	s_or_b64 exec, exec, s[18:19]
	s_and_saveexec_b64 s[18:19], s[16:17]
	s_cbranch_execnz .LBB216_1940
	s_branch .LBB216_1941
.LBB216_1960:
	s_mov_b64 s[6:7], -1
                                        ; implicit-def: $vgpr18
.LBB216_1961:
	s_mov_b64 s[20:21], 0
.LBB216_1962:
	s_and_b64 vcc, exec, s[20:21]
	s_cbranch_vccz .LBB216_1964
; %bb.1963:
	s_cmp_lg_u32 s26, 11
	s_mov_b64 s[16:17], -1
	s_cselect_b64 s[6:7], -1, 0
.LBB216_1964:
	s_and_b64 vcc, exec, s[6:7]
	s_cbranch_vccnz .LBB216_2027
; %bb.1965:
	s_andn2_b64 vcc, exec, s[16:17]
	s_cbranch_vccnz .LBB216_1967
.LBB216_1966:
	global_load_ubyte v5, v[16:17], off
	v_mov_b32_e32 v8, 0x3c00
	s_mov_b64 s[18:19], -1
	s_waitcnt vmcnt(0)
	v_cmp_ne_u16_e32 vcc, 0, v5
	v_cndmask_b32_e32 v18, 0, v8, vcc
.LBB216_1967:
	s_branch .LBB216_1895
.LBB216_1968:
	s_and_b32 s16, 0xffff, s24
	s_cmp_lt_i32 s16, 5
	s_cbranch_scc1 .LBB216_1973
; %bb.1969:
	s_cmp_lt_i32 s16, 8
	s_cbranch_scc1 .LBB216_1974
; %bb.1970:
	;; [unrolled: 3-line block ×3, first 2 shown]
	s_cmp_gt_i32 s16, 9
	s_cbranch_scc0 .LBB216_1976
; %bb.1972:
	global_load_dwordx2 v[18:19], v[16:17], off
	s_movk_i32 s6, 0x1ff
	s_movk_i32 s7, 0xffe
	v_mov_b32_e32 v5, 0x7c00
	v_mov_b32_e32 v8, 0x7e00
	s_movk_i32 s17, 0x40f
	s_mov_b32 s18, 0x8000
	s_waitcnt vmcnt(0)
	v_and_or_b32 v10, v19, s6, v18
	v_cmp_ne_u32_e32 vcc, 0, v10
	v_lshrrev_b32_e32 v12, 8, v19
	v_bfe_u32 v14, v19, 20, 11
	v_cndmask_b32_e64 v10, 0, 1, vcc
	v_lshrrev_b32_e32 v18, 16, v19
	v_sub_u32_e32 v19, 0x3f1, v14
	v_and_or_b32 v10, v12, s7, v10
	v_add_u32_e32 v14, 0xfffffc10, v14
	v_med3_i32 v12, v19, 0, 13
	v_or_b32_e32 v19, 0x1000, v10
	v_lshl_or_b32 v20, v14, 12, v10
	v_cmp_ne_u32_e32 vcc, 0, v10
	v_lshrrev_b32_e32 v10, v12, v19
	v_lshlrev_b32_e32 v12, v12, v10
	v_cndmask_b32_e32 v8, v5, v8, vcc
	v_cmp_ne_u32_e32 vcc, v12, v19
	v_cndmask_b32_e64 v12, 0, 1, vcc
	v_or_b32_e32 v10, v10, v12
	v_cmp_gt_i32_e32 vcc, 1, v14
	v_cndmask_b32_e32 v10, v20, v10, vcc
	v_and_b32_e32 v12, 7, v10
	v_cmp_lt_i32_e32 vcc, 5, v12
	v_cndmask_b32_e64 v19, 0, 1, vcc
	v_cmp_eq_u32_e32 vcc, 3, v12
	v_cndmask_b32_e64 v12, 0, 1, vcc
	v_lshrrev_b32_e32 v10, 2, v10
	v_or_b32_e32 v12, v12, v19
	v_add_u32_e32 v10, v10, v12
	v_cmp_gt_i32_e32 vcc, 31, v14
	v_cndmask_b32_e32 v5, v5, v10, vcc
	v_cmp_eq_u32_e32 vcc, s17, v14
	v_cndmask_b32_e32 v5, v5, v8, vcc
	v_and_or_b32 v18, v18, s18, v5
	s_mov_b64 s[6:7], 0
	s_branch .LBB216_1977
.LBB216_1973:
	s_mov_b64 s[6:7], -1
                                        ; implicit-def: $vgpr18
	s_branch .LBB216_1995
.LBB216_1974:
	s_mov_b64 s[6:7], -1
                                        ; implicit-def: $vgpr18
	s_branch .LBB216_1983
.LBB216_1975:
	s_mov_b64 s[6:7], -1
                                        ; implicit-def: $vgpr18
	s_branch .LBB216_1980
.LBB216_1976:
	s_mov_b64 s[6:7], -1
                                        ; implicit-def: $vgpr18
.LBB216_1977:
	s_andn2_b64 vcc, exec, s[6:7]
	s_cbranch_vccnz .LBB216_1979
; %bb.1978:
	global_load_dword v5, v[16:17], off
	s_waitcnt vmcnt(0)
	v_cvt_f16_f32_e32 v18, v5
.LBB216_1979:
	s_mov_b64 s[6:7], 0
.LBB216_1980:
	s_andn2_b64 vcc, exec, s[6:7]
	s_cbranch_vccnz .LBB216_1982
; %bb.1981:
	global_load_dword v18, v[16:17], off
.LBB216_1982:
	s_mov_b64 s[6:7], 0
.LBB216_1983:
	s_andn2_b64 vcc, exec, s[6:7]
	s_cbranch_vccnz .LBB216_1994
; %bb.1984:
	s_cmp_lt_i32 s16, 6
	s_cbranch_scc1 .LBB216_1987
; %bb.1985:
	s_cmp_gt_i32 s16, 6
	s_cbranch_scc0 .LBB216_1988
; %bb.1986:
	global_load_dwordx2 v[18:19], v[16:17], off
	s_movk_i32 s6, 0x1ff
	s_movk_i32 s7, 0xffe
	v_mov_b32_e32 v5, 0x7c00
	v_mov_b32_e32 v8, 0x7e00
	s_movk_i32 s17, 0x40f
	s_mov_b32 s18, 0x8000
	s_waitcnt vmcnt(0)
	v_and_or_b32 v10, v19, s6, v18
	v_cmp_ne_u32_e32 vcc, 0, v10
	v_lshrrev_b32_e32 v12, 8, v19
	v_bfe_u32 v14, v19, 20, 11
	v_cndmask_b32_e64 v10, 0, 1, vcc
	v_lshrrev_b32_e32 v18, 16, v19
	v_sub_u32_e32 v19, 0x3f1, v14
	v_and_or_b32 v10, v12, s7, v10
	v_add_u32_e32 v14, 0xfffffc10, v14
	v_med3_i32 v12, v19, 0, 13
	v_or_b32_e32 v19, 0x1000, v10
	v_lshl_or_b32 v20, v14, 12, v10
	v_cmp_ne_u32_e32 vcc, 0, v10
	v_lshrrev_b32_e32 v10, v12, v19
	v_lshlrev_b32_e32 v12, v12, v10
	v_cndmask_b32_e32 v8, v5, v8, vcc
	v_cmp_ne_u32_e32 vcc, v12, v19
	v_cndmask_b32_e64 v12, 0, 1, vcc
	v_or_b32_e32 v10, v10, v12
	v_cmp_gt_i32_e32 vcc, 1, v14
	v_cndmask_b32_e32 v10, v20, v10, vcc
	v_and_b32_e32 v12, 7, v10
	v_cmp_lt_i32_e32 vcc, 5, v12
	v_cndmask_b32_e64 v19, 0, 1, vcc
	v_cmp_eq_u32_e32 vcc, 3, v12
	v_cndmask_b32_e64 v12, 0, 1, vcc
	v_lshrrev_b32_e32 v10, 2, v10
	v_or_b32_e32 v12, v12, v19
	v_add_u32_e32 v10, v10, v12
	v_cmp_gt_i32_e32 vcc, 31, v14
	v_cndmask_b32_e32 v5, v5, v10, vcc
	v_cmp_eq_u32_e32 vcc, s17, v14
	v_cndmask_b32_e32 v5, v5, v8, vcc
	v_and_or_b32 v18, v18, s18, v5
	s_mov_b64 s[6:7], 0
	s_branch .LBB216_1989
.LBB216_1987:
	s_mov_b64 s[6:7], -1
                                        ; implicit-def: $vgpr18
	s_branch .LBB216_1992
.LBB216_1988:
	s_mov_b64 s[6:7], -1
                                        ; implicit-def: $vgpr18
.LBB216_1989:
	s_andn2_b64 vcc, exec, s[6:7]
	s_cbranch_vccnz .LBB216_1991
; %bb.1990:
	global_load_dword v5, v[16:17], off
	s_waitcnt vmcnt(0)
	v_cvt_f16_f32_e32 v18, v5
.LBB216_1991:
	s_mov_b64 s[6:7], 0
.LBB216_1992:
	s_andn2_b64 vcc, exec, s[6:7]
	s_cbranch_vccnz .LBB216_1994
; %bb.1993:
	global_load_ushort v18, v[16:17], off
.LBB216_1994:
	s_mov_b64 s[6:7], 0
.LBB216_1995:
	s_andn2_b64 vcc, exec, s[6:7]
	s_cbranch_vccnz .LBB216_2015
; %bb.1996:
	s_cmp_lt_i32 s16, 2
	s_cbranch_scc1 .LBB216_2000
; %bb.1997:
	s_cmp_lt_i32 s16, 3
	s_cbranch_scc1 .LBB216_2001
; %bb.1998:
	s_cmp_gt_i32 s16, 3
	s_cbranch_scc0 .LBB216_2002
; %bb.1999:
	global_load_dwordx2 v[18:19], v[16:17], off
	s_mov_b64 s[6:7], 0
	s_waitcnt vmcnt(0)
	v_xor_b32_e32 v8, v18, v19
	v_ffbh_i32_e32 v5, v19
	v_ashrrev_i32_e32 v8, 31, v8
	v_add_u32_e32 v5, -1, v5
	v_add_u32_e32 v8, 32, v8
	v_min_u32_e32 v5, v5, v8
	v_lshlrev_b64 v[18:19], v5, v[18:19]
	v_sub_u32_e32 v5, 32, v5
	v_min_u32_e32 v8, 1, v18
	v_or_b32_e32 v8, v19, v8
	v_cvt_f32_i32_e32 v8, v8
	v_ldexp_f32 v5, v8, v5
	v_cvt_f16_f32_e32 v18, v5
	s_branch .LBB216_2003
.LBB216_2000:
	s_mov_b64 s[6:7], -1
                                        ; implicit-def: $vgpr18
	s_branch .LBB216_2009
.LBB216_2001:
	s_mov_b64 s[6:7], -1
                                        ; implicit-def: $vgpr18
	s_branch .LBB216_2006
.LBB216_2002:
	s_mov_b64 s[6:7], -1
                                        ; implicit-def: $vgpr18
.LBB216_2003:
	s_andn2_b64 vcc, exec, s[6:7]
	s_cbranch_vccnz .LBB216_2005
; %bb.2004:
	global_load_dword v5, v[16:17], off
	s_waitcnt vmcnt(0)
	v_cvt_f32_i32_e32 v5, v5
	v_cvt_f16_f32_e32 v18, v5
.LBB216_2005:
	s_mov_b64 s[6:7], 0
.LBB216_2006:
	s_andn2_b64 vcc, exec, s[6:7]
	s_cbranch_vccnz .LBB216_2008
; %bb.2007:
	global_load_ushort v5, v[16:17], off
	s_waitcnt vmcnt(0)
	v_cvt_f16_i16_e32 v18, v5
.LBB216_2008:
	s_mov_b64 s[6:7], 0
.LBB216_2009:
	s_andn2_b64 vcc, exec, s[6:7]
	s_cbranch_vccnz .LBB216_2015
; %bb.2010:
	s_cmp_gt_i32 s16, 0
	s_cbranch_scc0 .LBB216_2012
; %bb.2011:
	global_load_sbyte v5, v[16:17], off
	s_mov_b64 s[6:7], 0
	s_waitcnt vmcnt(0)
	v_cvt_f16_i16_e32 v18, v5
	s_branch .LBB216_2013
.LBB216_2012:
	s_mov_b64 s[6:7], -1
                                        ; implicit-def: $vgpr18
.LBB216_2013:
	s_andn2_b64 vcc, exec, s[6:7]
	s_cbranch_vccnz .LBB216_2015
; %bb.2014:
	global_load_ubyte v5, v[16:17], off
	s_waitcnt vmcnt(0)
	v_cvt_f16_u16_e32 v18, v5
.LBB216_2015:
.LBB216_2016:
	s_lshr_b32 s6, s25, 16
	v_mov_b32_e32 v5, s1
	s_and_b32 s25, s6, 0xff
	v_add_co_u32_e32 v14, vcc, s0, v15
	s_cmp_lt_i32 s25, 11
	v_addc_co_u32_e32 v15, vcc, 0, v5, vcc
	s_cbranch_scc1 .LBB216_2023
; %bb.2017:
	s_and_b32 s26, 0xffff, s25
	s_cmp_gt_i32 s26, 25
	s_mov_b64 s[16:17], 0
	s_cbranch_scc0 .LBB216_2024
; %bb.2018:
	s_cmp_gt_i32 s26, 28
	s_cbranch_scc0 .LBB216_2025
; %bb.2019:
	s_cmp_gt_i32 s26, 43
	;; [unrolled: 3-line block ×3, first 2 shown]
	s_cbranch_scc0 .LBB216_2028
; %bb.2021:
	s_cmp_eq_u32 s26, 46
	s_mov_b64 s[20:21], 0
	s_cbranch_scc0 .LBB216_2029
; %bb.2022:
	global_load_dword v5, v[14:15], off
	s_mov_b64 s[6:7], 0
	s_mov_b64 s[18:19], -1
	s_waitcnt vmcnt(0)
	v_lshlrev_b32_e32 v5, 16, v5
	v_cvt_f16_f32_e32 v16, v5
	s_branch .LBB216_2030
.LBB216_2023:
	s_mov_b64 s[6:7], -1
	s_mov_b64 s[18:19], 0
                                        ; implicit-def: $vgpr16
	s_branch .LBB216_2096
.LBB216_2024:
	s_mov_b64 s[20:21], -1
	s_mov_b64 s[18:19], 0
	s_mov_b64 s[6:7], 0
                                        ; implicit-def: $vgpr16
	s_branch .LBB216_2059
.LBB216_2025:
	s_mov_b64 s[20:21], -1
	s_mov_b64 s[18:19], 0
	s_mov_b64 s[6:7], 0
                                        ; implicit-def: $vgpr16
	s_branch .LBB216_2040
.LBB216_2026:
	s_mov_b64 s[20:21], -1
	s_mov_b64 s[18:19], 0
	s_mov_b64 s[6:7], 0
                                        ; implicit-def: $vgpr16
	s_branch .LBB216_2035
.LBB216_2027:
	s_trap 2
	s_or_b64 s[4:5], s[4:5], exec
	s_cbranch_execz .LBB216_1966
	s_branch .LBB216_1967
.LBB216_2028:
	s_mov_b64 s[20:21], -1
	s_mov_b64 s[18:19], 0
	s_mov_b64 s[6:7], 0
                                        ; implicit-def: $vgpr16
	s_branch .LBB216_2030
.LBB216_2029:
	s_mov_b64 s[6:7], -1
                                        ; implicit-def: $vgpr16
	s_mov_b64 s[18:19], 0
.LBB216_2030:
	s_and_b64 vcc, exec, s[20:21]
	s_cbranch_vccz .LBB216_2034
; %bb.2031:
	s_cmp_eq_u32 s26, 44
	s_cbranch_scc0 .LBB216_2033
; %bb.2032:
	global_load_ubyte v5, v[14:15], off
	s_movk_i32 s18, 0xff
	v_mov_b32_e32 v10, 0x7e00
	s_mov_b64 s[6:7], 0
	s_waitcnt vmcnt(0)
	v_lshlrev_b32_e32 v8, 23, v5
	v_cvt_f16_f32_e32 v8, v8
	v_cmp_ne_u32_e32 vcc, s18, v5
	s_mov_b64 s[18:19], -1
	v_cndmask_b32_e32 v8, v10, v8, vcc
	v_cmp_ne_u32_e32 vcc, 0, v5
	v_cndmask_b32_e32 v16, 0, v8, vcc
	s_branch .LBB216_2034
.LBB216_2033:
	s_mov_b64 s[6:7], -1
                                        ; implicit-def: $vgpr16
.LBB216_2034:
	s_mov_b64 s[20:21], 0
.LBB216_2035:
	s_and_b64 vcc, exec, s[20:21]
	s_cbranch_vccz .LBB216_2039
; %bb.2036:
	s_cmp_eq_u32 s26, 29
	s_cbranch_scc0 .LBB216_2038
; %bb.2037:
	global_load_dwordx2 v[16:17], v[14:15], off
	s_mov_b64 s[6:7], 0
	s_mov_b64 s[18:19], -1
	s_mov_b64 s[20:21], 0
	s_waitcnt vmcnt(0)
	v_ffbh_u32_e32 v5, v17
	v_min_u32_e32 v5, 32, v5
	v_lshlrev_b64 v[16:17], v5, v[16:17]
	v_sub_u32_e32 v5, 32, v5
	v_min_u32_e32 v8, 1, v16
	v_or_b32_e32 v8, v17, v8
	v_cvt_f32_u32_e32 v8, v8
	v_ldexp_f32 v5, v8, v5
	v_cvt_f16_f32_e32 v16, v5
	s_branch .LBB216_2040
.LBB216_2038:
	s_mov_b64 s[6:7], -1
                                        ; implicit-def: $vgpr16
.LBB216_2039:
	s_mov_b64 s[20:21], 0
.LBB216_2040:
	s_and_b64 vcc, exec, s[20:21]
	s_cbranch_vccz .LBB216_2058
; %bb.2041:
	s_cmp_lt_i32 s26, 27
	s_cbranch_scc1 .LBB216_2044
; %bb.2042:
	s_cmp_gt_i32 s26, 27
	s_cbranch_scc0 .LBB216_2045
; %bb.2043:
	global_load_dword v5, v[14:15], off
	s_mov_b64 s[18:19], 0
	s_waitcnt vmcnt(0)
	v_cvt_f32_u32_e32 v5, v5
	v_cvt_f16_f32_e32 v16, v5
	s_branch .LBB216_2046
.LBB216_2044:
	s_mov_b64 s[18:19], -1
                                        ; implicit-def: $vgpr16
	s_branch .LBB216_2049
.LBB216_2045:
	s_mov_b64 s[18:19], -1
                                        ; implicit-def: $vgpr16
.LBB216_2046:
	s_andn2_b64 vcc, exec, s[18:19]
	s_cbranch_vccnz .LBB216_2048
; %bb.2047:
	global_load_ushort v5, v[14:15], off
	s_waitcnt vmcnt(0)
	v_cvt_f16_u16_e32 v16, v5
.LBB216_2048:
	s_mov_b64 s[18:19], 0
.LBB216_2049:
	s_andn2_b64 vcc, exec, s[18:19]
	s_cbranch_vccnz .LBB216_2057
; %bb.2050:
	global_load_ubyte v5, v[14:15], off
	s_movk_i32 s18, 0x7f
	s_waitcnt vmcnt(0)
	v_cmp_lt_i16_e32 vcc, s18, v5
	s_mov_b64 s[18:19], 0
	s_and_saveexec_b64 s[20:21], vcc
	s_xor_b64 s[20:21], exec, s[20:21]
	s_cbranch_execz .LBB216_2071
; %bb.2051:
	s_movk_i32 s18, 0x80
	v_cmp_eq_u16_e32 vcc, s18, v5
	s_mov_b64 s[18:19], -1
	s_and_saveexec_b64 s[22:23], vcc
; %bb.2052:
	s_xor_b64 s[18:19], exec, -1
; %bb.2053:
	s_or_b64 exec, exec, s[22:23]
	s_and_b64 s[18:19], s[18:19], exec
	s_or_saveexec_b64 s[20:21], s[20:21]
	v_mov_b32_e32 v16, 0x7e00
	s_xor_b64 exec, exec, s[20:21]
	s_cbranch_execnz .LBB216_2072
.LBB216_2054:
	s_or_b64 exec, exec, s[20:21]
	s_and_saveexec_b64 s[20:21], s[18:19]
	s_cbranch_execz .LBB216_2056
.LBB216_2055:
	v_lshlrev_b32_e32 v8, 24, v5
	v_and_b32_e32 v5, 0xffff, v5
	v_and_b32_e32 v10, 7, v5
	v_ffbh_u32_e32 v16, v10
	v_min_u32_e32 v16, 32, v16
	v_subrev_u32_e32 v17, 28, v16
	v_bfe_u32 v12, v5, 3, 4
	v_lshlrev_b32_e32 v5, v17, v5
	v_sub_u32_e32 v16, 29, v16
	v_and_b32_e32 v5, 7, v5
	v_cmp_eq_u32_e32 vcc, 0, v12
	v_cndmask_b32_e32 v12, v12, v16, vcc
	v_cndmask_b32_e32 v5, v10, v5, vcc
	v_mov_b32_e32 v10, 0x3b800000
	v_lshlrev_b32_e32 v5, 20, v5
	v_and_b32_e32 v8, 0x80000000, v8
	v_lshl_add_u32 v10, v12, 23, v10
	v_or3_b32 v5, v8, v10, v5
	v_cvt_f16_f32_e32 v16, v5
.LBB216_2056:
	s_or_b64 exec, exec, s[20:21]
.LBB216_2057:
	s_mov_b64 s[18:19], -1
.LBB216_2058:
	s_mov_b64 s[20:21], 0
.LBB216_2059:
	s_and_b64 vcc, exec, s[20:21]
	s_cbranch_vccz .LBB216_2092
; %bb.2060:
	s_cmp_gt_i32 s26, 22
	s_cbranch_scc0 .LBB216_2070
; %bb.2061:
	s_cmp_lt_i32 s26, 24
	s_cbranch_scc1 .LBB216_2073
; %bb.2062:
	s_cmp_gt_i32 s26, 24
	s_cbranch_scc0 .LBB216_2074
; %bb.2063:
	global_load_ubyte v5, v[14:15], off
	s_movk_i32 s16, 0x7f
	s_waitcnt vmcnt(0)
	v_cmp_lt_i16_e32 vcc, s16, v5
	s_mov_b64 s[16:17], 0
	s_and_saveexec_b64 s[18:19], vcc
	s_xor_b64 s[18:19], exec, s[18:19]
	s_cbranch_execz .LBB216_2086
; %bb.2064:
	s_movk_i32 s16, 0x80
	v_cmp_eq_u16_e32 vcc, s16, v5
	s_mov_b64 s[16:17], -1
	s_and_saveexec_b64 s[20:21], vcc
; %bb.2065:
	s_xor_b64 s[16:17], exec, -1
; %bb.2066:
	s_or_b64 exec, exec, s[20:21]
	s_and_b64 s[16:17], s[16:17], exec
	s_or_saveexec_b64 s[18:19], s[18:19]
	v_mov_b32_e32 v16, 0x7e00
	s_xor_b64 exec, exec, s[18:19]
	s_cbranch_execnz .LBB216_2087
.LBB216_2067:
	s_or_b64 exec, exec, s[18:19]
	s_and_saveexec_b64 s[18:19], s[16:17]
	s_cbranch_execz .LBB216_2069
.LBB216_2068:
	v_lshlrev_b32_e32 v8, 24, v5
	v_and_b32_e32 v5, 0xffff, v5
	v_and_b32_e32 v10, 3, v5
	v_ffbh_u32_e32 v16, v10
	v_min_u32_e32 v16, 32, v16
	v_subrev_u32_e32 v17, 29, v16
	v_bfe_u32 v12, v5, 2, 5
	v_lshlrev_b32_e32 v5, v17, v5
	v_sub_u32_e32 v16, 30, v16
	v_and_b32_e32 v5, 3, v5
	v_cmp_eq_u32_e32 vcc, 0, v12
	v_cndmask_b32_e32 v12, v12, v16, vcc
	v_cndmask_b32_e32 v5, v10, v5, vcc
	v_mov_b32_e32 v10, 0x37800000
	v_lshlrev_b32_e32 v5, 21, v5
	v_and_b32_e32 v8, 0x80000000, v8
	v_lshl_add_u32 v10, v12, 23, v10
	v_or3_b32 v5, v8, v10, v5
	v_cvt_f16_f32_e32 v16, v5
.LBB216_2069:
	s_or_b64 exec, exec, s[18:19]
	s_mov_b64 s[16:17], 0
	s_branch .LBB216_2075
.LBB216_2070:
	s_mov_b64 s[16:17], -1
                                        ; implicit-def: $vgpr16
	s_branch .LBB216_2081
.LBB216_2071:
	s_or_saveexec_b64 s[20:21], s[20:21]
	v_mov_b32_e32 v16, 0x7e00
	s_xor_b64 exec, exec, s[20:21]
	s_cbranch_execz .LBB216_2054
.LBB216_2072:
	v_cmp_ne_u16_e32 vcc, 0, v5
	s_andn2_b64 s[18:19], s[18:19], exec
	s_and_b64 s[22:23], vcc, exec
	s_or_b64 s[18:19], s[18:19], s[22:23]
	v_mov_b32_e32 v16, v5
	s_or_b64 exec, exec, s[20:21]
	s_and_saveexec_b64 s[20:21], s[18:19]
	s_cbranch_execnz .LBB216_2055
	s_branch .LBB216_2056
.LBB216_2073:
	s_mov_b64 s[16:17], -1
                                        ; implicit-def: $vgpr16
	s_branch .LBB216_2078
.LBB216_2074:
	s_mov_b64 s[16:17], -1
                                        ; implicit-def: $vgpr16
.LBB216_2075:
	s_and_b64 vcc, exec, s[16:17]
	s_cbranch_vccz .LBB216_2077
; %bb.2076:
	global_load_ubyte v5, v[14:15], off
	s_mov_b32 s16, 0x7f800000
	s_waitcnt vmcnt(0)
	v_lshlrev_b32_e32 v5, 24, v5
	v_and_b32_e32 v8, 0x7f000000, v5
	v_ffbh_u32_e32 v10, v8
	v_min_u32_e32 v10, 32, v10
	v_sub_u32_e64 v10, v10, 4 clamp
	v_lshlrev_b32_e32 v16, v10, v8
	v_lshlrev_b32_e32 v10, 23, v10
	v_lshrrev_b32_e32 v16, 4, v16
	v_add_u32_e32 v12, 0x1000000, v8
	v_sub_u32_e32 v10, v16, v10
	v_ashrrev_i32_e32 v12, 8, v12
	v_add_u32_e32 v10, 0x3c000000, v10
	v_and_or_b32 v10, v12, s16, v10
	v_cmp_ne_u32_e32 vcc, 0, v8
	v_cndmask_b32_e32 v8, 0, v10, vcc
	s_brev_b32 s16, 1
	v_and_or_b32 v5, v5, s16, v8
	v_cvt_f16_f32_e32 v16, v5
.LBB216_2077:
	s_mov_b64 s[16:17], 0
.LBB216_2078:
	s_andn2_b64 vcc, exec, s[16:17]
	s_cbranch_vccnz .LBB216_2080
; %bb.2079:
	global_load_ubyte v5, v[14:15], off
	s_movk_i32 s16, 0x7f00
	s_brev_b32 s17, 16
	s_waitcnt vmcnt(0)
	v_lshlrev_b16_e32 v8, 8, v5
	v_lshlrev_b32_e32 v5, 25, v5
	v_lshrrev_b32_e32 v10, 4, v5
	v_and_or_b32 v12, v8, s16, 0.5
	v_or_b32_e32 v10, 0x70000000, v10
	v_add_f32_e32 v12, -0.5, v12
	v_mul_f32_e32 v10, 0x7800000, v10
	v_cmp_gt_u32_e32 vcc, s17, v5
	v_bfe_i32 v8, v8, 0, 16
	v_cndmask_b32_e32 v5, v10, v12, vcc
	s_brev_b32 s16, 1
	v_and_or_b32 v5, v8, s16, v5
	v_cvt_f16_f32_e32 v16, v5
.LBB216_2080:
	s_mov_b64 s[16:17], 0
	s_mov_b64 s[18:19], -1
.LBB216_2081:
	s_andn2_b64 vcc, exec, s[16:17]
	s_mov_b64 s[16:17], 0
	s_cbranch_vccnz .LBB216_2092
; %bb.2082:
	s_cmp_gt_i32 s26, 14
	s_cbranch_scc0 .LBB216_2085
; %bb.2083:
	s_cmp_eq_u32 s26, 15
	s_cbranch_scc0 .LBB216_2088
; %bb.2084:
	global_load_ushort v5, v[14:15], off
	s_mov_b64 s[6:7], 0
	s_mov_b64 s[18:19], -1
	s_waitcnt vmcnt(0)
	v_lshlrev_b32_e32 v5, 16, v5
	v_cvt_f16_f32_e32 v16, v5
	s_branch .LBB216_2089
.LBB216_2085:
	s_mov_b64 s[20:21], -1
                                        ; implicit-def: $vgpr16
	s_branch .LBB216_2090
.LBB216_2086:
	s_or_saveexec_b64 s[18:19], s[18:19]
	v_mov_b32_e32 v16, 0x7e00
	s_xor_b64 exec, exec, s[18:19]
	s_cbranch_execz .LBB216_2067
.LBB216_2087:
	v_cmp_ne_u16_e32 vcc, 0, v5
	s_andn2_b64 s[16:17], s[16:17], exec
	s_and_b64 s[20:21], vcc, exec
	s_or_b64 s[16:17], s[16:17], s[20:21]
	v_mov_b32_e32 v16, v5
	s_or_b64 exec, exec, s[18:19]
	s_and_saveexec_b64 s[18:19], s[16:17]
	s_cbranch_execnz .LBB216_2068
	s_branch .LBB216_2069
.LBB216_2088:
	s_mov_b64 s[6:7], -1
                                        ; implicit-def: $vgpr16
.LBB216_2089:
	s_mov_b64 s[20:21], 0
.LBB216_2090:
	s_and_b64 vcc, exec, s[20:21]
	s_cbranch_vccz .LBB216_2092
; %bb.2091:
	s_cmp_lg_u32 s26, 11
	s_mov_b64 s[16:17], -1
	s_cselect_b64 s[6:7], -1, 0
.LBB216_2092:
	s_and_b64 vcc, exec, s[6:7]
	s_cbranch_vccnz .LBB216_2157
; %bb.2093:
	s_andn2_b64 vcc, exec, s[16:17]
	s_cbranch_vccnz .LBB216_2095
.LBB216_2094:
	global_load_ubyte v5, v[14:15], off
	v_mov_b32_e32 v8, 0x3c00
	s_mov_b64 s[18:19], -1
	s_waitcnt vmcnt(0)
	v_cmp_ne_u16_e32 vcc, 0, v5
	v_cndmask_b32_e32 v16, 0, v8, vcc
.LBB216_2095:
	s_mov_b64 s[6:7], 0
.LBB216_2096:
	s_and_b64 vcc, exec, s[6:7]
	s_cbranch_vccz .LBB216_2145
; %bb.2097:
	s_and_b32 s16, 0xffff, s25
	s_cmp_lt_i32 s16, 5
	s_cbranch_scc1 .LBB216_2102
; %bb.2098:
	s_cmp_lt_i32 s16, 8
	s_cbranch_scc1 .LBB216_2103
; %bb.2099:
	;; [unrolled: 3-line block ×3, first 2 shown]
	s_cmp_gt_i32 s16, 9
	s_cbranch_scc0 .LBB216_2105
; %bb.2101:
	global_load_dwordx2 v[16:17], v[14:15], off
	s_movk_i32 s6, 0x1ff
	s_movk_i32 s7, 0xffe
	v_mov_b32_e32 v5, 0x7c00
	v_mov_b32_e32 v8, 0x7e00
	s_movk_i32 s17, 0x40f
	s_mov_b32 s18, 0x8000
	s_waitcnt vmcnt(0)
	v_and_or_b32 v10, v17, s6, v16
	v_cmp_ne_u32_e32 vcc, 0, v10
	v_lshrrev_b32_e32 v12, 8, v17
	v_bfe_u32 v16, v17, 20, 11
	v_cndmask_b32_e64 v10, 0, 1, vcc
	v_sub_u32_e32 v19, 0x3f1, v16
	v_and_or_b32 v10, v12, s7, v10
	v_add_u32_e32 v16, 0xfffffc10, v16
	v_med3_i32 v12, v19, 0, 13
	v_or_b32_e32 v19, 0x1000, v10
	v_lshl_or_b32 v20, v16, 12, v10
	v_cmp_ne_u32_e32 vcc, 0, v10
	v_lshrrev_b32_e32 v10, v12, v19
	v_lshlrev_b32_e32 v12, v12, v10
	v_cndmask_b32_e32 v8, v5, v8, vcc
	v_cmp_ne_u32_e32 vcc, v12, v19
	v_cndmask_b32_e64 v12, 0, 1, vcc
	v_or_b32_e32 v10, v10, v12
	v_cmp_gt_i32_e32 vcc, 1, v16
	v_cndmask_b32_e32 v10, v20, v10, vcc
	v_and_b32_e32 v12, 7, v10
	v_cmp_lt_i32_e32 vcc, 5, v12
	v_cndmask_b32_e64 v19, 0, 1, vcc
	v_cmp_eq_u32_e32 vcc, 3, v12
	v_cndmask_b32_e64 v12, 0, 1, vcc
	v_lshrrev_b32_e32 v10, 2, v10
	v_or_b32_e32 v12, v12, v19
	v_add_u32_e32 v10, v10, v12
	v_cmp_gt_i32_e32 vcc, 31, v16
	v_cndmask_b32_e32 v5, v5, v10, vcc
	v_cmp_eq_u32_e32 vcc, s17, v16
	v_lshrrev_b32_e32 v17, 16, v17
	v_cndmask_b32_e32 v5, v5, v8, vcc
	v_and_or_b32 v16, v17, s18, v5
	s_mov_b64 s[6:7], 0
	s_branch .LBB216_2106
.LBB216_2102:
	s_mov_b64 s[6:7], -1
                                        ; implicit-def: $vgpr16
	s_branch .LBB216_2124
.LBB216_2103:
	s_mov_b64 s[6:7], -1
                                        ; implicit-def: $vgpr16
	s_branch .LBB216_2112
.LBB216_2104:
	s_mov_b64 s[6:7], -1
                                        ; implicit-def: $vgpr16
	s_branch .LBB216_2109
.LBB216_2105:
	s_mov_b64 s[6:7], -1
                                        ; implicit-def: $vgpr16
.LBB216_2106:
	s_andn2_b64 vcc, exec, s[6:7]
	s_cbranch_vccnz .LBB216_2108
; %bb.2107:
	global_load_dword v5, v[14:15], off
	s_waitcnt vmcnt(0)
	v_cvt_f16_f32_e32 v16, v5
.LBB216_2108:
	s_mov_b64 s[6:7], 0
.LBB216_2109:
	s_andn2_b64 vcc, exec, s[6:7]
	s_cbranch_vccnz .LBB216_2111
; %bb.2110:
	global_load_dword v16, v[14:15], off
.LBB216_2111:
	s_mov_b64 s[6:7], 0
.LBB216_2112:
	s_andn2_b64 vcc, exec, s[6:7]
	s_cbranch_vccnz .LBB216_2123
; %bb.2113:
	s_cmp_lt_i32 s16, 6
	s_cbranch_scc1 .LBB216_2116
; %bb.2114:
	s_cmp_gt_i32 s16, 6
	s_cbranch_scc0 .LBB216_2117
; %bb.2115:
	global_load_dwordx2 v[16:17], v[14:15], off
	s_movk_i32 s6, 0x1ff
	s_movk_i32 s7, 0xffe
	v_mov_b32_e32 v5, 0x7c00
	v_mov_b32_e32 v8, 0x7e00
	s_movk_i32 s17, 0x40f
	s_mov_b32 s18, 0x8000
	s_waitcnt vmcnt(0)
	v_and_or_b32 v10, v17, s6, v16
	v_cmp_ne_u32_e32 vcc, 0, v10
	v_lshrrev_b32_e32 v12, 8, v17
	v_bfe_u32 v16, v17, 20, 11
	v_cndmask_b32_e64 v10, 0, 1, vcc
	v_sub_u32_e32 v19, 0x3f1, v16
	v_and_or_b32 v10, v12, s7, v10
	v_add_u32_e32 v16, 0xfffffc10, v16
	v_med3_i32 v12, v19, 0, 13
	v_or_b32_e32 v19, 0x1000, v10
	v_lshl_or_b32 v20, v16, 12, v10
	v_cmp_ne_u32_e32 vcc, 0, v10
	v_lshrrev_b32_e32 v10, v12, v19
	v_lshlrev_b32_e32 v12, v12, v10
	v_cndmask_b32_e32 v8, v5, v8, vcc
	v_cmp_ne_u32_e32 vcc, v12, v19
	v_cndmask_b32_e64 v12, 0, 1, vcc
	v_or_b32_e32 v10, v10, v12
	v_cmp_gt_i32_e32 vcc, 1, v16
	v_cndmask_b32_e32 v10, v20, v10, vcc
	v_and_b32_e32 v12, 7, v10
	v_cmp_lt_i32_e32 vcc, 5, v12
	v_cndmask_b32_e64 v19, 0, 1, vcc
	v_cmp_eq_u32_e32 vcc, 3, v12
	v_cndmask_b32_e64 v12, 0, 1, vcc
	v_lshrrev_b32_e32 v10, 2, v10
	v_or_b32_e32 v12, v12, v19
	v_add_u32_e32 v10, v10, v12
	v_cmp_gt_i32_e32 vcc, 31, v16
	v_cndmask_b32_e32 v5, v5, v10, vcc
	v_cmp_eq_u32_e32 vcc, s17, v16
	v_lshrrev_b32_e32 v17, 16, v17
	v_cndmask_b32_e32 v5, v5, v8, vcc
	v_and_or_b32 v16, v17, s18, v5
	s_mov_b64 s[6:7], 0
	s_branch .LBB216_2118
.LBB216_2116:
	s_mov_b64 s[6:7], -1
                                        ; implicit-def: $vgpr16
	s_branch .LBB216_2121
.LBB216_2117:
	s_mov_b64 s[6:7], -1
                                        ; implicit-def: $vgpr16
.LBB216_2118:
	s_andn2_b64 vcc, exec, s[6:7]
	s_cbranch_vccnz .LBB216_2120
; %bb.2119:
	global_load_dword v5, v[14:15], off
	s_waitcnt vmcnt(0)
	v_cvt_f16_f32_e32 v16, v5
.LBB216_2120:
	s_mov_b64 s[6:7], 0
.LBB216_2121:
	s_andn2_b64 vcc, exec, s[6:7]
	s_cbranch_vccnz .LBB216_2123
; %bb.2122:
	global_load_ushort v16, v[14:15], off
.LBB216_2123:
	s_mov_b64 s[6:7], 0
.LBB216_2124:
	s_andn2_b64 vcc, exec, s[6:7]
	s_cbranch_vccnz .LBB216_2144
; %bb.2125:
	s_cmp_lt_i32 s16, 2
	s_cbranch_scc1 .LBB216_2129
; %bb.2126:
	s_cmp_lt_i32 s16, 3
	s_cbranch_scc1 .LBB216_2130
; %bb.2127:
	s_cmp_gt_i32 s16, 3
	s_cbranch_scc0 .LBB216_2131
; %bb.2128:
	global_load_dwordx2 v[16:17], v[14:15], off
	s_mov_b64 s[6:7], 0
	s_waitcnt vmcnt(0)
	v_xor_b32_e32 v8, v16, v17
	v_ffbh_i32_e32 v5, v17
	v_ashrrev_i32_e32 v8, 31, v8
	v_add_u32_e32 v5, -1, v5
	v_add_u32_e32 v8, 32, v8
	v_min_u32_e32 v5, v5, v8
	v_lshlrev_b64 v[16:17], v5, v[16:17]
	v_sub_u32_e32 v5, 32, v5
	v_min_u32_e32 v8, 1, v16
	v_or_b32_e32 v8, v17, v8
	v_cvt_f32_i32_e32 v8, v8
	v_ldexp_f32 v5, v8, v5
	v_cvt_f16_f32_e32 v16, v5
	s_branch .LBB216_2132
.LBB216_2129:
	s_mov_b64 s[6:7], -1
                                        ; implicit-def: $vgpr16
	s_branch .LBB216_2138
.LBB216_2130:
	s_mov_b64 s[6:7], -1
                                        ; implicit-def: $vgpr16
	s_branch .LBB216_2135
.LBB216_2131:
	s_mov_b64 s[6:7], -1
                                        ; implicit-def: $vgpr16
.LBB216_2132:
	s_andn2_b64 vcc, exec, s[6:7]
	s_cbranch_vccnz .LBB216_2134
; %bb.2133:
	global_load_dword v5, v[14:15], off
	s_waitcnt vmcnt(0)
	v_cvt_f32_i32_e32 v5, v5
	v_cvt_f16_f32_e32 v16, v5
.LBB216_2134:
	s_mov_b64 s[6:7], 0
.LBB216_2135:
	s_andn2_b64 vcc, exec, s[6:7]
	s_cbranch_vccnz .LBB216_2137
; %bb.2136:
	global_load_ushort v5, v[14:15], off
	s_waitcnt vmcnt(0)
	v_cvt_f16_i16_e32 v16, v5
.LBB216_2137:
	s_mov_b64 s[6:7], 0
.LBB216_2138:
	s_andn2_b64 vcc, exec, s[6:7]
	s_cbranch_vccnz .LBB216_2144
; %bb.2139:
	s_cmp_gt_i32 s16, 0
	s_cbranch_scc0 .LBB216_2141
; %bb.2140:
	global_load_sbyte v5, v[14:15], off
	s_mov_b64 s[6:7], 0
	s_waitcnt vmcnt(0)
	v_cvt_f16_i16_e32 v16, v5
	s_branch .LBB216_2142
.LBB216_2141:
	s_mov_b64 s[6:7], -1
                                        ; implicit-def: $vgpr16
.LBB216_2142:
	s_andn2_b64 vcc, exec, s[6:7]
	s_cbranch_vccnz .LBB216_2144
; %bb.2143:
	global_load_ubyte v5, v[14:15], off
	s_waitcnt vmcnt(0)
	v_cvt_f16_u16_e32 v16, v5
.LBB216_2144:
	s_mov_b64 s[18:19], -1
.LBB216_2145:
	s_andn2_b64 vcc, exec, s[18:19]
	s_cbranch_vccnz .LBB216_3101
; %bb.2146:
	v_mov_b32_e32 v5, s11
	v_add_co_u32_e32 v12, vcc, s10, v13
	s_cmp_lt_i32 s24, 11
	v_addc_co_u32_e32 v13, vcc, 0, v5, vcc
	s_cbranch_scc1 .LBB216_2153
; %bb.2147:
	s_and_b32 s26, 0xffff, s24
	s_cmp_gt_i32 s26, 25
	s_mov_b64 s[16:17], 0
	s_cbranch_scc0 .LBB216_2154
; %bb.2148:
	s_cmp_gt_i32 s26, 28
	s_cbranch_scc0 .LBB216_2155
; %bb.2149:
	s_cmp_gt_i32 s26, 43
	;; [unrolled: 3-line block ×3, first 2 shown]
	s_cbranch_scc0 .LBB216_2158
; %bb.2151:
	s_cmp_eq_u32 s26, 46
	s_mov_b64 s[20:21], 0
	s_cbranch_scc0 .LBB216_2159
; %bb.2152:
	global_load_dword v5, v[12:13], off
	s_mov_b64 s[6:7], 0
	s_mov_b64 s[18:19], -1
	s_waitcnt vmcnt(0)
	v_lshlrev_b32_e32 v5, 16, v5
	v_cvt_f16_f32_e32 v14, v5
	s_branch .LBB216_2160
.LBB216_2153:
	s_mov_b64 s[6:7], -1
	s_mov_b64 s[18:19], 0
                                        ; implicit-def: $vgpr14
	s_branch .LBB216_2226
.LBB216_2154:
	s_mov_b64 s[20:21], -1
	s_mov_b64 s[18:19], 0
	s_mov_b64 s[6:7], 0
                                        ; implicit-def: $vgpr14
	s_branch .LBB216_2189
.LBB216_2155:
	s_mov_b64 s[20:21], -1
	s_mov_b64 s[18:19], 0
	s_mov_b64 s[6:7], 0
                                        ; implicit-def: $vgpr14
	s_branch .LBB216_2170
.LBB216_2156:
	s_mov_b64 s[20:21], -1
	s_mov_b64 s[18:19], 0
	s_mov_b64 s[6:7], 0
                                        ; implicit-def: $vgpr14
	s_branch .LBB216_2165
.LBB216_2157:
	s_trap 2
	s_or_b64 s[4:5], s[4:5], exec
	s_cbranch_execz .LBB216_2094
	s_branch .LBB216_2095
.LBB216_2158:
	s_mov_b64 s[20:21], -1
	s_mov_b64 s[18:19], 0
	s_mov_b64 s[6:7], 0
                                        ; implicit-def: $vgpr14
	s_branch .LBB216_2160
.LBB216_2159:
	s_mov_b64 s[6:7], -1
                                        ; implicit-def: $vgpr14
	s_mov_b64 s[18:19], 0
.LBB216_2160:
	s_and_b64 vcc, exec, s[20:21]
	s_cbranch_vccz .LBB216_2164
; %bb.2161:
	s_cmp_eq_u32 s26, 44
	s_cbranch_scc0 .LBB216_2163
; %bb.2162:
	global_load_ubyte v5, v[12:13], off
	s_movk_i32 s18, 0xff
	v_mov_b32_e32 v10, 0x7e00
	s_mov_b64 s[6:7], 0
	s_waitcnt vmcnt(0)
	v_lshlrev_b32_e32 v8, 23, v5
	v_cvt_f16_f32_e32 v8, v8
	v_cmp_ne_u32_e32 vcc, s18, v5
	s_mov_b64 s[18:19], -1
	v_cndmask_b32_e32 v8, v10, v8, vcc
	v_cmp_ne_u32_e32 vcc, 0, v5
	v_cndmask_b32_e32 v14, 0, v8, vcc
	s_branch .LBB216_2164
.LBB216_2163:
	s_mov_b64 s[6:7], -1
                                        ; implicit-def: $vgpr14
.LBB216_2164:
	s_mov_b64 s[20:21], 0
.LBB216_2165:
	s_and_b64 vcc, exec, s[20:21]
	s_cbranch_vccz .LBB216_2169
; %bb.2166:
	s_cmp_eq_u32 s26, 29
	s_cbranch_scc0 .LBB216_2168
; %bb.2167:
	global_load_dwordx2 v[14:15], v[12:13], off
	s_mov_b64 s[6:7], 0
	s_mov_b64 s[18:19], -1
	s_mov_b64 s[20:21], 0
	s_waitcnt vmcnt(0)
	v_ffbh_u32_e32 v5, v15
	v_min_u32_e32 v5, 32, v5
	v_lshlrev_b64 v[14:15], v5, v[14:15]
	v_sub_u32_e32 v5, 32, v5
	v_min_u32_e32 v8, 1, v14
	v_or_b32_e32 v8, v15, v8
	v_cvt_f32_u32_e32 v8, v8
	v_ldexp_f32 v5, v8, v5
	v_cvt_f16_f32_e32 v14, v5
	s_branch .LBB216_2170
.LBB216_2168:
	s_mov_b64 s[6:7], -1
                                        ; implicit-def: $vgpr14
.LBB216_2169:
	s_mov_b64 s[20:21], 0
.LBB216_2170:
	s_and_b64 vcc, exec, s[20:21]
	s_cbranch_vccz .LBB216_2188
; %bb.2171:
	s_cmp_lt_i32 s26, 27
	s_cbranch_scc1 .LBB216_2174
; %bb.2172:
	s_cmp_gt_i32 s26, 27
	s_cbranch_scc0 .LBB216_2175
; %bb.2173:
	global_load_dword v5, v[12:13], off
	s_mov_b64 s[18:19], 0
	s_waitcnt vmcnt(0)
	v_cvt_f32_u32_e32 v5, v5
	v_cvt_f16_f32_e32 v14, v5
	s_branch .LBB216_2176
.LBB216_2174:
	s_mov_b64 s[18:19], -1
                                        ; implicit-def: $vgpr14
	s_branch .LBB216_2179
.LBB216_2175:
	s_mov_b64 s[18:19], -1
                                        ; implicit-def: $vgpr14
.LBB216_2176:
	s_andn2_b64 vcc, exec, s[18:19]
	s_cbranch_vccnz .LBB216_2178
; %bb.2177:
	global_load_ushort v5, v[12:13], off
	s_waitcnt vmcnt(0)
	v_cvt_f16_u16_e32 v14, v5
.LBB216_2178:
	s_mov_b64 s[18:19], 0
.LBB216_2179:
	s_andn2_b64 vcc, exec, s[18:19]
	s_cbranch_vccnz .LBB216_2187
; %bb.2180:
	global_load_ubyte v5, v[12:13], off
	s_movk_i32 s18, 0x7f
	s_waitcnt vmcnt(0)
	v_cmp_lt_i16_e32 vcc, s18, v5
	s_mov_b64 s[18:19], 0
	s_and_saveexec_b64 s[20:21], vcc
	s_xor_b64 s[20:21], exec, s[20:21]
	s_cbranch_execz .LBB216_2201
; %bb.2181:
	s_movk_i32 s18, 0x80
	v_cmp_eq_u16_e32 vcc, s18, v5
	s_mov_b64 s[18:19], -1
	s_and_saveexec_b64 s[22:23], vcc
; %bb.2182:
	s_xor_b64 s[18:19], exec, -1
; %bb.2183:
	s_or_b64 exec, exec, s[22:23]
	s_and_b64 s[18:19], s[18:19], exec
	s_or_saveexec_b64 s[20:21], s[20:21]
	v_mov_b32_e32 v14, 0x7e00
	s_xor_b64 exec, exec, s[20:21]
	s_cbranch_execnz .LBB216_2202
.LBB216_2184:
	s_or_b64 exec, exec, s[20:21]
	s_and_saveexec_b64 s[20:21], s[18:19]
	s_cbranch_execz .LBB216_2186
.LBB216_2185:
	v_lshlrev_b32_e32 v8, 24, v5
	v_and_b32_e32 v5, 0xffff, v5
	v_and_b32_e32 v10, 7, v5
	v_ffbh_u32_e32 v15, v10
	v_min_u32_e32 v15, 32, v15
	v_subrev_u32_e32 v17, 28, v15
	v_bfe_u32 v14, v5, 3, 4
	v_lshlrev_b32_e32 v5, v17, v5
	v_sub_u32_e32 v15, 29, v15
	v_and_b32_e32 v5, 7, v5
	v_cmp_eq_u32_e32 vcc, 0, v14
	v_cndmask_b32_e32 v14, v14, v15, vcc
	v_cndmask_b32_e32 v5, v10, v5, vcc
	v_mov_b32_e32 v10, 0x3b800000
	v_lshlrev_b32_e32 v5, 20, v5
	v_and_b32_e32 v8, 0x80000000, v8
	v_lshl_add_u32 v10, v14, 23, v10
	v_or3_b32 v5, v8, v10, v5
	v_cvt_f16_f32_e32 v14, v5
.LBB216_2186:
	s_or_b64 exec, exec, s[20:21]
.LBB216_2187:
	s_mov_b64 s[18:19], -1
.LBB216_2188:
	s_mov_b64 s[20:21], 0
.LBB216_2189:
	s_and_b64 vcc, exec, s[20:21]
	s_cbranch_vccz .LBB216_2222
; %bb.2190:
	s_cmp_gt_i32 s26, 22
	s_cbranch_scc0 .LBB216_2200
; %bb.2191:
	s_cmp_lt_i32 s26, 24
	s_cbranch_scc1 .LBB216_2203
; %bb.2192:
	s_cmp_gt_i32 s26, 24
	s_cbranch_scc0 .LBB216_2204
; %bb.2193:
	global_load_ubyte v5, v[12:13], off
	s_movk_i32 s16, 0x7f
	s_waitcnt vmcnt(0)
	v_cmp_lt_i16_e32 vcc, s16, v5
	s_mov_b64 s[16:17], 0
	s_and_saveexec_b64 s[18:19], vcc
	s_xor_b64 s[18:19], exec, s[18:19]
	s_cbranch_execz .LBB216_2216
; %bb.2194:
	s_movk_i32 s16, 0x80
	v_cmp_eq_u16_e32 vcc, s16, v5
	s_mov_b64 s[16:17], -1
	s_and_saveexec_b64 s[20:21], vcc
; %bb.2195:
	s_xor_b64 s[16:17], exec, -1
; %bb.2196:
	s_or_b64 exec, exec, s[20:21]
	s_and_b64 s[16:17], s[16:17], exec
	s_or_saveexec_b64 s[18:19], s[18:19]
	v_mov_b32_e32 v14, 0x7e00
	s_xor_b64 exec, exec, s[18:19]
	s_cbranch_execnz .LBB216_2217
.LBB216_2197:
	s_or_b64 exec, exec, s[18:19]
	s_and_saveexec_b64 s[18:19], s[16:17]
	s_cbranch_execz .LBB216_2199
.LBB216_2198:
	v_lshlrev_b32_e32 v8, 24, v5
	v_and_b32_e32 v5, 0xffff, v5
	v_and_b32_e32 v10, 3, v5
	v_ffbh_u32_e32 v15, v10
	v_min_u32_e32 v15, 32, v15
	v_subrev_u32_e32 v17, 29, v15
	v_bfe_u32 v14, v5, 2, 5
	v_lshlrev_b32_e32 v5, v17, v5
	v_sub_u32_e32 v15, 30, v15
	v_and_b32_e32 v5, 3, v5
	v_cmp_eq_u32_e32 vcc, 0, v14
	v_cndmask_b32_e32 v14, v14, v15, vcc
	v_cndmask_b32_e32 v5, v10, v5, vcc
	v_mov_b32_e32 v10, 0x37800000
	v_lshlrev_b32_e32 v5, 21, v5
	v_and_b32_e32 v8, 0x80000000, v8
	v_lshl_add_u32 v10, v14, 23, v10
	v_or3_b32 v5, v8, v10, v5
	v_cvt_f16_f32_e32 v14, v5
.LBB216_2199:
	s_or_b64 exec, exec, s[18:19]
	s_mov_b64 s[16:17], 0
	s_branch .LBB216_2205
.LBB216_2200:
	s_mov_b64 s[16:17], -1
                                        ; implicit-def: $vgpr14
	s_branch .LBB216_2211
.LBB216_2201:
	s_or_saveexec_b64 s[20:21], s[20:21]
	v_mov_b32_e32 v14, 0x7e00
	s_xor_b64 exec, exec, s[20:21]
	s_cbranch_execz .LBB216_2184
.LBB216_2202:
	v_cmp_ne_u16_e32 vcc, 0, v5
	s_andn2_b64 s[18:19], s[18:19], exec
	s_and_b64 s[22:23], vcc, exec
	s_or_b64 s[18:19], s[18:19], s[22:23]
	v_mov_b32_e32 v14, v5
	s_or_b64 exec, exec, s[20:21]
	s_and_saveexec_b64 s[20:21], s[18:19]
	s_cbranch_execnz .LBB216_2185
	s_branch .LBB216_2186
.LBB216_2203:
	s_mov_b64 s[16:17], -1
                                        ; implicit-def: $vgpr14
	s_branch .LBB216_2208
.LBB216_2204:
	s_mov_b64 s[16:17], -1
                                        ; implicit-def: $vgpr14
.LBB216_2205:
	s_and_b64 vcc, exec, s[16:17]
	s_cbranch_vccz .LBB216_2207
; %bb.2206:
	global_load_ubyte v5, v[12:13], off
	s_mov_b32 s16, 0x7f800000
	s_waitcnt vmcnt(0)
	v_lshlrev_b32_e32 v5, 24, v5
	v_and_b32_e32 v8, 0x7f000000, v5
	v_ffbh_u32_e32 v10, v8
	v_min_u32_e32 v10, 32, v10
	v_sub_u32_e64 v10, v10, 4 clamp
	v_lshlrev_b32_e32 v15, v10, v8
	v_lshlrev_b32_e32 v10, 23, v10
	v_lshrrev_b32_e32 v15, 4, v15
	v_add_u32_e32 v14, 0x1000000, v8
	v_sub_u32_e32 v10, v15, v10
	v_ashrrev_i32_e32 v14, 8, v14
	v_add_u32_e32 v10, 0x3c000000, v10
	v_and_or_b32 v10, v14, s16, v10
	v_cmp_ne_u32_e32 vcc, 0, v8
	v_cndmask_b32_e32 v8, 0, v10, vcc
	s_brev_b32 s16, 1
	v_and_or_b32 v5, v5, s16, v8
	v_cvt_f16_f32_e32 v14, v5
.LBB216_2207:
	s_mov_b64 s[16:17], 0
.LBB216_2208:
	s_andn2_b64 vcc, exec, s[16:17]
	s_cbranch_vccnz .LBB216_2210
; %bb.2209:
	global_load_ubyte v5, v[12:13], off
	s_movk_i32 s16, 0x7f00
	s_brev_b32 s17, 16
	s_waitcnt vmcnt(0)
	v_lshlrev_b16_e32 v8, 8, v5
	v_lshlrev_b32_e32 v5, 25, v5
	v_lshrrev_b32_e32 v10, 4, v5
	v_and_or_b32 v14, v8, s16, 0.5
	v_or_b32_e32 v10, 0x70000000, v10
	v_add_f32_e32 v14, -0.5, v14
	v_mul_f32_e32 v10, 0x7800000, v10
	v_cmp_gt_u32_e32 vcc, s17, v5
	v_bfe_i32 v8, v8, 0, 16
	v_cndmask_b32_e32 v5, v10, v14, vcc
	s_brev_b32 s16, 1
	v_and_or_b32 v5, v8, s16, v5
	v_cvt_f16_f32_e32 v14, v5
.LBB216_2210:
	s_mov_b64 s[16:17], 0
	s_mov_b64 s[18:19], -1
.LBB216_2211:
	s_andn2_b64 vcc, exec, s[16:17]
	s_mov_b64 s[16:17], 0
	s_cbranch_vccnz .LBB216_2222
; %bb.2212:
	s_cmp_gt_i32 s26, 14
	s_cbranch_scc0 .LBB216_2215
; %bb.2213:
	s_cmp_eq_u32 s26, 15
	s_cbranch_scc0 .LBB216_2218
; %bb.2214:
	global_load_ushort v5, v[12:13], off
	s_mov_b64 s[6:7], 0
	s_mov_b64 s[18:19], -1
	s_waitcnt vmcnt(0)
	v_lshlrev_b32_e32 v5, 16, v5
	v_cvt_f16_f32_e32 v14, v5
	s_branch .LBB216_2219
.LBB216_2215:
	s_mov_b64 s[20:21], -1
                                        ; implicit-def: $vgpr14
	s_branch .LBB216_2220
.LBB216_2216:
	s_or_saveexec_b64 s[18:19], s[18:19]
	v_mov_b32_e32 v14, 0x7e00
	s_xor_b64 exec, exec, s[18:19]
	s_cbranch_execz .LBB216_2197
.LBB216_2217:
	v_cmp_ne_u16_e32 vcc, 0, v5
	s_andn2_b64 s[16:17], s[16:17], exec
	s_and_b64 s[20:21], vcc, exec
	s_or_b64 s[16:17], s[16:17], s[20:21]
	v_mov_b32_e32 v14, v5
	s_or_b64 exec, exec, s[18:19]
	s_and_saveexec_b64 s[18:19], s[16:17]
	s_cbranch_execnz .LBB216_2198
	s_branch .LBB216_2199
.LBB216_2218:
	s_mov_b64 s[6:7], -1
                                        ; implicit-def: $vgpr14
.LBB216_2219:
	s_mov_b64 s[20:21], 0
.LBB216_2220:
	s_and_b64 vcc, exec, s[20:21]
	s_cbranch_vccz .LBB216_2222
; %bb.2221:
	s_cmp_lg_u32 s26, 11
	s_mov_b64 s[16:17], -1
	s_cselect_b64 s[6:7], -1, 0
.LBB216_2222:
	s_and_b64 vcc, exec, s[6:7]
	s_cbranch_vccnz .LBB216_2287
; %bb.2223:
	s_andn2_b64 vcc, exec, s[16:17]
	s_cbranch_vccnz .LBB216_2225
.LBB216_2224:
	global_load_ubyte v5, v[12:13], off
	v_mov_b32_e32 v8, 0x3c00
	s_mov_b64 s[18:19], -1
	s_waitcnt vmcnt(0)
	v_cmp_ne_u16_e32 vcc, 0, v5
	v_cndmask_b32_e32 v14, 0, v8, vcc
.LBB216_2225:
	s_mov_b64 s[6:7], 0
.LBB216_2226:
	s_and_b64 vcc, exec, s[6:7]
	s_cbranch_vccz .LBB216_2275
; %bb.2227:
	s_and_b32 s16, 0xffff, s24
	s_cmp_lt_i32 s16, 5
	s_cbranch_scc1 .LBB216_2232
; %bb.2228:
	s_cmp_lt_i32 s16, 8
	s_cbranch_scc1 .LBB216_2233
; %bb.2229:
	;; [unrolled: 3-line block ×3, first 2 shown]
	s_cmp_gt_i32 s16, 9
	s_cbranch_scc0 .LBB216_2235
; %bb.2231:
	global_load_dwordx2 v[14:15], v[12:13], off
	s_movk_i32 s6, 0x1ff
	s_movk_i32 s7, 0xffe
	v_mov_b32_e32 v5, 0x7c00
	v_mov_b32_e32 v8, 0x7e00
	s_movk_i32 s17, 0x40f
	s_mov_b32 s18, 0x8000
	s_waitcnt vmcnt(0)
	v_and_or_b32 v10, v15, s6, v14
	v_cmp_ne_u32_e32 vcc, 0, v10
	v_lshrrev_b32_e32 v14, 8, v15
	v_bfe_u32 v17, v15, 20, 11
	v_cndmask_b32_e64 v10, 0, 1, vcc
	v_sub_u32_e32 v19, 0x3f1, v17
	v_and_or_b32 v10, v14, s7, v10
	v_add_u32_e32 v17, 0xfffffc10, v17
	v_med3_i32 v14, v19, 0, 13
	v_or_b32_e32 v19, 0x1000, v10
	v_lshl_or_b32 v20, v17, 12, v10
	v_cmp_ne_u32_e32 vcc, 0, v10
	v_lshrrev_b32_e32 v10, v14, v19
	v_lshlrev_b32_e32 v14, v14, v10
	v_cndmask_b32_e32 v8, v5, v8, vcc
	v_cmp_ne_u32_e32 vcc, v14, v19
	v_cndmask_b32_e64 v14, 0, 1, vcc
	v_or_b32_e32 v10, v10, v14
	v_cmp_gt_i32_e32 vcc, 1, v17
	v_cndmask_b32_e32 v10, v20, v10, vcc
	v_and_b32_e32 v14, 7, v10
	v_cmp_lt_i32_e32 vcc, 5, v14
	v_cndmask_b32_e64 v19, 0, 1, vcc
	v_cmp_eq_u32_e32 vcc, 3, v14
	v_cndmask_b32_e64 v14, 0, 1, vcc
	v_lshrrev_b32_e32 v10, 2, v10
	v_or_b32_e32 v14, v14, v19
	v_add_u32_e32 v10, v10, v14
	v_cmp_gt_i32_e32 vcc, 31, v17
	v_cndmask_b32_e32 v5, v5, v10, vcc
	v_cmp_eq_u32_e32 vcc, s17, v17
	v_lshrrev_b32_e32 v15, 16, v15
	v_cndmask_b32_e32 v5, v5, v8, vcc
	v_and_or_b32 v14, v15, s18, v5
	s_mov_b64 s[6:7], 0
	s_branch .LBB216_2236
.LBB216_2232:
	s_mov_b64 s[6:7], -1
                                        ; implicit-def: $vgpr14
	s_branch .LBB216_2254
.LBB216_2233:
	s_mov_b64 s[6:7], -1
                                        ; implicit-def: $vgpr14
	s_branch .LBB216_2242
.LBB216_2234:
	s_mov_b64 s[6:7], -1
                                        ; implicit-def: $vgpr14
	s_branch .LBB216_2239
.LBB216_2235:
	s_mov_b64 s[6:7], -1
                                        ; implicit-def: $vgpr14
.LBB216_2236:
	s_andn2_b64 vcc, exec, s[6:7]
	s_cbranch_vccnz .LBB216_2238
; %bb.2237:
	global_load_dword v5, v[12:13], off
	s_waitcnt vmcnt(0)
	v_cvt_f16_f32_e32 v14, v5
.LBB216_2238:
	s_mov_b64 s[6:7], 0
.LBB216_2239:
	s_andn2_b64 vcc, exec, s[6:7]
	s_cbranch_vccnz .LBB216_2241
; %bb.2240:
	global_load_dword v14, v[12:13], off
.LBB216_2241:
	s_mov_b64 s[6:7], 0
.LBB216_2242:
	s_andn2_b64 vcc, exec, s[6:7]
	s_cbranch_vccnz .LBB216_2253
; %bb.2243:
	s_cmp_lt_i32 s16, 6
	s_cbranch_scc1 .LBB216_2246
; %bb.2244:
	s_cmp_gt_i32 s16, 6
	s_cbranch_scc0 .LBB216_2247
; %bb.2245:
	global_load_dwordx2 v[14:15], v[12:13], off
	s_movk_i32 s6, 0x1ff
	s_movk_i32 s7, 0xffe
	v_mov_b32_e32 v5, 0x7c00
	v_mov_b32_e32 v8, 0x7e00
	s_movk_i32 s17, 0x40f
	s_mov_b32 s18, 0x8000
	s_waitcnt vmcnt(0)
	v_and_or_b32 v10, v15, s6, v14
	v_cmp_ne_u32_e32 vcc, 0, v10
	v_lshrrev_b32_e32 v14, 8, v15
	v_bfe_u32 v17, v15, 20, 11
	v_cndmask_b32_e64 v10, 0, 1, vcc
	v_sub_u32_e32 v19, 0x3f1, v17
	v_and_or_b32 v10, v14, s7, v10
	v_add_u32_e32 v17, 0xfffffc10, v17
	v_med3_i32 v14, v19, 0, 13
	v_or_b32_e32 v19, 0x1000, v10
	v_lshl_or_b32 v20, v17, 12, v10
	v_cmp_ne_u32_e32 vcc, 0, v10
	v_lshrrev_b32_e32 v10, v14, v19
	v_lshlrev_b32_e32 v14, v14, v10
	v_cndmask_b32_e32 v8, v5, v8, vcc
	v_cmp_ne_u32_e32 vcc, v14, v19
	v_cndmask_b32_e64 v14, 0, 1, vcc
	v_or_b32_e32 v10, v10, v14
	v_cmp_gt_i32_e32 vcc, 1, v17
	v_cndmask_b32_e32 v10, v20, v10, vcc
	v_and_b32_e32 v14, 7, v10
	v_cmp_lt_i32_e32 vcc, 5, v14
	v_cndmask_b32_e64 v19, 0, 1, vcc
	v_cmp_eq_u32_e32 vcc, 3, v14
	v_cndmask_b32_e64 v14, 0, 1, vcc
	v_lshrrev_b32_e32 v10, 2, v10
	v_or_b32_e32 v14, v14, v19
	v_add_u32_e32 v10, v10, v14
	v_cmp_gt_i32_e32 vcc, 31, v17
	v_cndmask_b32_e32 v5, v5, v10, vcc
	v_cmp_eq_u32_e32 vcc, s17, v17
	v_lshrrev_b32_e32 v15, 16, v15
	v_cndmask_b32_e32 v5, v5, v8, vcc
	v_and_or_b32 v14, v15, s18, v5
	s_mov_b64 s[6:7], 0
	s_branch .LBB216_2248
.LBB216_2246:
	s_mov_b64 s[6:7], -1
                                        ; implicit-def: $vgpr14
	s_branch .LBB216_2251
.LBB216_2247:
	s_mov_b64 s[6:7], -1
                                        ; implicit-def: $vgpr14
.LBB216_2248:
	s_andn2_b64 vcc, exec, s[6:7]
	s_cbranch_vccnz .LBB216_2250
; %bb.2249:
	global_load_dword v5, v[12:13], off
	s_waitcnt vmcnt(0)
	v_cvt_f16_f32_e32 v14, v5
.LBB216_2250:
	s_mov_b64 s[6:7], 0
.LBB216_2251:
	s_andn2_b64 vcc, exec, s[6:7]
	s_cbranch_vccnz .LBB216_2253
; %bb.2252:
	global_load_ushort v14, v[12:13], off
.LBB216_2253:
	s_mov_b64 s[6:7], 0
.LBB216_2254:
	s_andn2_b64 vcc, exec, s[6:7]
	s_cbranch_vccnz .LBB216_2274
; %bb.2255:
	s_cmp_lt_i32 s16, 2
	s_cbranch_scc1 .LBB216_2259
; %bb.2256:
	s_cmp_lt_i32 s16, 3
	s_cbranch_scc1 .LBB216_2260
; %bb.2257:
	s_cmp_gt_i32 s16, 3
	s_cbranch_scc0 .LBB216_2261
; %bb.2258:
	global_load_dwordx2 v[14:15], v[12:13], off
	s_mov_b64 s[6:7], 0
	s_waitcnt vmcnt(0)
	v_xor_b32_e32 v8, v14, v15
	v_ffbh_i32_e32 v5, v15
	v_ashrrev_i32_e32 v8, 31, v8
	v_add_u32_e32 v5, -1, v5
	v_add_u32_e32 v8, 32, v8
	v_min_u32_e32 v5, v5, v8
	v_lshlrev_b64 v[14:15], v5, v[14:15]
	v_sub_u32_e32 v5, 32, v5
	v_min_u32_e32 v8, 1, v14
	v_or_b32_e32 v8, v15, v8
	v_cvt_f32_i32_e32 v8, v8
	v_ldexp_f32 v5, v8, v5
	v_cvt_f16_f32_e32 v14, v5
	s_branch .LBB216_2262
.LBB216_2259:
	s_mov_b64 s[6:7], -1
                                        ; implicit-def: $vgpr14
	s_branch .LBB216_2268
.LBB216_2260:
	s_mov_b64 s[6:7], -1
                                        ; implicit-def: $vgpr14
	s_branch .LBB216_2265
.LBB216_2261:
	s_mov_b64 s[6:7], -1
                                        ; implicit-def: $vgpr14
.LBB216_2262:
	s_andn2_b64 vcc, exec, s[6:7]
	s_cbranch_vccnz .LBB216_2264
; %bb.2263:
	global_load_dword v5, v[12:13], off
	s_waitcnt vmcnt(0)
	v_cvt_f32_i32_e32 v5, v5
	v_cvt_f16_f32_e32 v14, v5
.LBB216_2264:
	s_mov_b64 s[6:7], 0
.LBB216_2265:
	s_andn2_b64 vcc, exec, s[6:7]
	s_cbranch_vccnz .LBB216_2267
; %bb.2266:
	global_load_ushort v5, v[12:13], off
	s_waitcnt vmcnt(0)
	v_cvt_f16_i16_e32 v14, v5
.LBB216_2267:
	s_mov_b64 s[6:7], 0
.LBB216_2268:
	s_andn2_b64 vcc, exec, s[6:7]
	s_cbranch_vccnz .LBB216_2274
; %bb.2269:
	s_cmp_gt_i32 s16, 0
	s_cbranch_scc0 .LBB216_2271
; %bb.2270:
	global_load_sbyte v5, v[12:13], off
	s_mov_b64 s[6:7], 0
	s_waitcnt vmcnt(0)
	v_cvt_f16_i16_e32 v14, v5
	s_branch .LBB216_2272
.LBB216_2271:
	s_mov_b64 s[6:7], -1
                                        ; implicit-def: $vgpr14
.LBB216_2272:
	s_andn2_b64 vcc, exec, s[6:7]
	s_cbranch_vccnz .LBB216_2274
; %bb.2273:
	global_load_ubyte v5, v[12:13], off
	s_waitcnt vmcnt(0)
	v_cvt_f16_u16_e32 v14, v5
.LBB216_2274:
	s_mov_b64 s[18:19], -1
.LBB216_2275:
	s_andn2_b64 vcc, exec, s[18:19]
	s_cbranch_vccnz .LBB216_3101
; %bb.2276:
	v_mov_b32_e32 v5, s1
	v_add_co_u32_e32 v10, vcc, s0, v11
	s_cmp_lt_i32 s25, 11
	v_addc_co_u32_e32 v11, vcc, 0, v5, vcc
	s_cbranch_scc1 .LBB216_2283
; %bb.2277:
	s_and_b32 s26, 0xffff, s25
	s_cmp_gt_i32 s26, 25
	s_mov_b64 s[16:17], 0
	s_cbranch_scc0 .LBB216_2284
; %bb.2278:
	s_cmp_gt_i32 s26, 28
	s_cbranch_scc0 .LBB216_2285
; %bb.2279:
	s_cmp_gt_i32 s26, 43
	;; [unrolled: 3-line block ×3, first 2 shown]
	s_cbranch_scc0 .LBB216_2288
; %bb.2281:
	s_cmp_eq_u32 s26, 46
	s_mov_b64 s[20:21], 0
	s_cbranch_scc0 .LBB216_2291
; %bb.2282:
	global_load_dword v5, v[10:11], off
	s_mov_b64 s[6:7], 0
	s_mov_b64 s[18:19], -1
	s_waitcnt vmcnt(0)
	v_lshlrev_b32_e32 v5, 16, v5
	v_cvt_f16_f32_e32 v12, v5
	s_branch .LBB216_2292
.LBB216_2283:
	s_mov_b64 s[6:7], -1
	s_mov_b64 s[18:19], 0
                                        ; implicit-def: $vgpr12
	s_branch .LBB216_2358
.LBB216_2284:
	s_mov_b64 s[20:21], -1
	s_mov_b64 s[18:19], 0
	s_mov_b64 s[6:7], 0
                                        ; implicit-def: $vgpr12
	s_branch .LBB216_2321
.LBB216_2285:
	s_mov_b64 s[20:21], -1
	s_mov_b64 s[18:19], 0
	s_mov_b64 s[6:7], 0
                                        ; implicit-def: $vgpr12
	s_branch .LBB216_2302
.LBB216_2286:
	s_mov_b64 s[20:21], -1
	s_mov_b64 s[18:19], 0
	s_mov_b64 s[6:7], 0
                                        ; implicit-def: $vgpr12
	s_branch .LBB216_2297
.LBB216_2287:
	s_trap 2
	s_or_b64 s[4:5], s[4:5], exec
	s_cbranch_execz .LBB216_2224
	s_branch .LBB216_2225
.LBB216_2288:
	s_mov_b64 s[20:21], -1
	s_mov_b64 s[18:19], 0
	s_mov_b64 s[6:7], 0
                                        ; implicit-def: $vgpr12
	s_branch .LBB216_2292
.LBB216_2289:
	s_andn2_saveexec_b64 s[64:65], s[64:65]
	s_cbranch_execz .LBB216_1119
.LBB216_2290:
	s_mov_b32 s69, 0x42800000
	v_add_f32_e64 v4, |v3|, s69
	v_and_b32_e32 v4, 0xff, v4
	v_cmp_ne_u32_e32 vcc, 0, v4
	s_andn2_b64 s[62:63], s[62:63], exec
	s_and_b64 s[76:77], vcc, exec
	s_or_b64 s[62:63], s[62:63], s[76:77]
	s_or_b64 exec, exec, s[64:65]
	v_mov_b32_e32 v5, 0
	s_and_saveexec_b64 s[64:65], s[62:63]
	s_cbranch_execnz .LBB216_1120
	s_branch .LBB216_1121
.LBB216_2291:
	s_mov_b64 s[6:7], -1
                                        ; implicit-def: $vgpr12
	s_mov_b64 s[18:19], 0
.LBB216_2292:
	s_and_b64 vcc, exec, s[20:21]
	s_cbranch_vccz .LBB216_2296
; %bb.2293:
	s_cmp_eq_u32 s26, 44
	s_cbranch_scc0 .LBB216_2295
; %bb.2294:
	global_load_ubyte v5, v[10:11], off
	s_movk_i32 s18, 0xff
	v_mov_b32_e32 v12, 0x7e00
	s_mov_b64 s[6:7], 0
	s_waitcnt vmcnt(0)
	v_lshlrev_b32_e32 v8, 23, v5
	v_cvt_f16_f32_e32 v8, v8
	v_cmp_ne_u32_e32 vcc, s18, v5
	s_mov_b64 s[18:19], -1
	v_cndmask_b32_e32 v8, v12, v8, vcc
	v_cmp_ne_u32_e32 vcc, 0, v5
	v_cndmask_b32_e32 v12, 0, v8, vcc
	s_branch .LBB216_2296
.LBB216_2295:
	s_mov_b64 s[6:7], -1
                                        ; implicit-def: $vgpr12
.LBB216_2296:
	s_mov_b64 s[20:21], 0
.LBB216_2297:
	s_and_b64 vcc, exec, s[20:21]
	s_cbranch_vccz .LBB216_2301
; %bb.2298:
	s_cmp_eq_u32 s26, 29
	s_cbranch_scc0 .LBB216_2300
; %bb.2299:
	global_load_dwordx2 v[12:13], v[10:11], off
	s_mov_b64 s[6:7], 0
	s_mov_b64 s[18:19], -1
	s_mov_b64 s[20:21], 0
	s_waitcnt vmcnt(0)
	v_ffbh_u32_e32 v5, v13
	v_min_u32_e32 v5, 32, v5
	v_lshlrev_b64 v[12:13], v5, v[12:13]
	v_sub_u32_e32 v5, 32, v5
	v_min_u32_e32 v8, 1, v12
	v_or_b32_e32 v8, v13, v8
	v_cvt_f32_u32_e32 v8, v8
	v_ldexp_f32 v5, v8, v5
	v_cvt_f16_f32_e32 v12, v5
	s_branch .LBB216_2302
.LBB216_2300:
	s_mov_b64 s[6:7], -1
                                        ; implicit-def: $vgpr12
.LBB216_2301:
	s_mov_b64 s[20:21], 0
.LBB216_2302:
	s_and_b64 vcc, exec, s[20:21]
	s_cbranch_vccz .LBB216_2320
; %bb.2303:
	s_cmp_lt_i32 s26, 27
	s_cbranch_scc1 .LBB216_2306
; %bb.2304:
	s_cmp_gt_i32 s26, 27
	s_cbranch_scc0 .LBB216_2307
; %bb.2305:
	global_load_dword v5, v[10:11], off
	s_mov_b64 s[18:19], 0
	s_waitcnt vmcnt(0)
	v_cvt_f32_u32_e32 v5, v5
	v_cvt_f16_f32_e32 v12, v5
	s_branch .LBB216_2308
.LBB216_2306:
	s_mov_b64 s[18:19], -1
                                        ; implicit-def: $vgpr12
	s_branch .LBB216_2311
.LBB216_2307:
	s_mov_b64 s[18:19], -1
                                        ; implicit-def: $vgpr12
.LBB216_2308:
	s_andn2_b64 vcc, exec, s[18:19]
	s_cbranch_vccnz .LBB216_2310
; %bb.2309:
	global_load_ushort v5, v[10:11], off
	s_waitcnt vmcnt(0)
	v_cvt_f16_u16_e32 v12, v5
.LBB216_2310:
	s_mov_b64 s[18:19], 0
.LBB216_2311:
	s_andn2_b64 vcc, exec, s[18:19]
	s_cbranch_vccnz .LBB216_2319
; %bb.2312:
	global_load_ubyte v5, v[10:11], off
	s_movk_i32 s18, 0x7f
	s_waitcnt vmcnt(0)
	v_cmp_lt_i16_e32 vcc, s18, v5
	s_mov_b64 s[18:19], 0
	s_and_saveexec_b64 s[20:21], vcc
	s_xor_b64 s[20:21], exec, s[20:21]
	s_cbranch_execz .LBB216_2333
; %bb.2313:
	s_movk_i32 s18, 0x80
	v_cmp_eq_u16_e32 vcc, s18, v5
	s_mov_b64 s[18:19], -1
	s_and_saveexec_b64 s[22:23], vcc
; %bb.2314:
	s_xor_b64 s[18:19], exec, -1
; %bb.2315:
	s_or_b64 exec, exec, s[22:23]
	s_and_b64 s[18:19], s[18:19], exec
	s_or_saveexec_b64 s[20:21], s[20:21]
	v_mov_b32_e32 v12, 0x7e00
	s_xor_b64 exec, exec, s[20:21]
	s_cbranch_execnz .LBB216_2334
.LBB216_2316:
	s_or_b64 exec, exec, s[20:21]
	s_and_saveexec_b64 s[20:21], s[18:19]
	s_cbranch_execz .LBB216_2318
.LBB216_2317:
	v_lshlrev_b32_e32 v8, 24, v5
	v_and_b32_e32 v5, 0xffff, v5
	v_and_b32_e32 v12, 7, v5
	v_ffbh_u32_e32 v15, v12
	v_min_u32_e32 v15, 32, v15
	v_subrev_u32_e32 v17, 28, v15
	v_bfe_u32 v13, v5, 3, 4
	v_lshlrev_b32_e32 v5, v17, v5
	v_sub_u32_e32 v15, 29, v15
	v_and_b32_e32 v5, 7, v5
	v_cmp_eq_u32_e32 vcc, 0, v13
	v_cndmask_b32_e32 v13, v13, v15, vcc
	v_cndmask_b32_e32 v5, v12, v5, vcc
	v_mov_b32_e32 v12, 0x3b800000
	v_lshlrev_b32_e32 v5, 20, v5
	v_and_b32_e32 v8, 0x80000000, v8
	v_lshl_add_u32 v12, v13, 23, v12
	v_or3_b32 v5, v8, v12, v5
	v_cvt_f16_f32_e32 v12, v5
.LBB216_2318:
	s_or_b64 exec, exec, s[20:21]
.LBB216_2319:
	s_mov_b64 s[18:19], -1
.LBB216_2320:
	s_mov_b64 s[20:21], 0
.LBB216_2321:
	s_and_b64 vcc, exec, s[20:21]
	s_cbranch_vccz .LBB216_2354
; %bb.2322:
	s_cmp_gt_i32 s26, 22
	s_cbranch_scc0 .LBB216_2332
; %bb.2323:
	s_cmp_lt_i32 s26, 24
	s_cbranch_scc1 .LBB216_2335
; %bb.2324:
	s_cmp_gt_i32 s26, 24
	s_cbranch_scc0 .LBB216_2336
; %bb.2325:
	global_load_ubyte v5, v[10:11], off
	s_movk_i32 s16, 0x7f
	s_waitcnt vmcnt(0)
	v_cmp_lt_i16_e32 vcc, s16, v5
	s_mov_b64 s[16:17], 0
	s_and_saveexec_b64 s[18:19], vcc
	s_xor_b64 s[18:19], exec, s[18:19]
	s_cbranch_execz .LBB216_2348
; %bb.2326:
	s_movk_i32 s16, 0x80
	v_cmp_eq_u16_e32 vcc, s16, v5
	s_mov_b64 s[16:17], -1
	s_and_saveexec_b64 s[20:21], vcc
; %bb.2327:
	s_xor_b64 s[16:17], exec, -1
; %bb.2328:
	s_or_b64 exec, exec, s[20:21]
	s_and_b64 s[16:17], s[16:17], exec
	s_or_saveexec_b64 s[18:19], s[18:19]
	v_mov_b32_e32 v12, 0x7e00
	s_xor_b64 exec, exec, s[18:19]
	s_cbranch_execnz .LBB216_2349
.LBB216_2329:
	s_or_b64 exec, exec, s[18:19]
	s_and_saveexec_b64 s[18:19], s[16:17]
	s_cbranch_execz .LBB216_2331
.LBB216_2330:
	v_lshlrev_b32_e32 v8, 24, v5
	v_and_b32_e32 v5, 0xffff, v5
	v_and_b32_e32 v12, 3, v5
	v_ffbh_u32_e32 v15, v12
	v_min_u32_e32 v15, 32, v15
	v_subrev_u32_e32 v17, 29, v15
	v_bfe_u32 v13, v5, 2, 5
	v_lshlrev_b32_e32 v5, v17, v5
	v_sub_u32_e32 v15, 30, v15
	v_and_b32_e32 v5, 3, v5
	v_cmp_eq_u32_e32 vcc, 0, v13
	v_cndmask_b32_e32 v13, v13, v15, vcc
	v_cndmask_b32_e32 v5, v12, v5, vcc
	v_mov_b32_e32 v12, 0x37800000
	v_lshlrev_b32_e32 v5, 21, v5
	v_and_b32_e32 v8, 0x80000000, v8
	v_lshl_add_u32 v12, v13, 23, v12
	v_or3_b32 v5, v8, v12, v5
	v_cvt_f16_f32_e32 v12, v5
.LBB216_2331:
	s_or_b64 exec, exec, s[18:19]
	s_mov_b64 s[16:17], 0
	s_branch .LBB216_2337
.LBB216_2332:
	s_mov_b64 s[16:17], -1
                                        ; implicit-def: $vgpr12
	s_branch .LBB216_2343
.LBB216_2333:
	s_or_saveexec_b64 s[20:21], s[20:21]
	v_mov_b32_e32 v12, 0x7e00
	s_xor_b64 exec, exec, s[20:21]
	s_cbranch_execz .LBB216_2316
.LBB216_2334:
	v_cmp_ne_u16_e32 vcc, 0, v5
	s_andn2_b64 s[18:19], s[18:19], exec
	s_and_b64 s[22:23], vcc, exec
	s_or_b64 s[18:19], s[18:19], s[22:23]
	v_mov_b32_e32 v12, v5
	s_or_b64 exec, exec, s[20:21]
	s_and_saveexec_b64 s[20:21], s[18:19]
	s_cbranch_execnz .LBB216_2317
	s_branch .LBB216_2318
.LBB216_2335:
	s_mov_b64 s[16:17], -1
                                        ; implicit-def: $vgpr12
	s_branch .LBB216_2340
.LBB216_2336:
	s_mov_b64 s[16:17], -1
                                        ; implicit-def: $vgpr12
.LBB216_2337:
	s_and_b64 vcc, exec, s[16:17]
	s_cbranch_vccz .LBB216_2339
; %bb.2338:
	global_load_ubyte v5, v[10:11], off
	s_mov_b32 s16, 0x7f800000
	s_waitcnt vmcnt(0)
	v_lshlrev_b32_e32 v5, 24, v5
	v_and_b32_e32 v8, 0x7f000000, v5
	v_ffbh_u32_e32 v12, v8
	v_min_u32_e32 v12, 32, v12
	v_sub_u32_e64 v12, v12, 4 clamp
	v_lshlrev_b32_e32 v15, v12, v8
	v_lshlrev_b32_e32 v12, 23, v12
	v_lshrrev_b32_e32 v15, 4, v15
	v_add_u32_e32 v13, 0x1000000, v8
	v_sub_u32_e32 v12, v15, v12
	v_ashrrev_i32_e32 v13, 8, v13
	v_add_u32_e32 v12, 0x3c000000, v12
	v_and_or_b32 v12, v13, s16, v12
	v_cmp_ne_u32_e32 vcc, 0, v8
	v_cndmask_b32_e32 v8, 0, v12, vcc
	s_brev_b32 s16, 1
	v_and_or_b32 v5, v5, s16, v8
	v_cvt_f16_f32_e32 v12, v5
.LBB216_2339:
	s_mov_b64 s[16:17], 0
.LBB216_2340:
	s_andn2_b64 vcc, exec, s[16:17]
	s_cbranch_vccnz .LBB216_2342
; %bb.2341:
	global_load_ubyte v5, v[10:11], off
	s_movk_i32 s16, 0x7f00
	s_brev_b32 s17, 16
	s_waitcnt vmcnt(0)
	v_lshlrev_b16_e32 v8, 8, v5
	v_lshlrev_b32_e32 v5, 25, v5
	v_lshrrev_b32_e32 v12, 4, v5
	v_and_or_b32 v13, v8, s16, 0.5
	v_or_b32_e32 v12, 0x70000000, v12
	v_add_f32_e32 v13, -0.5, v13
	v_mul_f32_e32 v12, 0x7800000, v12
	v_cmp_gt_u32_e32 vcc, s17, v5
	v_bfe_i32 v8, v8, 0, 16
	v_cndmask_b32_e32 v5, v12, v13, vcc
	s_brev_b32 s16, 1
	v_and_or_b32 v5, v8, s16, v5
	v_cvt_f16_f32_e32 v12, v5
.LBB216_2342:
	s_mov_b64 s[16:17], 0
	s_mov_b64 s[18:19], -1
.LBB216_2343:
	s_andn2_b64 vcc, exec, s[16:17]
	s_mov_b64 s[16:17], 0
	s_cbranch_vccnz .LBB216_2354
; %bb.2344:
	s_cmp_gt_i32 s26, 14
	s_cbranch_scc0 .LBB216_2347
; %bb.2345:
	s_cmp_eq_u32 s26, 15
	s_cbranch_scc0 .LBB216_2350
; %bb.2346:
	global_load_ushort v5, v[10:11], off
	s_mov_b64 s[6:7], 0
	s_mov_b64 s[18:19], -1
	s_waitcnt vmcnt(0)
	v_lshlrev_b32_e32 v5, 16, v5
	v_cvt_f16_f32_e32 v12, v5
	s_branch .LBB216_2351
.LBB216_2347:
	s_mov_b64 s[20:21], -1
                                        ; implicit-def: $vgpr12
	s_branch .LBB216_2352
.LBB216_2348:
	s_or_saveexec_b64 s[18:19], s[18:19]
	v_mov_b32_e32 v12, 0x7e00
	s_xor_b64 exec, exec, s[18:19]
	s_cbranch_execz .LBB216_2329
.LBB216_2349:
	v_cmp_ne_u16_e32 vcc, 0, v5
	s_andn2_b64 s[16:17], s[16:17], exec
	s_and_b64 s[20:21], vcc, exec
	s_or_b64 s[16:17], s[16:17], s[20:21]
	v_mov_b32_e32 v12, v5
	s_or_b64 exec, exec, s[18:19]
	s_and_saveexec_b64 s[18:19], s[16:17]
	s_cbranch_execnz .LBB216_2330
	s_branch .LBB216_2331
.LBB216_2350:
	s_mov_b64 s[6:7], -1
                                        ; implicit-def: $vgpr12
.LBB216_2351:
	s_mov_b64 s[20:21], 0
.LBB216_2352:
	s_and_b64 vcc, exec, s[20:21]
	s_cbranch_vccz .LBB216_2354
; %bb.2353:
	s_cmp_lg_u32 s26, 11
	s_mov_b64 s[16:17], -1
	s_cselect_b64 s[6:7], -1, 0
.LBB216_2354:
	s_and_b64 vcc, exec, s[6:7]
	s_cbranch_vccnz .LBB216_2419
; %bb.2355:
	s_andn2_b64 vcc, exec, s[16:17]
	s_cbranch_vccnz .LBB216_2357
.LBB216_2356:
	global_load_ubyte v5, v[10:11], off
	v_mov_b32_e32 v8, 0x3c00
	s_mov_b64 s[18:19], -1
	s_waitcnt vmcnt(0)
	v_cmp_ne_u16_e32 vcc, 0, v5
	v_cndmask_b32_e32 v12, 0, v8, vcc
.LBB216_2357:
	s_mov_b64 s[6:7], 0
.LBB216_2358:
	s_and_b64 vcc, exec, s[6:7]
	s_cbranch_vccz .LBB216_2407
; %bb.2359:
	s_and_b32 s16, 0xffff, s25
	s_cmp_lt_i32 s16, 5
	s_cbranch_scc1 .LBB216_2364
; %bb.2360:
	s_cmp_lt_i32 s16, 8
	s_cbranch_scc1 .LBB216_2365
; %bb.2361:
	;; [unrolled: 3-line block ×3, first 2 shown]
	s_cmp_gt_i32 s16, 9
	s_cbranch_scc0 .LBB216_2367
; %bb.2363:
	global_load_dwordx2 v[12:13], v[10:11], off
	s_movk_i32 s6, 0x1ff
	s_movk_i32 s7, 0xffe
	v_mov_b32_e32 v5, 0x7c00
	v_mov_b32_e32 v8, 0x7e00
	s_movk_i32 s17, 0x40f
	s_mov_b32 s18, 0x8000
	s_waitcnt vmcnt(0)
	v_and_or_b32 v12, v13, s6, v12
	v_cmp_ne_u32_e32 vcc, 0, v12
	v_lshrrev_b32_e32 v15, 8, v13
	v_bfe_u32 v17, v13, 20, 11
	v_cndmask_b32_e64 v12, 0, 1, vcc
	v_sub_u32_e32 v19, 0x3f1, v17
	v_and_or_b32 v12, v15, s7, v12
	v_add_u32_e32 v17, 0xfffffc10, v17
	v_med3_i32 v15, v19, 0, 13
	v_or_b32_e32 v19, 0x1000, v12
	v_lshl_or_b32 v20, v17, 12, v12
	v_cmp_ne_u32_e32 vcc, 0, v12
	v_lshrrev_b32_e32 v12, v15, v19
	v_lshlrev_b32_e32 v15, v15, v12
	v_cndmask_b32_e32 v8, v5, v8, vcc
	v_cmp_ne_u32_e32 vcc, v15, v19
	v_cndmask_b32_e64 v15, 0, 1, vcc
	v_or_b32_e32 v12, v12, v15
	v_cmp_gt_i32_e32 vcc, 1, v17
	v_cndmask_b32_e32 v12, v20, v12, vcc
	v_and_b32_e32 v15, 7, v12
	v_cmp_lt_i32_e32 vcc, 5, v15
	v_cndmask_b32_e64 v19, 0, 1, vcc
	v_cmp_eq_u32_e32 vcc, 3, v15
	v_cndmask_b32_e64 v15, 0, 1, vcc
	v_lshrrev_b32_e32 v12, 2, v12
	v_or_b32_e32 v15, v15, v19
	v_add_u32_e32 v12, v12, v15
	v_cmp_gt_i32_e32 vcc, 31, v17
	v_cndmask_b32_e32 v5, v5, v12, vcc
	v_cmp_eq_u32_e32 vcc, s17, v17
	v_lshrrev_b32_e32 v13, 16, v13
	v_cndmask_b32_e32 v5, v5, v8, vcc
	v_and_or_b32 v12, v13, s18, v5
	s_mov_b64 s[6:7], 0
	s_branch .LBB216_2368
.LBB216_2364:
	s_mov_b64 s[6:7], -1
                                        ; implicit-def: $vgpr12
	s_branch .LBB216_2386
.LBB216_2365:
	s_mov_b64 s[6:7], -1
                                        ; implicit-def: $vgpr12
	s_branch .LBB216_2374
.LBB216_2366:
	s_mov_b64 s[6:7], -1
                                        ; implicit-def: $vgpr12
	s_branch .LBB216_2371
.LBB216_2367:
	s_mov_b64 s[6:7], -1
                                        ; implicit-def: $vgpr12
.LBB216_2368:
	s_andn2_b64 vcc, exec, s[6:7]
	s_cbranch_vccnz .LBB216_2370
; %bb.2369:
	global_load_dword v5, v[10:11], off
	s_waitcnt vmcnt(0)
	v_cvt_f16_f32_e32 v12, v5
.LBB216_2370:
	s_mov_b64 s[6:7], 0
.LBB216_2371:
	s_andn2_b64 vcc, exec, s[6:7]
	s_cbranch_vccnz .LBB216_2373
; %bb.2372:
	global_load_dword v12, v[10:11], off
.LBB216_2373:
	s_mov_b64 s[6:7], 0
.LBB216_2374:
	s_andn2_b64 vcc, exec, s[6:7]
	s_cbranch_vccnz .LBB216_2385
; %bb.2375:
	s_cmp_lt_i32 s16, 6
	s_cbranch_scc1 .LBB216_2378
; %bb.2376:
	s_cmp_gt_i32 s16, 6
	s_cbranch_scc0 .LBB216_2379
; %bb.2377:
	global_load_dwordx2 v[12:13], v[10:11], off
	s_movk_i32 s6, 0x1ff
	s_movk_i32 s7, 0xffe
	v_mov_b32_e32 v5, 0x7c00
	v_mov_b32_e32 v8, 0x7e00
	s_movk_i32 s17, 0x40f
	s_mov_b32 s18, 0x8000
	s_waitcnt vmcnt(0)
	v_and_or_b32 v12, v13, s6, v12
	v_cmp_ne_u32_e32 vcc, 0, v12
	v_lshrrev_b32_e32 v15, 8, v13
	v_bfe_u32 v17, v13, 20, 11
	v_cndmask_b32_e64 v12, 0, 1, vcc
	v_sub_u32_e32 v19, 0x3f1, v17
	v_and_or_b32 v12, v15, s7, v12
	v_add_u32_e32 v17, 0xfffffc10, v17
	v_med3_i32 v15, v19, 0, 13
	v_or_b32_e32 v19, 0x1000, v12
	v_lshl_or_b32 v20, v17, 12, v12
	v_cmp_ne_u32_e32 vcc, 0, v12
	v_lshrrev_b32_e32 v12, v15, v19
	v_lshlrev_b32_e32 v15, v15, v12
	v_cndmask_b32_e32 v8, v5, v8, vcc
	v_cmp_ne_u32_e32 vcc, v15, v19
	v_cndmask_b32_e64 v15, 0, 1, vcc
	v_or_b32_e32 v12, v12, v15
	v_cmp_gt_i32_e32 vcc, 1, v17
	v_cndmask_b32_e32 v12, v20, v12, vcc
	v_and_b32_e32 v15, 7, v12
	v_cmp_lt_i32_e32 vcc, 5, v15
	v_cndmask_b32_e64 v19, 0, 1, vcc
	v_cmp_eq_u32_e32 vcc, 3, v15
	v_cndmask_b32_e64 v15, 0, 1, vcc
	v_lshrrev_b32_e32 v12, 2, v12
	v_or_b32_e32 v15, v15, v19
	v_add_u32_e32 v12, v12, v15
	v_cmp_gt_i32_e32 vcc, 31, v17
	v_cndmask_b32_e32 v5, v5, v12, vcc
	v_cmp_eq_u32_e32 vcc, s17, v17
	v_lshrrev_b32_e32 v13, 16, v13
	v_cndmask_b32_e32 v5, v5, v8, vcc
	v_and_or_b32 v12, v13, s18, v5
	s_mov_b64 s[6:7], 0
	s_branch .LBB216_2380
.LBB216_2378:
	s_mov_b64 s[6:7], -1
                                        ; implicit-def: $vgpr12
	s_branch .LBB216_2383
.LBB216_2379:
	s_mov_b64 s[6:7], -1
                                        ; implicit-def: $vgpr12
.LBB216_2380:
	s_andn2_b64 vcc, exec, s[6:7]
	s_cbranch_vccnz .LBB216_2382
; %bb.2381:
	global_load_dword v5, v[10:11], off
	s_waitcnt vmcnt(0)
	v_cvt_f16_f32_e32 v12, v5
.LBB216_2382:
	s_mov_b64 s[6:7], 0
.LBB216_2383:
	s_andn2_b64 vcc, exec, s[6:7]
	s_cbranch_vccnz .LBB216_2385
; %bb.2384:
	global_load_ushort v12, v[10:11], off
.LBB216_2385:
	s_mov_b64 s[6:7], 0
.LBB216_2386:
	s_andn2_b64 vcc, exec, s[6:7]
	s_cbranch_vccnz .LBB216_2406
; %bb.2387:
	s_cmp_lt_i32 s16, 2
	s_cbranch_scc1 .LBB216_2391
; %bb.2388:
	s_cmp_lt_i32 s16, 3
	s_cbranch_scc1 .LBB216_2392
; %bb.2389:
	s_cmp_gt_i32 s16, 3
	s_cbranch_scc0 .LBB216_2393
; %bb.2390:
	global_load_dwordx2 v[12:13], v[10:11], off
	s_mov_b64 s[6:7], 0
	s_waitcnt vmcnt(0)
	v_xor_b32_e32 v8, v12, v13
	v_ffbh_i32_e32 v5, v13
	v_ashrrev_i32_e32 v8, 31, v8
	v_add_u32_e32 v5, -1, v5
	v_add_u32_e32 v8, 32, v8
	v_min_u32_e32 v5, v5, v8
	v_lshlrev_b64 v[12:13], v5, v[12:13]
	v_sub_u32_e32 v5, 32, v5
	v_min_u32_e32 v8, 1, v12
	v_or_b32_e32 v8, v13, v8
	v_cvt_f32_i32_e32 v8, v8
	v_ldexp_f32 v5, v8, v5
	v_cvt_f16_f32_e32 v12, v5
	s_branch .LBB216_2394
.LBB216_2391:
	s_mov_b64 s[6:7], -1
                                        ; implicit-def: $vgpr12
	s_branch .LBB216_2400
.LBB216_2392:
	s_mov_b64 s[6:7], -1
                                        ; implicit-def: $vgpr12
	s_branch .LBB216_2397
.LBB216_2393:
	s_mov_b64 s[6:7], -1
                                        ; implicit-def: $vgpr12
.LBB216_2394:
	s_andn2_b64 vcc, exec, s[6:7]
	s_cbranch_vccnz .LBB216_2396
; %bb.2395:
	global_load_dword v5, v[10:11], off
	s_waitcnt vmcnt(0)
	v_cvt_f32_i32_e32 v5, v5
	v_cvt_f16_f32_e32 v12, v5
.LBB216_2396:
	s_mov_b64 s[6:7], 0
.LBB216_2397:
	s_andn2_b64 vcc, exec, s[6:7]
	s_cbranch_vccnz .LBB216_2399
; %bb.2398:
	global_load_ushort v5, v[10:11], off
	s_waitcnt vmcnt(0)
	v_cvt_f16_i16_e32 v12, v5
.LBB216_2399:
	s_mov_b64 s[6:7], 0
.LBB216_2400:
	s_andn2_b64 vcc, exec, s[6:7]
	s_cbranch_vccnz .LBB216_2406
; %bb.2401:
	s_cmp_gt_i32 s16, 0
	s_cbranch_scc0 .LBB216_2403
; %bb.2402:
	global_load_sbyte v5, v[10:11], off
	s_mov_b64 s[6:7], 0
	s_waitcnt vmcnt(0)
	v_cvt_f16_i16_e32 v12, v5
	s_branch .LBB216_2404
.LBB216_2403:
	s_mov_b64 s[6:7], -1
                                        ; implicit-def: $vgpr12
.LBB216_2404:
	s_andn2_b64 vcc, exec, s[6:7]
	s_cbranch_vccnz .LBB216_2406
; %bb.2405:
	global_load_ubyte v5, v[10:11], off
	s_waitcnt vmcnt(0)
	v_cvt_f16_u16_e32 v12, v5
.LBB216_2406:
	s_mov_b64 s[18:19], -1
.LBB216_2407:
	s_andn2_b64 vcc, exec, s[18:19]
	s_cbranch_vccnz .LBB216_3101
; %bb.2408:
	v_mov_b32_e32 v5, s11
	v_add_co_u32_e32 v8, vcc, s10, v9
	s_cmp_lt_i32 s24, 11
	v_addc_co_u32_e32 v9, vcc, 0, v5, vcc
	s_cbranch_scc1 .LBB216_2415
; %bb.2409:
	s_and_b32 s22, 0xffff, s24
	s_cmp_gt_i32 s22, 25
	s_mov_b64 s[10:11], 0
	s_cbranch_scc0 .LBB216_2416
; %bb.2410:
	s_cmp_gt_i32 s22, 28
	s_cbranch_scc0 .LBB216_2417
; %bb.2411:
	s_cmp_gt_i32 s22, 43
	;; [unrolled: 3-line block ×3, first 2 shown]
	s_cbranch_scc0 .LBB216_2420
; %bb.2413:
	s_cmp_eq_u32 s22, 46
	s_mov_b64 s[18:19], 0
	s_cbranch_scc0 .LBB216_2421
; %bb.2414:
	global_load_dword v5, v[8:9], off
	s_mov_b64 s[6:7], 0
	s_mov_b64 s[16:17], -1
	s_waitcnt vmcnt(0)
	v_lshlrev_b32_e32 v5, 16, v5
	v_cvt_f16_f32_e32 v10, v5
	s_branch .LBB216_2422
.LBB216_2415:
	s_mov_b64 s[6:7], -1
	s_mov_b64 s[16:17], 0
                                        ; implicit-def: $vgpr10
	s_branch .LBB216_2488
.LBB216_2416:
	s_mov_b64 s[18:19], -1
	s_mov_b64 s[16:17], 0
	s_mov_b64 s[6:7], 0
                                        ; implicit-def: $vgpr10
	s_branch .LBB216_2451
.LBB216_2417:
	s_mov_b64 s[18:19], -1
	s_mov_b64 s[16:17], 0
	s_mov_b64 s[6:7], 0
                                        ; implicit-def: $vgpr10
	s_branch .LBB216_2432
.LBB216_2418:
	s_mov_b64 s[18:19], -1
	s_mov_b64 s[16:17], 0
	s_mov_b64 s[6:7], 0
                                        ; implicit-def: $vgpr10
	s_branch .LBB216_2427
.LBB216_2419:
	s_trap 2
	s_or_b64 s[4:5], s[4:5], exec
	s_cbranch_execz .LBB216_2356
	s_branch .LBB216_2357
.LBB216_2420:
	s_mov_b64 s[18:19], -1
	s_mov_b64 s[16:17], 0
	s_mov_b64 s[6:7], 0
                                        ; implicit-def: $vgpr10
	s_branch .LBB216_2422
.LBB216_2421:
	s_mov_b64 s[6:7], -1
                                        ; implicit-def: $vgpr10
	s_mov_b64 s[16:17], 0
.LBB216_2422:
	s_and_b64 vcc, exec, s[18:19]
	s_cbranch_vccz .LBB216_2426
; %bb.2423:
	s_cmp_eq_u32 s22, 44
	s_cbranch_scc0 .LBB216_2425
; %bb.2424:
	global_load_ubyte v5, v[8:9], off
	s_movk_i32 s16, 0xff
	v_mov_b32_e32 v11, 0x7e00
	s_mov_b64 s[6:7], 0
	s_waitcnt vmcnt(0)
	v_lshlrev_b32_e32 v10, 23, v5
	v_cvt_f16_f32_e32 v10, v10
	v_cmp_ne_u32_e32 vcc, s16, v5
	s_mov_b64 s[16:17], -1
	v_cndmask_b32_e32 v10, v11, v10, vcc
	v_cmp_ne_u32_e32 vcc, 0, v5
	v_cndmask_b32_e32 v10, 0, v10, vcc
	s_branch .LBB216_2426
.LBB216_2425:
	s_mov_b64 s[6:7], -1
                                        ; implicit-def: $vgpr10
.LBB216_2426:
	s_mov_b64 s[18:19], 0
.LBB216_2427:
	s_and_b64 vcc, exec, s[18:19]
	s_cbranch_vccz .LBB216_2431
; %bb.2428:
	s_cmp_eq_u32 s22, 29
	s_cbranch_scc0 .LBB216_2430
; %bb.2429:
	global_load_dwordx2 v[10:11], v[8:9], off
	s_mov_b64 s[6:7], 0
	s_mov_b64 s[16:17], -1
	s_mov_b64 s[18:19], 0
	s_waitcnt vmcnt(0)
	v_ffbh_u32_e32 v5, v11
	v_min_u32_e32 v5, 32, v5
	v_lshlrev_b64 v[10:11], v5, v[10:11]
	v_sub_u32_e32 v5, 32, v5
	v_min_u32_e32 v10, 1, v10
	v_or_b32_e32 v10, v11, v10
	v_cvt_f32_u32_e32 v10, v10
	v_ldexp_f32 v5, v10, v5
	v_cvt_f16_f32_e32 v10, v5
	s_branch .LBB216_2432
.LBB216_2430:
	s_mov_b64 s[6:7], -1
                                        ; implicit-def: $vgpr10
.LBB216_2431:
	s_mov_b64 s[18:19], 0
.LBB216_2432:
	s_and_b64 vcc, exec, s[18:19]
	s_cbranch_vccz .LBB216_2450
; %bb.2433:
	s_cmp_lt_i32 s22, 27
	s_cbranch_scc1 .LBB216_2436
; %bb.2434:
	s_cmp_gt_i32 s22, 27
	s_cbranch_scc0 .LBB216_2437
; %bb.2435:
	global_load_dword v5, v[8:9], off
	s_mov_b64 s[16:17], 0
	s_waitcnt vmcnt(0)
	v_cvt_f32_u32_e32 v5, v5
	v_cvt_f16_f32_e32 v10, v5
	s_branch .LBB216_2438
.LBB216_2436:
	s_mov_b64 s[16:17], -1
                                        ; implicit-def: $vgpr10
	s_branch .LBB216_2441
.LBB216_2437:
	s_mov_b64 s[16:17], -1
                                        ; implicit-def: $vgpr10
.LBB216_2438:
	s_andn2_b64 vcc, exec, s[16:17]
	s_cbranch_vccnz .LBB216_2440
; %bb.2439:
	global_load_ushort v5, v[8:9], off
	s_waitcnt vmcnt(0)
	v_cvt_f16_u16_e32 v10, v5
.LBB216_2440:
	s_mov_b64 s[16:17], 0
.LBB216_2441:
	s_andn2_b64 vcc, exec, s[16:17]
	s_cbranch_vccnz .LBB216_2449
; %bb.2442:
	global_load_ubyte v5, v[8:9], off
	s_movk_i32 s16, 0x7f
	s_waitcnt vmcnt(0)
	v_cmp_lt_i16_e32 vcc, s16, v5
	s_mov_b64 s[16:17], 0
	s_and_saveexec_b64 s[18:19], vcc
	s_xor_b64 s[18:19], exec, s[18:19]
	s_cbranch_execz .LBB216_2463
; %bb.2443:
	s_movk_i32 s16, 0x80
	v_cmp_eq_u16_e32 vcc, s16, v5
	s_mov_b64 s[16:17], -1
	s_and_saveexec_b64 s[20:21], vcc
; %bb.2444:
	s_xor_b64 s[16:17], exec, -1
; %bb.2445:
	s_or_b64 exec, exec, s[20:21]
	s_and_b64 s[16:17], s[16:17], exec
	s_or_saveexec_b64 s[18:19], s[18:19]
	v_mov_b32_e32 v10, 0x7e00
	s_xor_b64 exec, exec, s[18:19]
	s_cbranch_execnz .LBB216_2464
.LBB216_2446:
	s_or_b64 exec, exec, s[18:19]
	s_and_saveexec_b64 s[18:19], s[16:17]
	s_cbranch_execz .LBB216_2448
.LBB216_2447:
	v_lshlrev_b32_e32 v10, 24, v5
	v_and_b32_e32 v5, 0xffff, v5
	v_and_b32_e32 v11, 7, v5
	v_ffbh_u32_e32 v15, v11
	v_min_u32_e32 v15, 32, v15
	v_subrev_u32_e32 v17, 28, v15
	v_bfe_u32 v13, v5, 3, 4
	v_lshlrev_b32_e32 v5, v17, v5
	v_sub_u32_e32 v15, 29, v15
	v_and_b32_e32 v5, 7, v5
	v_cmp_eq_u32_e32 vcc, 0, v13
	v_cndmask_b32_e32 v13, v13, v15, vcc
	v_cndmask_b32_e32 v5, v11, v5, vcc
	v_mov_b32_e32 v11, 0x3b800000
	v_lshlrev_b32_e32 v5, 20, v5
	v_and_b32_e32 v10, 0x80000000, v10
	v_lshl_add_u32 v11, v13, 23, v11
	v_or3_b32 v5, v10, v11, v5
	v_cvt_f16_f32_e32 v10, v5
.LBB216_2448:
	s_or_b64 exec, exec, s[18:19]
.LBB216_2449:
	s_mov_b64 s[16:17], -1
.LBB216_2450:
	s_mov_b64 s[18:19], 0
.LBB216_2451:
	s_and_b64 vcc, exec, s[18:19]
	s_cbranch_vccz .LBB216_2484
; %bb.2452:
	s_cmp_gt_i32 s22, 22
	s_cbranch_scc0 .LBB216_2462
; %bb.2453:
	s_cmp_lt_i32 s22, 24
	s_cbranch_scc1 .LBB216_2465
; %bb.2454:
	s_cmp_gt_i32 s22, 24
	s_cbranch_scc0 .LBB216_2466
; %bb.2455:
	global_load_ubyte v5, v[8:9], off
	s_movk_i32 s10, 0x7f
	s_waitcnt vmcnt(0)
	v_cmp_lt_i16_e32 vcc, s10, v5
	s_mov_b64 s[10:11], 0
	s_and_saveexec_b64 s[16:17], vcc
	s_xor_b64 s[16:17], exec, s[16:17]
	s_cbranch_execz .LBB216_2478
; %bb.2456:
	s_movk_i32 s10, 0x80
	v_cmp_eq_u16_e32 vcc, s10, v5
	s_mov_b64 s[10:11], -1
	s_and_saveexec_b64 s[18:19], vcc
; %bb.2457:
	s_xor_b64 s[10:11], exec, -1
; %bb.2458:
	s_or_b64 exec, exec, s[18:19]
	s_and_b64 s[10:11], s[10:11], exec
	s_or_saveexec_b64 s[16:17], s[16:17]
	v_mov_b32_e32 v10, 0x7e00
	s_xor_b64 exec, exec, s[16:17]
	s_cbranch_execnz .LBB216_2479
.LBB216_2459:
	s_or_b64 exec, exec, s[16:17]
	s_and_saveexec_b64 s[16:17], s[10:11]
	s_cbranch_execz .LBB216_2461
.LBB216_2460:
	v_lshlrev_b32_e32 v10, 24, v5
	v_and_b32_e32 v5, 0xffff, v5
	v_and_b32_e32 v11, 3, v5
	v_ffbh_u32_e32 v15, v11
	v_min_u32_e32 v15, 32, v15
	v_subrev_u32_e32 v17, 29, v15
	v_bfe_u32 v13, v5, 2, 5
	v_lshlrev_b32_e32 v5, v17, v5
	v_sub_u32_e32 v15, 30, v15
	v_and_b32_e32 v5, 3, v5
	v_cmp_eq_u32_e32 vcc, 0, v13
	v_cndmask_b32_e32 v13, v13, v15, vcc
	v_cndmask_b32_e32 v5, v11, v5, vcc
	v_mov_b32_e32 v11, 0x37800000
	v_lshlrev_b32_e32 v5, 21, v5
	v_and_b32_e32 v10, 0x80000000, v10
	v_lshl_add_u32 v11, v13, 23, v11
	v_or3_b32 v5, v10, v11, v5
	v_cvt_f16_f32_e32 v10, v5
.LBB216_2461:
	s_or_b64 exec, exec, s[16:17]
	s_mov_b64 s[10:11], 0
	s_branch .LBB216_2467
.LBB216_2462:
	s_mov_b64 s[10:11], -1
                                        ; implicit-def: $vgpr10
	s_branch .LBB216_2473
.LBB216_2463:
	s_or_saveexec_b64 s[18:19], s[18:19]
	v_mov_b32_e32 v10, 0x7e00
	s_xor_b64 exec, exec, s[18:19]
	s_cbranch_execz .LBB216_2446
.LBB216_2464:
	v_cmp_ne_u16_e32 vcc, 0, v5
	s_andn2_b64 s[16:17], s[16:17], exec
	s_and_b64 s[20:21], vcc, exec
	s_or_b64 s[16:17], s[16:17], s[20:21]
	v_mov_b32_e32 v10, v5
	s_or_b64 exec, exec, s[18:19]
	s_and_saveexec_b64 s[18:19], s[16:17]
	s_cbranch_execnz .LBB216_2447
	s_branch .LBB216_2448
.LBB216_2465:
	s_mov_b64 s[10:11], -1
                                        ; implicit-def: $vgpr10
	s_branch .LBB216_2470
.LBB216_2466:
	s_mov_b64 s[10:11], -1
                                        ; implicit-def: $vgpr10
.LBB216_2467:
	s_and_b64 vcc, exec, s[10:11]
	s_cbranch_vccz .LBB216_2469
; %bb.2468:
	global_load_ubyte v5, v[8:9], off
	s_mov_b32 s10, 0x7f800000
	s_waitcnt vmcnt(0)
	v_lshlrev_b32_e32 v5, 24, v5
	v_and_b32_e32 v10, 0x7f000000, v5
	v_ffbh_u32_e32 v11, v10
	v_min_u32_e32 v11, 32, v11
	v_sub_u32_e64 v11, v11, 4 clamp
	v_lshlrev_b32_e32 v15, v11, v10
	v_lshlrev_b32_e32 v11, 23, v11
	v_lshrrev_b32_e32 v15, 4, v15
	v_add_u32_e32 v13, 0x1000000, v10
	v_sub_u32_e32 v11, v15, v11
	v_ashrrev_i32_e32 v13, 8, v13
	v_add_u32_e32 v11, 0x3c000000, v11
	v_and_or_b32 v11, v13, s10, v11
	v_cmp_ne_u32_e32 vcc, 0, v10
	v_cndmask_b32_e32 v10, 0, v11, vcc
	s_brev_b32 s10, 1
	v_and_or_b32 v5, v5, s10, v10
	v_cvt_f16_f32_e32 v10, v5
.LBB216_2469:
	s_mov_b64 s[10:11], 0
.LBB216_2470:
	s_andn2_b64 vcc, exec, s[10:11]
	s_cbranch_vccnz .LBB216_2472
; %bb.2471:
	global_load_ubyte v5, v[8:9], off
	s_movk_i32 s10, 0x7f00
	s_brev_b32 s11, 16
	s_waitcnt vmcnt(0)
	v_lshlrev_b16_e32 v10, 8, v5
	v_lshlrev_b32_e32 v5, 25, v5
	v_lshrrev_b32_e32 v11, 4, v5
	v_and_or_b32 v13, v10, s10, 0.5
	v_or_b32_e32 v11, 0x70000000, v11
	v_add_f32_e32 v13, -0.5, v13
	v_mul_f32_e32 v11, 0x7800000, v11
	v_cmp_gt_u32_e32 vcc, s11, v5
	v_bfe_i32 v10, v10, 0, 16
	v_cndmask_b32_e32 v5, v11, v13, vcc
	s_brev_b32 s10, 1
	v_and_or_b32 v5, v10, s10, v5
	v_cvt_f16_f32_e32 v10, v5
.LBB216_2472:
	s_mov_b64 s[10:11], 0
	s_mov_b64 s[16:17], -1
.LBB216_2473:
	s_andn2_b64 vcc, exec, s[10:11]
	s_mov_b64 s[10:11], 0
	s_cbranch_vccnz .LBB216_2484
; %bb.2474:
	s_cmp_gt_i32 s22, 14
	s_cbranch_scc0 .LBB216_2477
; %bb.2475:
	s_cmp_eq_u32 s22, 15
	s_cbranch_scc0 .LBB216_2480
; %bb.2476:
	global_load_ushort v5, v[8:9], off
	s_mov_b64 s[6:7], 0
	s_mov_b64 s[16:17], -1
	s_waitcnt vmcnt(0)
	v_lshlrev_b32_e32 v5, 16, v5
	v_cvt_f16_f32_e32 v10, v5
	s_branch .LBB216_2481
.LBB216_2477:
	s_mov_b64 s[18:19], -1
                                        ; implicit-def: $vgpr10
	s_branch .LBB216_2482
.LBB216_2478:
	s_or_saveexec_b64 s[16:17], s[16:17]
	v_mov_b32_e32 v10, 0x7e00
	s_xor_b64 exec, exec, s[16:17]
	s_cbranch_execz .LBB216_2459
.LBB216_2479:
	v_cmp_ne_u16_e32 vcc, 0, v5
	s_andn2_b64 s[10:11], s[10:11], exec
	s_and_b64 s[18:19], vcc, exec
	s_or_b64 s[10:11], s[10:11], s[18:19]
	v_mov_b32_e32 v10, v5
	s_or_b64 exec, exec, s[16:17]
	s_and_saveexec_b64 s[16:17], s[10:11]
	s_cbranch_execnz .LBB216_2460
	s_branch .LBB216_2461
.LBB216_2480:
	s_mov_b64 s[6:7], -1
                                        ; implicit-def: $vgpr10
.LBB216_2481:
	s_mov_b64 s[18:19], 0
.LBB216_2482:
	s_and_b64 vcc, exec, s[18:19]
	s_cbranch_vccz .LBB216_2484
; %bb.2483:
	s_cmp_lg_u32 s22, 11
	s_mov_b64 s[10:11], -1
	s_cselect_b64 s[6:7], -1, 0
.LBB216_2484:
	s_and_b64 vcc, exec, s[6:7]
	s_cbranch_vccnz .LBB216_2549
; %bb.2485:
	s_andn2_b64 vcc, exec, s[10:11]
	s_cbranch_vccnz .LBB216_2487
.LBB216_2486:
	global_load_ubyte v5, v[8:9], off
	v_mov_b32_e32 v10, 0x3c00
	s_mov_b64 s[16:17], -1
	s_waitcnt vmcnt(0)
	v_cmp_ne_u16_e32 vcc, 0, v5
	v_cndmask_b32_e32 v10, 0, v10, vcc
.LBB216_2487:
	s_mov_b64 s[6:7], 0
.LBB216_2488:
	s_and_b64 vcc, exec, s[6:7]
	s_cbranch_vccz .LBB216_2537
; %bb.2489:
	s_and_b32 s10, 0xffff, s24
	s_cmp_lt_i32 s10, 5
	s_cbranch_scc1 .LBB216_2494
; %bb.2490:
	s_cmp_lt_i32 s10, 8
	s_cbranch_scc1 .LBB216_2495
; %bb.2491:
	;; [unrolled: 3-line block ×3, first 2 shown]
	s_cmp_gt_i32 s10, 9
	s_cbranch_scc0 .LBB216_2497
; %bb.2493:
	global_load_dwordx2 v[10:11], v[8:9], off
	s_movk_i32 s6, 0x1ff
	s_movk_i32 s7, 0xffe
	v_mov_b32_e32 v5, 0x7c00
	v_mov_b32_e32 v13, 0x7e00
	s_movk_i32 s11, 0x40f
	s_mov_b32 s16, 0x8000
	s_waitcnt vmcnt(0)
	v_and_or_b32 v10, v11, s6, v10
	v_cmp_ne_u32_e32 vcc, 0, v10
	v_lshrrev_b32_e32 v15, 8, v11
	v_bfe_u32 v17, v11, 20, 11
	v_cndmask_b32_e64 v10, 0, 1, vcc
	v_sub_u32_e32 v19, 0x3f1, v17
	v_and_or_b32 v10, v15, s7, v10
	v_add_u32_e32 v17, 0xfffffc10, v17
	v_med3_i32 v15, v19, 0, 13
	v_or_b32_e32 v19, 0x1000, v10
	v_cmp_ne_u32_e32 vcc, 0, v10
	v_lshl_or_b32 v20, v17, 12, v10
	v_cndmask_b32_e32 v10, v5, v13, vcc
	v_lshrrev_b32_e32 v13, v15, v19
	v_lshlrev_b32_e32 v15, v15, v13
	v_cmp_ne_u32_e32 vcc, v15, v19
	v_cndmask_b32_e64 v15, 0, 1, vcc
	v_or_b32_e32 v13, v13, v15
	v_cmp_gt_i32_e32 vcc, 1, v17
	v_cndmask_b32_e32 v13, v20, v13, vcc
	v_and_b32_e32 v15, 7, v13
	v_cmp_lt_i32_e32 vcc, 5, v15
	v_cndmask_b32_e64 v19, 0, 1, vcc
	v_cmp_eq_u32_e32 vcc, 3, v15
	v_cndmask_b32_e64 v15, 0, 1, vcc
	v_lshrrev_b32_e32 v13, 2, v13
	v_or_b32_e32 v15, v15, v19
	v_add_u32_e32 v13, v13, v15
	v_cmp_gt_i32_e32 vcc, 31, v17
	v_cndmask_b32_e32 v5, v5, v13, vcc
	v_cmp_eq_u32_e32 vcc, s11, v17
	v_lshrrev_b32_e32 v11, 16, v11
	v_cndmask_b32_e32 v5, v5, v10, vcc
	v_and_or_b32 v10, v11, s16, v5
	s_mov_b64 s[6:7], 0
	s_branch .LBB216_2498
.LBB216_2494:
	s_mov_b64 s[6:7], -1
                                        ; implicit-def: $vgpr10
	s_branch .LBB216_2516
.LBB216_2495:
	s_mov_b64 s[6:7], -1
                                        ; implicit-def: $vgpr10
	s_branch .LBB216_2504
.LBB216_2496:
	s_mov_b64 s[6:7], -1
                                        ; implicit-def: $vgpr10
	s_branch .LBB216_2501
.LBB216_2497:
	s_mov_b64 s[6:7], -1
                                        ; implicit-def: $vgpr10
.LBB216_2498:
	s_andn2_b64 vcc, exec, s[6:7]
	s_cbranch_vccnz .LBB216_2500
; %bb.2499:
	global_load_dword v5, v[8:9], off
	s_waitcnt vmcnt(0)
	v_cvt_f16_f32_e32 v10, v5
.LBB216_2500:
	s_mov_b64 s[6:7], 0
.LBB216_2501:
	s_andn2_b64 vcc, exec, s[6:7]
	s_cbranch_vccnz .LBB216_2503
; %bb.2502:
	global_load_dword v10, v[8:9], off
.LBB216_2503:
	s_mov_b64 s[6:7], 0
.LBB216_2504:
	s_andn2_b64 vcc, exec, s[6:7]
	s_cbranch_vccnz .LBB216_2515
; %bb.2505:
	s_cmp_lt_i32 s10, 6
	s_cbranch_scc1 .LBB216_2508
; %bb.2506:
	s_cmp_gt_i32 s10, 6
	s_cbranch_scc0 .LBB216_2509
; %bb.2507:
	global_load_dwordx2 v[10:11], v[8:9], off
	s_movk_i32 s6, 0x1ff
	s_movk_i32 s7, 0xffe
	v_mov_b32_e32 v5, 0x7c00
	v_mov_b32_e32 v13, 0x7e00
	s_movk_i32 s11, 0x40f
	s_mov_b32 s16, 0x8000
	s_waitcnt vmcnt(0)
	v_and_or_b32 v10, v11, s6, v10
	v_cmp_ne_u32_e32 vcc, 0, v10
	v_lshrrev_b32_e32 v15, 8, v11
	v_bfe_u32 v17, v11, 20, 11
	v_cndmask_b32_e64 v10, 0, 1, vcc
	v_sub_u32_e32 v19, 0x3f1, v17
	v_and_or_b32 v10, v15, s7, v10
	v_add_u32_e32 v17, 0xfffffc10, v17
	v_med3_i32 v15, v19, 0, 13
	v_or_b32_e32 v19, 0x1000, v10
	v_cmp_ne_u32_e32 vcc, 0, v10
	v_lshl_or_b32 v20, v17, 12, v10
	v_cndmask_b32_e32 v10, v5, v13, vcc
	v_lshrrev_b32_e32 v13, v15, v19
	v_lshlrev_b32_e32 v15, v15, v13
	v_cmp_ne_u32_e32 vcc, v15, v19
	v_cndmask_b32_e64 v15, 0, 1, vcc
	v_or_b32_e32 v13, v13, v15
	v_cmp_gt_i32_e32 vcc, 1, v17
	v_cndmask_b32_e32 v13, v20, v13, vcc
	v_and_b32_e32 v15, 7, v13
	v_cmp_lt_i32_e32 vcc, 5, v15
	v_cndmask_b32_e64 v19, 0, 1, vcc
	v_cmp_eq_u32_e32 vcc, 3, v15
	v_cndmask_b32_e64 v15, 0, 1, vcc
	v_lshrrev_b32_e32 v13, 2, v13
	v_or_b32_e32 v15, v15, v19
	v_add_u32_e32 v13, v13, v15
	v_cmp_gt_i32_e32 vcc, 31, v17
	v_cndmask_b32_e32 v5, v5, v13, vcc
	v_cmp_eq_u32_e32 vcc, s11, v17
	v_lshrrev_b32_e32 v11, 16, v11
	v_cndmask_b32_e32 v5, v5, v10, vcc
	v_and_or_b32 v10, v11, s16, v5
	s_mov_b64 s[6:7], 0
	s_branch .LBB216_2510
.LBB216_2508:
	s_mov_b64 s[6:7], -1
                                        ; implicit-def: $vgpr10
	s_branch .LBB216_2513
.LBB216_2509:
	s_mov_b64 s[6:7], -1
                                        ; implicit-def: $vgpr10
.LBB216_2510:
	s_andn2_b64 vcc, exec, s[6:7]
	s_cbranch_vccnz .LBB216_2512
; %bb.2511:
	global_load_dword v5, v[8:9], off
	s_waitcnt vmcnt(0)
	v_cvt_f16_f32_e32 v10, v5
.LBB216_2512:
	s_mov_b64 s[6:7], 0
.LBB216_2513:
	s_andn2_b64 vcc, exec, s[6:7]
	s_cbranch_vccnz .LBB216_2515
; %bb.2514:
	global_load_ushort v10, v[8:9], off
.LBB216_2515:
	s_mov_b64 s[6:7], 0
.LBB216_2516:
	s_andn2_b64 vcc, exec, s[6:7]
	s_cbranch_vccnz .LBB216_2536
; %bb.2517:
	s_cmp_lt_i32 s10, 2
	s_cbranch_scc1 .LBB216_2521
; %bb.2518:
	s_cmp_lt_i32 s10, 3
	s_cbranch_scc1 .LBB216_2522
; %bb.2519:
	s_cmp_gt_i32 s10, 3
	s_cbranch_scc0 .LBB216_2523
; %bb.2520:
	global_load_dwordx2 v[10:11], v[8:9], off
	s_mov_b64 s[6:7], 0
	s_waitcnt vmcnt(0)
	v_xor_b32_e32 v13, v10, v11
	v_ffbh_i32_e32 v5, v11
	v_ashrrev_i32_e32 v13, 31, v13
	v_add_u32_e32 v5, -1, v5
	v_add_u32_e32 v13, 32, v13
	v_min_u32_e32 v5, v5, v13
	v_lshlrev_b64 v[10:11], v5, v[10:11]
	v_sub_u32_e32 v5, 32, v5
	v_min_u32_e32 v10, 1, v10
	v_or_b32_e32 v10, v11, v10
	v_cvt_f32_i32_e32 v10, v10
	v_ldexp_f32 v5, v10, v5
	v_cvt_f16_f32_e32 v10, v5
	s_branch .LBB216_2524
.LBB216_2521:
	s_mov_b64 s[6:7], -1
                                        ; implicit-def: $vgpr10
	s_branch .LBB216_2530
.LBB216_2522:
	s_mov_b64 s[6:7], -1
                                        ; implicit-def: $vgpr10
	s_branch .LBB216_2527
.LBB216_2523:
	s_mov_b64 s[6:7], -1
                                        ; implicit-def: $vgpr10
.LBB216_2524:
	s_andn2_b64 vcc, exec, s[6:7]
	s_cbranch_vccnz .LBB216_2526
; %bb.2525:
	global_load_dword v5, v[8:9], off
	s_waitcnt vmcnt(0)
	v_cvt_f32_i32_e32 v5, v5
	v_cvt_f16_f32_e32 v10, v5
.LBB216_2526:
	s_mov_b64 s[6:7], 0
.LBB216_2527:
	s_andn2_b64 vcc, exec, s[6:7]
	s_cbranch_vccnz .LBB216_2529
; %bb.2528:
	global_load_ushort v5, v[8:9], off
	s_waitcnt vmcnt(0)
	v_cvt_f16_i16_e32 v10, v5
.LBB216_2529:
	s_mov_b64 s[6:7], 0
.LBB216_2530:
	s_andn2_b64 vcc, exec, s[6:7]
	s_cbranch_vccnz .LBB216_2536
; %bb.2531:
	s_cmp_gt_i32 s10, 0
	s_cbranch_scc0 .LBB216_2533
; %bb.2532:
	global_load_sbyte v5, v[8:9], off
	s_mov_b64 s[6:7], 0
	s_waitcnt vmcnt(0)
	v_cvt_f16_i16_e32 v10, v5
	s_branch .LBB216_2534
.LBB216_2533:
	s_mov_b64 s[6:7], -1
                                        ; implicit-def: $vgpr10
.LBB216_2534:
	s_andn2_b64 vcc, exec, s[6:7]
	s_cbranch_vccnz .LBB216_2536
; %bb.2535:
	global_load_ubyte v5, v[8:9], off
	s_waitcnt vmcnt(0)
	v_cvt_f16_u16_e32 v10, v5
.LBB216_2536:
	s_mov_b64 s[16:17], -1
.LBB216_2537:
	s_andn2_b64 vcc, exec, s[16:17]
	s_cbranch_vccnz .LBB216_3101
; %bb.2538:
	v_mov_b32_e32 v5, s1
	v_add_co_u32_e32 v7, vcc, s0, v7
	s_cmp_lt_i32 s25, 11
	v_addc_co_u32_e32 v8, vcc, 0, v5, vcc
	s_cbranch_scc1 .LBB216_2545
; %bb.2539:
	s_and_b32 s20, 0xffff, s25
	s_cmp_gt_i32 s20, 25
	s_mov_b64 s[6:7], 0
	s_cbranch_scc0 .LBB216_2546
; %bb.2540:
	s_cmp_gt_i32 s20, 28
	s_cbranch_scc0 .LBB216_2547
; %bb.2541:
	s_cmp_gt_i32 s20, 43
	;; [unrolled: 3-line block ×3, first 2 shown]
	s_cbranch_scc0 .LBB216_2550
; %bb.2543:
	s_cmp_eq_u32 s20, 46
	s_mov_b64 s[16:17], 0
	s_cbranch_scc0 .LBB216_2551
; %bb.2544:
	global_load_dword v5, v[7:8], off
	s_mov_b64 s[0:1], 0
	s_mov_b64 s[10:11], -1
	s_waitcnt vmcnt(0)
	v_lshlrev_b32_e32 v5, 16, v5
	v_cvt_f16_f32_e32 v9, v5
	s_branch .LBB216_2552
.LBB216_2545:
	s_mov_b64 s[0:1], -1
	s_mov_b64 s[10:11], 0
                                        ; implicit-def: $vgpr9
	s_branch .LBB216_2618
.LBB216_2546:
	s_mov_b64 s[16:17], -1
	s_mov_b64 s[10:11], 0
	s_mov_b64 s[0:1], 0
                                        ; implicit-def: $vgpr9
	s_branch .LBB216_2581
.LBB216_2547:
	s_mov_b64 s[16:17], -1
	s_mov_b64 s[10:11], 0
	s_mov_b64 s[0:1], 0
                                        ; implicit-def: $vgpr9
	s_branch .LBB216_2562
.LBB216_2548:
	s_mov_b64 s[16:17], -1
	s_mov_b64 s[10:11], 0
	s_mov_b64 s[0:1], 0
                                        ; implicit-def: $vgpr9
	s_branch .LBB216_2557
.LBB216_2549:
	s_trap 2
	s_or_b64 s[4:5], s[4:5], exec
	s_cbranch_execz .LBB216_2486
	s_branch .LBB216_2487
.LBB216_2550:
	s_mov_b64 s[16:17], -1
	s_mov_b64 s[10:11], 0
	s_mov_b64 s[0:1], 0
                                        ; implicit-def: $vgpr9
	s_branch .LBB216_2552
.LBB216_2551:
	s_mov_b64 s[0:1], -1
                                        ; implicit-def: $vgpr9
	s_mov_b64 s[10:11], 0
.LBB216_2552:
	s_and_b64 vcc, exec, s[16:17]
	s_cbranch_vccz .LBB216_2556
; %bb.2553:
	s_cmp_eq_u32 s20, 44
	s_cbranch_scc0 .LBB216_2555
; %bb.2554:
	global_load_ubyte v5, v[7:8], off
	s_movk_i32 s10, 0xff
	v_mov_b32_e32 v11, 0x7e00
	s_mov_b64 s[0:1], 0
	s_waitcnt vmcnt(0)
	v_lshlrev_b32_e32 v9, 23, v5
	v_cvt_f16_f32_e32 v9, v9
	v_cmp_ne_u32_e32 vcc, s10, v5
	s_mov_b64 s[10:11], -1
	v_cndmask_b32_e32 v9, v11, v9, vcc
	v_cmp_ne_u32_e32 vcc, 0, v5
	v_cndmask_b32_e32 v9, 0, v9, vcc
	s_branch .LBB216_2556
.LBB216_2555:
	s_mov_b64 s[0:1], -1
                                        ; implicit-def: $vgpr9
.LBB216_2556:
	s_mov_b64 s[16:17], 0
.LBB216_2557:
	s_and_b64 vcc, exec, s[16:17]
	s_cbranch_vccz .LBB216_2561
; %bb.2558:
	s_cmp_eq_u32 s20, 29
	s_cbranch_scc0 .LBB216_2560
; %bb.2559:
	global_load_dwordx2 v[19:20], v[7:8], off
	s_mov_b64 s[0:1], 0
	s_mov_b64 s[10:11], -1
	s_mov_b64 s[16:17], 0
	s_waitcnt vmcnt(0)
	v_ffbh_u32_e32 v5, v20
	v_min_u32_e32 v5, 32, v5
	v_lshlrev_b64 v[19:20], v5, v[19:20]
	v_sub_u32_e32 v5, 32, v5
	v_min_u32_e32 v9, 1, v19
	v_or_b32_e32 v9, v20, v9
	v_cvt_f32_u32_e32 v9, v9
	v_ldexp_f32 v5, v9, v5
	v_cvt_f16_f32_e32 v9, v5
	s_branch .LBB216_2562
.LBB216_2560:
	s_mov_b64 s[0:1], -1
                                        ; implicit-def: $vgpr9
.LBB216_2561:
	s_mov_b64 s[16:17], 0
.LBB216_2562:
	s_and_b64 vcc, exec, s[16:17]
	s_cbranch_vccz .LBB216_2580
; %bb.2563:
	s_cmp_lt_i32 s20, 27
	s_cbranch_scc1 .LBB216_2566
; %bb.2564:
	s_cmp_gt_i32 s20, 27
	s_cbranch_scc0 .LBB216_2567
; %bb.2565:
	global_load_dword v5, v[7:8], off
	s_mov_b64 s[10:11], 0
	s_waitcnt vmcnt(0)
	v_cvt_f32_u32_e32 v5, v5
	v_cvt_f16_f32_e32 v9, v5
	s_branch .LBB216_2568
.LBB216_2566:
	s_mov_b64 s[10:11], -1
                                        ; implicit-def: $vgpr9
	s_branch .LBB216_2571
.LBB216_2567:
	s_mov_b64 s[10:11], -1
                                        ; implicit-def: $vgpr9
.LBB216_2568:
	s_andn2_b64 vcc, exec, s[10:11]
	s_cbranch_vccnz .LBB216_2570
; %bb.2569:
	global_load_ushort v5, v[7:8], off
	s_waitcnt vmcnt(0)
	v_cvt_f16_u16_e32 v9, v5
.LBB216_2570:
	s_mov_b64 s[10:11], 0
.LBB216_2571:
	s_andn2_b64 vcc, exec, s[10:11]
	s_cbranch_vccnz .LBB216_2579
; %bb.2572:
	global_load_ubyte v5, v[7:8], off
	s_movk_i32 s10, 0x7f
	s_waitcnt vmcnt(0)
	v_cmp_lt_i16_e32 vcc, s10, v5
	s_mov_b64 s[10:11], 0
	s_and_saveexec_b64 s[16:17], vcc
	s_xor_b64 s[16:17], exec, s[16:17]
	s_cbranch_execz .LBB216_2593
; %bb.2573:
	s_movk_i32 s10, 0x80
	v_cmp_eq_u16_e32 vcc, s10, v5
	s_mov_b64 s[10:11], -1
	s_and_saveexec_b64 s[18:19], vcc
; %bb.2574:
	s_xor_b64 s[10:11], exec, -1
; %bb.2575:
	s_or_b64 exec, exec, s[18:19]
	s_and_b64 s[10:11], s[10:11], exec
	s_or_saveexec_b64 s[16:17], s[16:17]
	v_mov_b32_e32 v9, 0x7e00
	s_xor_b64 exec, exec, s[16:17]
	s_cbranch_execnz .LBB216_2594
.LBB216_2576:
	s_or_b64 exec, exec, s[16:17]
	s_and_saveexec_b64 s[16:17], s[10:11]
	s_cbranch_execz .LBB216_2578
.LBB216_2577:
	v_lshlrev_b32_e32 v9, 24, v5
	v_and_b32_e32 v5, 0xffff, v5
	v_and_b32_e32 v11, 7, v5
	v_ffbh_u32_e32 v15, v11
	v_min_u32_e32 v15, 32, v15
	v_subrev_u32_e32 v17, 28, v15
	v_bfe_u32 v13, v5, 3, 4
	v_lshlrev_b32_e32 v5, v17, v5
	v_sub_u32_e32 v15, 29, v15
	v_and_b32_e32 v5, 7, v5
	v_cmp_eq_u32_e32 vcc, 0, v13
	v_cndmask_b32_e32 v13, v13, v15, vcc
	v_cndmask_b32_e32 v5, v11, v5, vcc
	v_mov_b32_e32 v11, 0x3b800000
	v_lshlrev_b32_e32 v5, 20, v5
	v_and_b32_e32 v9, 0x80000000, v9
	v_lshl_add_u32 v11, v13, 23, v11
	v_or3_b32 v5, v9, v11, v5
	v_cvt_f16_f32_e32 v9, v5
.LBB216_2578:
	s_or_b64 exec, exec, s[16:17]
.LBB216_2579:
	s_mov_b64 s[10:11], -1
.LBB216_2580:
	s_mov_b64 s[16:17], 0
.LBB216_2581:
	s_and_b64 vcc, exec, s[16:17]
	s_cbranch_vccz .LBB216_2614
; %bb.2582:
	s_cmp_gt_i32 s20, 22
	s_cbranch_scc0 .LBB216_2592
; %bb.2583:
	s_cmp_lt_i32 s20, 24
	s_cbranch_scc1 .LBB216_2595
; %bb.2584:
	s_cmp_gt_i32 s20, 24
	s_cbranch_scc0 .LBB216_2596
; %bb.2585:
	global_load_ubyte v5, v[7:8], off
	s_movk_i32 s6, 0x7f
	s_waitcnt vmcnt(0)
	v_cmp_lt_i16_e32 vcc, s6, v5
	s_mov_b64 s[6:7], 0
	s_and_saveexec_b64 s[10:11], vcc
	s_xor_b64 s[10:11], exec, s[10:11]
	s_cbranch_execz .LBB216_2608
; %bb.2586:
	s_movk_i32 s6, 0x80
	v_cmp_eq_u16_e32 vcc, s6, v5
	s_mov_b64 s[6:7], -1
	s_and_saveexec_b64 s[16:17], vcc
; %bb.2587:
	s_xor_b64 s[6:7], exec, -1
; %bb.2588:
	s_or_b64 exec, exec, s[16:17]
	s_and_b64 s[6:7], s[6:7], exec
	s_or_saveexec_b64 s[10:11], s[10:11]
	v_mov_b32_e32 v9, 0x7e00
	s_xor_b64 exec, exec, s[10:11]
	s_cbranch_execnz .LBB216_2609
.LBB216_2589:
	s_or_b64 exec, exec, s[10:11]
	s_and_saveexec_b64 s[10:11], s[6:7]
	s_cbranch_execz .LBB216_2591
.LBB216_2590:
	v_lshlrev_b32_e32 v9, 24, v5
	v_and_b32_e32 v5, 0xffff, v5
	v_and_b32_e32 v11, 3, v5
	v_ffbh_u32_e32 v15, v11
	v_min_u32_e32 v15, 32, v15
	v_subrev_u32_e32 v17, 29, v15
	v_bfe_u32 v13, v5, 2, 5
	v_lshlrev_b32_e32 v5, v17, v5
	v_sub_u32_e32 v15, 30, v15
	v_and_b32_e32 v5, 3, v5
	v_cmp_eq_u32_e32 vcc, 0, v13
	v_cndmask_b32_e32 v13, v13, v15, vcc
	v_cndmask_b32_e32 v5, v11, v5, vcc
	v_mov_b32_e32 v11, 0x37800000
	v_lshlrev_b32_e32 v5, 21, v5
	v_and_b32_e32 v9, 0x80000000, v9
	v_lshl_add_u32 v11, v13, 23, v11
	v_or3_b32 v5, v9, v11, v5
	v_cvt_f16_f32_e32 v9, v5
.LBB216_2591:
	s_or_b64 exec, exec, s[10:11]
	s_mov_b64 s[6:7], 0
	s_branch .LBB216_2597
.LBB216_2592:
	s_mov_b64 s[6:7], -1
                                        ; implicit-def: $vgpr9
	s_branch .LBB216_2603
.LBB216_2593:
	s_or_saveexec_b64 s[16:17], s[16:17]
	v_mov_b32_e32 v9, 0x7e00
	s_xor_b64 exec, exec, s[16:17]
	s_cbranch_execz .LBB216_2576
.LBB216_2594:
	v_cmp_ne_u16_e32 vcc, 0, v5
	s_andn2_b64 s[10:11], s[10:11], exec
	s_and_b64 s[18:19], vcc, exec
	s_or_b64 s[10:11], s[10:11], s[18:19]
	v_mov_b32_e32 v9, v5
	s_or_b64 exec, exec, s[16:17]
	s_and_saveexec_b64 s[16:17], s[10:11]
	s_cbranch_execnz .LBB216_2577
	s_branch .LBB216_2578
.LBB216_2595:
	s_mov_b64 s[6:7], -1
                                        ; implicit-def: $vgpr9
	s_branch .LBB216_2600
.LBB216_2596:
	s_mov_b64 s[6:7], -1
                                        ; implicit-def: $vgpr9
.LBB216_2597:
	s_and_b64 vcc, exec, s[6:7]
	s_cbranch_vccz .LBB216_2599
; %bb.2598:
	global_load_ubyte v5, v[7:8], off
	s_mov_b32 s6, 0x7f800000
	s_waitcnt vmcnt(0)
	v_lshlrev_b32_e32 v5, 24, v5
	v_and_b32_e32 v9, 0x7f000000, v5
	v_ffbh_u32_e32 v11, v9
	v_min_u32_e32 v11, 32, v11
	v_sub_u32_e64 v11, v11, 4 clamp
	v_lshlrev_b32_e32 v15, v11, v9
	v_lshlrev_b32_e32 v11, 23, v11
	v_lshrrev_b32_e32 v15, 4, v15
	v_add_u32_e32 v13, 0x1000000, v9
	v_sub_u32_e32 v11, v15, v11
	v_ashrrev_i32_e32 v13, 8, v13
	v_add_u32_e32 v11, 0x3c000000, v11
	v_and_or_b32 v11, v13, s6, v11
	v_cmp_ne_u32_e32 vcc, 0, v9
	v_cndmask_b32_e32 v9, 0, v11, vcc
	s_brev_b32 s6, 1
	v_and_or_b32 v5, v5, s6, v9
	v_cvt_f16_f32_e32 v9, v5
.LBB216_2599:
	s_mov_b64 s[6:7], 0
.LBB216_2600:
	s_andn2_b64 vcc, exec, s[6:7]
	s_cbranch_vccnz .LBB216_2602
; %bb.2601:
	global_load_ubyte v5, v[7:8], off
	s_movk_i32 s6, 0x7f00
	s_brev_b32 s7, 16
	s_waitcnt vmcnt(0)
	v_lshlrev_b16_e32 v9, 8, v5
	v_lshlrev_b32_e32 v5, 25, v5
	v_lshrrev_b32_e32 v11, 4, v5
	v_and_or_b32 v13, v9, s6, 0.5
	v_or_b32_e32 v11, 0x70000000, v11
	v_add_f32_e32 v13, -0.5, v13
	v_mul_f32_e32 v11, 0x7800000, v11
	v_cmp_gt_u32_e32 vcc, s7, v5
	v_bfe_i32 v9, v9, 0, 16
	v_cndmask_b32_e32 v5, v11, v13, vcc
	s_brev_b32 s6, 1
	v_and_or_b32 v5, v9, s6, v5
	v_cvt_f16_f32_e32 v9, v5
.LBB216_2602:
	s_mov_b64 s[6:7], 0
	s_mov_b64 s[10:11], -1
.LBB216_2603:
	s_andn2_b64 vcc, exec, s[6:7]
	s_mov_b64 s[6:7], 0
	s_cbranch_vccnz .LBB216_2614
; %bb.2604:
	s_cmp_gt_i32 s20, 14
	s_cbranch_scc0 .LBB216_2607
; %bb.2605:
	s_cmp_eq_u32 s20, 15
	s_cbranch_scc0 .LBB216_2610
; %bb.2606:
	global_load_ushort v5, v[7:8], off
	s_mov_b64 s[0:1], 0
	s_mov_b64 s[10:11], -1
	s_waitcnt vmcnt(0)
	v_lshlrev_b32_e32 v5, 16, v5
	v_cvt_f16_f32_e32 v9, v5
	s_branch .LBB216_2611
.LBB216_2607:
	s_mov_b64 s[16:17], -1
                                        ; implicit-def: $vgpr9
	s_branch .LBB216_2612
.LBB216_2608:
	s_or_saveexec_b64 s[10:11], s[10:11]
	v_mov_b32_e32 v9, 0x7e00
	s_xor_b64 exec, exec, s[10:11]
	s_cbranch_execz .LBB216_2589
.LBB216_2609:
	v_cmp_ne_u16_e32 vcc, 0, v5
	s_andn2_b64 s[6:7], s[6:7], exec
	s_and_b64 s[16:17], vcc, exec
	s_or_b64 s[6:7], s[6:7], s[16:17]
	v_mov_b32_e32 v9, v5
	s_or_b64 exec, exec, s[10:11]
	s_and_saveexec_b64 s[10:11], s[6:7]
	s_cbranch_execnz .LBB216_2590
	s_branch .LBB216_2591
.LBB216_2610:
	s_mov_b64 s[0:1], -1
                                        ; implicit-def: $vgpr9
.LBB216_2611:
	s_mov_b64 s[16:17], 0
.LBB216_2612:
	s_and_b64 vcc, exec, s[16:17]
	s_cbranch_vccz .LBB216_2614
; %bb.2613:
	s_cmp_lg_u32 s20, 11
	s_mov_b64 s[6:7], -1
	s_cselect_b64 s[0:1], -1, 0
.LBB216_2614:
	s_and_b64 vcc, exec, s[0:1]
	s_cbranch_vccnz .LBB216_3147
; %bb.2615:
	s_andn2_b64 vcc, exec, s[6:7]
	s_cbranch_vccnz .LBB216_2617
.LBB216_2616:
	global_load_ubyte v5, v[7:8], off
	v_mov_b32_e32 v9, 0x3c00
	s_mov_b64 s[10:11], -1
	s_waitcnt vmcnt(0)
	v_cmp_ne_u16_e32 vcc, 0, v5
	v_cndmask_b32_e32 v9, 0, v9, vcc
.LBB216_2617:
	s_mov_b64 s[0:1], 0
.LBB216_2618:
	s_and_b64 vcc, exec, s[0:1]
	s_cbranch_vccz .LBB216_2667
; %bb.2619:
	s_and_b32 s6, 0xffff, s25
	s_cmp_lt_i32 s6, 5
	s_cbranch_scc1 .LBB216_2624
; %bb.2620:
	s_cmp_lt_i32 s6, 8
	s_cbranch_scc1 .LBB216_2625
; %bb.2621:
	;; [unrolled: 3-line block ×3, first 2 shown]
	s_cmp_gt_i32 s6, 9
	s_cbranch_scc0 .LBB216_2627
; %bb.2623:
	global_load_dwordx2 v[19:20], v[7:8], off
	s_movk_i32 s0, 0x1ff
	s_movk_i32 s1, 0xffe
	v_mov_b32_e32 v5, 0x7c00
	v_mov_b32_e32 v9, 0x7e00
	s_movk_i32 s7, 0x40f
	s_mov_b32 s10, 0x8000
	s_waitcnt vmcnt(0)
	v_and_or_b32 v11, v20, s0, v19
	v_cmp_ne_u32_e32 vcc, 0, v11
	v_lshrrev_b32_e32 v13, 8, v20
	v_bfe_u32 v15, v20, 20, 11
	v_cndmask_b32_e64 v11, 0, 1, vcc
	v_sub_u32_e32 v19, 0x3f1, v15
	v_and_or_b32 v11, v13, s1, v11
	v_add_u32_e32 v15, 0xfffffc10, v15
	v_med3_i32 v13, v19, 0, 13
	v_or_b32_e32 v19, 0x1000, v11
	v_lshrrev_b32_e32 v17, 16, v20
	v_lshl_or_b32 v20, v15, 12, v11
	v_cmp_ne_u32_e32 vcc, 0, v11
	v_lshrrev_b32_e32 v11, v13, v19
	v_lshlrev_b32_e32 v13, v13, v11
	v_cndmask_b32_e32 v9, v5, v9, vcc
	v_cmp_ne_u32_e32 vcc, v13, v19
	v_cndmask_b32_e64 v13, 0, 1, vcc
	v_or_b32_e32 v11, v11, v13
	v_cmp_gt_i32_e32 vcc, 1, v15
	v_cndmask_b32_e32 v11, v20, v11, vcc
	v_and_b32_e32 v13, 7, v11
	v_cmp_lt_i32_e32 vcc, 5, v13
	v_cndmask_b32_e64 v19, 0, 1, vcc
	v_cmp_eq_u32_e32 vcc, 3, v13
	v_cndmask_b32_e64 v13, 0, 1, vcc
	v_lshrrev_b32_e32 v11, 2, v11
	v_or_b32_e32 v13, v13, v19
	v_add_u32_e32 v11, v11, v13
	v_cmp_gt_i32_e32 vcc, 31, v15
	v_cndmask_b32_e32 v5, v5, v11, vcc
	v_cmp_eq_u32_e32 vcc, s7, v15
	v_cndmask_b32_e32 v5, v5, v9, vcc
	v_and_or_b32 v9, v17, s10, v5
	s_mov_b64 s[0:1], 0
	s_branch .LBB216_2628
.LBB216_2624:
	s_mov_b64 s[0:1], -1
                                        ; implicit-def: $vgpr9
	s_branch .LBB216_2646
.LBB216_2625:
	s_mov_b64 s[0:1], -1
                                        ; implicit-def: $vgpr9
	s_branch .LBB216_2634
.LBB216_2626:
	s_mov_b64 s[0:1], -1
                                        ; implicit-def: $vgpr9
	s_branch .LBB216_2631
.LBB216_2627:
	s_mov_b64 s[0:1], -1
                                        ; implicit-def: $vgpr9
.LBB216_2628:
	s_andn2_b64 vcc, exec, s[0:1]
	s_cbranch_vccnz .LBB216_2630
; %bb.2629:
	global_load_dword v5, v[7:8], off
	s_waitcnt vmcnt(0)
	v_cvt_f16_f32_e32 v9, v5
.LBB216_2630:
	s_mov_b64 s[0:1], 0
.LBB216_2631:
	s_andn2_b64 vcc, exec, s[0:1]
	s_cbranch_vccnz .LBB216_2633
; %bb.2632:
	global_load_dword v9, v[7:8], off
.LBB216_2633:
	s_mov_b64 s[0:1], 0
.LBB216_2634:
	s_andn2_b64 vcc, exec, s[0:1]
	s_cbranch_vccnz .LBB216_2645
; %bb.2635:
	s_cmp_lt_i32 s6, 6
	s_cbranch_scc1 .LBB216_2638
; %bb.2636:
	s_cmp_gt_i32 s6, 6
	s_cbranch_scc0 .LBB216_2639
; %bb.2637:
	global_load_dwordx2 v[19:20], v[7:8], off
	s_movk_i32 s0, 0x1ff
	s_movk_i32 s1, 0xffe
	v_mov_b32_e32 v5, 0x7c00
	s_waitcnt vmcnt(1)
	v_mov_b32_e32 v9, 0x7e00
	s_movk_i32 s7, 0x40f
	s_mov_b32 s10, 0x8000
	s_waitcnt vmcnt(0)
	v_and_or_b32 v11, v20, s0, v19
	v_cmp_ne_u32_e32 vcc, 0, v11
	v_lshrrev_b32_e32 v13, 8, v20
	v_bfe_u32 v15, v20, 20, 11
	v_cndmask_b32_e64 v11, 0, 1, vcc
	v_sub_u32_e32 v19, 0x3f1, v15
	v_and_or_b32 v11, v13, s1, v11
	v_add_u32_e32 v15, 0xfffffc10, v15
	v_med3_i32 v13, v19, 0, 13
	v_or_b32_e32 v19, 0x1000, v11
	v_lshrrev_b32_e32 v17, 16, v20
	v_lshl_or_b32 v20, v15, 12, v11
	v_cmp_ne_u32_e32 vcc, 0, v11
	v_lshrrev_b32_e32 v11, v13, v19
	v_lshlrev_b32_e32 v13, v13, v11
	v_cndmask_b32_e32 v9, v5, v9, vcc
	v_cmp_ne_u32_e32 vcc, v13, v19
	v_cndmask_b32_e64 v13, 0, 1, vcc
	v_or_b32_e32 v11, v11, v13
	v_cmp_gt_i32_e32 vcc, 1, v15
	v_cndmask_b32_e32 v11, v20, v11, vcc
	v_and_b32_e32 v13, 7, v11
	v_cmp_lt_i32_e32 vcc, 5, v13
	v_cndmask_b32_e64 v19, 0, 1, vcc
	v_cmp_eq_u32_e32 vcc, 3, v13
	v_cndmask_b32_e64 v13, 0, 1, vcc
	v_lshrrev_b32_e32 v11, 2, v11
	v_or_b32_e32 v13, v13, v19
	v_add_u32_e32 v11, v11, v13
	v_cmp_gt_i32_e32 vcc, 31, v15
	v_cndmask_b32_e32 v5, v5, v11, vcc
	v_cmp_eq_u32_e32 vcc, s7, v15
	v_cndmask_b32_e32 v5, v5, v9, vcc
	v_and_or_b32 v9, v17, s10, v5
	s_mov_b64 s[0:1], 0
	s_branch .LBB216_2640
.LBB216_2638:
	s_mov_b64 s[0:1], -1
                                        ; implicit-def: $vgpr9
	s_branch .LBB216_2643
.LBB216_2639:
	s_mov_b64 s[0:1], -1
                                        ; implicit-def: $vgpr9
.LBB216_2640:
	s_andn2_b64 vcc, exec, s[0:1]
	s_cbranch_vccnz .LBB216_2642
; %bb.2641:
	global_load_dword v5, v[7:8], off
	s_waitcnt vmcnt(0)
	v_cvt_f16_f32_e32 v9, v5
.LBB216_2642:
	s_mov_b64 s[0:1], 0
.LBB216_2643:
	s_andn2_b64 vcc, exec, s[0:1]
	s_cbranch_vccnz .LBB216_2645
; %bb.2644:
	global_load_ushort v9, v[7:8], off
.LBB216_2645:
	s_mov_b64 s[0:1], 0
.LBB216_2646:
	s_andn2_b64 vcc, exec, s[0:1]
	s_cbranch_vccnz .LBB216_2666
; %bb.2647:
	s_cmp_lt_i32 s6, 2
	s_cbranch_scc1 .LBB216_2651
; %bb.2648:
	s_cmp_lt_i32 s6, 3
	s_cbranch_scc1 .LBB216_2652
; %bb.2649:
	s_cmp_gt_i32 s6, 3
	s_cbranch_scc0 .LBB216_2653
; %bb.2650:
	global_load_dwordx2 v[19:20], v[7:8], off
	s_mov_b64 s[0:1], 0
	s_waitcnt vmcnt(0)
	v_xor_b32_e32 v9, v19, v20
	v_ffbh_i32_e32 v5, v20
	v_ashrrev_i32_e32 v9, 31, v9
	v_add_u32_e32 v5, -1, v5
	v_add_u32_e32 v9, 32, v9
	v_min_u32_e32 v5, v5, v9
	v_lshlrev_b64 v[19:20], v5, v[19:20]
	v_sub_u32_e32 v5, 32, v5
	v_min_u32_e32 v9, 1, v19
	v_or_b32_e32 v9, v20, v9
	v_cvt_f32_i32_e32 v9, v9
	v_ldexp_f32 v5, v9, v5
	v_cvt_f16_f32_e32 v9, v5
	s_branch .LBB216_2654
.LBB216_2651:
	s_mov_b64 s[0:1], -1
                                        ; implicit-def: $vgpr9
	s_branch .LBB216_2660
.LBB216_2652:
	s_mov_b64 s[0:1], -1
                                        ; implicit-def: $vgpr9
	s_branch .LBB216_2657
.LBB216_2653:
	s_mov_b64 s[0:1], -1
                                        ; implicit-def: $vgpr9
.LBB216_2654:
	s_andn2_b64 vcc, exec, s[0:1]
	s_cbranch_vccnz .LBB216_2656
; %bb.2655:
	global_load_dword v5, v[7:8], off
	s_waitcnt vmcnt(0)
	v_cvt_f32_i32_e32 v5, v5
	v_cvt_f16_f32_e32 v9, v5
.LBB216_2656:
	s_mov_b64 s[0:1], 0
.LBB216_2657:
	s_andn2_b64 vcc, exec, s[0:1]
	s_cbranch_vccnz .LBB216_2659
; %bb.2658:
	global_load_ushort v5, v[7:8], off
	s_waitcnt vmcnt(0)
	v_cvt_f16_i16_e32 v9, v5
.LBB216_2659:
	s_mov_b64 s[0:1], 0
.LBB216_2660:
	s_andn2_b64 vcc, exec, s[0:1]
	s_cbranch_vccnz .LBB216_2666
; %bb.2661:
	s_cmp_gt_i32 s6, 0
	s_cbranch_scc0 .LBB216_2663
; %bb.2662:
	global_load_sbyte v5, v[7:8], off
	s_mov_b64 s[0:1], 0
	s_waitcnt vmcnt(0)
	v_cvt_f16_i16_e32 v9, v5
	s_branch .LBB216_2664
.LBB216_2663:
	s_mov_b64 s[0:1], -1
                                        ; implicit-def: $vgpr9
.LBB216_2664:
	s_andn2_b64 vcc, exec, s[0:1]
	s_cbranch_vccnz .LBB216_2666
; %bb.2665:
	global_load_ubyte v5, v[7:8], off
	s_waitcnt vmcnt(0)
	v_cvt_f16_u16_e32 v9, v5
.LBB216_2666:
	s_mov_b64 s[10:11], -1
.LBB216_2667:
	s_andn2_b64 vcc, exec, s[10:11]
	s_cbranch_vccnz .LBB216_3101
; %bb.2668:
	s_load_dwordx2 s[2:3], s[2:3], 0x1a0
	v_mov_b32_e32 v7, s9
	s_waitcnt lgkmcnt(0)
	s_lshr_b32 s21, s2, 16
	v_mov_b32_e32 v5, s21
	v_cmp_ge_f16_e32 vcc, s2, v1
	s_and_b32 s20, s3, 0xff
	s_waitcnt vmcnt(0)
	v_cndmask_b32_e32 v1, v3, v5, vcc
	v_add_co_u32_e32 v5, vcc, s8, v6
	s_cmp_lt_i32 s20, 11
	v_addc_co_u32_e32 v6, vcc, 0, v7, vcc
	s_cbranch_scc1 .LBB216_2746
; %bb.2669:
	s_and_b32 s3, 0xffff, s20
	s_mov_b64 s[16:17], -1
	s_mov_b64 s[6:7], 0
	s_cmp_gt_i32 s3, 25
	s_mov_b64 s[10:11], 0
	s_mov_b64 s[0:1], 0
	s_cbranch_scc0 .LBB216_2702
; %bb.2670:
	s_cmp_gt_i32 s3, 28
	s_cbranch_scc0 .LBB216_2685
; %bb.2671:
	s_cmp_gt_i32 s3, 43
	;; [unrolled: 3-line block ×3, first 2 shown]
	s_cbranch_scc0 .LBB216_2675
; %bb.2673:
	s_mov_b64 s[0:1], -1
	s_mov_b64 s[16:17], 0
	s_cmp_eq_u32 s3, 46
	s_cbranch_scc0 .LBB216_2675
; %bb.2674:
	v_cvt_f32_f16_e32 v3, v1
	s_movk_i32 s0, 0x7fff
	v_cmp_o_f16_e32 vcc, v1, v1
	v_mov_b32_e32 v7, 0x7fc0
	v_bfe_u32 v8, v3, 16, 1
	v_add3_u32 v3, v3, v8, s0
	v_cndmask_b32_sdwa v3, v7, v3, vcc dst_sel:DWORD dst_unused:UNUSED_PAD src0_sel:DWORD src1_sel:WORD_1
	global_store_dword v[5:6], v3, off
	s_mov_b64 s[0:1], 0
	s_mov_b64 s[10:11], -1
.LBB216_2675:
	s_and_b64 vcc, exec, s[16:17]
	s_cbranch_vccz .LBB216_2680
; %bb.2676:
	s_cmp_eq_u32 s3, 44
	s_mov_b64 s[0:1], -1
	s_cbranch_scc0 .LBB216_2680
; %bb.2677:
	v_cvt_f32_f16_e32 v3, v1
	s_movk_i32 s0, 0xff
	v_mov_b32_e32 v8, 0xff
	v_bfe_u32 v7, v3, 23, 8
	v_cmp_ne_u32_e32 vcc, s0, v7
	s_and_saveexec_b64 s[10:11], vcc
; %bb.2678:
	s_mov_b32 s0, 0x3fffff
	v_lshrrev_b32_e32 v8, 23, v3
	v_and_b32_e32 v11, 0x400000, v3
	v_and_or_b32 v3, v3, s0, v7
	v_cmp_ne_u32_e32 vcc, 0, v11
	v_cmp_ne_u32_e64 s[0:1], 0, v3
	s_and_b64 s[0:1], vcc, s[0:1]
	v_cndmask_b32_e64 v3, 0, 1, s[0:1]
	v_add_u32_e32 v8, v8, v3
; %bb.2679:
	s_or_b64 exec, exec, s[10:11]
	s_mov_b64 s[0:1], 0
	s_mov_b64 s[10:11], -1
	global_store_byte v[5:6], v8, off
.LBB216_2680:
	s_mov_b64 s[16:17], 0
.LBB216_2681:
	s_and_b64 vcc, exec, s[16:17]
	s_cbranch_vccz .LBB216_2684
; %bb.2682:
	s_cmp_eq_u32 s3, 29
	s_mov_b64 s[0:1], -1
	s_cbranch_scc0 .LBB216_2684
; %bb.2683:
	v_cvt_f32_f16_e32 v3, v1
	v_mov_b32_e32 v8, 0
	s_mov_b64 s[0:1], 0
	s_mov_b64 s[10:11], -1
	v_cvt_u32_f32_e32 v7, v3
	global_store_dwordx2 v[5:6], v[7:8], off
.LBB216_2684:
	s_mov_b64 s[16:17], 0
.LBB216_2685:
	s_and_b64 vcc, exec, s[16:17]
	s_cbranch_vccz .LBB216_2701
; %bb.2686:
	s_cmp_lt_i32 s3, 27
	s_mov_b64 s[10:11], -1
	s_cbranch_scc1 .LBB216_2692
; %bb.2687:
	s_cmp_gt_i32 s3, 27
	s_cbranch_scc0 .LBB216_2689
; %bb.2688:
	v_cvt_f32_f16_e32 v3, v1
	s_mov_b64 s[10:11], 0
	v_cvt_u32_f32_e32 v3, v3
	global_store_dword v[5:6], v3, off
.LBB216_2689:
	s_andn2_b64 vcc, exec, s[10:11]
	s_cbranch_vccnz .LBB216_2691
; %bb.2690:
	v_cvt_u16_f16_e32 v3, v1
	global_store_short v[5:6], v3, off
.LBB216_2691:
	s_mov_b64 s[10:11], 0
.LBB216_2692:
	s_andn2_b64 vcc, exec, s[10:11]
	s_cbranch_vccnz .LBB216_2700
; %bb.2693:
	v_cvt_f32_f16_e32 v3, v1
	s_mov_b32 s10, 0x43800000
	v_mov_b32_e32 v8, 0x80
	v_and_b32_e32 v7, 0x7fffffff, v3
	v_cmp_gt_u32_e32 vcc, s10, v7
	s_and_saveexec_b64 s[10:11], vcc
	s_cbranch_execz .LBB216_2699
; %bb.2694:
	s_mov_b32 s16, 0x3bffffff
	v_cmp_lt_u32_e32 vcc, s16, v7
	s_mov_b64 s[16:17], 0
                                        ; implicit-def: $vgpr7
	s_and_saveexec_b64 s[18:19], vcc
	s_xor_b64 s[18:19], exec, s[18:19]
	s_cbranch_execz .LBB216_3148
; %bb.2695:
	v_bfe_u32 v7, v3, 20, 1
	s_mov_b32 s22, 0x487ffff
	v_add3_u32 v7, v3, v7, s22
	s_mov_b64 s[16:17], exec
	v_lshrrev_b32_e32 v7, 20, v7
	s_andn2_saveexec_b64 s[18:19], s[18:19]
	s_cbranch_execnz .LBB216_3149
.LBB216_2696:
	s_or_b64 exec, exec, s[18:19]
	v_mov_b32_e32 v8, 0
	s_and_saveexec_b64 s[18:19], s[16:17]
.LBB216_2697:
	v_lshrrev_b32_e32 v3, 24, v3
	s_movk_i32 s16, 0x80
	v_and_or_b32 v8, v3, s16, v7
.LBB216_2698:
	s_or_b64 exec, exec, s[18:19]
.LBB216_2699:
	s_or_b64 exec, exec, s[10:11]
	global_store_byte v[5:6], v8, off
.LBB216_2700:
	s_mov_b64 s[10:11], -1
.LBB216_2701:
	s_mov_b64 s[16:17], 0
.LBB216_2702:
	s_and_b64 vcc, exec, s[16:17]
	s_cbranch_vccz .LBB216_2742
; %bb.2703:
	s_cmp_gt_i32 s3, 22
	s_mov_b64 s[6:7], -1
	s_cbranch_scc0 .LBB216_2735
; %bb.2704:
	s_cmp_lt_i32 s3, 24
	s_cbranch_scc1 .LBB216_2724
; %bb.2705:
	s_cmp_gt_i32 s3, 24
	s_cbranch_scc0 .LBB216_2713
; %bb.2706:
	v_cvt_f32_f16_e32 v3, v1
	s_mov_b32 s6, 0x47800000
	v_mov_b32_e32 v8, 0x80
	v_and_b32_e32 v7, 0x7fffffff, v3
	v_cmp_gt_u32_e32 vcc, s6, v7
	s_and_saveexec_b64 s[6:7], vcc
	s_cbranch_execz .LBB216_2712
; %bb.2707:
	s_mov_b32 s10, 0x37ffffff
	v_cmp_lt_u32_e32 vcc, s10, v7
	s_mov_b64 s[10:11], 0
                                        ; implicit-def: $vgpr7
	s_and_saveexec_b64 s[16:17], vcc
	s_xor_b64 s[16:17], exec, s[16:17]
	s_cbranch_execz .LBB216_3151
; %bb.2708:
	v_bfe_u32 v7, v3, 21, 1
	s_mov_b32 s18, 0x88fffff
	v_add3_u32 v7, v3, v7, s18
	s_mov_b64 s[10:11], exec
	v_lshrrev_b32_e32 v7, 21, v7
	s_andn2_saveexec_b64 s[16:17], s[16:17]
	s_cbranch_execnz .LBB216_3152
.LBB216_2709:
	s_or_b64 exec, exec, s[16:17]
	v_mov_b32_e32 v8, 0
	s_and_saveexec_b64 s[16:17], s[10:11]
.LBB216_2710:
	v_lshrrev_b32_e32 v3, 24, v3
	s_movk_i32 s10, 0x80
	v_and_or_b32 v8, v3, s10, v7
.LBB216_2711:
	s_or_b64 exec, exec, s[16:17]
.LBB216_2712:
	s_or_b64 exec, exec, s[6:7]
	s_mov_b64 s[6:7], 0
	global_store_byte v[5:6], v8, off
.LBB216_2713:
	s_and_b64 vcc, exec, s[6:7]
	s_cbranch_vccz .LBB216_2723
; %bb.2714:
	v_cvt_f32_f16_e32 v3, v1
	s_mov_b32 s6, 0x43f00000
                                        ; implicit-def: $vgpr7
	v_and_b32_e32 v8, 0x7fffffff, v3
	v_cmp_gt_u32_e32 vcc, s6, v8
	s_and_saveexec_b64 s[6:7], vcc
	s_xor_b64 s[6:7], exec, s[6:7]
	s_cbranch_execz .LBB216_2720
; %bb.2715:
	s_mov_b32 s10, 0x3c7fffff
	v_cmp_lt_u32_e32 vcc, s10, v8
                                        ; implicit-def: $vgpr7
	s_and_saveexec_b64 s[10:11], vcc
	s_xor_b64 s[10:11], exec, s[10:11]
; %bb.2716:
	v_bfe_u32 v7, v3, 20, 1
	s_mov_b32 s16, 0x407ffff
	v_add3_u32 v7, v3, v7, s16
	v_lshrrev_b32_e32 v8, 20, v7
	v_and_b32_e32 v7, 0xff00000, v7
	s_mov_b32 s16, 0x7f00000
	v_mov_b32_e32 v11, 0x7e
	v_cmp_ne_u32_e32 vcc, s16, v7
	v_cndmask_b32_e32 v7, v11, v8, vcc
; %bb.2717:
	s_andn2_saveexec_b64 s[10:11], s[10:11]
; %bb.2718:
	s_mov_b32 s16, 0x46800000
	v_add_f32_e64 v7, |v3|, s16
; %bb.2719:
	s_or_b64 exec, exec, s[10:11]
                                        ; implicit-def: $vgpr8
.LBB216_2720:
	s_andn2_saveexec_b64 s[6:7], s[6:7]
; %bb.2721:
	s_mov_b32 s10, 0x7f800000
	v_mov_b32_e32 v7, 0x7e
	v_mov_b32_e32 v11, 0x7f
	v_cmp_lt_u32_e32 vcc, s10, v8
	v_cndmask_b32_e32 v7, v7, v11, vcc
; %bb.2722:
	s_or_b64 exec, exec, s[6:7]
	v_lshrrev_b32_e32 v3, 24, v3
	s_movk_i32 s6, 0x80
	v_and_or_b32 v3, v3, s6, v7
	global_store_byte v[5:6], v3, off
.LBB216_2723:
	s_mov_b64 s[6:7], 0
.LBB216_2724:
	s_andn2_b64 vcc, exec, s[6:7]
	s_cbranch_vccnz .LBB216_2734
; %bb.2725:
	v_cvt_f32_f16_e32 v3, v1
	s_mov_b32 s6, 0x47800000
                                        ; implicit-def: $vgpr7
	v_and_b32_e32 v8, 0x7fffffff, v3
	v_cmp_gt_u32_e32 vcc, s6, v8
	s_and_saveexec_b64 s[6:7], vcc
	s_xor_b64 s[6:7], exec, s[6:7]
	s_cbranch_execz .LBB216_2731
; %bb.2726:
	s_mov_b32 s10, 0x387fffff
	v_cmp_lt_u32_e32 vcc, s10, v8
                                        ; implicit-def: $vgpr7
	s_and_saveexec_b64 s[10:11], vcc
	s_xor_b64 s[10:11], exec, s[10:11]
; %bb.2727:
	v_bfe_u32 v7, v3, 21, 1
	s_mov_b32 s16, 0x80fffff
	v_add3_u32 v7, v3, v7, s16
	v_lshrrev_b32_e32 v7, 21, v7
; %bb.2728:
	s_andn2_saveexec_b64 s[10:11], s[10:11]
; %bb.2729:
	s_mov_b32 s16, 0x43000000
	v_add_f32_e64 v7, |v3|, s16
; %bb.2730:
	s_or_b64 exec, exec, s[10:11]
                                        ; implicit-def: $vgpr8
.LBB216_2731:
	s_andn2_saveexec_b64 s[6:7], s[6:7]
; %bb.2732:
	s_mov_b32 s10, 0x7f800000
	v_mov_b32_e32 v7, 0x7c
	v_mov_b32_e32 v11, 0x7f
	v_cmp_lt_u32_e32 vcc, s10, v8
	v_cndmask_b32_e32 v7, v7, v11, vcc
; %bb.2733:
	s_or_b64 exec, exec, s[6:7]
	v_lshrrev_b32_e32 v3, 24, v3
	s_movk_i32 s6, 0x80
	v_and_or_b32 v3, v3, s6, v7
	global_store_byte v[5:6], v3, off
.LBB216_2734:
	s_mov_b64 s[6:7], 0
	s_mov_b64 s[10:11], -1
.LBB216_2735:
	s_andn2_b64 vcc, exec, s[6:7]
	s_mov_b64 s[6:7], 0
	s_cbranch_vccnz .LBB216_2742
; %bb.2736:
	s_cmp_gt_i32 s3, 14
	s_mov_b64 s[16:17], -1
	s_cbranch_scc0 .LBB216_2740
; %bb.2737:
	s_cmp_eq_u32 s3, 15
	s_mov_b64 s[0:1], -1
	s_cbranch_scc0 .LBB216_2739
; %bb.2738:
	v_cvt_f32_f16_e32 v3, v1
	s_movk_i32 s0, 0x7fff
	v_cmp_o_f16_e32 vcc, v1, v1
	v_mov_b32_e32 v7, 0x7fc0
	v_bfe_u32 v8, v3, 16, 1
	v_add3_u32 v3, v3, v8, s0
	v_cndmask_b32_sdwa v3, v7, v3, vcc dst_sel:DWORD dst_unused:UNUSED_PAD src0_sel:DWORD src1_sel:WORD_1
	global_store_short v[5:6], v3, off
	s_mov_b64 s[0:1], 0
	s_mov_b64 s[10:11], -1
.LBB216_2739:
	s_mov_b64 s[16:17], 0
.LBB216_2740:
	s_and_b64 vcc, exec, s[16:17]
	s_cbranch_vccz .LBB216_2742
; %bb.2741:
	s_cmp_lg_u32 s3, 11
	s_mov_b64 s[6:7], -1
	s_cselect_b64 s[0:1], -1, 0
.LBB216_2742:
	s_and_b64 vcc, exec, s[0:1]
	s_cbranch_vccnz .LBB216_3150
; %bb.2743:
	s_andn2_b64 vcc, exec, s[6:7]
	s_cbranch_vccnz .LBB216_2745
.LBB216_2744:
	v_and_b32_e32 v3, 0x7fff, v1
	v_cmp_ne_u16_e32 vcc, 0, v3
	v_cndmask_b32_e64 v3, 0, 1, vcc
	s_mov_b64 s[10:11], -1
	global_store_byte v[5:6], v3, off
.LBB216_2745:
	s_mov_b64 s[0:1], 0
	s_branch .LBB216_2747
.LBB216_2746:
	s_mov_b64 s[0:1], -1
	s_mov_b64 s[10:11], 0
.LBB216_2747:
	s_and_b64 vcc, exec, s[0:1]
	s_cbranch_vccz .LBB216_2786
; %bb.2748:
	s_and_b32 s3, 0xffff, s20
	s_cmp_lt_i32 s3, 5
	s_mov_b64 s[0:1], -1
	s_cbranch_scc1 .LBB216_2769
; %bb.2749:
	s_cmp_lt_i32 s3, 8
	s_cbranch_scc1 .LBB216_2759
; %bb.2750:
	s_cmp_lt_i32 s3, 9
	s_cbranch_scc1 .LBB216_2756
; %bb.2751:
	s_cmp_gt_i32 s3, 9
	s_cbranch_scc0 .LBB216_2753
; %bb.2752:
	v_cvt_f32_f16_e32 v3, v1
	v_mov_b32_e32 v21, 0
	v_mov_b32_e32 v22, v21
	s_mov_b64 s[0:1], 0
	v_cvt_f64_f32_e32 v[19:20], v3
	global_store_dwordx4 v[5:6], v[19:22], off
.LBB216_2753:
	s_andn2_b64 vcc, exec, s[0:1]
	s_cbranch_vccnz .LBB216_2755
; %bb.2754:
	v_cvt_f32_f16_e32 v7, v1
	v_mov_b32_e32 v8, 0
	global_store_dwordx2 v[5:6], v[7:8], off
.LBB216_2755:
	s_mov_b64 s[0:1], 0
.LBB216_2756:
	s_andn2_b64 vcc, exec, s[0:1]
	s_cbranch_vccnz .LBB216_2758
; %bb.2757:
	v_and_b32_e32 v3, 0xffff, v1
	global_store_dword v[5:6], v3, off
.LBB216_2758:
	s_mov_b64 s[0:1], 0
.LBB216_2759:
	s_andn2_b64 vcc, exec, s[0:1]
	s_cbranch_vccnz .LBB216_2768
; %bb.2760:
	s_cmp_lt_i32 s3, 6
	s_mov_b64 s[0:1], -1
	s_cbranch_scc1 .LBB216_2766
; %bb.2761:
	s_cmp_gt_i32 s3, 6
	s_cbranch_scc0 .LBB216_2763
; %bb.2762:
	v_cvt_f32_f16_e32 v3, v1
	s_mov_b64 s[0:1], 0
	v_cvt_f64_f32_e32 v[7:8], v3
	global_store_dwordx2 v[5:6], v[7:8], off
.LBB216_2763:
	s_andn2_b64 vcc, exec, s[0:1]
	s_cbranch_vccnz .LBB216_2765
; %bb.2764:
	v_cvt_f32_f16_e32 v3, v1
	global_store_dword v[5:6], v3, off
.LBB216_2765:
	s_mov_b64 s[0:1], 0
.LBB216_2766:
	s_andn2_b64 vcc, exec, s[0:1]
	s_cbranch_vccnz .LBB216_2768
; %bb.2767:
	global_store_short v[5:6], v1, off
.LBB216_2768:
	s_mov_b64 s[0:1], 0
.LBB216_2769:
	s_andn2_b64 vcc, exec, s[0:1]
	s_cbranch_vccnz .LBB216_2785
; %bb.2770:
	s_cmp_lt_i32 s3, 2
	s_mov_b64 s[0:1], -1
	s_cbranch_scc1 .LBB216_2780
; %bb.2771:
	s_cmp_lt_i32 s3, 3
	s_cbranch_scc1 .LBB216_2777
; %bb.2772:
	s_cmp_gt_i32 s3, 3
	s_cbranch_scc0 .LBB216_2774
; %bb.2773:
	v_cvt_f32_f16_e32 v3, v1
	s_mov_b64 s[0:1], 0
	v_cvt_i32_f32_e32 v7, v3
	v_ashrrev_i32_e32 v8, 31, v7
	global_store_dwordx2 v[5:6], v[7:8], off
.LBB216_2774:
	s_andn2_b64 vcc, exec, s[0:1]
	s_cbranch_vccnz .LBB216_2776
; %bb.2775:
	v_cvt_f32_f16_e32 v3, v1
	v_cvt_i32_f32_e32 v3, v3
	global_store_dword v[5:6], v3, off
.LBB216_2776:
	s_mov_b64 s[0:1], 0
.LBB216_2777:
	s_andn2_b64 vcc, exec, s[0:1]
	s_cbranch_vccnz .LBB216_2779
; %bb.2778:
	v_cvt_i16_f16_e32 v3, v1
	global_store_short v[5:6], v3, off
.LBB216_2779:
	s_mov_b64 s[0:1], 0
.LBB216_2780:
	s_andn2_b64 vcc, exec, s[0:1]
	s_cbranch_vccnz .LBB216_2785
; %bb.2781:
	s_cmp_gt_i32 s3, 0
	s_mov_b64 s[0:1], -1
	s_cbranch_scc0 .LBB216_2783
; %bb.2782:
	v_cvt_i16_f16_e32 v3, v1
	global_store_byte v[5:6], v3, off
	s_mov_b64 s[0:1], 0
.LBB216_2783:
	s_andn2_b64 vcc, exec, s[0:1]
	s_cbranch_vccnz .LBB216_2785
; %bb.2784:
	v_cvt_f32_f16_e32 v1, v1
	v_cvt_i32_f32_e32 v1, v1
	global_store_byte v[5:6], v1, off
.LBB216_2785:
	s_mov_b64 s[10:11], -1
.LBB216_2786:
	s_andn2_b64 vcc, exec, s[10:11]
	s_cbranch_vccnz .LBB216_3101
; %bb.2787:
	v_mov_b32_e32 v1, s21
	v_cmp_ge_f16_e32 vcc, s2, v18
	v_cndmask_b32_e32 v1, v16, v1, vcc
	v_mov_b32_e32 v5, s9
	s_and_b32 s22, 0xffff, s20
	v_add_co_u32_e32 v3, vcc, s8, v4
	s_cmp_lt_i32 s22, 11
	v_addc_co_u32_e32 v4, vcc, 0, v5, vcc
	s_cbranch_scc1 .LBB216_2865
; %bb.2788:
	s_mov_b64 s[16:17], -1
	s_mov_b64 s[6:7], 0
	s_cmp_gt_i32 s22, 25
	s_mov_b64 s[10:11], 0
	s_mov_b64 s[0:1], 0
	s_cbranch_scc0 .LBB216_2821
; %bb.2789:
	s_cmp_gt_i32 s22, 28
	s_cbranch_scc0 .LBB216_2804
; %bb.2790:
	s_cmp_gt_i32 s22, 43
	;; [unrolled: 3-line block ×3, first 2 shown]
	s_cbranch_scc0 .LBB216_2794
; %bb.2792:
	s_mov_b64 s[0:1], -1
	s_mov_b64 s[16:17], 0
	s_cmp_eq_u32 s22, 46
	s_cbranch_scc0 .LBB216_2794
; %bb.2793:
	v_cvt_f32_f16_e32 v5, v1
	s_movk_i32 s0, 0x7fff
	v_cmp_o_f16_e32 vcc, v1, v1
	v_mov_b32_e32 v6, 0x7fc0
	v_bfe_u32 v7, v5, 16, 1
	v_add3_u32 v5, v5, v7, s0
	v_cndmask_b32_sdwa v5, v6, v5, vcc dst_sel:DWORD dst_unused:UNUSED_PAD src0_sel:DWORD src1_sel:WORD_1
	global_store_dword v[3:4], v5, off
	s_mov_b64 s[0:1], 0
	s_mov_b64 s[10:11], -1
.LBB216_2794:
	s_and_b64 vcc, exec, s[16:17]
	s_cbranch_vccz .LBB216_2799
; %bb.2795:
	s_cmp_eq_u32 s22, 44
	s_mov_b64 s[0:1], -1
	s_cbranch_scc0 .LBB216_2799
; %bb.2796:
	v_cvt_f32_f16_e32 v5, v1
	s_movk_i32 s0, 0xff
	v_mov_b32_e32 v7, 0xff
	v_bfe_u32 v6, v5, 23, 8
	v_cmp_ne_u32_e32 vcc, s0, v6
	s_and_saveexec_b64 s[10:11], vcc
; %bb.2797:
	s_mov_b32 s0, 0x3fffff
	v_lshrrev_b32_e32 v7, 23, v5
	v_and_b32_e32 v8, 0x400000, v5
	v_and_or_b32 v5, v5, s0, v6
	v_cmp_ne_u32_e32 vcc, 0, v8
	v_cmp_ne_u32_e64 s[0:1], 0, v5
	s_and_b64 s[0:1], vcc, s[0:1]
	v_cndmask_b32_e64 v5, 0, 1, s[0:1]
	v_add_u32_e32 v7, v7, v5
; %bb.2798:
	s_or_b64 exec, exec, s[10:11]
	s_mov_b64 s[0:1], 0
	s_mov_b64 s[10:11], -1
	global_store_byte v[3:4], v7, off
.LBB216_2799:
	s_mov_b64 s[16:17], 0
.LBB216_2800:
	s_and_b64 vcc, exec, s[16:17]
	s_cbranch_vccz .LBB216_2803
; %bb.2801:
	s_cmp_eq_u32 s22, 29
	s_mov_b64 s[0:1], -1
	s_cbranch_scc0 .LBB216_2803
; %bb.2802:
	v_cvt_f32_f16_e32 v5, v1
	v_mov_b32_e32 v6, 0
	s_mov_b64 s[0:1], 0
	s_mov_b64 s[10:11], -1
	v_cvt_u32_f32_e32 v5, v5
	global_store_dwordx2 v[3:4], v[5:6], off
.LBB216_2803:
	s_mov_b64 s[16:17], 0
.LBB216_2804:
	s_and_b64 vcc, exec, s[16:17]
	s_cbranch_vccz .LBB216_2820
; %bb.2805:
	s_cmp_lt_i32 s22, 27
	s_mov_b64 s[10:11], -1
	s_cbranch_scc1 .LBB216_2811
; %bb.2806:
	s_cmp_gt_i32 s22, 27
	s_cbranch_scc0 .LBB216_2808
; %bb.2807:
	v_cvt_f32_f16_e32 v5, v1
	s_mov_b64 s[10:11], 0
	v_cvt_u32_f32_e32 v5, v5
	global_store_dword v[3:4], v5, off
.LBB216_2808:
	s_andn2_b64 vcc, exec, s[10:11]
	s_cbranch_vccnz .LBB216_2810
; %bb.2809:
	v_cvt_u16_f16_e32 v5, v1
	global_store_short v[3:4], v5, off
.LBB216_2810:
	s_mov_b64 s[10:11], 0
.LBB216_2811:
	s_andn2_b64 vcc, exec, s[10:11]
	s_cbranch_vccnz .LBB216_2819
; %bb.2812:
	v_cvt_f32_f16_e32 v5, v1
	s_mov_b32 s3, 0x43800000
	v_mov_b32_e32 v7, 0x80
	v_and_b32_e32 v6, 0x7fffffff, v5
	v_cmp_gt_u32_e32 vcc, s3, v6
	s_and_saveexec_b64 s[10:11], vcc
	s_cbranch_execz .LBB216_2818
; %bb.2813:
	s_mov_b32 s3, 0x3bffffff
	v_cmp_lt_u32_e32 vcc, s3, v6
	s_mov_b64 s[16:17], 0
                                        ; implicit-def: $vgpr6
	s_and_saveexec_b64 s[18:19], vcc
	s_xor_b64 s[18:19], exec, s[18:19]
	s_cbranch_execz .LBB216_3153
; %bb.2814:
	v_bfe_u32 v6, v5, 20, 1
	s_mov_b32 s3, 0x487ffff
	v_add3_u32 v6, v5, v6, s3
	s_mov_b64 s[16:17], exec
	v_lshrrev_b32_e32 v6, 20, v6
	s_andn2_saveexec_b64 s[18:19], s[18:19]
	s_cbranch_execnz .LBB216_3154
.LBB216_2815:
	s_or_b64 exec, exec, s[18:19]
	v_mov_b32_e32 v7, 0
	s_and_saveexec_b64 s[18:19], s[16:17]
.LBB216_2816:
	v_lshrrev_b32_e32 v5, 24, v5
	s_movk_i32 s3, 0x80
	v_and_or_b32 v7, v5, s3, v6
.LBB216_2817:
	s_or_b64 exec, exec, s[18:19]
.LBB216_2818:
	s_or_b64 exec, exec, s[10:11]
	global_store_byte v[3:4], v7, off
.LBB216_2819:
	s_mov_b64 s[10:11], -1
.LBB216_2820:
	s_mov_b64 s[16:17], 0
.LBB216_2821:
	s_and_b64 vcc, exec, s[16:17]
	s_cbranch_vccz .LBB216_2861
; %bb.2822:
	s_cmp_gt_i32 s22, 22
	s_mov_b64 s[6:7], -1
	s_cbranch_scc0 .LBB216_2854
; %bb.2823:
	s_cmp_lt_i32 s22, 24
	s_cbranch_scc1 .LBB216_2843
; %bb.2824:
	s_cmp_gt_i32 s22, 24
	s_cbranch_scc0 .LBB216_2832
; %bb.2825:
	v_cvt_f32_f16_e32 v5, v1
	s_mov_b32 s3, 0x47800000
	v_mov_b32_e32 v7, 0x80
	v_and_b32_e32 v6, 0x7fffffff, v5
	v_cmp_gt_u32_e32 vcc, s3, v6
	s_and_saveexec_b64 s[6:7], vcc
	s_cbranch_execz .LBB216_2831
; %bb.2826:
	s_mov_b32 s3, 0x37ffffff
	v_cmp_lt_u32_e32 vcc, s3, v6
	s_mov_b64 s[10:11], 0
                                        ; implicit-def: $vgpr6
	s_and_saveexec_b64 s[16:17], vcc
	s_xor_b64 s[16:17], exec, s[16:17]
	s_cbranch_execz .LBB216_3156
; %bb.2827:
	v_bfe_u32 v6, v5, 21, 1
	s_mov_b32 s3, 0x88fffff
	v_add3_u32 v6, v5, v6, s3
	s_mov_b64 s[10:11], exec
	v_lshrrev_b32_e32 v6, 21, v6
	s_andn2_saveexec_b64 s[16:17], s[16:17]
	s_cbranch_execnz .LBB216_3157
.LBB216_2828:
	s_or_b64 exec, exec, s[16:17]
	v_mov_b32_e32 v7, 0
	s_and_saveexec_b64 s[16:17], s[10:11]
.LBB216_2829:
	v_lshrrev_b32_e32 v5, 24, v5
	s_movk_i32 s3, 0x80
	v_and_or_b32 v7, v5, s3, v6
.LBB216_2830:
	s_or_b64 exec, exec, s[16:17]
.LBB216_2831:
	s_or_b64 exec, exec, s[6:7]
	s_mov_b64 s[6:7], 0
	global_store_byte v[3:4], v7, off
.LBB216_2832:
	s_and_b64 vcc, exec, s[6:7]
	s_cbranch_vccz .LBB216_2842
; %bb.2833:
	v_cvt_f32_f16_e32 v5, v1
	s_mov_b32 s3, 0x43f00000
                                        ; implicit-def: $vgpr6
	v_and_b32_e32 v7, 0x7fffffff, v5
	v_cmp_gt_u32_e32 vcc, s3, v7
	s_and_saveexec_b64 s[6:7], vcc
	s_xor_b64 s[6:7], exec, s[6:7]
	s_cbranch_execz .LBB216_2839
; %bb.2834:
	s_mov_b32 s3, 0x3c7fffff
	v_cmp_lt_u32_e32 vcc, s3, v7
                                        ; implicit-def: $vgpr6
	s_and_saveexec_b64 s[10:11], vcc
	s_xor_b64 s[10:11], exec, s[10:11]
; %bb.2835:
	v_bfe_u32 v6, v5, 20, 1
	s_mov_b32 s3, 0x407ffff
	v_add3_u32 v6, v5, v6, s3
	v_lshrrev_b32_e32 v7, 20, v6
	v_and_b32_e32 v6, 0xff00000, v6
	s_mov_b32 s3, 0x7f00000
	v_mov_b32_e32 v8, 0x7e
	v_cmp_ne_u32_e32 vcc, s3, v6
	v_cndmask_b32_e32 v6, v8, v7, vcc
; %bb.2836:
	s_andn2_saveexec_b64 s[10:11], s[10:11]
; %bb.2837:
	s_mov_b32 s3, 0x46800000
	v_add_f32_e64 v6, |v5|, s3
; %bb.2838:
	s_or_b64 exec, exec, s[10:11]
                                        ; implicit-def: $vgpr7
.LBB216_2839:
	s_andn2_saveexec_b64 s[6:7], s[6:7]
; %bb.2840:
	s_mov_b32 s3, 0x7f800000
	v_mov_b32_e32 v6, 0x7e
	v_mov_b32_e32 v8, 0x7f
	v_cmp_lt_u32_e32 vcc, s3, v7
	v_cndmask_b32_e32 v6, v6, v8, vcc
; %bb.2841:
	s_or_b64 exec, exec, s[6:7]
	v_lshrrev_b32_e32 v5, 24, v5
	s_movk_i32 s3, 0x80
	v_and_or_b32 v5, v5, s3, v6
	global_store_byte v[3:4], v5, off
.LBB216_2842:
	s_mov_b64 s[6:7], 0
.LBB216_2843:
	s_andn2_b64 vcc, exec, s[6:7]
	s_cbranch_vccnz .LBB216_2853
; %bb.2844:
	v_cvt_f32_f16_e32 v5, v1
	s_mov_b32 s3, 0x47800000
                                        ; implicit-def: $vgpr6
	v_and_b32_e32 v7, 0x7fffffff, v5
	v_cmp_gt_u32_e32 vcc, s3, v7
	s_and_saveexec_b64 s[6:7], vcc
	s_xor_b64 s[6:7], exec, s[6:7]
	s_cbranch_execz .LBB216_2850
; %bb.2845:
	s_mov_b32 s3, 0x387fffff
	v_cmp_lt_u32_e32 vcc, s3, v7
                                        ; implicit-def: $vgpr6
	s_and_saveexec_b64 s[10:11], vcc
	s_xor_b64 s[10:11], exec, s[10:11]
; %bb.2846:
	v_bfe_u32 v6, v5, 21, 1
	s_mov_b32 s3, 0x80fffff
	v_add3_u32 v6, v5, v6, s3
	v_lshrrev_b32_e32 v6, 21, v6
; %bb.2847:
	s_andn2_saveexec_b64 s[10:11], s[10:11]
; %bb.2848:
	s_mov_b32 s3, 0x43000000
	v_add_f32_e64 v6, |v5|, s3
; %bb.2849:
	s_or_b64 exec, exec, s[10:11]
                                        ; implicit-def: $vgpr7
.LBB216_2850:
	s_andn2_saveexec_b64 s[6:7], s[6:7]
; %bb.2851:
	s_mov_b32 s3, 0x7f800000
	v_mov_b32_e32 v6, 0x7c
	v_mov_b32_e32 v8, 0x7f
	v_cmp_lt_u32_e32 vcc, s3, v7
	v_cndmask_b32_e32 v6, v6, v8, vcc
; %bb.2852:
	s_or_b64 exec, exec, s[6:7]
	v_lshrrev_b32_e32 v5, 24, v5
	s_movk_i32 s3, 0x80
	v_and_or_b32 v5, v5, s3, v6
	global_store_byte v[3:4], v5, off
.LBB216_2853:
	s_mov_b64 s[6:7], 0
	s_mov_b64 s[10:11], -1
.LBB216_2854:
	s_andn2_b64 vcc, exec, s[6:7]
	s_mov_b64 s[6:7], 0
	s_cbranch_vccnz .LBB216_2861
; %bb.2855:
	s_cmp_gt_i32 s22, 14
	s_mov_b64 s[16:17], -1
	s_cbranch_scc0 .LBB216_2859
; %bb.2856:
	s_cmp_eq_u32 s22, 15
	s_mov_b64 s[0:1], -1
	s_cbranch_scc0 .LBB216_2858
; %bb.2857:
	v_cvt_f32_f16_e32 v5, v1
	s_movk_i32 s0, 0x7fff
	v_cmp_o_f16_e32 vcc, v1, v1
	v_mov_b32_e32 v6, 0x7fc0
	v_bfe_u32 v7, v5, 16, 1
	v_add3_u32 v5, v5, v7, s0
	v_cndmask_b32_sdwa v5, v6, v5, vcc dst_sel:DWORD dst_unused:UNUSED_PAD src0_sel:DWORD src1_sel:WORD_1
	global_store_short v[3:4], v5, off
	s_mov_b64 s[0:1], 0
	s_mov_b64 s[10:11], -1
.LBB216_2858:
	s_mov_b64 s[16:17], 0
.LBB216_2859:
	s_and_b64 vcc, exec, s[16:17]
	s_cbranch_vccz .LBB216_2861
; %bb.2860:
	s_cmp_lg_u32 s22, 11
	s_mov_b64 s[6:7], -1
	s_cselect_b64 s[0:1], -1, 0
.LBB216_2861:
	s_and_b64 vcc, exec, s[0:1]
	s_cbranch_vccnz .LBB216_3155
; %bb.2862:
	s_andn2_b64 vcc, exec, s[6:7]
	s_cbranch_vccnz .LBB216_2864
.LBB216_2863:
	v_and_b32_e32 v5, 0x7fff, v1
	v_cmp_ne_u16_e32 vcc, 0, v5
	v_cndmask_b32_e64 v5, 0, 1, vcc
	s_mov_b64 s[10:11], -1
	global_store_byte v[3:4], v5, off
.LBB216_2864:
	s_mov_b64 s[0:1], 0
	s_branch .LBB216_2866
.LBB216_2865:
	s_mov_b64 s[0:1], -1
	s_mov_b64 s[10:11], 0
.LBB216_2866:
	s_and_b64 vcc, exec, s[0:1]
	s_cbranch_vccz .LBB216_2905
; %bb.2867:
	s_cmp_lt_i32 s22, 5
	s_mov_b64 s[0:1], -1
	s_cbranch_scc1 .LBB216_2888
; %bb.2868:
	s_cmp_lt_i32 s22, 8
	s_cbranch_scc1 .LBB216_2878
; %bb.2869:
	s_cmp_lt_i32 s22, 9
	s_cbranch_scc1 .LBB216_2875
; %bb.2870:
	s_cmp_gt_i32 s22, 9
	s_cbranch_scc0 .LBB216_2872
; %bb.2871:
	v_cvt_f32_f16_e32 v5, v1
	v_mov_b32_e32 v7, 0
	v_mov_b32_e32 v8, v7
	s_mov_b64 s[0:1], 0
	v_cvt_f64_f32_e32 v[5:6], v5
	global_store_dwordx4 v[3:4], v[5:8], off
.LBB216_2872:
	s_andn2_b64 vcc, exec, s[0:1]
	s_cbranch_vccnz .LBB216_2874
; %bb.2873:
	v_cvt_f32_f16_e32 v5, v1
	v_mov_b32_e32 v6, 0
	global_store_dwordx2 v[3:4], v[5:6], off
.LBB216_2874:
	s_mov_b64 s[0:1], 0
.LBB216_2875:
	s_andn2_b64 vcc, exec, s[0:1]
	s_cbranch_vccnz .LBB216_2877
; %bb.2876:
	v_and_b32_e32 v5, 0xffff, v1
	global_store_dword v[3:4], v5, off
.LBB216_2877:
	s_mov_b64 s[0:1], 0
.LBB216_2878:
	s_andn2_b64 vcc, exec, s[0:1]
	s_cbranch_vccnz .LBB216_2887
; %bb.2879:
	s_cmp_lt_i32 s22, 6
	s_mov_b64 s[0:1], -1
	s_cbranch_scc1 .LBB216_2885
; %bb.2880:
	s_cmp_gt_i32 s22, 6
	s_cbranch_scc0 .LBB216_2882
; %bb.2881:
	v_cvt_f32_f16_e32 v5, v1
	s_mov_b64 s[0:1], 0
	v_cvt_f64_f32_e32 v[5:6], v5
	global_store_dwordx2 v[3:4], v[5:6], off
.LBB216_2882:
	s_andn2_b64 vcc, exec, s[0:1]
	s_cbranch_vccnz .LBB216_2884
; %bb.2883:
	v_cvt_f32_f16_e32 v5, v1
	global_store_dword v[3:4], v5, off
.LBB216_2884:
	s_mov_b64 s[0:1], 0
.LBB216_2885:
	s_andn2_b64 vcc, exec, s[0:1]
	s_cbranch_vccnz .LBB216_2887
; %bb.2886:
	global_store_short v[3:4], v1, off
.LBB216_2887:
	s_mov_b64 s[0:1], 0
.LBB216_2888:
	s_andn2_b64 vcc, exec, s[0:1]
	s_cbranch_vccnz .LBB216_2904
; %bb.2889:
	s_cmp_lt_i32 s22, 2
	s_mov_b64 s[0:1], -1
	s_cbranch_scc1 .LBB216_2899
; %bb.2890:
	s_cmp_lt_i32 s22, 3
	s_cbranch_scc1 .LBB216_2896
; %bb.2891:
	s_cmp_gt_i32 s22, 3
	s_cbranch_scc0 .LBB216_2893
; %bb.2892:
	v_cvt_f32_f16_e32 v5, v1
	s_mov_b64 s[0:1], 0
	v_cvt_i32_f32_e32 v5, v5
	v_ashrrev_i32_e32 v6, 31, v5
	global_store_dwordx2 v[3:4], v[5:6], off
.LBB216_2893:
	s_andn2_b64 vcc, exec, s[0:1]
	s_cbranch_vccnz .LBB216_2895
; %bb.2894:
	v_cvt_f32_f16_e32 v5, v1
	v_cvt_i32_f32_e32 v5, v5
	global_store_dword v[3:4], v5, off
.LBB216_2895:
	s_mov_b64 s[0:1], 0
.LBB216_2896:
	s_andn2_b64 vcc, exec, s[0:1]
	s_cbranch_vccnz .LBB216_2898
; %bb.2897:
	v_cvt_i16_f16_e32 v5, v1
	global_store_short v[3:4], v5, off
.LBB216_2898:
	s_mov_b64 s[0:1], 0
.LBB216_2899:
	s_andn2_b64 vcc, exec, s[0:1]
	s_cbranch_vccnz .LBB216_2904
; %bb.2900:
	s_cmp_gt_i32 s22, 0
	s_mov_b64 s[0:1], -1
	s_cbranch_scc0 .LBB216_2902
; %bb.2901:
	v_cvt_i16_f16_e32 v5, v1
	global_store_byte v[3:4], v5, off
	s_mov_b64 s[0:1], 0
.LBB216_2902:
	s_andn2_b64 vcc, exec, s[0:1]
	s_cbranch_vccnz .LBB216_2904
; %bb.2903:
	v_cvt_f32_f16_e32 v1, v1
	v_cvt_i32_f32_e32 v1, v1
	global_store_byte v[3:4], v1, off
.LBB216_2904:
	s_mov_b64 s[10:11], -1
.LBB216_2905:
	s_andn2_b64 vcc, exec, s[10:11]
	s_cbranch_vccnz .LBB216_3101
; %bb.2906:
	v_mov_b32_e32 v1, s21
	v_cmp_ge_f16_e32 vcc, s2, v14
	v_cndmask_b32_e32 v3, v12, v1, vcc
	v_mov_b32_e32 v4, s9
	v_add_co_u32_e32 v1, vcc, s8, v2
	s_cmp_lt_i32 s22, 11
	v_addc_co_u32_e32 v2, vcc, 0, v4, vcc
	s_cbranch_scc1 .LBB216_2984
; %bb.2907:
	s_mov_b64 s[16:17], -1
	s_mov_b64 s[6:7], 0
	s_cmp_gt_i32 s22, 25
	s_mov_b64 s[10:11], 0
	s_mov_b64 s[0:1], 0
	s_cbranch_scc0 .LBB216_2940
; %bb.2908:
	s_cmp_gt_i32 s22, 28
	s_cbranch_scc0 .LBB216_2923
; %bb.2909:
	s_cmp_gt_i32 s22, 43
	;; [unrolled: 3-line block ×3, first 2 shown]
	s_cbranch_scc0 .LBB216_2913
; %bb.2911:
	s_mov_b64 s[0:1], -1
	s_mov_b64 s[16:17], 0
	s_cmp_eq_u32 s22, 46
	s_cbranch_scc0 .LBB216_2913
; %bb.2912:
	v_cvt_f32_f16_e32 v4, v3
	s_movk_i32 s0, 0x7fff
	v_cmp_o_f16_e32 vcc, v3, v3
	v_mov_b32_e32 v5, 0x7fc0
	v_bfe_u32 v6, v4, 16, 1
	v_add3_u32 v4, v4, v6, s0
	v_cndmask_b32_sdwa v4, v5, v4, vcc dst_sel:DWORD dst_unused:UNUSED_PAD src0_sel:DWORD src1_sel:WORD_1
	global_store_dword v[1:2], v4, off
	s_mov_b64 s[0:1], 0
	s_mov_b64 s[10:11], -1
.LBB216_2913:
	s_and_b64 vcc, exec, s[16:17]
	s_cbranch_vccz .LBB216_2918
; %bb.2914:
	s_cmp_eq_u32 s22, 44
	s_mov_b64 s[0:1], -1
	s_cbranch_scc0 .LBB216_2918
; %bb.2915:
	v_cvt_f32_f16_e32 v4, v3
	s_movk_i32 s0, 0xff
	v_mov_b32_e32 v6, 0xff
	v_bfe_u32 v5, v4, 23, 8
	v_cmp_ne_u32_e32 vcc, s0, v5
	s_and_saveexec_b64 s[10:11], vcc
; %bb.2916:
	s_mov_b32 s0, 0x3fffff
	v_lshrrev_b32_e32 v6, 23, v4
	v_and_b32_e32 v7, 0x400000, v4
	v_and_or_b32 v4, v4, s0, v5
	v_cmp_ne_u32_e32 vcc, 0, v7
	v_cmp_ne_u32_e64 s[0:1], 0, v4
	s_and_b64 s[0:1], vcc, s[0:1]
	v_cndmask_b32_e64 v4, 0, 1, s[0:1]
	v_add_u32_e32 v6, v6, v4
; %bb.2917:
	s_or_b64 exec, exec, s[10:11]
	s_mov_b64 s[0:1], 0
	s_mov_b64 s[10:11], -1
	global_store_byte v[1:2], v6, off
.LBB216_2918:
	s_mov_b64 s[16:17], 0
.LBB216_2919:
	s_and_b64 vcc, exec, s[16:17]
	s_cbranch_vccz .LBB216_2922
; %bb.2920:
	s_cmp_eq_u32 s22, 29
	s_mov_b64 s[0:1], -1
	s_cbranch_scc0 .LBB216_2922
; %bb.2921:
	v_cvt_f32_f16_e32 v4, v3
	v_mov_b32_e32 v5, 0
	s_mov_b64 s[0:1], 0
	s_mov_b64 s[10:11], -1
	v_cvt_u32_f32_e32 v4, v4
	global_store_dwordx2 v[1:2], v[4:5], off
.LBB216_2922:
	s_mov_b64 s[16:17], 0
.LBB216_2923:
	s_and_b64 vcc, exec, s[16:17]
	s_cbranch_vccz .LBB216_2939
; %bb.2924:
	s_cmp_lt_i32 s22, 27
	s_mov_b64 s[10:11], -1
	s_cbranch_scc1 .LBB216_2930
; %bb.2925:
	s_cmp_gt_i32 s22, 27
	s_cbranch_scc0 .LBB216_2927
; %bb.2926:
	v_cvt_f32_f16_e32 v4, v3
	s_mov_b64 s[10:11], 0
	v_cvt_u32_f32_e32 v4, v4
	global_store_dword v[1:2], v4, off
.LBB216_2927:
	s_andn2_b64 vcc, exec, s[10:11]
	s_cbranch_vccnz .LBB216_2929
; %bb.2928:
	v_cvt_u16_f16_e32 v4, v3
	global_store_short v[1:2], v4, off
.LBB216_2929:
	s_mov_b64 s[10:11], 0
.LBB216_2930:
	s_andn2_b64 vcc, exec, s[10:11]
	s_cbranch_vccnz .LBB216_2938
; %bb.2931:
	v_cvt_f32_f16_e32 v4, v3
	s_mov_b32 s3, 0x43800000
	v_mov_b32_e32 v6, 0x80
	v_and_b32_e32 v5, 0x7fffffff, v4
	v_cmp_gt_u32_e32 vcc, s3, v5
	s_and_saveexec_b64 s[10:11], vcc
	s_cbranch_execz .LBB216_2937
; %bb.2932:
	s_mov_b32 s3, 0x3bffffff
	v_cmp_lt_u32_e32 vcc, s3, v5
	s_mov_b64 s[16:17], 0
                                        ; implicit-def: $vgpr5
	s_and_saveexec_b64 s[18:19], vcc
	s_xor_b64 s[18:19], exec, s[18:19]
	s_cbranch_execz .LBB216_3158
; %bb.2933:
	v_bfe_u32 v5, v4, 20, 1
	s_mov_b32 s3, 0x487ffff
	v_add3_u32 v5, v4, v5, s3
	s_mov_b64 s[16:17], exec
	v_lshrrev_b32_e32 v5, 20, v5
	s_andn2_saveexec_b64 s[18:19], s[18:19]
	s_cbranch_execnz .LBB216_3159
.LBB216_2934:
	s_or_b64 exec, exec, s[18:19]
	v_mov_b32_e32 v6, 0
	s_and_saveexec_b64 s[18:19], s[16:17]
.LBB216_2935:
	v_lshrrev_b32_e32 v4, 24, v4
	s_movk_i32 s3, 0x80
	v_and_or_b32 v6, v4, s3, v5
.LBB216_2936:
	s_or_b64 exec, exec, s[18:19]
.LBB216_2937:
	s_or_b64 exec, exec, s[10:11]
	global_store_byte v[1:2], v6, off
.LBB216_2938:
	s_mov_b64 s[10:11], -1
.LBB216_2939:
	s_mov_b64 s[16:17], 0
.LBB216_2940:
	s_and_b64 vcc, exec, s[16:17]
	s_cbranch_vccz .LBB216_2980
; %bb.2941:
	s_cmp_gt_i32 s22, 22
	s_mov_b64 s[6:7], -1
	s_cbranch_scc0 .LBB216_2973
; %bb.2942:
	s_cmp_lt_i32 s22, 24
	s_cbranch_scc1 .LBB216_2962
; %bb.2943:
	s_cmp_gt_i32 s22, 24
	s_cbranch_scc0 .LBB216_2951
; %bb.2944:
	v_cvt_f32_f16_e32 v4, v3
	s_mov_b32 s3, 0x47800000
	v_mov_b32_e32 v6, 0x80
	v_and_b32_e32 v5, 0x7fffffff, v4
	v_cmp_gt_u32_e32 vcc, s3, v5
	s_and_saveexec_b64 s[6:7], vcc
	s_cbranch_execz .LBB216_2950
; %bb.2945:
	s_mov_b32 s3, 0x37ffffff
	v_cmp_lt_u32_e32 vcc, s3, v5
	s_mov_b64 s[10:11], 0
                                        ; implicit-def: $vgpr5
	s_and_saveexec_b64 s[16:17], vcc
	s_xor_b64 s[16:17], exec, s[16:17]
	s_cbranch_execz .LBB216_3161
; %bb.2946:
	v_bfe_u32 v5, v4, 21, 1
	s_mov_b32 s3, 0x88fffff
	v_add3_u32 v5, v4, v5, s3
	s_mov_b64 s[10:11], exec
	v_lshrrev_b32_e32 v5, 21, v5
	s_andn2_saveexec_b64 s[16:17], s[16:17]
	s_cbranch_execnz .LBB216_3162
.LBB216_2947:
	s_or_b64 exec, exec, s[16:17]
	v_mov_b32_e32 v6, 0
	s_and_saveexec_b64 s[16:17], s[10:11]
.LBB216_2948:
	v_lshrrev_b32_e32 v4, 24, v4
	s_movk_i32 s3, 0x80
	v_and_or_b32 v6, v4, s3, v5
.LBB216_2949:
	s_or_b64 exec, exec, s[16:17]
.LBB216_2950:
	s_or_b64 exec, exec, s[6:7]
	s_mov_b64 s[6:7], 0
	global_store_byte v[1:2], v6, off
.LBB216_2951:
	s_and_b64 vcc, exec, s[6:7]
	s_cbranch_vccz .LBB216_2961
; %bb.2952:
	v_cvt_f32_f16_e32 v4, v3
	s_mov_b32 s3, 0x43f00000
                                        ; implicit-def: $vgpr5
	v_and_b32_e32 v6, 0x7fffffff, v4
	v_cmp_gt_u32_e32 vcc, s3, v6
	s_and_saveexec_b64 s[6:7], vcc
	s_xor_b64 s[6:7], exec, s[6:7]
	s_cbranch_execz .LBB216_2958
; %bb.2953:
	s_mov_b32 s3, 0x3c7fffff
	v_cmp_lt_u32_e32 vcc, s3, v6
                                        ; implicit-def: $vgpr5
	s_and_saveexec_b64 s[10:11], vcc
	s_xor_b64 s[10:11], exec, s[10:11]
; %bb.2954:
	v_bfe_u32 v5, v4, 20, 1
	s_mov_b32 s3, 0x407ffff
	v_add3_u32 v5, v4, v5, s3
	v_lshrrev_b32_e32 v6, 20, v5
	v_and_b32_e32 v5, 0xff00000, v5
	s_mov_b32 s3, 0x7f00000
	v_mov_b32_e32 v7, 0x7e
	v_cmp_ne_u32_e32 vcc, s3, v5
	v_cndmask_b32_e32 v5, v7, v6, vcc
; %bb.2955:
	s_andn2_saveexec_b64 s[10:11], s[10:11]
; %bb.2956:
	s_mov_b32 s3, 0x46800000
	v_add_f32_e64 v5, |v4|, s3
; %bb.2957:
	s_or_b64 exec, exec, s[10:11]
                                        ; implicit-def: $vgpr6
.LBB216_2958:
	s_andn2_saveexec_b64 s[6:7], s[6:7]
; %bb.2959:
	s_mov_b32 s3, 0x7f800000
	v_mov_b32_e32 v5, 0x7e
	v_mov_b32_e32 v7, 0x7f
	v_cmp_lt_u32_e32 vcc, s3, v6
	v_cndmask_b32_e32 v5, v5, v7, vcc
; %bb.2960:
	s_or_b64 exec, exec, s[6:7]
	v_lshrrev_b32_e32 v4, 24, v4
	s_movk_i32 s3, 0x80
	v_and_or_b32 v4, v4, s3, v5
	global_store_byte v[1:2], v4, off
.LBB216_2961:
	s_mov_b64 s[6:7], 0
.LBB216_2962:
	s_andn2_b64 vcc, exec, s[6:7]
	s_cbranch_vccnz .LBB216_2972
; %bb.2963:
	v_cvt_f32_f16_e32 v4, v3
	s_mov_b32 s3, 0x47800000
                                        ; implicit-def: $vgpr5
	v_and_b32_e32 v6, 0x7fffffff, v4
	v_cmp_gt_u32_e32 vcc, s3, v6
	s_and_saveexec_b64 s[6:7], vcc
	s_xor_b64 s[6:7], exec, s[6:7]
	s_cbranch_execz .LBB216_2969
; %bb.2964:
	s_mov_b32 s3, 0x387fffff
	v_cmp_lt_u32_e32 vcc, s3, v6
                                        ; implicit-def: $vgpr5
	s_and_saveexec_b64 s[10:11], vcc
	s_xor_b64 s[10:11], exec, s[10:11]
; %bb.2965:
	v_bfe_u32 v5, v4, 21, 1
	s_mov_b32 s3, 0x80fffff
	v_add3_u32 v5, v4, v5, s3
	v_lshrrev_b32_e32 v5, 21, v5
; %bb.2966:
	s_andn2_saveexec_b64 s[10:11], s[10:11]
; %bb.2967:
	s_mov_b32 s3, 0x43000000
	v_add_f32_e64 v5, |v4|, s3
; %bb.2968:
	s_or_b64 exec, exec, s[10:11]
                                        ; implicit-def: $vgpr6
.LBB216_2969:
	s_andn2_saveexec_b64 s[6:7], s[6:7]
; %bb.2970:
	s_mov_b32 s3, 0x7f800000
	v_mov_b32_e32 v5, 0x7c
	v_mov_b32_e32 v7, 0x7f
	v_cmp_lt_u32_e32 vcc, s3, v6
	v_cndmask_b32_e32 v5, v5, v7, vcc
; %bb.2971:
	s_or_b64 exec, exec, s[6:7]
	v_lshrrev_b32_e32 v4, 24, v4
	s_movk_i32 s3, 0x80
	v_and_or_b32 v4, v4, s3, v5
	global_store_byte v[1:2], v4, off
.LBB216_2972:
	s_mov_b64 s[6:7], 0
	s_mov_b64 s[10:11], -1
.LBB216_2973:
	s_andn2_b64 vcc, exec, s[6:7]
	s_mov_b64 s[6:7], 0
	s_cbranch_vccnz .LBB216_2980
; %bb.2974:
	s_cmp_gt_i32 s22, 14
	s_mov_b64 s[16:17], -1
	s_cbranch_scc0 .LBB216_2978
; %bb.2975:
	s_cmp_eq_u32 s22, 15
	s_mov_b64 s[0:1], -1
	s_cbranch_scc0 .LBB216_2977
; %bb.2976:
	v_cvt_f32_f16_e32 v4, v3
	s_movk_i32 s0, 0x7fff
	v_cmp_o_f16_e32 vcc, v3, v3
	v_mov_b32_e32 v5, 0x7fc0
	v_bfe_u32 v6, v4, 16, 1
	v_add3_u32 v4, v4, v6, s0
	v_cndmask_b32_sdwa v4, v5, v4, vcc dst_sel:DWORD dst_unused:UNUSED_PAD src0_sel:DWORD src1_sel:WORD_1
	global_store_short v[1:2], v4, off
	s_mov_b64 s[0:1], 0
	s_mov_b64 s[10:11], -1
.LBB216_2977:
	s_mov_b64 s[16:17], 0
.LBB216_2978:
	s_and_b64 vcc, exec, s[16:17]
	s_cbranch_vccz .LBB216_2980
; %bb.2979:
	s_cmp_lg_u32 s22, 11
	s_mov_b64 s[6:7], -1
	s_cselect_b64 s[0:1], -1, 0
.LBB216_2980:
	s_and_b64 vcc, exec, s[0:1]
	s_cbranch_vccnz .LBB216_3160
; %bb.2981:
	s_andn2_b64 vcc, exec, s[6:7]
	s_cbranch_vccnz .LBB216_2983
.LBB216_2982:
	v_and_b32_e32 v4, 0x7fff, v3
	v_cmp_ne_u16_e32 vcc, 0, v4
	v_cndmask_b32_e64 v4, 0, 1, vcc
	s_mov_b64 s[10:11], -1
	global_store_byte v[1:2], v4, off
.LBB216_2983:
	s_mov_b64 s[0:1], 0
	s_branch .LBB216_2985
.LBB216_2984:
	s_mov_b64 s[0:1], -1
	s_mov_b64 s[10:11], 0
.LBB216_2985:
	s_and_b64 vcc, exec, s[0:1]
	s_cbranch_vccz .LBB216_3024
; %bb.2986:
	s_cmp_lt_i32 s22, 5
	s_mov_b64 s[0:1], -1
	s_cbranch_scc1 .LBB216_3007
; %bb.2987:
	s_cmp_lt_i32 s22, 8
	s_cbranch_scc1 .LBB216_2997
; %bb.2988:
	s_cmp_lt_i32 s22, 9
	s_cbranch_scc1 .LBB216_2994
; %bb.2989:
	s_cmp_gt_i32 s22, 9
	s_cbranch_scc0 .LBB216_2991
; %bb.2990:
	v_cvt_f32_f16_e32 v4, v3
	v_mov_b32_e32 v6, 0
	v_mov_b32_e32 v7, v6
	s_mov_b64 s[0:1], 0
	v_cvt_f64_f32_e32 v[4:5], v4
	global_store_dwordx4 v[1:2], v[4:7], off
.LBB216_2991:
	s_andn2_b64 vcc, exec, s[0:1]
	s_cbranch_vccnz .LBB216_2993
; %bb.2992:
	v_cvt_f32_f16_e32 v4, v3
	v_mov_b32_e32 v5, 0
	global_store_dwordx2 v[1:2], v[4:5], off
.LBB216_2993:
	s_mov_b64 s[0:1], 0
.LBB216_2994:
	s_andn2_b64 vcc, exec, s[0:1]
	s_cbranch_vccnz .LBB216_2996
; %bb.2995:
	v_and_b32_e32 v4, 0xffff, v3
	global_store_dword v[1:2], v4, off
.LBB216_2996:
	s_mov_b64 s[0:1], 0
.LBB216_2997:
	s_andn2_b64 vcc, exec, s[0:1]
	s_cbranch_vccnz .LBB216_3006
; %bb.2998:
	s_cmp_lt_i32 s22, 6
	s_mov_b64 s[0:1], -1
	s_cbranch_scc1 .LBB216_3004
; %bb.2999:
	s_cmp_gt_i32 s22, 6
	s_cbranch_scc0 .LBB216_3001
; %bb.3000:
	v_cvt_f32_f16_e32 v4, v3
	s_mov_b64 s[0:1], 0
	v_cvt_f64_f32_e32 v[4:5], v4
	global_store_dwordx2 v[1:2], v[4:5], off
.LBB216_3001:
	s_andn2_b64 vcc, exec, s[0:1]
	s_cbranch_vccnz .LBB216_3003
; %bb.3002:
	v_cvt_f32_f16_e32 v4, v3
	global_store_dword v[1:2], v4, off
.LBB216_3003:
	s_mov_b64 s[0:1], 0
.LBB216_3004:
	s_andn2_b64 vcc, exec, s[0:1]
	s_cbranch_vccnz .LBB216_3006
; %bb.3005:
	global_store_short v[1:2], v3, off
.LBB216_3006:
	s_mov_b64 s[0:1], 0
.LBB216_3007:
	s_andn2_b64 vcc, exec, s[0:1]
	s_cbranch_vccnz .LBB216_3023
; %bb.3008:
	s_cmp_lt_i32 s22, 2
	s_mov_b64 s[0:1], -1
	s_cbranch_scc1 .LBB216_3018
; %bb.3009:
	s_cmp_lt_i32 s22, 3
	s_cbranch_scc1 .LBB216_3015
; %bb.3010:
	s_cmp_gt_i32 s22, 3
	s_cbranch_scc0 .LBB216_3012
; %bb.3011:
	v_cvt_f32_f16_e32 v4, v3
	s_mov_b64 s[0:1], 0
	v_cvt_i32_f32_e32 v4, v4
	v_ashrrev_i32_e32 v5, 31, v4
	global_store_dwordx2 v[1:2], v[4:5], off
.LBB216_3012:
	s_andn2_b64 vcc, exec, s[0:1]
	s_cbranch_vccnz .LBB216_3014
; %bb.3013:
	v_cvt_f32_f16_e32 v4, v3
	v_cvt_i32_f32_e32 v4, v4
	global_store_dword v[1:2], v4, off
.LBB216_3014:
	s_mov_b64 s[0:1], 0
.LBB216_3015:
	s_andn2_b64 vcc, exec, s[0:1]
	s_cbranch_vccnz .LBB216_3017
; %bb.3016:
	v_cvt_i16_f16_e32 v4, v3
	global_store_short v[1:2], v4, off
.LBB216_3017:
	s_mov_b64 s[0:1], 0
.LBB216_3018:
	s_andn2_b64 vcc, exec, s[0:1]
	s_cbranch_vccnz .LBB216_3023
; %bb.3019:
	s_cmp_gt_i32 s22, 0
	s_mov_b64 s[0:1], -1
	s_cbranch_scc0 .LBB216_3021
; %bb.3020:
	v_cvt_i16_f16_e32 v4, v3
	global_store_byte v[1:2], v4, off
	s_mov_b64 s[0:1], 0
.LBB216_3021:
	s_andn2_b64 vcc, exec, s[0:1]
	s_cbranch_vccnz .LBB216_3023
; %bb.3022:
	v_cvt_f32_f16_e32 v3, v3
	v_cvt_i32_f32_e32 v3, v3
	global_store_byte v[1:2], v3, off
.LBB216_3023:
	s_mov_b64 s[10:11], -1
.LBB216_3024:
	s_andn2_b64 vcc, exec, s[10:11]
	s_cbranch_vccnz .LBB216_3101
; %bb.3025:
	v_mov_b32_e32 v1, s21
	v_cmp_ge_f16_e32 vcc, s2, v10
	v_cndmask_b32_e32 v2, v9, v1, vcc
	v_mov_b32_e32 v1, s9
	v_add_co_u32_e32 v0, vcc, s8, v0
	s_cmp_lt_i32 s22, 11
	v_addc_co_u32_e32 v1, vcc, 0, v1, vcc
	s_cbranch_scc1 .LBB216_3146
; %bb.3026:
	s_mov_b64 s[6:7], -1
	s_mov_b64 s[2:3], 0
	s_cmp_gt_i32 s22, 25
	s_mov_b64 s[0:1], 0
	s_cbranch_scc0 .LBB216_3059
; %bb.3027:
	s_cmp_gt_i32 s22, 28
	s_cbranch_scc0 .LBB216_3043
; %bb.3028:
	s_cmp_gt_i32 s22, 43
	s_cbranch_scc0 .LBB216_3039
; %bb.3029:
	s_cmp_gt_i32 s22, 45
	s_cbranch_scc0 .LBB216_3033
; %bb.3030:
	s_cmp_eq_u32 s22, 46
	s_mov_b64 s[0:1], -1
	s_cbranch_scc0 .LBB216_3032
; %bb.3031:
	v_cvt_f32_f16_e32 v3, v2
	s_movk_i32 s0, 0x7fff
	v_cmp_o_f16_e32 vcc, v2, v2
	v_mov_b32_e32 v4, 0x7fc0
	v_bfe_u32 v5, v3, 16, 1
	v_add3_u32 v3, v3, v5, s0
	v_cndmask_b32_sdwa v3, v4, v3, vcc dst_sel:DWORD dst_unused:UNUSED_PAD src0_sel:DWORD src1_sel:WORD_1
	global_store_dword v[0:1], v3, off
	s_mov_b64 s[0:1], 0
.LBB216_3032:
	s_mov_b64 s[6:7], 0
.LBB216_3033:
	s_and_b64 vcc, exec, s[6:7]
	s_cbranch_vccz .LBB216_3038
; %bb.3034:
	s_cmp_eq_u32 s22, 44
	s_mov_b64 s[0:1], -1
	s_cbranch_scc0 .LBB216_3038
; %bb.3035:
	v_cvt_f32_f16_e32 v3, v2
	s_movk_i32 s0, 0xff
	v_mov_b32_e32 v5, 0xff
	v_bfe_u32 v4, v3, 23, 8
	v_cmp_ne_u32_e32 vcc, s0, v4
	s_and_saveexec_b64 s[6:7], vcc
; %bb.3036:
	s_mov_b32 s0, 0x3fffff
	v_lshrrev_b32_e32 v5, 23, v3
	v_and_b32_e32 v6, 0x400000, v3
	v_and_or_b32 v3, v3, s0, v4
	v_cmp_ne_u32_e32 vcc, 0, v6
	v_cmp_ne_u32_e64 s[0:1], 0, v3
	s_and_b64 s[0:1], vcc, s[0:1]
	v_cndmask_b32_e64 v3, 0, 1, s[0:1]
	v_add_u32_e32 v5, v5, v3
; %bb.3037:
	s_or_b64 exec, exec, s[6:7]
	s_mov_b64 s[0:1], 0
	global_store_byte v[0:1], v5, off
.LBB216_3038:
	s_mov_b64 s[6:7], 0
.LBB216_3039:
	s_and_b64 vcc, exec, s[6:7]
	s_cbranch_vccz .LBB216_3042
; %bb.3040:
	s_cmp_eq_u32 s22, 29
	s_mov_b64 s[0:1], -1
	s_cbranch_scc0 .LBB216_3042
; %bb.3041:
	v_cvt_f32_f16_e32 v3, v2
	v_mov_b32_e32 v4, 0
	s_mov_b64 s[0:1], 0
	v_cvt_u32_f32_e32 v3, v3
	global_store_dwordx2 v[0:1], v[3:4], off
.LBB216_3042:
	s_mov_b64 s[6:7], 0
.LBB216_3043:
	s_and_b64 vcc, exec, s[6:7]
	s_cbranch_vccz .LBB216_3058
; %bb.3044:
	s_cmp_lt_i32 s22, 27
	s_mov_b64 s[6:7], -1
	s_cbranch_scc1 .LBB216_3050
; %bb.3045:
	s_cmp_gt_i32 s22, 27
	s_cbranch_scc0 .LBB216_3047
; %bb.3046:
	v_cvt_f32_f16_e32 v3, v2
	s_mov_b64 s[6:7], 0
	v_cvt_u32_f32_e32 v3, v3
	global_store_dword v[0:1], v3, off
.LBB216_3047:
	s_andn2_b64 vcc, exec, s[6:7]
	s_cbranch_vccnz .LBB216_3049
; %bb.3048:
	v_cvt_u16_f16_e32 v3, v2
	global_store_short v[0:1], v3, off
.LBB216_3049:
	s_mov_b64 s[6:7], 0
.LBB216_3050:
	s_andn2_b64 vcc, exec, s[6:7]
	s_cbranch_vccnz .LBB216_3058
; %bb.3051:
	v_cvt_f32_f16_e32 v3, v2
	s_mov_b32 s6, 0x43800000
	v_mov_b32_e32 v5, 0x80
	v_and_b32_e32 v4, 0x7fffffff, v3
	v_cmp_gt_u32_e32 vcc, s6, v4
	s_and_saveexec_b64 s[6:7], vcc
	s_cbranch_execz .LBB216_3057
; %bb.3052:
	s_mov_b32 s8, 0x3bffffff
	v_cmp_lt_u32_e32 vcc, s8, v4
	s_mov_b64 s[8:9], 0
                                        ; implicit-def: $vgpr4
	s_and_saveexec_b64 s[10:11], vcc
	s_xor_b64 s[10:11], exec, s[10:11]
	s_cbranch_execz .LBB216_3163
; %bb.3053:
	v_bfe_u32 v4, v3, 20, 1
	s_mov_b32 s16, 0x487ffff
	v_add3_u32 v4, v3, v4, s16
	s_mov_b64 s[8:9], exec
	v_lshrrev_b32_e32 v4, 20, v4
	s_andn2_saveexec_b64 s[10:11], s[10:11]
	s_cbranch_execnz .LBB216_3164
.LBB216_3054:
	s_or_b64 exec, exec, s[10:11]
	v_mov_b32_e32 v5, 0
	s_and_saveexec_b64 s[10:11], s[8:9]
.LBB216_3055:
	v_lshrrev_b32_e32 v3, 24, v3
	s_movk_i32 s8, 0x80
	v_and_or_b32 v5, v3, s8, v4
.LBB216_3056:
	s_or_b64 exec, exec, s[10:11]
.LBB216_3057:
	s_or_b64 exec, exec, s[6:7]
	global_store_byte v[0:1], v5, off
.LBB216_3058:
	s_mov_b64 s[6:7], 0
.LBB216_3059:
	s_and_b64 vcc, exec, s[6:7]
	s_cbranch_vccz .LBB216_3099
; %bb.3060:
	s_cmp_gt_i32 s22, 22
	s_mov_b64 s[2:3], -1
	s_cbranch_scc0 .LBB216_3092
; %bb.3061:
	s_cmp_lt_i32 s22, 24
	s_cbranch_scc1 .LBB216_3081
; %bb.3062:
	s_cmp_gt_i32 s22, 24
	s_cbranch_scc0 .LBB216_3070
; %bb.3063:
	v_cvt_f32_f16_e32 v3, v2
	s_mov_b32 s2, 0x47800000
	v_mov_b32_e32 v5, 0x80
	v_and_b32_e32 v4, 0x7fffffff, v3
	v_cmp_gt_u32_e32 vcc, s2, v4
	s_and_saveexec_b64 s[2:3], vcc
	s_cbranch_execz .LBB216_3069
; %bb.3064:
	s_mov_b32 s6, 0x37ffffff
	v_cmp_lt_u32_e32 vcc, s6, v4
	s_mov_b64 s[6:7], 0
                                        ; implicit-def: $vgpr4
	s_and_saveexec_b64 s[8:9], vcc
	s_xor_b64 s[8:9], exec, s[8:9]
	s_cbranch_execz .LBB216_3166
; %bb.3065:
	v_bfe_u32 v4, v3, 21, 1
	s_mov_b32 s10, 0x88fffff
	v_add3_u32 v4, v3, v4, s10
	s_mov_b64 s[6:7], exec
	v_lshrrev_b32_e32 v4, 21, v4
	s_andn2_saveexec_b64 s[8:9], s[8:9]
	s_cbranch_execnz .LBB216_3167
.LBB216_3066:
	s_or_b64 exec, exec, s[8:9]
	v_mov_b32_e32 v5, 0
	s_and_saveexec_b64 s[8:9], s[6:7]
.LBB216_3067:
	v_lshrrev_b32_e32 v3, 24, v3
	s_movk_i32 s6, 0x80
	v_and_or_b32 v5, v3, s6, v4
.LBB216_3068:
	s_or_b64 exec, exec, s[8:9]
.LBB216_3069:
	s_or_b64 exec, exec, s[2:3]
	s_mov_b64 s[2:3], 0
	global_store_byte v[0:1], v5, off
.LBB216_3070:
	s_and_b64 vcc, exec, s[2:3]
	s_cbranch_vccz .LBB216_3080
; %bb.3071:
	v_cvt_f32_f16_e32 v3, v2
	s_mov_b32 s2, 0x43f00000
                                        ; implicit-def: $vgpr4
	v_and_b32_e32 v5, 0x7fffffff, v3
	v_cmp_gt_u32_e32 vcc, s2, v5
	s_and_saveexec_b64 s[2:3], vcc
	s_xor_b64 s[2:3], exec, s[2:3]
	s_cbranch_execz .LBB216_3077
; %bb.3072:
	s_mov_b32 s6, 0x3c7fffff
	v_cmp_lt_u32_e32 vcc, s6, v5
                                        ; implicit-def: $vgpr4
	s_and_saveexec_b64 s[6:7], vcc
	s_xor_b64 s[6:7], exec, s[6:7]
; %bb.3073:
	v_bfe_u32 v4, v3, 20, 1
	s_mov_b32 s8, 0x407ffff
	v_add3_u32 v4, v3, v4, s8
	v_lshrrev_b32_e32 v5, 20, v4
	v_and_b32_e32 v4, 0xff00000, v4
	s_mov_b32 s8, 0x7f00000
	v_mov_b32_e32 v6, 0x7e
	v_cmp_ne_u32_e32 vcc, s8, v4
	v_cndmask_b32_e32 v4, v6, v5, vcc
; %bb.3074:
	s_andn2_saveexec_b64 s[6:7], s[6:7]
; %bb.3075:
	s_mov_b32 s8, 0x46800000
	v_add_f32_e64 v4, |v3|, s8
; %bb.3076:
	s_or_b64 exec, exec, s[6:7]
                                        ; implicit-def: $vgpr5
.LBB216_3077:
	s_andn2_saveexec_b64 s[2:3], s[2:3]
; %bb.3078:
	s_mov_b32 s6, 0x7f800000
	v_mov_b32_e32 v4, 0x7e
	v_mov_b32_e32 v6, 0x7f
	v_cmp_lt_u32_e32 vcc, s6, v5
	v_cndmask_b32_e32 v4, v4, v6, vcc
; %bb.3079:
	s_or_b64 exec, exec, s[2:3]
	v_lshrrev_b32_e32 v3, 24, v3
	s_movk_i32 s2, 0x80
	v_and_or_b32 v3, v3, s2, v4
	global_store_byte v[0:1], v3, off
.LBB216_3080:
	s_mov_b64 s[2:3], 0
.LBB216_3081:
	s_andn2_b64 vcc, exec, s[2:3]
	s_cbranch_vccnz .LBB216_3091
; %bb.3082:
	v_cvt_f32_f16_e32 v3, v2
	s_mov_b32 s2, 0x47800000
                                        ; implicit-def: $vgpr4
	v_and_b32_e32 v5, 0x7fffffff, v3
	v_cmp_gt_u32_e32 vcc, s2, v5
	s_and_saveexec_b64 s[2:3], vcc
	s_xor_b64 s[2:3], exec, s[2:3]
	s_cbranch_execz .LBB216_3088
; %bb.3083:
	s_mov_b32 s6, 0x387fffff
	v_cmp_lt_u32_e32 vcc, s6, v5
                                        ; implicit-def: $vgpr4
	s_and_saveexec_b64 s[6:7], vcc
	s_xor_b64 s[6:7], exec, s[6:7]
; %bb.3084:
	v_bfe_u32 v4, v3, 21, 1
	s_mov_b32 s8, 0x80fffff
	v_add3_u32 v4, v3, v4, s8
	v_lshrrev_b32_e32 v4, 21, v4
; %bb.3085:
	s_andn2_saveexec_b64 s[6:7], s[6:7]
; %bb.3086:
	s_mov_b32 s8, 0x43000000
	v_add_f32_e64 v4, |v3|, s8
; %bb.3087:
	s_or_b64 exec, exec, s[6:7]
                                        ; implicit-def: $vgpr5
.LBB216_3088:
	s_andn2_saveexec_b64 s[2:3], s[2:3]
; %bb.3089:
	s_mov_b32 s6, 0x7f800000
	v_mov_b32_e32 v4, 0x7c
	v_mov_b32_e32 v6, 0x7f
	v_cmp_lt_u32_e32 vcc, s6, v5
	v_cndmask_b32_e32 v4, v4, v6, vcc
; %bb.3090:
	s_or_b64 exec, exec, s[2:3]
	v_lshrrev_b32_e32 v3, 24, v3
	s_movk_i32 s2, 0x80
	v_and_or_b32 v3, v3, s2, v4
	global_store_byte v[0:1], v3, off
.LBB216_3091:
	s_mov_b64 s[2:3], 0
.LBB216_3092:
	s_andn2_b64 vcc, exec, s[2:3]
	s_mov_b64 s[2:3], 0
	s_cbranch_vccnz .LBB216_3099
; %bb.3093:
	s_cmp_gt_i32 s22, 14
	s_mov_b64 s[6:7], -1
	s_cbranch_scc0 .LBB216_3097
; %bb.3094:
	s_cmp_eq_u32 s22, 15
	s_mov_b64 s[0:1], -1
	s_cbranch_scc0 .LBB216_3096
; %bb.3095:
	v_cvt_f32_f16_e32 v3, v2
	s_movk_i32 s0, 0x7fff
	v_cmp_o_f16_e32 vcc, v2, v2
	v_mov_b32_e32 v4, 0x7fc0
	v_bfe_u32 v5, v3, 16, 1
	v_add3_u32 v3, v3, v5, s0
	v_cndmask_b32_sdwa v3, v4, v3, vcc dst_sel:DWORD dst_unused:UNUSED_PAD src0_sel:DWORD src1_sel:WORD_1
	global_store_short v[0:1], v3, off
	s_mov_b64 s[0:1], 0
.LBB216_3096:
	s_mov_b64 s[6:7], 0
.LBB216_3097:
	s_and_b64 vcc, exec, s[6:7]
	s_cbranch_vccz .LBB216_3099
; %bb.3098:
	s_cmp_lg_u32 s22, 11
	s_mov_b64 s[2:3], -1
	s_cselect_b64 s[0:1], -1, 0
.LBB216_3099:
	s_and_b64 vcc, exec, s[0:1]
	s_cbranch_vccnz .LBB216_3165
.LBB216_3100:
	s_mov_b64 s[0:1], 0
	s_branch .LBB216_3102
.LBB216_3101:
	s_mov_b64 s[0:1], 0
	s_mov_b64 s[2:3], 0
                                        ; implicit-def: $vgpr0_vgpr1
                                        ; implicit-def: $sgpr20
                                        ; implicit-def: $vgpr2
.LBB216_3102:
	s_and_b64 s[6:7], s[2:3], exec
	s_andn2_b64 s[2:3], s[12:13], exec
	s_and_b64 s[4:5], s[4:5], exec
	s_and_b64 s[0:1], s[0:1], exec
	s_or_b64 s[12:13], s[2:3], s[4:5]
.LBB216_3103:
	s_or_b64 exec, exec, s[14:15]
	s_and_saveexec_b64 s[2:3], s[12:13]
	s_cbranch_execz .LBB216_3106
; %bb.3104:
	; divergent unreachable
	s_or_b64 exec, exec, s[2:3]
	s_and_saveexec_b64 s[2:3], s[6:7]
	s_xor_b64 s[2:3], exec, s[2:3]
	s_cbranch_execnz .LBB216_3107
.LBB216_3105:
	s_or_b64 exec, exec, s[2:3]
	s_and_saveexec_b64 s[2:3], s[0:1]
	s_cbranch_execnz .LBB216_3108
	s_branch .LBB216_3145
.LBB216_3106:
	s_or_b64 exec, exec, s[2:3]
	s_and_saveexec_b64 s[2:3], s[6:7]
	s_xor_b64 s[2:3], exec, s[2:3]
	s_cbranch_execz .LBB216_3105
.LBB216_3107:
	s_waitcnt vmcnt(0)
	v_and_b32_e32 v3, 0x7fff, v2
	v_cmp_ne_u16_e32 vcc, 0, v3
	v_cndmask_b32_e64 v3, 0, 1, vcc
	global_store_byte v[0:1], v3, off
	s_or_b64 exec, exec, s[2:3]
	s_and_saveexec_b64 s[2:3], s[0:1]
	s_cbranch_execz .LBB216_3145
.LBB216_3108:
	s_sext_i32_i16 s2, s20
	s_cmp_lt_i32 s2, 5
	s_mov_b64 s[0:1], -1
	s_cbranch_scc1 .LBB216_3129
; %bb.3109:
	s_cmp_lt_i32 s2, 8
	s_cbranch_scc1 .LBB216_3119
; %bb.3110:
	s_cmp_lt_i32 s2, 9
	s_cbranch_scc1 .LBB216_3116
; %bb.3111:
	s_cmp_gt_i32 s2, 9
	s_cbranch_scc0 .LBB216_3113
; %bb.3112:
	s_waitcnt vmcnt(0)
	v_cvt_f32_f16_e32 v3, v2
	v_mov_b32_e32 v5, 0
	v_mov_b32_e32 v6, v5
	s_mov_b64 s[0:1], 0
	v_cvt_f64_f32_e32 v[3:4], v3
	global_store_dwordx4 v[0:1], v[3:6], off
.LBB216_3113:
	s_andn2_b64 vcc, exec, s[0:1]
	s_cbranch_vccnz .LBB216_3115
; %bb.3114:
	s_waitcnt vmcnt(0)
	v_cvt_f32_f16_e32 v3, v2
	v_mov_b32_e32 v4, 0
	global_store_dwordx2 v[0:1], v[3:4], off
.LBB216_3115:
	s_mov_b64 s[0:1], 0
.LBB216_3116:
	s_andn2_b64 vcc, exec, s[0:1]
	s_cbranch_vccnz .LBB216_3118
; %bb.3117:
	s_waitcnt vmcnt(0)
	v_and_b32_e32 v3, 0xffff, v2
	global_store_dword v[0:1], v3, off
.LBB216_3118:
	s_mov_b64 s[0:1], 0
.LBB216_3119:
	s_andn2_b64 vcc, exec, s[0:1]
	s_cbranch_vccnz .LBB216_3128
; %bb.3120:
	s_sext_i32_i16 s2, s20
	s_cmp_lt_i32 s2, 6
	s_mov_b64 s[0:1], -1
	s_cbranch_scc1 .LBB216_3126
; %bb.3121:
	s_cmp_gt_i32 s2, 6
	s_cbranch_scc0 .LBB216_3123
; %bb.3122:
	s_waitcnt vmcnt(0)
	v_cvt_f32_f16_e32 v3, v2
	s_mov_b64 s[0:1], 0
	v_cvt_f64_f32_e32 v[3:4], v3
	global_store_dwordx2 v[0:1], v[3:4], off
.LBB216_3123:
	s_andn2_b64 vcc, exec, s[0:1]
	s_cbranch_vccnz .LBB216_3125
; %bb.3124:
	s_waitcnt vmcnt(0)
	v_cvt_f32_f16_e32 v3, v2
	global_store_dword v[0:1], v3, off
.LBB216_3125:
	s_mov_b64 s[0:1], 0
.LBB216_3126:
	s_andn2_b64 vcc, exec, s[0:1]
	s_cbranch_vccnz .LBB216_3128
; %bb.3127:
	s_waitcnt vmcnt(0)
	global_store_short v[0:1], v2, off
.LBB216_3128:
	s_mov_b64 s[0:1], 0
.LBB216_3129:
	s_andn2_b64 vcc, exec, s[0:1]
	s_cbranch_vccnz .LBB216_3145
; %bb.3130:
	s_sext_i32_i16 s2, s20
	s_cmp_lt_i32 s2, 2
	s_mov_b64 s[0:1], -1
	s_cbranch_scc1 .LBB216_3140
; %bb.3131:
	s_cmp_lt_i32 s2, 3
	s_cbranch_scc1 .LBB216_3137
; %bb.3132:
	s_cmp_gt_i32 s2, 3
	s_cbranch_scc0 .LBB216_3134
; %bb.3133:
	s_waitcnt vmcnt(0)
	v_cvt_f32_f16_e32 v3, v2
	s_mov_b64 s[0:1], 0
	v_cvt_i32_f32_e32 v3, v3
	v_ashrrev_i32_e32 v4, 31, v3
	global_store_dwordx2 v[0:1], v[3:4], off
.LBB216_3134:
	s_andn2_b64 vcc, exec, s[0:1]
	s_cbranch_vccnz .LBB216_3136
; %bb.3135:
	s_waitcnt vmcnt(0)
	v_cvt_f32_f16_e32 v3, v2
	v_cvt_i32_f32_e32 v3, v3
	global_store_dword v[0:1], v3, off
.LBB216_3136:
	s_mov_b64 s[0:1], 0
.LBB216_3137:
	s_andn2_b64 vcc, exec, s[0:1]
	s_cbranch_vccnz .LBB216_3139
; %bb.3138:
	s_waitcnt vmcnt(0)
	v_cvt_i16_f16_e32 v3, v2
	global_store_short v[0:1], v3, off
.LBB216_3139:
	s_mov_b64 s[0:1], 0
.LBB216_3140:
	s_andn2_b64 vcc, exec, s[0:1]
	s_cbranch_vccnz .LBB216_3145
; %bb.3141:
	s_sext_i32_i16 s0, s20
	s_cmp_gt_i32 s0, 0
	s_mov_b64 s[0:1], -1
	s_cbranch_scc0 .LBB216_3143
; %bb.3142:
	s_waitcnt vmcnt(0)
	v_cvt_i16_f16_e32 v3, v2
	global_store_byte v[0:1], v3, off
	s_mov_b64 s[0:1], 0
.LBB216_3143:
	s_andn2_b64 vcc, exec, s[0:1]
	s_cbranch_vccnz .LBB216_3145
; %bb.3144:
	v_cvt_f32_f16_e32 v2, v2
	v_cvt_i32_f32_e32 v2, v2
	s_waitcnt vmcnt(0)
	global_store_byte v[0:1], v2, off
	s_endpgm
.LBB216_3145:
	s_endpgm
.LBB216_3146:
	s_mov_b64 s[2:3], 0
	s_mov_b64 s[0:1], -1
	s_branch .LBB216_3102
.LBB216_3147:
	s_trap 2
	s_or_b64 s[4:5], s[4:5], exec
	s_cbranch_execz .LBB216_2616
	s_branch .LBB216_2617
.LBB216_3148:
	s_andn2_saveexec_b64 s[18:19], s[18:19]
	s_cbranch_execz .LBB216_2696
.LBB216_3149:
	s_mov_b32 s22, 0x46000000
	v_add_f32_e64 v7, |v3|, s22
	v_and_b32_e32 v7, 0xff, v7
	v_cmp_ne_u32_e32 vcc, 0, v7
	s_andn2_b64 s[16:17], s[16:17], exec
	s_and_b64 s[22:23], vcc, exec
	s_or_b64 s[16:17], s[16:17], s[22:23]
	s_or_b64 exec, exec, s[18:19]
	v_mov_b32_e32 v8, 0
	s_and_saveexec_b64 s[18:19], s[16:17]
	s_cbranch_execnz .LBB216_2697
	s_branch .LBB216_2698
.LBB216_3150:
	s_trap 2
	s_or_b64 s[4:5], s[4:5], exec
	s_cbranch_execz .LBB216_2744
	s_branch .LBB216_2745
.LBB216_3151:
	s_andn2_saveexec_b64 s[16:17], s[16:17]
	s_cbranch_execz .LBB216_2709
.LBB216_3152:
	s_mov_b32 s18, 0x42800000
	v_add_f32_e64 v7, |v3|, s18
	v_and_b32_e32 v7, 0xff, v7
	v_cmp_ne_u32_e32 vcc, 0, v7
	s_andn2_b64 s[10:11], s[10:11], exec
	s_and_b64 s[18:19], vcc, exec
	s_or_b64 s[10:11], s[10:11], s[18:19]
	s_or_b64 exec, exec, s[16:17]
	v_mov_b32_e32 v8, 0
	s_and_saveexec_b64 s[16:17], s[10:11]
	s_cbranch_execnz .LBB216_2710
	s_branch .LBB216_2711
.LBB216_3153:
	s_andn2_saveexec_b64 s[18:19], s[18:19]
	s_cbranch_execz .LBB216_2815
.LBB216_3154:
	s_mov_b32 s3, 0x46000000
	v_add_f32_e64 v6, |v5|, s3
	v_and_b32_e32 v6, 0xff, v6
	v_cmp_ne_u32_e32 vcc, 0, v6
	s_andn2_b64 s[16:17], s[16:17], exec
	s_and_b64 s[24:25], vcc, exec
	s_or_b64 s[16:17], s[16:17], s[24:25]
	s_or_b64 exec, exec, s[18:19]
	v_mov_b32_e32 v7, 0
	s_and_saveexec_b64 s[18:19], s[16:17]
	s_cbranch_execnz .LBB216_2816
	s_branch .LBB216_2817
.LBB216_3155:
	s_trap 2
	s_or_b64 s[4:5], s[4:5], exec
	s_cbranch_execz .LBB216_2863
	s_branch .LBB216_2864
.LBB216_3156:
	s_andn2_saveexec_b64 s[16:17], s[16:17]
	s_cbranch_execz .LBB216_2828
.LBB216_3157:
	s_mov_b32 s3, 0x42800000
	v_add_f32_e64 v6, |v5|, s3
	v_and_b32_e32 v6, 0xff, v6
	v_cmp_ne_u32_e32 vcc, 0, v6
	s_andn2_b64 s[10:11], s[10:11], exec
	s_and_b64 s[18:19], vcc, exec
	s_or_b64 s[10:11], s[10:11], s[18:19]
	s_or_b64 exec, exec, s[16:17]
	v_mov_b32_e32 v7, 0
	s_and_saveexec_b64 s[16:17], s[10:11]
	s_cbranch_execnz .LBB216_2829
	s_branch .LBB216_2830
.LBB216_3158:
	s_andn2_saveexec_b64 s[18:19], s[18:19]
	s_cbranch_execz .LBB216_2934
.LBB216_3159:
	s_mov_b32 s3, 0x46000000
	v_add_f32_e64 v5, |v4|, s3
	v_and_b32_e32 v5, 0xff, v5
	v_cmp_ne_u32_e32 vcc, 0, v5
	s_andn2_b64 s[16:17], s[16:17], exec
	s_and_b64 s[24:25], vcc, exec
	s_or_b64 s[16:17], s[16:17], s[24:25]
	s_or_b64 exec, exec, s[18:19]
	v_mov_b32_e32 v6, 0
	s_and_saveexec_b64 s[18:19], s[16:17]
	s_cbranch_execnz .LBB216_2935
	s_branch .LBB216_2936
.LBB216_3160:
	s_trap 2
	s_or_b64 s[4:5], s[4:5], exec
	s_cbranch_execz .LBB216_2982
	s_branch .LBB216_2983
.LBB216_3161:
	s_andn2_saveexec_b64 s[16:17], s[16:17]
	s_cbranch_execz .LBB216_2947
.LBB216_3162:
	s_mov_b32 s3, 0x42800000
	v_add_f32_e64 v5, |v4|, s3
	v_and_b32_e32 v5, 0xff, v5
	v_cmp_ne_u32_e32 vcc, 0, v5
	s_andn2_b64 s[10:11], s[10:11], exec
	s_and_b64 s[18:19], vcc, exec
	s_or_b64 s[10:11], s[10:11], s[18:19]
	s_or_b64 exec, exec, s[16:17]
	v_mov_b32_e32 v6, 0
	s_and_saveexec_b64 s[16:17], s[10:11]
	s_cbranch_execnz .LBB216_2948
	s_branch .LBB216_2949
.LBB216_3163:
	s_andn2_saveexec_b64 s[10:11], s[10:11]
	s_cbranch_execz .LBB216_3054
.LBB216_3164:
	s_mov_b32 s16, 0x46000000
	v_add_f32_e64 v4, |v3|, s16
	v_and_b32_e32 v4, 0xff, v4
	v_cmp_ne_u32_e32 vcc, 0, v4
	s_andn2_b64 s[8:9], s[8:9], exec
	s_and_b64 s[16:17], vcc, exec
	s_or_b64 s[8:9], s[8:9], s[16:17]
	s_or_b64 exec, exec, s[10:11]
	v_mov_b32_e32 v5, 0
	s_and_saveexec_b64 s[10:11], s[8:9]
	s_cbranch_execnz .LBB216_3055
	s_branch .LBB216_3056
.LBB216_3165:
	s_mov_b64 s[2:3], 0
	s_or_b64 s[4:5], s[4:5], exec
	s_trap 2
	s_branch .LBB216_3100
.LBB216_3166:
	s_andn2_saveexec_b64 s[8:9], s[8:9]
	s_cbranch_execz .LBB216_3066
.LBB216_3167:
	s_mov_b32 s10, 0x42800000
	v_add_f32_e64 v4, |v3|, s10
	v_and_b32_e32 v4, 0xff, v4
	v_cmp_ne_u32_e32 vcc, 0, v4
	s_andn2_b64 s[6:7], s[6:7], exec
	s_and_b64 s[10:11], vcc, exec
	s_or_b64 s[6:7], s[6:7], s[10:11]
	s_or_b64 exec, exec, s[8:9]
	v_mov_b32_e32 v5, 0
	s_and_saveexec_b64 s[8:9], s[6:7]
	s_cbranch_execnz .LBB216_3067
	s_branch .LBB216_3068
	.section	.rodata,"a",@progbits
	.p2align	6, 0x0
	.amdhsa_kernel _ZN2at6native32elementwise_kernel_manual_unrollILi128ELi4EZNS0_15gpu_kernel_implINS0_13BinaryFunctorIN3c104HalfES5_S5_ZNS0_12_GLOBAL__N_121threshold_kernel_implIS5_EEvRNS_18TensorIteratorBaseET_SA_EUlS5_S5_E_EEEEvS9_RKSA_EUlibE0_EEviT1_
		.amdhsa_group_segment_fixed_size 0
		.amdhsa_private_segment_fixed_size 0
		.amdhsa_kernarg_size 432
		.amdhsa_user_sgpr_count 6
		.amdhsa_user_sgpr_private_segment_buffer 1
		.amdhsa_user_sgpr_dispatch_ptr 0
		.amdhsa_user_sgpr_queue_ptr 0
		.amdhsa_user_sgpr_kernarg_segment_ptr 1
		.amdhsa_user_sgpr_dispatch_id 0
		.amdhsa_user_sgpr_flat_scratch_init 0
		.amdhsa_user_sgpr_private_segment_size 0
		.amdhsa_uses_dynamic_stack 0
		.amdhsa_system_sgpr_private_segment_wavefront_offset 0
		.amdhsa_system_sgpr_workgroup_id_x 1
		.amdhsa_system_sgpr_workgroup_id_y 0
		.amdhsa_system_sgpr_workgroup_id_z 0
		.amdhsa_system_sgpr_workgroup_info 0
		.amdhsa_system_vgpr_workitem_id 0
		.amdhsa_next_free_vgpr 24
		.amdhsa_next_free_sgpr 82
		.amdhsa_reserve_vcc 1
		.amdhsa_reserve_flat_scratch 0
		.amdhsa_float_round_mode_32 0
		.amdhsa_float_round_mode_16_64 0
		.amdhsa_float_denorm_mode_32 3
		.amdhsa_float_denorm_mode_16_64 3
		.amdhsa_dx10_clamp 1
		.amdhsa_ieee_mode 1
		.amdhsa_fp16_overflow 0
		.amdhsa_exception_fp_ieee_invalid_op 0
		.amdhsa_exception_fp_denorm_src 0
		.amdhsa_exception_fp_ieee_div_zero 0
		.amdhsa_exception_fp_ieee_overflow 0
		.amdhsa_exception_fp_ieee_underflow 0
		.amdhsa_exception_fp_ieee_inexact 0
		.amdhsa_exception_int_div_zero 0
	.end_amdhsa_kernel
	.section	.text._ZN2at6native32elementwise_kernel_manual_unrollILi128ELi4EZNS0_15gpu_kernel_implINS0_13BinaryFunctorIN3c104HalfES5_S5_ZNS0_12_GLOBAL__N_121threshold_kernel_implIS5_EEvRNS_18TensorIteratorBaseET_SA_EUlS5_S5_E_EEEEvS9_RKSA_EUlibE0_EEviT1_,"axG",@progbits,_ZN2at6native32elementwise_kernel_manual_unrollILi128ELi4EZNS0_15gpu_kernel_implINS0_13BinaryFunctorIN3c104HalfES5_S5_ZNS0_12_GLOBAL__N_121threshold_kernel_implIS5_EEvRNS_18TensorIteratorBaseET_SA_EUlS5_S5_E_EEEEvS9_RKSA_EUlibE0_EEviT1_,comdat
.Lfunc_end216:
	.size	_ZN2at6native32elementwise_kernel_manual_unrollILi128ELi4EZNS0_15gpu_kernel_implINS0_13BinaryFunctorIN3c104HalfES5_S5_ZNS0_12_GLOBAL__N_121threshold_kernel_implIS5_EEvRNS_18TensorIteratorBaseET_SA_EUlS5_S5_E_EEEEvS9_RKSA_EUlibE0_EEviT1_, .Lfunc_end216-_ZN2at6native32elementwise_kernel_manual_unrollILi128ELi4EZNS0_15gpu_kernel_implINS0_13BinaryFunctorIN3c104HalfES5_S5_ZNS0_12_GLOBAL__N_121threshold_kernel_implIS5_EEvRNS_18TensorIteratorBaseET_SA_EUlS5_S5_E_EEEEvS9_RKSA_EUlibE0_EEviT1_
                                        ; -- End function
	.set _ZN2at6native32elementwise_kernel_manual_unrollILi128ELi4EZNS0_15gpu_kernel_implINS0_13BinaryFunctorIN3c104HalfES5_S5_ZNS0_12_GLOBAL__N_121threshold_kernel_implIS5_EEvRNS_18TensorIteratorBaseET_SA_EUlS5_S5_E_EEEEvS9_RKSA_EUlibE0_EEviT1_.num_vgpr, 24
	.set _ZN2at6native32elementwise_kernel_manual_unrollILi128ELi4EZNS0_15gpu_kernel_implINS0_13BinaryFunctorIN3c104HalfES5_S5_ZNS0_12_GLOBAL__N_121threshold_kernel_implIS5_EEvRNS_18TensorIteratorBaseET_SA_EUlS5_S5_E_EEEEvS9_RKSA_EUlibE0_EEviT1_.num_agpr, 0
	.set _ZN2at6native32elementwise_kernel_manual_unrollILi128ELi4EZNS0_15gpu_kernel_implINS0_13BinaryFunctorIN3c104HalfES5_S5_ZNS0_12_GLOBAL__N_121threshold_kernel_implIS5_EEvRNS_18TensorIteratorBaseET_SA_EUlS5_S5_E_EEEEvS9_RKSA_EUlibE0_EEviT1_.numbered_sgpr, 82
	.set _ZN2at6native32elementwise_kernel_manual_unrollILi128ELi4EZNS0_15gpu_kernel_implINS0_13BinaryFunctorIN3c104HalfES5_S5_ZNS0_12_GLOBAL__N_121threshold_kernel_implIS5_EEvRNS_18TensorIteratorBaseET_SA_EUlS5_S5_E_EEEEvS9_RKSA_EUlibE0_EEviT1_.num_named_barrier, 0
	.set _ZN2at6native32elementwise_kernel_manual_unrollILi128ELi4EZNS0_15gpu_kernel_implINS0_13BinaryFunctorIN3c104HalfES5_S5_ZNS0_12_GLOBAL__N_121threshold_kernel_implIS5_EEvRNS_18TensorIteratorBaseET_SA_EUlS5_S5_E_EEEEvS9_RKSA_EUlibE0_EEviT1_.private_seg_size, 0
	.set _ZN2at6native32elementwise_kernel_manual_unrollILi128ELi4EZNS0_15gpu_kernel_implINS0_13BinaryFunctorIN3c104HalfES5_S5_ZNS0_12_GLOBAL__N_121threshold_kernel_implIS5_EEvRNS_18TensorIteratorBaseET_SA_EUlS5_S5_E_EEEEvS9_RKSA_EUlibE0_EEviT1_.uses_vcc, 1
	.set _ZN2at6native32elementwise_kernel_manual_unrollILi128ELi4EZNS0_15gpu_kernel_implINS0_13BinaryFunctorIN3c104HalfES5_S5_ZNS0_12_GLOBAL__N_121threshold_kernel_implIS5_EEvRNS_18TensorIteratorBaseET_SA_EUlS5_S5_E_EEEEvS9_RKSA_EUlibE0_EEviT1_.uses_flat_scratch, 0
	.set _ZN2at6native32elementwise_kernel_manual_unrollILi128ELi4EZNS0_15gpu_kernel_implINS0_13BinaryFunctorIN3c104HalfES5_S5_ZNS0_12_GLOBAL__N_121threshold_kernel_implIS5_EEvRNS_18TensorIteratorBaseET_SA_EUlS5_S5_E_EEEEvS9_RKSA_EUlibE0_EEviT1_.has_dyn_sized_stack, 0
	.set _ZN2at6native32elementwise_kernel_manual_unrollILi128ELi4EZNS0_15gpu_kernel_implINS0_13BinaryFunctorIN3c104HalfES5_S5_ZNS0_12_GLOBAL__N_121threshold_kernel_implIS5_EEvRNS_18TensorIteratorBaseET_SA_EUlS5_S5_E_EEEEvS9_RKSA_EUlibE0_EEviT1_.has_recursion, 0
	.set _ZN2at6native32elementwise_kernel_manual_unrollILi128ELi4EZNS0_15gpu_kernel_implINS0_13BinaryFunctorIN3c104HalfES5_S5_ZNS0_12_GLOBAL__N_121threshold_kernel_implIS5_EEvRNS_18TensorIteratorBaseET_SA_EUlS5_S5_E_EEEEvS9_RKSA_EUlibE0_EEviT1_.has_indirect_call, 0
	.section	.AMDGPU.csdata,"",@progbits
; Kernel info:
; codeLenInByte = 59516
; TotalNumSgprs: 86
; NumVgprs: 24
; ScratchSize: 0
; MemoryBound: 0
; FloatMode: 240
; IeeeMode: 1
; LDSByteSize: 0 bytes/workgroup (compile time only)
; SGPRBlocks: 10
; VGPRBlocks: 5
; NumSGPRsForWavesPerEU: 86
; NumVGPRsForWavesPerEU: 24
; Occupancy: 9
; WaveLimiterHint : 1
; COMPUTE_PGM_RSRC2:SCRATCH_EN: 0
; COMPUTE_PGM_RSRC2:USER_SGPR: 6
; COMPUTE_PGM_RSRC2:TRAP_HANDLER: 0
; COMPUTE_PGM_RSRC2:TGID_X_EN: 1
; COMPUTE_PGM_RSRC2:TGID_Y_EN: 0
; COMPUTE_PGM_RSRC2:TGID_Z_EN: 0
; COMPUTE_PGM_RSRC2:TIDIG_COMP_CNT: 0
	.section	.text._ZN2at6native29vectorized_elementwise_kernelILi16ENS0_13AUnaryFunctorIN3c108BFloat16ES4_S4_ZNS0_12_GLOBAL__N_121threshold_kernel_implIS4_EEvRNS_18TensorIteratorBaseET_S9_EUlS4_S4_E_EESt5arrayIPcLm2EEEEviT0_T1_,"axG",@progbits,_ZN2at6native29vectorized_elementwise_kernelILi16ENS0_13AUnaryFunctorIN3c108BFloat16ES4_S4_ZNS0_12_GLOBAL__N_121threshold_kernel_implIS4_EEvRNS_18TensorIteratorBaseET_S9_EUlS4_S4_E_EESt5arrayIPcLm2EEEEviT0_T1_,comdat
	.globl	_ZN2at6native29vectorized_elementwise_kernelILi16ENS0_13AUnaryFunctorIN3c108BFloat16ES4_S4_ZNS0_12_GLOBAL__N_121threshold_kernel_implIS4_EEvRNS_18TensorIteratorBaseET_S9_EUlS4_S4_E_EESt5arrayIPcLm2EEEEviT0_T1_ ; -- Begin function _ZN2at6native29vectorized_elementwise_kernelILi16ENS0_13AUnaryFunctorIN3c108BFloat16ES4_S4_ZNS0_12_GLOBAL__N_121threshold_kernel_implIS4_EEvRNS_18TensorIteratorBaseET_S9_EUlS4_S4_E_EESt5arrayIPcLm2EEEEviT0_T1_
	.p2align	8
	.type	_ZN2at6native29vectorized_elementwise_kernelILi16ENS0_13AUnaryFunctorIN3c108BFloat16ES4_S4_ZNS0_12_GLOBAL__N_121threshold_kernel_implIS4_EEvRNS_18TensorIteratorBaseET_S9_EUlS4_S4_E_EESt5arrayIPcLm2EEEEviT0_T1_,@function
_ZN2at6native29vectorized_elementwise_kernelILi16ENS0_13AUnaryFunctorIN3c108BFloat16ES4_S4_ZNS0_12_GLOBAL__N_121threshold_kernel_implIS4_EEvRNS_18TensorIteratorBaseET_S9_EUlS4_S4_E_EESt5arrayIPcLm2EEEEviT0_T1_: ; @_ZN2at6native29vectorized_elementwise_kernelILi16ENS0_13AUnaryFunctorIN3c108BFloat16ES4_S4_ZNS0_12_GLOBAL__N_121threshold_kernel_implIS4_EEvRNS_18TensorIteratorBaseET_S9_EUlS4_S4_E_EESt5arrayIPcLm2EEEEviT0_T1_
; %bb.0:
	s_load_dword s0, s[4:5], 0x8
	s_load_dwordx2 s[12:13], s[4:5], 0x0
	s_load_dwordx4 s[8:11], s[4:5], 0x10
	s_lshl_b32 s2, s6, 11
	s_waitcnt lgkmcnt(0)
	s_and_b32 s14, s0, 0xffff
	s_sub_i32 s7, s12, s2
	s_lshr_b32 s6, s13, 16
	s_cmpk_gt_i32 s7, 0x7ff
	s_mov_b64 s[0:1], -1
	s_cbranch_scc0 .LBB217_2
; %bb.1:
	s_ashr_i32 s3, s2, 31
	s_lshl_b64 s[0:1], s[2:3], 1
	s_add_u32 s4, s10, s0
	s_addc_u32 s5, s11, s1
	v_lshlrev_b32_e32 v5, 4, v0
	global_load_dwordx4 v[1:4], v5, s[4:5]
	s_lshl_b32 s5, s13, 16
	s_lshl_b32 s4, s14, 16
	v_mov_b32_e32 v7, s5
	v_mov_b32_e32 v6, s6
	v_cmp_le_f32_e32 vcc, s4, v7
	s_mov_b32 s3, 0x5040100
	s_add_u32 s0, s8, s0
	s_addc_u32 s1, s9, s1
	s_waitcnt vmcnt(0)
	v_lshrrev_b32_e32 v8, 16, v1
	v_lshrrev_b32_e32 v9, 16, v2
	;; [unrolled: 1-line block ×4, first 2 shown]
	v_cndmask_b32_e32 v1, v1, v6, vcc
	v_cndmask_b32_e32 v2, v2, v6, vcc
	;; [unrolled: 1-line block ×8, first 2 shown]
	v_perm_b32 v4, v6, v4, s3
	v_perm_b32 v3, v9, v3, s3
	;; [unrolled: 1-line block ×4, first 2 shown]
	global_store_dwordx4 v5, v[1:4], s[0:1]
	s_mov_b64 s[0:1], 0
.LBB217_2:
	s_andn2_b64 vcc, exec, s[0:1]
	s_cbranch_vccnz .LBB217_28
; %bb.3:
	v_cmp_gt_i32_e32 vcc, s7, v0
	v_mov_b32_e32 v3, 0
	v_or_b32_e32 v1, s2, v0
	v_mov_b32_e32 v2, 0
	v_mov_b32_e32 v10, v0
	s_and_saveexec_b64 s[4:5], vcc
	s_cbranch_execz .LBB217_5
; %bb.4:
	v_mov_b32_e32 v2, 0
	v_lshlrev_b64 v[4:5], 1, v[1:2]
	v_mov_b32_e32 v2, s11
	v_add_co_u32_e64 v4, s[0:1], s10, v4
	v_addc_co_u32_e64 v5, s[0:1], v2, v5, s[0:1]
	global_load_ushort v2, v[4:5], off
	v_or_b32_e32 v10, 0x100, v0
.LBB217_5:
	s_or_b64 exec, exec, s[4:5]
	v_cmp_gt_i32_e64 s[0:1], s7, v10
	s_and_saveexec_b64 s[4:5], s[0:1]
	s_cbranch_execz .LBB217_7
; %bb.6:
	v_add_u32_e32 v3, s2, v10
	v_mov_b32_e32 v4, 0
	v_lshlrev_b64 v[3:4], 1, v[3:4]
	v_mov_b32_e32 v5, s11
	v_add_co_u32_e64 v3, s[0:1], s10, v3
	v_addc_co_u32_e64 v4, s[0:1], v5, v4, s[0:1]
	global_load_ushort v3, v[3:4], off
	v_add_u32_e32 v10, 0x100, v10
.LBB217_7:
	s_or_b64 exec, exec, s[4:5]
	v_cmp_gt_i32_e64 s[0:1], s7, v10
	v_mov_b32_e32 v4, 0
	v_mov_b32_e32 v7, 0
	s_and_saveexec_b64 s[4:5], s[0:1]
	s_cbranch_execz .LBB217_9
; %bb.8:
	v_add_u32_e32 v5, s2, v10
	v_mov_b32_e32 v6, 0
	v_lshlrev_b64 v[5:6], 1, v[5:6]
	v_mov_b32_e32 v7, s11
	v_add_co_u32_e64 v5, s[0:1], s10, v5
	v_addc_co_u32_e64 v6, s[0:1], v7, v6, s[0:1]
	global_load_ushort v7, v[5:6], off
	v_add_u32_e32 v10, 0x100, v10
.LBB217_9:
	s_or_b64 exec, exec, s[4:5]
	v_cmp_gt_i32_e64 s[0:1], s7, v10
	s_and_saveexec_b64 s[4:5], s[0:1]
	s_cbranch_execz .LBB217_11
; %bb.10:
	v_add_u32_e32 v4, s2, v10
	v_mov_b32_e32 v5, 0
	v_lshlrev_b64 v[4:5], 1, v[4:5]
	v_mov_b32_e32 v6, s11
	v_add_co_u32_e64 v4, s[0:1], s10, v4
	v_addc_co_u32_e64 v5, s[0:1], v6, v5, s[0:1]
	global_load_ushort v4, v[4:5], off
	v_add_u32_e32 v10, 0x100, v10
.LBB217_11:
	s_or_b64 exec, exec, s[4:5]
	v_cmp_gt_i32_e64 s[0:1], s7, v10
	v_mov_b32_e32 v5, 0
	v_mov_b32_e32 v8, 0
	s_and_saveexec_b64 s[4:5], s[0:1]
	s_cbranch_execz .LBB217_13
; %bb.12:
	v_add_u32_e32 v8, s2, v10
	v_mov_b32_e32 v9, 0
	v_lshlrev_b64 v[8:9], 1, v[8:9]
	v_mov_b32_e32 v6, s11
	v_add_co_u32_e64 v8, s[0:1], s10, v8
	v_addc_co_u32_e64 v9, s[0:1], v6, v9, s[0:1]
	global_load_ushort v8, v[8:9], off
	v_add_u32_e32 v10, 0x100, v10
.LBB217_13:
	;; [unrolled: 30-line block ×3, first 2 shown]
	s_or_b64 exec, exec, s[4:5]
	v_cmp_gt_i32_e64 s[0:1], s7, v10
	s_and_saveexec_b64 s[4:5], s[0:1]
	s_cbranch_execz .LBB217_19
; %bb.18:
	v_add_u32_e32 v10, s2, v10
	v_mov_b32_e32 v11, 0
	v_lshlrev_b64 v[10:11], 1, v[10:11]
	v_mov_b32_e32 v6, s11
	v_add_co_u32_e64 v10, s[0:1], s10, v10
	v_addc_co_u32_e64 v11, s[0:1], v6, v11, s[0:1]
	global_load_ushort v6, v[10:11], off
.LBB217_19:
	s_or_b64 exec, exec, s[4:5]
	s_lshl_b32 s1, s13, 16
	s_lshl_b32 s0, s14, 16
	v_mov_b32_e32 v10, s1
	v_cmp_le_f32_e64 s[0:1], s0, v10
	s_and_saveexec_b64 s[4:5], vcc
	s_cbranch_execnz .LBB217_29
; %bb.20:
	s_or_b64 exec, exec, s[4:5]
	v_cmp_gt_i32_e32 vcc, s7, v0
	s_and_saveexec_b64 s[4:5], vcc
	s_cbranch_execnz .LBB217_30
.LBB217_21:
	s_or_b64 exec, exec, s[4:5]
	v_cmp_gt_i32_e32 vcc, s7, v0
	s_and_saveexec_b64 s[4:5], vcc
	s_cbranch_execnz .LBB217_31
.LBB217_22:
	s_or_b64 exec, exec, s[4:5]
	v_cmp_gt_i32_e32 vcc, s7, v0
	s_and_saveexec_b64 s[4:5], vcc
	s_cbranch_execnz .LBB217_32
.LBB217_23:
	s_or_b64 exec, exec, s[4:5]
	v_cmp_gt_i32_e32 vcc, s7, v0
	s_and_saveexec_b64 s[4:5], vcc
	s_cbranch_execnz .LBB217_33
.LBB217_24:
	s_or_b64 exec, exec, s[4:5]
	v_cmp_gt_i32_e32 vcc, s7, v0
	s_and_saveexec_b64 s[4:5], vcc
	s_cbranch_execnz .LBB217_34
.LBB217_25:
	s_or_b64 exec, exec, s[4:5]
	v_cmp_gt_i32_e32 vcc, s7, v0
	s_and_saveexec_b64 s[4:5], vcc
	s_cbranch_execnz .LBB217_35
.LBB217_26:
	s_or_b64 exec, exec, s[4:5]
	v_cmp_gt_i32_e32 vcc, s7, v0
	s_and_saveexec_b64 s[4:5], vcc
	s_cbranch_execz .LBB217_28
.LBB217_27:
	v_mov_b32_e32 v1, s6
	s_waitcnt vmcnt(0)
	v_cndmask_b32_e64 v2, v6, v1, s[0:1]
	v_add_u32_e32 v0, s2, v0
	v_mov_b32_e32 v1, 0
	v_lshlrev_b64 v[0:1], 1, v[0:1]
	v_mov_b32_e32 v3, s9
	v_add_co_u32_e32 v0, vcc, s8, v0
	v_addc_co_u32_e32 v1, vcc, v3, v1, vcc
	global_store_short v[0:1], v2, off
.LBB217_28:
	s_endpgm
.LBB217_29:
	v_mov_b32_e32 v10, s6
	s_waitcnt vmcnt(0)
	v_cndmask_b32_e64 v10, v2, v10, s[0:1]
	v_mov_b32_e32 v2, 0
	v_lshlrev_b64 v[1:2], 1, v[1:2]
	v_mov_b32_e32 v11, s9
	v_add_co_u32_e32 v1, vcc, s8, v1
	v_or_b32_e32 v0, 0x100, v0
	v_addc_co_u32_e32 v2, vcc, v11, v2, vcc
	global_store_short v[1:2], v10, off
	s_or_b64 exec, exec, s[4:5]
	v_cmp_gt_i32_e32 vcc, s7, v0
	s_and_saveexec_b64 s[4:5], vcc
	s_cbranch_execz .LBB217_21
.LBB217_30:
	v_mov_b32_e32 v1, s6
	s_waitcnt vmcnt(0)
	v_cndmask_b32_e64 v3, v3, v1, s[0:1]
	v_add_u32_e32 v1, s2, v0
	v_mov_b32_e32 v2, 0
	v_lshlrev_b64 v[1:2], 1, v[1:2]
	v_mov_b32_e32 v10, s9
	v_add_co_u32_e32 v1, vcc, s8, v1
	v_addc_co_u32_e32 v2, vcc, v10, v2, vcc
	v_add_u32_e32 v0, 0x100, v0
	global_store_short v[1:2], v3, off
	s_or_b64 exec, exec, s[4:5]
	v_cmp_gt_i32_e32 vcc, s7, v0
	s_and_saveexec_b64 s[4:5], vcc
	s_cbranch_execz .LBB217_22
.LBB217_31:
	v_mov_b32_e32 v1, s6
	s_waitcnt vmcnt(0)
	v_cndmask_b32_e64 v3, v7, v1, s[0:1]
	v_add_u32_e32 v1, s2, v0
	v_mov_b32_e32 v2, 0
	v_lshlrev_b64 v[1:2], 1, v[1:2]
	v_mov_b32_e32 v7, s9
	v_add_co_u32_e32 v1, vcc, s8, v1
	v_addc_co_u32_e32 v2, vcc, v7, v2, vcc
	v_add_u32_e32 v0, 0x100, v0
	global_store_short v[1:2], v3, off
	s_or_b64 exec, exec, s[4:5]
	v_cmp_gt_i32_e32 vcc, s7, v0
	s_and_saveexec_b64 s[4:5], vcc
	s_cbranch_execz .LBB217_23
.LBB217_32:
	v_mov_b32_e32 v1, s6
	s_waitcnt vmcnt(0)
	v_cndmask_b32_e64 v3, v4, v1, s[0:1]
	v_add_u32_e32 v1, s2, v0
	v_mov_b32_e32 v2, 0
	v_lshlrev_b64 v[1:2], 1, v[1:2]
	v_mov_b32_e32 v4, s9
	v_add_co_u32_e32 v1, vcc, s8, v1
	v_addc_co_u32_e32 v2, vcc, v4, v2, vcc
	v_add_u32_e32 v0, 0x100, v0
	global_store_short v[1:2], v3, off
	s_or_b64 exec, exec, s[4:5]
	v_cmp_gt_i32_e32 vcc, s7, v0
	s_and_saveexec_b64 s[4:5], vcc
	s_cbranch_execz .LBB217_24
.LBB217_33:
	v_mov_b32_e32 v1, s6
	s_waitcnt vmcnt(0)
	v_cndmask_b32_e64 v3, v8, v1, s[0:1]
	v_add_u32_e32 v1, s2, v0
	v_mov_b32_e32 v2, 0
	v_lshlrev_b64 v[1:2], 1, v[1:2]
	v_mov_b32_e32 v4, s9
	v_add_co_u32_e32 v1, vcc, s8, v1
	v_addc_co_u32_e32 v2, vcc, v4, v2, vcc
	v_add_u32_e32 v0, 0x100, v0
	global_store_short v[1:2], v3, off
	s_or_b64 exec, exec, s[4:5]
	v_cmp_gt_i32_e32 vcc, s7, v0
	s_and_saveexec_b64 s[4:5], vcc
	s_cbranch_execz .LBB217_25
.LBB217_34:
	v_mov_b32_e32 v1, s6
	s_waitcnt vmcnt(0)
	v_cndmask_b32_e64 v3, v5, v1, s[0:1]
	v_add_u32_e32 v1, s2, v0
	v_mov_b32_e32 v2, 0
	v_lshlrev_b64 v[1:2], 1, v[1:2]
	v_mov_b32_e32 v4, s9
	v_add_co_u32_e32 v1, vcc, s8, v1
	v_addc_co_u32_e32 v2, vcc, v4, v2, vcc
	v_add_u32_e32 v0, 0x100, v0
	global_store_short v[1:2], v3, off
	s_or_b64 exec, exec, s[4:5]
	v_cmp_gt_i32_e32 vcc, s7, v0
	s_and_saveexec_b64 s[4:5], vcc
	s_cbranch_execz .LBB217_26
.LBB217_35:
	v_mov_b32_e32 v1, s6
	s_waitcnt vmcnt(0)
	v_cndmask_b32_e64 v3, v9, v1, s[0:1]
	v_add_u32_e32 v1, s2, v0
	v_mov_b32_e32 v2, 0
	v_lshlrev_b64 v[1:2], 1, v[1:2]
	v_mov_b32_e32 v4, s9
	v_add_co_u32_e32 v1, vcc, s8, v1
	v_addc_co_u32_e32 v2, vcc, v4, v2, vcc
	v_add_u32_e32 v0, 0x100, v0
	global_store_short v[1:2], v3, off
	s_or_b64 exec, exec, s[4:5]
	v_cmp_gt_i32_e32 vcc, s7, v0
	s_and_saveexec_b64 s[4:5], vcc
	s_cbranch_execnz .LBB217_27
	s_branch .LBB217_28
	.section	.rodata,"a",@progbits
	.p2align	6, 0x0
	.amdhsa_kernel _ZN2at6native29vectorized_elementwise_kernelILi16ENS0_13AUnaryFunctorIN3c108BFloat16ES4_S4_ZNS0_12_GLOBAL__N_121threshold_kernel_implIS4_EEvRNS_18TensorIteratorBaseET_S9_EUlS4_S4_E_EESt5arrayIPcLm2EEEEviT0_T1_
		.amdhsa_group_segment_fixed_size 0
		.amdhsa_private_segment_fixed_size 0
		.amdhsa_kernarg_size 32
		.amdhsa_user_sgpr_count 6
		.amdhsa_user_sgpr_private_segment_buffer 1
		.amdhsa_user_sgpr_dispatch_ptr 0
		.amdhsa_user_sgpr_queue_ptr 0
		.amdhsa_user_sgpr_kernarg_segment_ptr 1
		.amdhsa_user_sgpr_dispatch_id 0
		.amdhsa_user_sgpr_flat_scratch_init 0
		.amdhsa_user_sgpr_private_segment_size 0
		.amdhsa_uses_dynamic_stack 0
		.amdhsa_system_sgpr_private_segment_wavefront_offset 0
		.amdhsa_system_sgpr_workgroup_id_x 1
		.amdhsa_system_sgpr_workgroup_id_y 0
		.amdhsa_system_sgpr_workgroup_id_z 0
		.amdhsa_system_sgpr_workgroup_info 0
		.amdhsa_system_vgpr_workitem_id 0
		.amdhsa_next_free_vgpr 13
		.amdhsa_next_free_sgpr 15
		.amdhsa_reserve_vcc 1
		.amdhsa_reserve_flat_scratch 0
		.amdhsa_float_round_mode_32 0
		.amdhsa_float_round_mode_16_64 0
		.amdhsa_float_denorm_mode_32 3
		.amdhsa_float_denorm_mode_16_64 3
		.amdhsa_dx10_clamp 1
		.amdhsa_ieee_mode 1
		.amdhsa_fp16_overflow 0
		.amdhsa_exception_fp_ieee_invalid_op 0
		.amdhsa_exception_fp_denorm_src 0
		.amdhsa_exception_fp_ieee_div_zero 0
		.amdhsa_exception_fp_ieee_overflow 0
		.amdhsa_exception_fp_ieee_underflow 0
		.amdhsa_exception_fp_ieee_inexact 0
		.amdhsa_exception_int_div_zero 0
	.end_amdhsa_kernel
	.section	.text._ZN2at6native29vectorized_elementwise_kernelILi16ENS0_13AUnaryFunctorIN3c108BFloat16ES4_S4_ZNS0_12_GLOBAL__N_121threshold_kernel_implIS4_EEvRNS_18TensorIteratorBaseET_S9_EUlS4_S4_E_EESt5arrayIPcLm2EEEEviT0_T1_,"axG",@progbits,_ZN2at6native29vectorized_elementwise_kernelILi16ENS0_13AUnaryFunctorIN3c108BFloat16ES4_S4_ZNS0_12_GLOBAL__N_121threshold_kernel_implIS4_EEvRNS_18TensorIteratorBaseET_S9_EUlS4_S4_E_EESt5arrayIPcLm2EEEEviT0_T1_,comdat
.Lfunc_end217:
	.size	_ZN2at6native29vectorized_elementwise_kernelILi16ENS0_13AUnaryFunctorIN3c108BFloat16ES4_S4_ZNS0_12_GLOBAL__N_121threshold_kernel_implIS4_EEvRNS_18TensorIteratorBaseET_S9_EUlS4_S4_E_EESt5arrayIPcLm2EEEEviT0_T1_, .Lfunc_end217-_ZN2at6native29vectorized_elementwise_kernelILi16ENS0_13AUnaryFunctorIN3c108BFloat16ES4_S4_ZNS0_12_GLOBAL__N_121threshold_kernel_implIS4_EEvRNS_18TensorIteratorBaseET_S9_EUlS4_S4_E_EESt5arrayIPcLm2EEEEviT0_T1_
                                        ; -- End function
	.set _ZN2at6native29vectorized_elementwise_kernelILi16ENS0_13AUnaryFunctorIN3c108BFloat16ES4_S4_ZNS0_12_GLOBAL__N_121threshold_kernel_implIS4_EEvRNS_18TensorIteratorBaseET_S9_EUlS4_S4_E_EESt5arrayIPcLm2EEEEviT0_T1_.num_vgpr, 13
	.set _ZN2at6native29vectorized_elementwise_kernelILi16ENS0_13AUnaryFunctorIN3c108BFloat16ES4_S4_ZNS0_12_GLOBAL__N_121threshold_kernel_implIS4_EEvRNS_18TensorIteratorBaseET_S9_EUlS4_S4_E_EESt5arrayIPcLm2EEEEviT0_T1_.num_agpr, 0
	.set _ZN2at6native29vectorized_elementwise_kernelILi16ENS0_13AUnaryFunctorIN3c108BFloat16ES4_S4_ZNS0_12_GLOBAL__N_121threshold_kernel_implIS4_EEvRNS_18TensorIteratorBaseET_S9_EUlS4_S4_E_EESt5arrayIPcLm2EEEEviT0_T1_.numbered_sgpr, 15
	.set _ZN2at6native29vectorized_elementwise_kernelILi16ENS0_13AUnaryFunctorIN3c108BFloat16ES4_S4_ZNS0_12_GLOBAL__N_121threshold_kernel_implIS4_EEvRNS_18TensorIteratorBaseET_S9_EUlS4_S4_E_EESt5arrayIPcLm2EEEEviT0_T1_.num_named_barrier, 0
	.set _ZN2at6native29vectorized_elementwise_kernelILi16ENS0_13AUnaryFunctorIN3c108BFloat16ES4_S4_ZNS0_12_GLOBAL__N_121threshold_kernel_implIS4_EEvRNS_18TensorIteratorBaseET_S9_EUlS4_S4_E_EESt5arrayIPcLm2EEEEviT0_T1_.private_seg_size, 0
	.set _ZN2at6native29vectorized_elementwise_kernelILi16ENS0_13AUnaryFunctorIN3c108BFloat16ES4_S4_ZNS0_12_GLOBAL__N_121threshold_kernel_implIS4_EEvRNS_18TensorIteratorBaseET_S9_EUlS4_S4_E_EESt5arrayIPcLm2EEEEviT0_T1_.uses_vcc, 1
	.set _ZN2at6native29vectorized_elementwise_kernelILi16ENS0_13AUnaryFunctorIN3c108BFloat16ES4_S4_ZNS0_12_GLOBAL__N_121threshold_kernel_implIS4_EEvRNS_18TensorIteratorBaseET_S9_EUlS4_S4_E_EESt5arrayIPcLm2EEEEviT0_T1_.uses_flat_scratch, 0
	.set _ZN2at6native29vectorized_elementwise_kernelILi16ENS0_13AUnaryFunctorIN3c108BFloat16ES4_S4_ZNS0_12_GLOBAL__N_121threshold_kernel_implIS4_EEvRNS_18TensorIteratorBaseET_S9_EUlS4_S4_E_EESt5arrayIPcLm2EEEEviT0_T1_.has_dyn_sized_stack, 0
	.set _ZN2at6native29vectorized_elementwise_kernelILi16ENS0_13AUnaryFunctorIN3c108BFloat16ES4_S4_ZNS0_12_GLOBAL__N_121threshold_kernel_implIS4_EEvRNS_18TensorIteratorBaseET_S9_EUlS4_S4_E_EESt5arrayIPcLm2EEEEviT0_T1_.has_recursion, 0
	.set _ZN2at6native29vectorized_elementwise_kernelILi16ENS0_13AUnaryFunctorIN3c108BFloat16ES4_S4_ZNS0_12_GLOBAL__N_121threshold_kernel_implIS4_EEvRNS_18TensorIteratorBaseET_S9_EUlS4_S4_E_EESt5arrayIPcLm2EEEEviT0_T1_.has_indirect_call, 0
	.section	.AMDGPU.csdata,"",@progbits
; Kernel info:
; codeLenInByte = 1556
; TotalNumSgprs: 19
; NumVgprs: 13
; ScratchSize: 0
; MemoryBound: 0
; FloatMode: 240
; IeeeMode: 1
; LDSByteSize: 0 bytes/workgroup (compile time only)
; SGPRBlocks: 2
; VGPRBlocks: 3
; NumSGPRsForWavesPerEU: 19
; NumVGPRsForWavesPerEU: 13
; Occupancy: 10
; WaveLimiterHint : 0
; COMPUTE_PGM_RSRC2:SCRATCH_EN: 0
; COMPUTE_PGM_RSRC2:USER_SGPR: 6
; COMPUTE_PGM_RSRC2:TRAP_HANDLER: 0
; COMPUTE_PGM_RSRC2:TGID_X_EN: 1
; COMPUTE_PGM_RSRC2:TGID_Y_EN: 0
; COMPUTE_PGM_RSRC2:TGID_Z_EN: 0
; COMPUTE_PGM_RSRC2:TIDIG_COMP_CNT: 0
	.section	.text._ZN2at6native29vectorized_elementwise_kernelILi8ENS0_13AUnaryFunctorIN3c108BFloat16ES4_S4_ZNS0_12_GLOBAL__N_121threshold_kernel_implIS4_EEvRNS_18TensorIteratorBaseET_S9_EUlS4_S4_E_EESt5arrayIPcLm2EEEEviT0_T1_,"axG",@progbits,_ZN2at6native29vectorized_elementwise_kernelILi8ENS0_13AUnaryFunctorIN3c108BFloat16ES4_S4_ZNS0_12_GLOBAL__N_121threshold_kernel_implIS4_EEvRNS_18TensorIteratorBaseET_S9_EUlS4_S4_E_EESt5arrayIPcLm2EEEEviT0_T1_,comdat
	.globl	_ZN2at6native29vectorized_elementwise_kernelILi8ENS0_13AUnaryFunctorIN3c108BFloat16ES4_S4_ZNS0_12_GLOBAL__N_121threshold_kernel_implIS4_EEvRNS_18TensorIteratorBaseET_S9_EUlS4_S4_E_EESt5arrayIPcLm2EEEEviT0_T1_ ; -- Begin function _ZN2at6native29vectorized_elementwise_kernelILi8ENS0_13AUnaryFunctorIN3c108BFloat16ES4_S4_ZNS0_12_GLOBAL__N_121threshold_kernel_implIS4_EEvRNS_18TensorIteratorBaseET_S9_EUlS4_S4_E_EESt5arrayIPcLm2EEEEviT0_T1_
	.p2align	8
	.type	_ZN2at6native29vectorized_elementwise_kernelILi8ENS0_13AUnaryFunctorIN3c108BFloat16ES4_S4_ZNS0_12_GLOBAL__N_121threshold_kernel_implIS4_EEvRNS_18TensorIteratorBaseET_S9_EUlS4_S4_E_EESt5arrayIPcLm2EEEEviT0_T1_,@function
_ZN2at6native29vectorized_elementwise_kernelILi8ENS0_13AUnaryFunctorIN3c108BFloat16ES4_S4_ZNS0_12_GLOBAL__N_121threshold_kernel_implIS4_EEvRNS_18TensorIteratorBaseET_S9_EUlS4_S4_E_EESt5arrayIPcLm2EEEEviT0_T1_: ; @_ZN2at6native29vectorized_elementwise_kernelILi8ENS0_13AUnaryFunctorIN3c108BFloat16ES4_S4_ZNS0_12_GLOBAL__N_121threshold_kernel_implIS4_EEvRNS_18TensorIteratorBaseET_S9_EUlS4_S4_E_EESt5arrayIPcLm2EEEEviT0_T1_
; %bb.0:
	s_load_dword s0, s[4:5], 0x8
	s_load_dwordx2 s[12:13], s[4:5], 0x0
	s_load_dwordx4 s[8:11], s[4:5], 0x10
	s_lshl_b32 s2, s6, 11
	s_waitcnt lgkmcnt(0)
	s_and_b32 s14, s0, 0xffff
	s_sub_i32 s7, s12, s2
	s_lshr_b32 s6, s13, 16
	s_cmpk_gt_i32 s7, 0x7ff
	s_mov_b64 s[0:1], -1
	s_cbranch_scc0 .LBB218_2
; %bb.1:
	s_ashr_i32 s3, s2, 31
	s_lshl_b64 s[0:1], s[2:3], 1
	s_add_u32 s4, s10, s0
	s_addc_u32 s5, s11, s1
	v_lshlrev_b32_e32 v5, 4, v0
	global_load_dwordx4 v[1:4], v5, s[4:5]
	s_lshl_b32 s5, s13, 16
	s_lshl_b32 s4, s14, 16
	v_mov_b32_e32 v7, s5
	v_mov_b32_e32 v6, s6
	v_cmp_le_f32_e32 vcc, s4, v7
	s_mov_b32 s3, 0x5040100
	s_add_u32 s0, s8, s0
	s_addc_u32 s1, s9, s1
	s_waitcnt vmcnt(0)
	v_lshrrev_b32_e32 v8, 16, v1
	v_lshrrev_b32_e32 v9, 16, v2
	;; [unrolled: 1-line block ×4, first 2 shown]
	v_cndmask_b32_e32 v1, v1, v6, vcc
	v_cndmask_b32_e32 v2, v2, v6, vcc
	;; [unrolled: 1-line block ×8, first 2 shown]
	v_perm_b32 v4, v6, v4, s3
	v_perm_b32 v3, v9, v3, s3
	;; [unrolled: 1-line block ×4, first 2 shown]
	global_store_dwordx4 v5, v[1:4], s[0:1]
	s_mov_b64 s[0:1], 0
.LBB218_2:
	s_andn2_b64 vcc, exec, s[0:1]
	s_cbranch_vccnz .LBB218_28
; %bb.3:
	v_cmp_gt_i32_e32 vcc, s7, v0
	v_mov_b32_e32 v3, 0
	v_or_b32_e32 v1, s2, v0
	v_mov_b32_e32 v2, 0
	v_mov_b32_e32 v10, v0
	s_and_saveexec_b64 s[4:5], vcc
	s_cbranch_execz .LBB218_5
; %bb.4:
	v_mov_b32_e32 v2, 0
	v_lshlrev_b64 v[4:5], 1, v[1:2]
	v_mov_b32_e32 v2, s11
	v_add_co_u32_e64 v4, s[0:1], s10, v4
	v_addc_co_u32_e64 v5, s[0:1], v2, v5, s[0:1]
	global_load_ushort v2, v[4:5], off
	v_or_b32_e32 v10, 0x100, v0
.LBB218_5:
	s_or_b64 exec, exec, s[4:5]
	v_cmp_gt_i32_e64 s[0:1], s7, v10
	s_and_saveexec_b64 s[4:5], s[0:1]
	s_cbranch_execz .LBB218_7
; %bb.6:
	v_add_u32_e32 v3, s2, v10
	v_mov_b32_e32 v4, 0
	v_lshlrev_b64 v[3:4], 1, v[3:4]
	v_mov_b32_e32 v5, s11
	v_add_co_u32_e64 v3, s[0:1], s10, v3
	v_addc_co_u32_e64 v4, s[0:1], v5, v4, s[0:1]
	global_load_ushort v3, v[3:4], off
	v_add_u32_e32 v10, 0x100, v10
.LBB218_7:
	s_or_b64 exec, exec, s[4:5]
	v_cmp_gt_i32_e64 s[0:1], s7, v10
	v_mov_b32_e32 v4, 0
	v_mov_b32_e32 v7, 0
	s_and_saveexec_b64 s[4:5], s[0:1]
	s_cbranch_execz .LBB218_9
; %bb.8:
	v_add_u32_e32 v5, s2, v10
	v_mov_b32_e32 v6, 0
	v_lshlrev_b64 v[5:6], 1, v[5:6]
	v_mov_b32_e32 v7, s11
	v_add_co_u32_e64 v5, s[0:1], s10, v5
	v_addc_co_u32_e64 v6, s[0:1], v7, v6, s[0:1]
	global_load_ushort v7, v[5:6], off
	v_add_u32_e32 v10, 0x100, v10
.LBB218_9:
	s_or_b64 exec, exec, s[4:5]
	v_cmp_gt_i32_e64 s[0:1], s7, v10
	s_and_saveexec_b64 s[4:5], s[0:1]
	s_cbranch_execz .LBB218_11
; %bb.10:
	v_add_u32_e32 v4, s2, v10
	v_mov_b32_e32 v5, 0
	v_lshlrev_b64 v[4:5], 1, v[4:5]
	v_mov_b32_e32 v6, s11
	v_add_co_u32_e64 v4, s[0:1], s10, v4
	v_addc_co_u32_e64 v5, s[0:1], v6, v5, s[0:1]
	global_load_ushort v4, v[4:5], off
	v_add_u32_e32 v10, 0x100, v10
.LBB218_11:
	s_or_b64 exec, exec, s[4:5]
	v_cmp_gt_i32_e64 s[0:1], s7, v10
	v_mov_b32_e32 v5, 0
	v_mov_b32_e32 v8, 0
	s_and_saveexec_b64 s[4:5], s[0:1]
	s_cbranch_execz .LBB218_13
; %bb.12:
	v_add_u32_e32 v8, s2, v10
	v_mov_b32_e32 v9, 0
	v_lshlrev_b64 v[8:9], 1, v[8:9]
	v_mov_b32_e32 v6, s11
	v_add_co_u32_e64 v8, s[0:1], s10, v8
	v_addc_co_u32_e64 v9, s[0:1], v6, v9, s[0:1]
	global_load_ushort v8, v[8:9], off
	v_add_u32_e32 v10, 0x100, v10
.LBB218_13:
	;; [unrolled: 30-line block ×3, first 2 shown]
	s_or_b64 exec, exec, s[4:5]
	v_cmp_gt_i32_e64 s[0:1], s7, v10
	s_and_saveexec_b64 s[4:5], s[0:1]
	s_cbranch_execz .LBB218_19
; %bb.18:
	v_add_u32_e32 v10, s2, v10
	v_mov_b32_e32 v11, 0
	v_lshlrev_b64 v[10:11], 1, v[10:11]
	v_mov_b32_e32 v6, s11
	v_add_co_u32_e64 v10, s[0:1], s10, v10
	v_addc_co_u32_e64 v11, s[0:1], v6, v11, s[0:1]
	global_load_ushort v6, v[10:11], off
.LBB218_19:
	s_or_b64 exec, exec, s[4:5]
	s_lshl_b32 s1, s13, 16
	s_lshl_b32 s0, s14, 16
	v_mov_b32_e32 v10, s1
	v_cmp_le_f32_e64 s[0:1], s0, v10
	s_and_saveexec_b64 s[4:5], vcc
	s_cbranch_execnz .LBB218_29
; %bb.20:
	s_or_b64 exec, exec, s[4:5]
	v_cmp_gt_i32_e32 vcc, s7, v0
	s_and_saveexec_b64 s[4:5], vcc
	s_cbranch_execnz .LBB218_30
.LBB218_21:
	s_or_b64 exec, exec, s[4:5]
	v_cmp_gt_i32_e32 vcc, s7, v0
	s_and_saveexec_b64 s[4:5], vcc
	s_cbranch_execnz .LBB218_31
.LBB218_22:
	s_or_b64 exec, exec, s[4:5]
	v_cmp_gt_i32_e32 vcc, s7, v0
	s_and_saveexec_b64 s[4:5], vcc
	s_cbranch_execnz .LBB218_32
.LBB218_23:
	s_or_b64 exec, exec, s[4:5]
	v_cmp_gt_i32_e32 vcc, s7, v0
	s_and_saveexec_b64 s[4:5], vcc
	s_cbranch_execnz .LBB218_33
.LBB218_24:
	s_or_b64 exec, exec, s[4:5]
	v_cmp_gt_i32_e32 vcc, s7, v0
	s_and_saveexec_b64 s[4:5], vcc
	s_cbranch_execnz .LBB218_34
.LBB218_25:
	s_or_b64 exec, exec, s[4:5]
	v_cmp_gt_i32_e32 vcc, s7, v0
	s_and_saveexec_b64 s[4:5], vcc
	s_cbranch_execnz .LBB218_35
.LBB218_26:
	s_or_b64 exec, exec, s[4:5]
	v_cmp_gt_i32_e32 vcc, s7, v0
	s_and_saveexec_b64 s[4:5], vcc
	s_cbranch_execz .LBB218_28
.LBB218_27:
	v_mov_b32_e32 v1, s6
	s_waitcnt vmcnt(0)
	v_cndmask_b32_e64 v2, v6, v1, s[0:1]
	v_add_u32_e32 v0, s2, v0
	v_mov_b32_e32 v1, 0
	v_lshlrev_b64 v[0:1], 1, v[0:1]
	v_mov_b32_e32 v3, s9
	v_add_co_u32_e32 v0, vcc, s8, v0
	v_addc_co_u32_e32 v1, vcc, v3, v1, vcc
	global_store_short v[0:1], v2, off
.LBB218_28:
	s_endpgm
.LBB218_29:
	v_mov_b32_e32 v10, s6
	s_waitcnt vmcnt(0)
	v_cndmask_b32_e64 v10, v2, v10, s[0:1]
	v_mov_b32_e32 v2, 0
	v_lshlrev_b64 v[1:2], 1, v[1:2]
	v_mov_b32_e32 v11, s9
	v_add_co_u32_e32 v1, vcc, s8, v1
	v_or_b32_e32 v0, 0x100, v0
	v_addc_co_u32_e32 v2, vcc, v11, v2, vcc
	global_store_short v[1:2], v10, off
	s_or_b64 exec, exec, s[4:5]
	v_cmp_gt_i32_e32 vcc, s7, v0
	s_and_saveexec_b64 s[4:5], vcc
	s_cbranch_execz .LBB218_21
.LBB218_30:
	v_mov_b32_e32 v1, s6
	s_waitcnt vmcnt(0)
	v_cndmask_b32_e64 v3, v3, v1, s[0:1]
	v_add_u32_e32 v1, s2, v0
	v_mov_b32_e32 v2, 0
	v_lshlrev_b64 v[1:2], 1, v[1:2]
	v_mov_b32_e32 v10, s9
	v_add_co_u32_e32 v1, vcc, s8, v1
	v_addc_co_u32_e32 v2, vcc, v10, v2, vcc
	v_add_u32_e32 v0, 0x100, v0
	global_store_short v[1:2], v3, off
	s_or_b64 exec, exec, s[4:5]
	v_cmp_gt_i32_e32 vcc, s7, v0
	s_and_saveexec_b64 s[4:5], vcc
	s_cbranch_execz .LBB218_22
.LBB218_31:
	v_mov_b32_e32 v1, s6
	s_waitcnt vmcnt(0)
	v_cndmask_b32_e64 v3, v7, v1, s[0:1]
	v_add_u32_e32 v1, s2, v0
	v_mov_b32_e32 v2, 0
	v_lshlrev_b64 v[1:2], 1, v[1:2]
	v_mov_b32_e32 v7, s9
	v_add_co_u32_e32 v1, vcc, s8, v1
	v_addc_co_u32_e32 v2, vcc, v7, v2, vcc
	v_add_u32_e32 v0, 0x100, v0
	global_store_short v[1:2], v3, off
	s_or_b64 exec, exec, s[4:5]
	v_cmp_gt_i32_e32 vcc, s7, v0
	s_and_saveexec_b64 s[4:5], vcc
	s_cbranch_execz .LBB218_23
.LBB218_32:
	v_mov_b32_e32 v1, s6
	s_waitcnt vmcnt(0)
	v_cndmask_b32_e64 v3, v4, v1, s[0:1]
	v_add_u32_e32 v1, s2, v0
	v_mov_b32_e32 v2, 0
	v_lshlrev_b64 v[1:2], 1, v[1:2]
	v_mov_b32_e32 v4, s9
	v_add_co_u32_e32 v1, vcc, s8, v1
	v_addc_co_u32_e32 v2, vcc, v4, v2, vcc
	v_add_u32_e32 v0, 0x100, v0
	global_store_short v[1:2], v3, off
	s_or_b64 exec, exec, s[4:5]
	v_cmp_gt_i32_e32 vcc, s7, v0
	s_and_saveexec_b64 s[4:5], vcc
	s_cbranch_execz .LBB218_24
.LBB218_33:
	v_mov_b32_e32 v1, s6
	s_waitcnt vmcnt(0)
	v_cndmask_b32_e64 v3, v8, v1, s[0:1]
	v_add_u32_e32 v1, s2, v0
	v_mov_b32_e32 v2, 0
	v_lshlrev_b64 v[1:2], 1, v[1:2]
	v_mov_b32_e32 v4, s9
	v_add_co_u32_e32 v1, vcc, s8, v1
	v_addc_co_u32_e32 v2, vcc, v4, v2, vcc
	v_add_u32_e32 v0, 0x100, v0
	global_store_short v[1:2], v3, off
	s_or_b64 exec, exec, s[4:5]
	v_cmp_gt_i32_e32 vcc, s7, v0
	s_and_saveexec_b64 s[4:5], vcc
	s_cbranch_execz .LBB218_25
.LBB218_34:
	v_mov_b32_e32 v1, s6
	s_waitcnt vmcnt(0)
	v_cndmask_b32_e64 v3, v5, v1, s[0:1]
	v_add_u32_e32 v1, s2, v0
	v_mov_b32_e32 v2, 0
	v_lshlrev_b64 v[1:2], 1, v[1:2]
	v_mov_b32_e32 v4, s9
	v_add_co_u32_e32 v1, vcc, s8, v1
	v_addc_co_u32_e32 v2, vcc, v4, v2, vcc
	v_add_u32_e32 v0, 0x100, v0
	global_store_short v[1:2], v3, off
	s_or_b64 exec, exec, s[4:5]
	v_cmp_gt_i32_e32 vcc, s7, v0
	s_and_saveexec_b64 s[4:5], vcc
	s_cbranch_execz .LBB218_26
.LBB218_35:
	v_mov_b32_e32 v1, s6
	s_waitcnt vmcnt(0)
	v_cndmask_b32_e64 v3, v9, v1, s[0:1]
	v_add_u32_e32 v1, s2, v0
	v_mov_b32_e32 v2, 0
	v_lshlrev_b64 v[1:2], 1, v[1:2]
	v_mov_b32_e32 v4, s9
	v_add_co_u32_e32 v1, vcc, s8, v1
	v_addc_co_u32_e32 v2, vcc, v4, v2, vcc
	v_add_u32_e32 v0, 0x100, v0
	global_store_short v[1:2], v3, off
	s_or_b64 exec, exec, s[4:5]
	v_cmp_gt_i32_e32 vcc, s7, v0
	s_and_saveexec_b64 s[4:5], vcc
	s_cbranch_execnz .LBB218_27
	s_branch .LBB218_28
	.section	.rodata,"a",@progbits
	.p2align	6, 0x0
	.amdhsa_kernel _ZN2at6native29vectorized_elementwise_kernelILi8ENS0_13AUnaryFunctorIN3c108BFloat16ES4_S4_ZNS0_12_GLOBAL__N_121threshold_kernel_implIS4_EEvRNS_18TensorIteratorBaseET_S9_EUlS4_S4_E_EESt5arrayIPcLm2EEEEviT0_T1_
		.amdhsa_group_segment_fixed_size 0
		.amdhsa_private_segment_fixed_size 0
		.amdhsa_kernarg_size 32
		.amdhsa_user_sgpr_count 6
		.amdhsa_user_sgpr_private_segment_buffer 1
		.amdhsa_user_sgpr_dispatch_ptr 0
		.amdhsa_user_sgpr_queue_ptr 0
		.amdhsa_user_sgpr_kernarg_segment_ptr 1
		.amdhsa_user_sgpr_dispatch_id 0
		.amdhsa_user_sgpr_flat_scratch_init 0
		.amdhsa_user_sgpr_private_segment_size 0
		.amdhsa_uses_dynamic_stack 0
		.amdhsa_system_sgpr_private_segment_wavefront_offset 0
		.amdhsa_system_sgpr_workgroup_id_x 1
		.amdhsa_system_sgpr_workgroup_id_y 0
		.amdhsa_system_sgpr_workgroup_id_z 0
		.amdhsa_system_sgpr_workgroup_info 0
		.amdhsa_system_vgpr_workitem_id 0
		.amdhsa_next_free_vgpr 13
		.amdhsa_next_free_sgpr 15
		.amdhsa_reserve_vcc 1
		.amdhsa_reserve_flat_scratch 0
		.amdhsa_float_round_mode_32 0
		.amdhsa_float_round_mode_16_64 0
		.amdhsa_float_denorm_mode_32 3
		.amdhsa_float_denorm_mode_16_64 3
		.amdhsa_dx10_clamp 1
		.amdhsa_ieee_mode 1
		.amdhsa_fp16_overflow 0
		.amdhsa_exception_fp_ieee_invalid_op 0
		.amdhsa_exception_fp_denorm_src 0
		.amdhsa_exception_fp_ieee_div_zero 0
		.amdhsa_exception_fp_ieee_overflow 0
		.amdhsa_exception_fp_ieee_underflow 0
		.amdhsa_exception_fp_ieee_inexact 0
		.amdhsa_exception_int_div_zero 0
	.end_amdhsa_kernel
	.section	.text._ZN2at6native29vectorized_elementwise_kernelILi8ENS0_13AUnaryFunctorIN3c108BFloat16ES4_S4_ZNS0_12_GLOBAL__N_121threshold_kernel_implIS4_EEvRNS_18TensorIteratorBaseET_S9_EUlS4_S4_E_EESt5arrayIPcLm2EEEEviT0_T1_,"axG",@progbits,_ZN2at6native29vectorized_elementwise_kernelILi8ENS0_13AUnaryFunctorIN3c108BFloat16ES4_S4_ZNS0_12_GLOBAL__N_121threshold_kernel_implIS4_EEvRNS_18TensorIteratorBaseET_S9_EUlS4_S4_E_EESt5arrayIPcLm2EEEEviT0_T1_,comdat
.Lfunc_end218:
	.size	_ZN2at6native29vectorized_elementwise_kernelILi8ENS0_13AUnaryFunctorIN3c108BFloat16ES4_S4_ZNS0_12_GLOBAL__N_121threshold_kernel_implIS4_EEvRNS_18TensorIteratorBaseET_S9_EUlS4_S4_E_EESt5arrayIPcLm2EEEEviT0_T1_, .Lfunc_end218-_ZN2at6native29vectorized_elementwise_kernelILi8ENS0_13AUnaryFunctorIN3c108BFloat16ES4_S4_ZNS0_12_GLOBAL__N_121threshold_kernel_implIS4_EEvRNS_18TensorIteratorBaseET_S9_EUlS4_S4_E_EESt5arrayIPcLm2EEEEviT0_T1_
                                        ; -- End function
	.set _ZN2at6native29vectorized_elementwise_kernelILi8ENS0_13AUnaryFunctorIN3c108BFloat16ES4_S4_ZNS0_12_GLOBAL__N_121threshold_kernel_implIS4_EEvRNS_18TensorIteratorBaseET_S9_EUlS4_S4_E_EESt5arrayIPcLm2EEEEviT0_T1_.num_vgpr, 13
	.set _ZN2at6native29vectorized_elementwise_kernelILi8ENS0_13AUnaryFunctorIN3c108BFloat16ES4_S4_ZNS0_12_GLOBAL__N_121threshold_kernel_implIS4_EEvRNS_18TensorIteratorBaseET_S9_EUlS4_S4_E_EESt5arrayIPcLm2EEEEviT0_T1_.num_agpr, 0
	.set _ZN2at6native29vectorized_elementwise_kernelILi8ENS0_13AUnaryFunctorIN3c108BFloat16ES4_S4_ZNS0_12_GLOBAL__N_121threshold_kernel_implIS4_EEvRNS_18TensorIteratorBaseET_S9_EUlS4_S4_E_EESt5arrayIPcLm2EEEEviT0_T1_.numbered_sgpr, 15
	.set _ZN2at6native29vectorized_elementwise_kernelILi8ENS0_13AUnaryFunctorIN3c108BFloat16ES4_S4_ZNS0_12_GLOBAL__N_121threshold_kernel_implIS4_EEvRNS_18TensorIteratorBaseET_S9_EUlS4_S4_E_EESt5arrayIPcLm2EEEEviT0_T1_.num_named_barrier, 0
	.set _ZN2at6native29vectorized_elementwise_kernelILi8ENS0_13AUnaryFunctorIN3c108BFloat16ES4_S4_ZNS0_12_GLOBAL__N_121threshold_kernel_implIS4_EEvRNS_18TensorIteratorBaseET_S9_EUlS4_S4_E_EESt5arrayIPcLm2EEEEviT0_T1_.private_seg_size, 0
	.set _ZN2at6native29vectorized_elementwise_kernelILi8ENS0_13AUnaryFunctorIN3c108BFloat16ES4_S4_ZNS0_12_GLOBAL__N_121threshold_kernel_implIS4_EEvRNS_18TensorIteratorBaseET_S9_EUlS4_S4_E_EESt5arrayIPcLm2EEEEviT0_T1_.uses_vcc, 1
	.set _ZN2at6native29vectorized_elementwise_kernelILi8ENS0_13AUnaryFunctorIN3c108BFloat16ES4_S4_ZNS0_12_GLOBAL__N_121threshold_kernel_implIS4_EEvRNS_18TensorIteratorBaseET_S9_EUlS4_S4_E_EESt5arrayIPcLm2EEEEviT0_T1_.uses_flat_scratch, 0
	.set _ZN2at6native29vectorized_elementwise_kernelILi8ENS0_13AUnaryFunctorIN3c108BFloat16ES4_S4_ZNS0_12_GLOBAL__N_121threshold_kernel_implIS4_EEvRNS_18TensorIteratorBaseET_S9_EUlS4_S4_E_EESt5arrayIPcLm2EEEEviT0_T1_.has_dyn_sized_stack, 0
	.set _ZN2at6native29vectorized_elementwise_kernelILi8ENS0_13AUnaryFunctorIN3c108BFloat16ES4_S4_ZNS0_12_GLOBAL__N_121threshold_kernel_implIS4_EEvRNS_18TensorIteratorBaseET_S9_EUlS4_S4_E_EESt5arrayIPcLm2EEEEviT0_T1_.has_recursion, 0
	.set _ZN2at6native29vectorized_elementwise_kernelILi8ENS0_13AUnaryFunctorIN3c108BFloat16ES4_S4_ZNS0_12_GLOBAL__N_121threshold_kernel_implIS4_EEvRNS_18TensorIteratorBaseET_S9_EUlS4_S4_E_EESt5arrayIPcLm2EEEEviT0_T1_.has_indirect_call, 0
	.section	.AMDGPU.csdata,"",@progbits
; Kernel info:
; codeLenInByte = 1556
; TotalNumSgprs: 19
; NumVgprs: 13
; ScratchSize: 0
; MemoryBound: 0
; FloatMode: 240
; IeeeMode: 1
; LDSByteSize: 0 bytes/workgroup (compile time only)
; SGPRBlocks: 2
; VGPRBlocks: 3
; NumSGPRsForWavesPerEU: 19
; NumVGPRsForWavesPerEU: 13
; Occupancy: 10
; WaveLimiterHint : 0
; COMPUTE_PGM_RSRC2:SCRATCH_EN: 0
; COMPUTE_PGM_RSRC2:USER_SGPR: 6
; COMPUTE_PGM_RSRC2:TRAP_HANDLER: 0
; COMPUTE_PGM_RSRC2:TGID_X_EN: 1
; COMPUTE_PGM_RSRC2:TGID_Y_EN: 0
; COMPUTE_PGM_RSRC2:TGID_Z_EN: 0
; COMPUTE_PGM_RSRC2:TIDIG_COMP_CNT: 0
	.section	.text._ZN2at6native29vectorized_elementwise_kernelILi4ENS0_13AUnaryFunctorIN3c108BFloat16ES4_S4_ZNS0_12_GLOBAL__N_121threshold_kernel_implIS4_EEvRNS_18TensorIteratorBaseET_S9_EUlS4_S4_E_EESt5arrayIPcLm2EEEEviT0_T1_,"axG",@progbits,_ZN2at6native29vectorized_elementwise_kernelILi4ENS0_13AUnaryFunctorIN3c108BFloat16ES4_S4_ZNS0_12_GLOBAL__N_121threshold_kernel_implIS4_EEvRNS_18TensorIteratorBaseET_S9_EUlS4_S4_E_EESt5arrayIPcLm2EEEEviT0_T1_,comdat
	.globl	_ZN2at6native29vectorized_elementwise_kernelILi4ENS0_13AUnaryFunctorIN3c108BFloat16ES4_S4_ZNS0_12_GLOBAL__N_121threshold_kernel_implIS4_EEvRNS_18TensorIteratorBaseET_S9_EUlS4_S4_E_EESt5arrayIPcLm2EEEEviT0_T1_ ; -- Begin function _ZN2at6native29vectorized_elementwise_kernelILi4ENS0_13AUnaryFunctorIN3c108BFloat16ES4_S4_ZNS0_12_GLOBAL__N_121threshold_kernel_implIS4_EEvRNS_18TensorIteratorBaseET_S9_EUlS4_S4_E_EESt5arrayIPcLm2EEEEviT0_T1_
	.p2align	8
	.type	_ZN2at6native29vectorized_elementwise_kernelILi4ENS0_13AUnaryFunctorIN3c108BFloat16ES4_S4_ZNS0_12_GLOBAL__N_121threshold_kernel_implIS4_EEvRNS_18TensorIteratorBaseET_S9_EUlS4_S4_E_EESt5arrayIPcLm2EEEEviT0_T1_,@function
_ZN2at6native29vectorized_elementwise_kernelILi4ENS0_13AUnaryFunctorIN3c108BFloat16ES4_S4_ZNS0_12_GLOBAL__N_121threshold_kernel_implIS4_EEvRNS_18TensorIteratorBaseET_S9_EUlS4_S4_E_EESt5arrayIPcLm2EEEEviT0_T1_: ; @_ZN2at6native29vectorized_elementwise_kernelILi4ENS0_13AUnaryFunctorIN3c108BFloat16ES4_S4_ZNS0_12_GLOBAL__N_121threshold_kernel_implIS4_EEvRNS_18TensorIteratorBaseET_S9_EUlS4_S4_E_EESt5arrayIPcLm2EEEEviT0_T1_
; %bb.0:
	s_load_dword s0, s[4:5], 0x8
	s_load_dwordx2 s[12:13], s[4:5], 0x0
	s_load_dwordx4 s[8:11], s[4:5], 0x10
	s_lshl_b32 s2, s6, 11
	s_waitcnt lgkmcnt(0)
	s_and_b32 s14, s0, 0xffff
	s_sub_i32 s7, s12, s2
	s_lshr_b32 s6, s13, 16
	s_cmpk_gt_i32 s7, 0x7ff
	s_mov_b64 s[0:1], -1
	s_cbranch_scc0 .LBB219_2
; %bb.1:
	s_ashr_i32 s3, s2, 31
	s_lshl_b64 s[0:1], s[2:3], 1
	s_add_u32 s4, s10, s0
	s_addc_u32 s5, s11, s1
	v_lshlrev_b32_e32 v5, 3, v0
	global_load_dwordx2 v[1:2], v5, s[4:5]
	global_load_dwordx2 v[3:4], v5, s[4:5] offset:2048
	s_lshl_b32 s4, s13, 16
	s_lshl_b32 s3, s14, 16
	v_mov_b32_e32 v7, s4
	v_mov_b32_e32 v6, s6
	v_cmp_le_f32_e32 vcc, s3, v7
	s_add_u32 s0, s8, s0
	s_addc_u32 s1, s9, s1
	s_waitcnt vmcnt(1)
	v_cndmask_b32_e32 v7, v1, v6, vcc
	v_lshrrev_b32_e32 v1, 16, v1
	v_cndmask_b32_e32 v8, v2, v6, vcc
	v_lshrrev_b32_e32 v2, 16, v2
	s_waitcnt vmcnt(0)
	v_cndmask_b32_e32 v9, v3, v6, vcc
	v_lshrrev_b32_e32 v3, 16, v3
	v_cndmask_b32_e32 v1, v1, v6, vcc
	v_cndmask_b32_e32 v10, v4, v6, vcc
	v_lshrrev_b32_e32 v4, 16, v4
	v_and_b32_e32 v7, 0xffff, v7
	v_cndmask_b32_e32 v2, v2, v6, vcc
	v_cndmask_b32_e32 v3, v3, v6, vcc
	v_lshlrev_b32_e32 v1, 16, v1
	v_and_b32_e32 v8, 0xffff, v8
	v_and_b32_e32 v9, 0xffff, v9
	v_cndmask_b32_e32 v4, v4, v6, vcc
	v_lshlrev_b32_e32 v2, 16, v2
	v_lshlrev_b32_e32 v3, 16, v3
	v_or_b32_e32 v1, v1, v7
	v_and_b32_e32 v10, 0xffff, v10
	v_lshlrev_b32_e32 v4, 16, v4
	v_or3_b32 v2, 0, v8, v2
	v_or_b32_e32 v3, v3, v9
	v_or3_b32 v1, v1, 0, 0
	v_or3_b32 v4, 0, v10, v4
	;; [unrolled: 1-line block ×3, first 2 shown]
	global_store_dwordx2 v5, v[1:2], s[0:1]
	global_store_dwordx2 v5, v[3:4], s[0:1] offset:2048
	s_mov_b64 s[0:1], 0
.LBB219_2:
	s_andn2_b64 vcc, exec, s[0:1]
	s_cbranch_vccnz .LBB219_28
; %bb.3:
	v_cmp_gt_i32_e32 vcc, s7, v0
	v_mov_b32_e32 v3, 0
	v_or_b32_e32 v1, s2, v0
	v_mov_b32_e32 v2, 0
	v_mov_b32_e32 v10, v0
	s_and_saveexec_b64 s[4:5], vcc
	s_cbranch_execz .LBB219_5
; %bb.4:
	v_mov_b32_e32 v2, 0
	v_lshlrev_b64 v[4:5], 1, v[1:2]
	v_mov_b32_e32 v2, s11
	v_add_co_u32_e64 v4, s[0:1], s10, v4
	v_addc_co_u32_e64 v5, s[0:1], v2, v5, s[0:1]
	global_load_ushort v2, v[4:5], off
	v_or_b32_e32 v10, 0x100, v0
.LBB219_5:
	s_or_b64 exec, exec, s[4:5]
	v_cmp_gt_i32_e64 s[0:1], s7, v10
	s_and_saveexec_b64 s[4:5], s[0:1]
	s_cbranch_execz .LBB219_7
; %bb.6:
	v_add_u32_e32 v3, s2, v10
	v_mov_b32_e32 v4, 0
	v_lshlrev_b64 v[3:4], 1, v[3:4]
	v_mov_b32_e32 v5, s11
	v_add_co_u32_e64 v3, s[0:1], s10, v3
	v_addc_co_u32_e64 v4, s[0:1], v5, v4, s[0:1]
	global_load_ushort v3, v[3:4], off
	v_add_u32_e32 v10, 0x100, v10
.LBB219_7:
	s_or_b64 exec, exec, s[4:5]
	v_cmp_gt_i32_e64 s[0:1], s7, v10
	v_mov_b32_e32 v4, 0
	v_mov_b32_e32 v7, 0
	s_and_saveexec_b64 s[4:5], s[0:1]
	s_cbranch_execz .LBB219_9
; %bb.8:
	v_add_u32_e32 v5, s2, v10
	v_mov_b32_e32 v6, 0
	v_lshlrev_b64 v[5:6], 1, v[5:6]
	v_mov_b32_e32 v7, s11
	v_add_co_u32_e64 v5, s[0:1], s10, v5
	v_addc_co_u32_e64 v6, s[0:1], v7, v6, s[0:1]
	global_load_ushort v7, v[5:6], off
	v_add_u32_e32 v10, 0x100, v10
.LBB219_9:
	s_or_b64 exec, exec, s[4:5]
	v_cmp_gt_i32_e64 s[0:1], s7, v10
	s_and_saveexec_b64 s[4:5], s[0:1]
	s_cbranch_execz .LBB219_11
; %bb.10:
	v_add_u32_e32 v4, s2, v10
	v_mov_b32_e32 v5, 0
	v_lshlrev_b64 v[4:5], 1, v[4:5]
	v_mov_b32_e32 v6, s11
	v_add_co_u32_e64 v4, s[0:1], s10, v4
	v_addc_co_u32_e64 v5, s[0:1], v6, v5, s[0:1]
	global_load_ushort v4, v[4:5], off
	v_add_u32_e32 v10, 0x100, v10
.LBB219_11:
	s_or_b64 exec, exec, s[4:5]
	v_cmp_gt_i32_e64 s[0:1], s7, v10
	v_mov_b32_e32 v5, 0
	v_mov_b32_e32 v8, 0
	s_and_saveexec_b64 s[4:5], s[0:1]
	s_cbranch_execz .LBB219_13
; %bb.12:
	v_add_u32_e32 v8, s2, v10
	v_mov_b32_e32 v9, 0
	v_lshlrev_b64 v[8:9], 1, v[8:9]
	v_mov_b32_e32 v6, s11
	v_add_co_u32_e64 v8, s[0:1], s10, v8
	v_addc_co_u32_e64 v9, s[0:1], v6, v9, s[0:1]
	global_load_ushort v8, v[8:9], off
	v_add_u32_e32 v10, 0x100, v10
.LBB219_13:
	;; [unrolled: 30-line block ×3, first 2 shown]
	s_or_b64 exec, exec, s[4:5]
	v_cmp_gt_i32_e64 s[0:1], s7, v10
	s_and_saveexec_b64 s[4:5], s[0:1]
	s_cbranch_execz .LBB219_19
; %bb.18:
	v_add_u32_e32 v10, s2, v10
	v_mov_b32_e32 v11, 0
	v_lshlrev_b64 v[10:11], 1, v[10:11]
	v_mov_b32_e32 v6, s11
	v_add_co_u32_e64 v10, s[0:1], s10, v10
	v_addc_co_u32_e64 v11, s[0:1], v6, v11, s[0:1]
	global_load_ushort v6, v[10:11], off
.LBB219_19:
	s_or_b64 exec, exec, s[4:5]
	s_lshl_b32 s1, s13, 16
	s_lshl_b32 s0, s14, 16
	v_mov_b32_e32 v10, s1
	v_cmp_le_f32_e64 s[0:1], s0, v10
	s_and_saveexec_b64 s[4:5], vcc
	s_cbranch_execnz .LBB219_29
; %bb.20:
	s_or_b64 exec, exec, s[4:5]
	v_cmp_gt_i32_e32 vcc, s7, v0
	s_and_saveexec_b64 s[4:5], vcc
	s_cbranch_execnz .LBB219_30
.LBB219_21:
	s_or_b64 exec, exec, s[4:5]
	v_cmp_gt_i32_e32 vcc, s7, v0
	s_and_saveexec_b64 s[4:5], vcc
	s_cbranch_execnz .LBB219_31
.LBB219_22:
	s_or_b64 exec, exec, s[4:5]
	v_cmp_gt_i32_e32 vcc, s7, v0
	s_and_saveexec_b64 s[4:5], vcc
	s_cbranch_execnz .LBB219_32
.LBB219_23:
	s_or_b64 exec, exec, s[4:5]
	v_cmp_gt_i32_e32 vcc, s7, v0
	s_and_saveexec_b64 s[4:5], vcc
	s_cbranch_execnz .LBB219_33
.LBB219_24:
	s_or_b64 exec, exec, s[4:5]
	v_cmp_gt_i32_e32 vcc, s7, v0
	s_and_saveexec_b64 s[4:5], vcc
	s_cbranch_execnz .LBB219_34
.LBB219_25:
	s_or_b64 exec, exec, s[4:5]
	v_cmp_gt_i32_e32 vcc, s7, v0
	s_and_saveexec_b64 s[4:5], vcc
	s_cbranch_execnz .LBB219_35
.LBB219_26:
	s_or_b64 exec, exec, s[4:5]
	v_cmp_gt_i32_e32 vcc, s7, v0
	s_and_saveexec_b64 s[4:5], vcc
	s_cbranch_execz .LBB219_28
.LBB219_27:
	v_mov_b32_e32 v1, s6
	s_waitcnt vmcnt(0)
	v_cndmask_b32_e64 v2, v6, v1, s[0:1]
	v_add_u32_e32 v0, s2, v0
	v_mov_b32_e32 v1, 0
	v_lshlrev_b64 v[0:1], 1, v[0:1]
	v_mov_b32_e32 v3, s9
	v_add_co_u32_e32 v0, vcc, s8, v0
	v_addc_co_u32_e32 v1, vcc, v3, v1, vcc
	global_store_short v[0:1], v2, off
.LBB219_28:
	s_endpgm
.LBB219_29:
	v_mov_b32_e32 v10, s6
	s_waitcnt vmcnt(0)
	v_cndmask_b32_e64 v10, v2, v10, s[0:1]
	v_mov_b32_e32 v2, 0
	v_lshlrev_b64 v[1:2], 1, v[1:2]
	v_mov_b32_e32 v11, s9
	v_add_co_u32_e32 v1, vcc, s8, v1
	v_or_b32_e32 v0, 0x100, v0
	v_addc_co_u32_e32 v2, vcc, v11, v2, vcc
	global_store_short v[1:2], v10, off
	s_or_b64 exec, exec, s[4:5]
	v_cmp_gt_i32_e32 vcc, s7, v0
	s_and_saveexec_b64 s[4:5], vcc
	s_cbranch_execz .LBB219_21
.LBB219_30:
	v_mov_b32_e32 v1, s6
	s_waitcnt vmcnt(0)
	v_cndmask_b32_e64 v3, v3, v1, s[0:1]
	v_add_u32_e32 v1, s2, v0
	v_mov_b32_e32 v2, 0
	v_lshlrev_b64 v[1:2], 1, v[1:2]
	v_mov_b32_e32 v10, s9
	v_add_co_u32_e32 v1, vcc, s8, v1
	v_addc_co_u32_e32 v2, vcc, v10, v2, vcc
	v_add_u32_e32 v0, 0x100, v0
	global_store_short v[1:2], v3, off
	s_or_b64 exec, exec, s[4:5]
	v_cmp_gt_i32_e32 vcc, s7, v0
	s_and_saveexec_b64 s[4:5], vcc
	s_cbranch_execz .LBB219_22
.LBB219_31:
	v_mov_b32_e32 v1, s6
	s_waitcnt vmcnt(0)
	v_cndmask_b32_e64 v3, v7, v1, s[0:1]
	v_add_u32_e32 v1, s2, v0
	v_mov_b32_e32 v2, 0
	v_lshlrev_b64 v[1:2], 1, v[1:2]
	v_mov_b32_e32 v7, s9
	v_add_co_u32_e32 v1, vcc, s8, v1
	v_addc_co_u32_e32 v2, vcc, v7, v2, vcc
	v_add_u32_e32 v0, 0x100, v0
	global_store_short v[1:2], v3, off
	s_or_b64 exec, exec, s[4:5]
	v_cmp_gt_i32_e32 vcc, s7, v0
	s_and_saveexec_b64 s[4:5], vcc
	s_cbranch_execz .LBB219_23
.LBB219_32:
	v_mov_b32_e32 v1, s6
	s_waitcnt vmcnt(0)
	v_cndmask_b32_e64 v3, v4, v1, s[0:1]
	v_add_u32_e32 v1, s2, v0
	v_mov_b32_e32 v2, 0
	v_lshlrev_b64 v[1:2], 1, v[1:2]
	v_mov_b32_e32 v4, s9
	v_add_co_u32_e32 v1, vcc, s8, v1
	v_addc_co_u32_e32 v2, vcc, v4, v2, vcc
	v_add_u32_e32 v0, 0x100, v0
	global_store_short v[1:2], v3, off
	s_or_b64 exec, exec, s[4:5]
	v_cmp_gt_i32_e32 vcc, s7, v0
	s_and_saveexec_b64 s[4:5], vcc
	s_cbranch_execz .LBB219_24
.LBB219_33:
	v_mov_b32_e32 v1, s6
	s_waitcnt vmcnt(0)
	v_cndmask_b32_e64 v3, v8, v1, s[0:1]
	v_add_u32_e32 v1, s2, v0
	v_mov_b32_e32 v2, 0
	v_lshlrev_b64 v[1:2], 1, v[1:2]
	v_mov_b32_e32 v4, s9
	v_add_co_u32_e32 v1, vcc, s8, v1
	v_addc_co_u32_e32 v2, vcc, v4, v2, vcc
	v_add_u32_e32 v0, 0x100, v0
	global_store_short v[1:2], v3, off
	s_or_b64 exec, exec, s[4:5]
	v_cmp_gt_i32_e32 vcc, s7, v0
	s_and_saveexec_b64 s[4:5], vcc
	s_cbranch_execz .LBB219_25
.LBB219_34:
	v_mov_b32_e32 v1, s6
	s_waitcnt vmcnt(0)
	v_cndmask_b32_e64 v3, v5, v1, s[0:1]
	v_add_u32_e32 v1, s2, v0
	v_mov_b32_e32 v2, 0
	v_lshlrev_b64 v[1:2], 1, v[1:2]
	v_mov_b32_e32 v4, s9
	v_add_co_u32_e32 v1, vcc, s8, v1
	v_addc_co_u32_e32 v2, vcc, v4, v2, vcc
	v_add_u32_e32 v0, 0x100, v0
	global_store_short v[1:2], v3, off
	s_or_b64 exec, exec, s[4:5]
	v_cmp_gt_i32_e32 vcc, s7, v0
	s_and_saveexec_b64 s[4:5], vcc
	s_cbranch_execz .LBB219_26
.LBB219_35:
	v_mov_b32_e32 v1, s6
	s_waitcnt vmcnt(0)
	v_cndmask_b32_e64 v3, v9, v1, s[0:1]
	v_add_u32_e32 v1, s2, v0
	v_mov_b32_e32 v2, 0
	v_lshlrev_b64 v[1:2], 1, v[1:2]
	v_mov_b32_e32 v4, s9
	v_add_co_u32_e32 v1, vcc, s8, v1
	v_addc_co_u32_e32 v2, vcc, v4, v2, vcc
	v_add_u32_e32 v0, 0x100, v0
	global_store_short v[1:2], v3, off
	s_or_b64 exec, exec, s[4:5]
	v_cmp_gt_i32_e32 vcc, s7, v0
	s_and_saveexec_b64 s[4:5], vcc
	s_cbranch_execnz .LBB219_27
	s_branch .LBB219_28
	.section	.rodata,"a",@progbits
	.p2align	6, 0x0
	.amdhsa_kernel _ZN2at6native29vectorized_elementwise_kernelILi4ENS0_13AUnaryFunctorIN3c108BFloat16ES4_S4_ZNS0_12_GLOBAL__N_121threshold_kernel_implIS4_EEvRNS_18TensorIteratorBaseET_S9_EUlS4_S4_E_EESt5arrayIPcLm2EEEEviT0_T1_
		.amdhsa_group_segment_fixed_size 0
		.amdhsa_private_segment_fixed_size 0
		.amdhsa_kernarg_size 32
		.amdhsa_user_sgpr_count 6
		.amdhsa_user_sgpr_private_segment_buffer 1
		.amdhsa_user_sgpr_dispatch_ptr 0
		.amdhsa_user_sgpr_queue_ptr 0
		.amdhsa_user_sgpr_kernarg_segment_ptr 1
		.amdhsa_user_sgpr_dispatch_id 0
		.amdhsa_user_sgpr_flat_scratch_init 0
		.amdhsa_user_sgpr_private_segment_size 0
		.amdhsa_uses_dynamic_stack 0
		.amdhsa_system_sgpr_private_segment_wavefront_offset 0
		.amdhsa_system_sgpr_workgroup_id_x 1
		.amdhsa_system_sgpr_workgroup_id_y 0
		.amdhsa_system_sgpr_workgroup_id_z 0
		.amdhsa_system_sgpr_workgroup_info 0
		.amdhsa_system_vgpr_workitem_id 0
		.amdhsa_next_free_vgpr 13
		.amdhsa_next_free_sgpr 15
		.amdhsa_reserve_vcc 1
		.amdhsa_reserve_flat_scratch 0
		.amdhsa_float_round_mode_32 0
		.amdhsa_float_round_mode_16_64 0
		.amdhsa_float_denorm_mode_32 3
		.amdhsa_float_denorm_mode_16_64 3
		.amdhsa_dx10_clamp 1
		.amdhsa_ieee_mode 1
		.amdhsa_fp16_overflow 0
		.amdhsa_exception_fp_ieee_invalid_op 0
		.amdhsa_exception_fp_denorm_src 0
		.amdhsa_exception_fp_ieee_div_zero 0
		.amdhsa_exception_fp_ieee_overflow 0
		.amdhsa_exception_fp_ieee_underflow 0
		.amdhsa_exception_fp_ieee_inexact 0
		.amdhsa_exception_int_div_zero 0
	.end_amdhsa_kernel
	.section	.text._ZN2at6native29vectorized_elementwise_kernelILi4ENS0_13AUnaryFunctorIN3c108BFloat16ES4_S4_ZNS0_12_GLOBAL__N_121threshold_kernel_implIS4_EEvRNS_18TensorIteratorBaseET_S9_EUlS4_S4_E_EESt5arrayIPcLm2EEEEviT0_T1_,"axG",@progbits,_ZN2at6native29vectorized_elementwise_kernelILi4ENS0_13AUnaryFunctorIN3c108BFloat16ES4_S4_ZNS0_12_GLOBAL__N_121threshold_kernel_implIS4_EEvRNS_18TensorIteratorBaseET_S9_EUlS4_S4_E_EESt5arrayIPcLm2EEEEviT0_T1_,comdat
.Lfunc_end219:
	.size	_ZN2at6native29vectorized_elementwise_kernelILi4ENS0_13AUnaryFunctorIN3c108BFloat16ES4_S4_ZNS0_12_GLOBAL__N_121threshold_kernel_implIS4_EEvRNS_18TensorIteratorBaseET_S9_EUlS4_S4_E_EESt5arrayIPcLm2EEEEviT0_T1_, .Lfunc_end219-_ZN2at6native29vectorized_elementwise_kernelILi4ENS0_13AUnaryFunctorIN3c108BFloat16ES4_S4_ZNS0_12_GLOBAL__N_121threshold_kernel_implIS4_EEvRNS_18TensorIteratorBaseET_S9_EUlS4_S4_E_EESt5arrayIPcLm2EEEEviT0_T1_
                                        ; -- End function
	.set _ZN2at6native29vectorized_elementwise_kernelILi4ENS0_13AUnaryFunctorIN3c108BFloat16ES4_S4_ZNS0_12_GLOBAL__N_121threshold_kernel_implIS4_EEvRNS_18TensorIteratorBaseET_S9_EUlS4_S4_E_EESt5arrayIPcLm2EEEEviT0_T1_.num_vgpr, 13
	.set _ZN2at6native29vectorized_elementwise_kernelILi4ENS0_13AUnaryFunctorIN3c108BFloat16ES4_S4_ZNS0_12_GLOBAL__N_121threshold_kernel_implIS4_EEvRNS_18TensorIteratorBaseET_S9_EUlS4_S4_E_EESt5arrayIPcLm2EEEEviT0_T1_.num_agpr, 0
	.set _ZN2at6native29vectorized_elementwise_kernelILi4ENS0_13AUnaryFunctorIN3c108BFloat16ES4_S4_ZNS0_12_GLOBAL__N_121threshold_kernel_implIS4_EEvRNS_18TensorIteratorBaseET_S9_EUlS4_S4_E_EESt5arrayIPcLm2EEEEviT0_T1_.numbered_sgpr, 15
	.set _ZN2at6native29vectorized_elementwise_kernelILi4ENS0_13AUnaryFunctorIN3c108BFloat16ES4_S4_ZNS0_12_GLOBAL__N_121threshold_kernel_implIS4_EEvRNS_18TensorIteratorBaseET_S9_EUlS4_S4_E_EESt5arrayIPcLm2EEEEviT0_T1_.num_named_barrier, 0
	.set _ZN2at6native29vectorized_elementwise_kernelILi4ENS0_13AUnaryFunctorIN3c108BFloat16ES4_S4_ZNS0_12_GLOBAL__N_121threshold_kernel_implIS4_EEvRNS_18TensorIteratorBaseET_S9_EUlS4_S4_E_EESt5arrayIPcLm2EEEEviT0_T1_.private_seg_size, 0
	.set _ZN2at6native29vectorized_elementwise_kernelILi4ENS0_13AUnaryFunctorIN3c108BFloat16ES4_S4_ZNS0_12_GLOBAL__N_121threshold_kernel_implIS4_EEvRNS_18TensorIteratorBaseET_S9_EUlS4_S4_E_EESt5arrayIPcLm2EEEEviT0_T1_.uses_vcc, 1
	.set _ZN2at6native29vectorized_elementwise_kernelILi4ENS0_13AUnaryFunctorIN3c108BFloat16ES4_S4_ZNS0_12_GLOBAL__N_121threshold_kernel_implIS4_EEvRNS_18TensorIteratorBaseET_S9_EUlS4_S4_E_EESt5arrayIPcLm2EEEEviT0_T1_.uses_flat_scratch, 0
	.set _ZN2at6native29vectorized_elementwise_kernelILi4ENS0_13AUnaryFunctorIN3c108BFloat16ES4_S4_ZNS0_12_GLOBAL__N_121threshold_kernel_implIS4_EEvRNS_18TensorIteratorBaseET_S9_EUlS4_S4_E_EESt5arrayIPcLm2EEEEviT0_T1_.has_dyn_sized_stack, 0
	.set _ZN2at6native29vectorized_elementwise_kernelILi4ENS0_13AUnaryFunctorIN3c108BFloat16ES4_S4_ZNS0_12_GLOBAL__N_121threshold_kernel_implIS4_EEvRNS_18TensorIteratorBaseET_S9_EUlS4_S4_E_EESt5arrayIPcLm2EEEEviT0_T1_.has_recursion, 0
	.set _ZN2at6native29vectorized_elementwise_kernelILi4ENS0_13AUnaryFunctorIN3c108BFloat16ES4_S4_ZNS0_12_GLOBAL__N_121threshold_kernel_implIS4_EEvRNS_18TensorIteratorBaseET_S9_EUlS4_S4_E_EESt5arrayIPcLm2EEEEviT0_T1_.has_indirect_call, 0
	.section	.AMDGPU.csdata,"",@progbits
; Kernel info:
; codeLenInByte = 1624
; TotalNumSgprs: 19
; NumVgprs: 13
; ScratchSize: 0
; MemoryBound: 0
; FloatMode: 240
; IeeeMode: 1
; LDSByteSize: 0 bytes/workgroup (compile time only)
; SGPRBlocks: 2
; VGPRBlocks: 3
; NumSGPRsForWavesPerEU: 19
; NumVGPRsForWavesPerEU: 13
; Occupancy: 10
; WaveLimiterHint : 1
; COMPUTE_PGM_RSRC2:SCRATCH_EN: 0
; COMPUTE_PGM_RSRC2:USER_SGPR: 6
; COMPUTE_PGM_RSRC2:TRAP_HANDLER: 0
; COMPUTE_PGM_RSRC2:TGID_X_EN: 1
; COMPUTE_PGM_RSRC2:TGID_Y_EN: 0
; COMPUTE_PGM_RSRC2:TGID_Z_EN: 0
; COMPUTE_PGM_RSRC2:TIDIG_COMP_CNT: 0
	.section	.text._ZN2at6native29vectorized_elementwise_kernelILi2ENS0_13AUnaryFunctorIN3c108BFloat16ES4_S4_ZNS0_12_GLOBAL__N_121threshold_kernel_implIS4_EEvRNS_18TensorIteratorBaseET_S9_EUlS4_S4_E_EESt5arrayIPcLm2EEEEviT0_T1_,"axG",@progbits,_ZN2at6native29vectorized_elementwise_kernelILi2ENS0_13AUnaryFunctorIN3c108BFloat16ES4_S4_ZNS0_12_GLOBAL__N_121threshold_kernel_implIS4_EEvRNS_18TensorIteratorBaseET_S9_EUlS4_S4_E_EESt5arrayIPcLm2EEEEviT0_T1_,comdat
	.globl	_ZN2at6native29vectorized_elementwise_kernelILi2ENS0_13AUnaryFunctorIN3c108BFloat16ES4_S4_ZNS0_12_GLOBAL__N_121threshold_kernel_implIS4_EEvRNS_18TensorIteratorBaseET_S9_EUlS4_S4_E_EESt5arrayIPcLm2EEEEviT0_T1_ ; -- Begin function _ZN2at6native29vectorized_elementwise_kernelILi2ENS0_13AUnaryFunctorIN3c108BFloat16ES4_S4_ZNS0_12_GLOBAL__N_121threshold_kernel_implIS4_EEvRNS_18TensorIteratorBaseET_S9_EUlS4_S4_E_EESt5arrayIPcLm2EEEEviT0_T1_
	.p2align	8
	.type	_ZN2at6native29vectorized_elementwise_kernelILi2ENS0_13AUnaryFunctorIN3c108BFloat16ES4_S4_ZNS0_12_GLOBAL__N_121threshold_kernel_implIS4_EEvRNS_18TensorIteratorBaseET_S9_EUlS4_S4_E_EESt5arrayIPcLm2EEEEviT0_T1_,@function
_ZN2at6native29vectorized_elementwise_kernelILi2ENS0_13AUnaryFunctorIN3c108BFloat16ES4_S4_ZNS0_12_GLOBAL__N_121threshold_kernel_implIS4_EEvRNS_18TensorIteratorBaseET_S9_EUlS4_S4_E_EESt5arrayIPcLm2EEEEviT0_T1_: ; @_ZN2at6native29vectorized_elementwise_kernelILi2ENS0_13AUnaryFunctorIN3c108BFloat16ES4_S4_ZNS0_12_GLOBAL__N_121threshold_kernel_implIS4_EEvRNS_18TensorIteratorBaseET_S9_EUlS4_S4_E_EESt5arrayIPcLm2EEEEviT0_T1_
; %bb.0:
	s_load_dword s0, s[4:5], 0x8
	s_load_dwordx2 s[12:13], s[4:5], 0x0
	s_load_dwordx4 s[8:11], s[4:5], 0x10
	s_lshl_b32 s2, s6, 11
	s_waitcnt lgkmcnt(0)
	s_and_b32 s7, s0, 0xffff
	s_sub_i32 s6, s12, s2
	s_cmpk_gt_i32 s6, 0x7ff
	s_mov_b64 s[0:1], -1
	s_cbranch_scc0 .LBB220_2
; %bb.1:
	s_ashr_i32 s3, s2, 31
	s_lshr_b32 s12, s13, 16
	s_lshl_b64 s[0:1], s[2:3], 1
	s_add_u32 s4, s10, s0
	s_addc_u32 s5, s11, s1
	v_lshlrev_b32_e32 v1, 2, v0
	global_load_dword v2, v1, s[4:5]
	global_load_dword v3, v1, s[4:5] offset:1024
	global_load_dword v4, v1, s[4:5] offset:2048
	;; [unrolled: 1-line block ×3, first 2 shown]
	s_lshl_b32 s4, s13, 16
	s_lshl_b32 s3, s7, 16
	v_mov_b32_e32 v7, s4
	v_mov_b32_e32 v6, s12
	v_cmp_le_f32_e32 vcc, s3, v7
	s_add_u32 s0, s8, s0
	s_addc_u32 s1, s9, s1
	s_waitcnt vmcnt(3)
	v_and_b32_e32 v8, 0xffff, v2
	v_lshrrev_b32_e32 v2, 16, v2
	s_waitcnt vmcnt(2)
	v_and_b32_e32 v9, 0xffff, v3
	v_lshrrev_b32_e32 v3, 16, v3
	;; [unrolled: 3-line block ×4, first 2 shown]
	v_cndmask_b32_e32 v7, v8, v6, vcc
	v_cndmask_b32_e32 v2, v2, v6, vcc
	;; [unrolled: 1-line block ×8, first 2 shown]
	v_lshl_or_b32 v2, v2, 16, v7
	v_lshl_or_b32 v3, v3, 16, v8
	;; [unrolled: 1-line block ×4, first 2 shown]
	global_store_dword v1, v2, s[0:1]
	global_store_dword v1, v3, s[0:1] offset:1024
	global_store_dword v1, v4, s[0:1] offset:2048
	global_store_dword v1, v5, s[0:1] offset:3072
	s_mov_b64 s[0:1], 0
.LBB220_2:
	s_andn2_b64 vcc, exec, s[0:1]
	s_cbranch_vccnz .LBB220_28
; %bb.3:
	v_cmp_gt_i32_e32 vcc, s6, v0
	v_mov_b32_e32 v3, 0
	v_or_b32_e32 v1, s2, v0
	v_mov_b32_e32 v2, 0
	v_mov_b32_e32 v10, v0
	s_and_saveexec_b64 s[4:5], vcc
	s_cbranch_execz .LBB220_5
; %bb.4:
	v_mov_b32_e32 v2, 0
	v_lshlrev_b64 v[4:5], 1, v[1:2]
	v_mov_b32_e32 v2, s11
	v_add_co_u32_e64 v4, s[0:1], s10, v4
	v_addc_co_u32_e64 v5, s[0:1], v2, v5, s[0:1]
	global_load_ushort v2, v[4:5], off
	v_or_b32_e32 v10, 0x100, v0
.LBB220_5:
	s_or_b64 exec, exec, s[4:5]
	v_cmp_gt_i32_e64 s[0:1], s6, v10
	s_and_saveexec_b64 s[4:5], s[0:1]
	s_cbranch_execz .LBB220_7
; %bb.6:
	v_add_u32_e32 v3, s2, v10
	v_mov_b32_e32 v4, 0
	v_lshlrev_b64 v[3:4], 1, v[3:4]
	v_mov_b32_e32 v5, s11
	v_add_co_u32_e64 v3, s[0:1], s10, v3
	v_addc_co_u32_e64 v4, s[0:1], v5, v4, s[0:1]
	global_load_ushort v3, v[3:4], off
	v_add_u32_e32 v10, 0x100, v10
.LBB220_7:
	s_or_b64 exec, exec, s[4:5]
	v_cmp_gt_i32_e64 s[0:1], s6, v10
	v_mov_b32_e32 v4, 0
	v_mov_b32_e32 v7, 0
	s_and_saveexec_b64 s[4:5], s[0:1]
	s_cbranch_execz .LBB220_9
; %bb.8:
	v_add_u32_e32 v5, s2, v10
	v_mov_b32_e32 v6, 0
	v_lshlrev_b64 v[5:6], 1, v[5:6]
	v_mov_b32_e32 v7, s11
	v_add_co_u32_e64 v5, s[0:1], s10, v5
	v_addc_co_u32_e64 v6, s[0:1], v7, v6, s[0:1]
	global_load_ushort v7, v[5:6], off
	v_add_u32_e32 v10, 0x100, v10
.LBB220_9:
	s_or_b64 exec, exec, s[4:5]
	v_cmp_gt_i32_e64 s[0:1], s6, v10
	s_and_saveexec_b64 s[4:5], s[0:1]
	s_cbranch_execz .LBB220_11
; %bb.10:
	v_add_u32_e32 v4, s2, v10
	v_mov_b32_e32 v5, 0
	v_lshlrev_b64 v[4:5], 1, v[4:5]
	v_mov_b32_e32 v6, s11
	v_add_co_u32_e64 v4, s[0:1], s10, v4
	v_addc_co_u32_e64 v5, s[0:1], v6, v5, s[0:1]
	global_load_ushort v4, v[4:5], off
	v_add_u32_e32 v10, 0x100, v10
.LBB220_11:
	s_or_b64 exec, exec, s[4:5]
	v_cmp_gt_i32_e64 s[0:1], s6, v10
	v_mov_b32_e32 v5, 0
	v_mov_b32_e32 v8, 0
	s_and_saveexec_b64 s[4:5], s[0:1]
	s_cbranch_execz .LBB220_13
; %bb.12:
	v_add_u32_e32 v8, s2, v10
	v_mov_b32_e32 v9, 0
	v_lshlrev_b64 v[8:9], 1, v[8:9]
	v_mov_b32_e32 v6, s11
	v_add_co_u32_e64 v8, s[0:1], s10, v8
	v_addc_co_u32_e64 v9, s[0:1], v6, v9, s[0:1]
	global_load_ushort v8, v[8:9], off
	v_add_u32_e32 v10, 0x100, v10
.LBB220_13:
	;; [unrolled: 30-line block ×3, first 2 shown]
	s_or_b64 exec, exec, s[4:5]
	v_cmp_gt_i32_e64 s[0:1], s6, v10
	s_and_saveexec_b64 s[4:5], s[0:1]
	s_cbranch_execz .LBB220_19
; %bb.18:
	v_add_u32_e32 v10, s2, v10
	v_mov_b32_e32 v11, 0
	v_lshlrev_b64 v[10:11], 1, v[10:11]
	v_mov_b32_e32 v6, s11
	v_add_co_u32_e64 v10, s[0:1], s10, v10
	v_addc_co_u32_e64 v11, s[0:1], v6, v11, s[0:1]
	global_load_ushort v6, v[10:11], off
.LBB220_19:
	s_or_b64 exec, exec, s[4:5]
	s_lshl_b32 s1, s13, 16
	s_lshl_b32 s0, s7, 16
	v_mov_b32_e32 v10, s1
	s_lshr_b32 s3, s13, 16
	v_cmp_le_f32_e64 s[0:1], s0, v10
	s_and_saveexec_b64 s[4:5], vcc
	s_cbranch_execnz .LBB220_29
; %bb.20:
	s_or_b64 exec, exec, s[4:5]
	v_cmp_gt_i32_e32 vcc, s6, v0
	s_and_saveexec_b64 s[4:5], vcc
	s_cbranch_execnz .LBB220_30
.LBB220_21:
	s_or_b64 exec, exec, s[4:5]
	v_cmp_gt_i32_e32 vcc, s6, v0
	s_and_saveexec_b64 s[4:5], vcc
	s_cbranch_execnz .LBB220_31
.LBB220_22:
	s_or_b64 exec, exec, s[4:5]
	v_cmp_gt_i32_e32 vcc, s6, v0
	s_and_saveexec_b64 s[4:5], vcc
	s_cbranch_execnz .LBB220_32
.LBB220_23:
	s_or_b64 exec, exec, s[4:5]
	v_cmp_gt_i32_e32 vcc, s6, v0
	s_and_saveexec_b64 s[4:5], vcc
	s_cbranch_execnz .LBB220_33
.LBB220_24:
	s_or_b64 exec, exec, s[4:5]
	v_cmp_gt_i32_e32 vcc, s6, v0
	s_and_saveexec_b64 s[4:5], vcc
	s_cbranch_execnz .LBB220_34
.LBB220_25:
	s_or_b64 exec, exec, s[4:5]
	v_cmp_gt_i32_e32 vcc, s6, v0
	s_and_saveexec_b64 s[4:5], vcc
	s_cbranch_execnz .LBB220_35
.LBB220_26:
	s_or_b64 exec, exec, s[4:5]
	v_cmp_gt_i32_e32 vcc, s6, v0
	s_and_saveexec_b64 s[4:5], vcc
	s_cbranch_execz .LBB220_28
.LBB220_27:
	v_mov_b32_e32 v1, s3
	s_waitcnt vmcnt(0)
	v_cndmask_b32_e64 v2, v6, v1, s[0:1]
	v_add_u32_e32 v0, s2, v0
	v_mov_b32_e32 v1, 0
	v_lshlrev_b64 v[0:1], 1, v[0:1]
	v_mov_b32_e32 v3, s9
	v_add_co_u32_e32 v0, vcc, s8, v0
	v_addc_co_u32_e32 v1, vcc, v3, v1, vcc
	global_store_short v[0:1], v2, off
.LBB220_28:
	s_endpgm
.LBB220_29:
	v_mov_b32_e32 v10, s3
	s_waitcnt vmcnt(0)
	v_cndmask_b32_e64 v10, v2, v10, s[0:1]
	v_mov_b32_e32 v2, 0
	v_lshlrev_b64 v[1:2], 1, v[1:2]
	v_mov_b32_e32 v11, s9
	v_add_co_u32_e32 v1, vcc, s8, v1
	v_or_b32_e32 v0, 0x100, v0
	v_addc_co_u32_e32 v2, vcc, v11, v2, vcc
	global_store_short v[1:2], v10, off
	s_or_b64 exec, exec, s[4:5]
	v_cmp_gt_i32_e32 vcc, s6, v0
	s_and_saveexec_b64 s[4:5], vcc
	s_cbranch_execz .LBB220_21
.LBB220_30:
	v_mov_b32_e32 v1, s3
	s_waitcnt vmcnt(0)
	v_cndmask_b32_e64 v3, v3, v1, s[0:1]
	v_add_u32_e32 v1, s2, v0
	v_mov_b32_e32 v2, 0
	v_lshlrev_b64 v[1:2], 1, v[1:2]
	v_mov_b32_e32 v10, s9
	v_add_co_u32_e32 v1, vcc, s8, v1
	v_addc_co_u32_e32 v2, vcc, v10, v2, vcc
	v_add_u32_e32 v0, 0x100, v0
	global_store_short v[1:2], v3, off
	s_or_b64 exec, exec, s[4:5]
	v_cmp_gt_i32_e32 vcc, s6, v0
	s_and_saveexec_b64 s[4:5], vcc
	s_cbranch_execz .LBB220_22
.LBB220_31:
	v_mov_b32_e32 v1, s3
	s_waitcnt vmcnt(0)
	v_cndmask_b32_e64 v3, v7, v1, s[0:1]
	v_add_u32_e32 v1, s2, v0
	v_mov_b32_e32 v2, 0
	v_lshlrev_b64 v[1:2], 1, v[1:2]
	v_mov_b32_e32 v7, s9
	v_add_co_u32_e32 v1, vcc, s8, v1
	v_addc_co_u32_e32 v2, vcc, v7, v2, vcc
	v_add_u32_e32 v0, 0x100, v0
	global_store_short v[1:2], v3, off
	s_or_b64 exec, exec, s[4:5]
	v_cmp_gt_i32_e32 vcc, s6, v0
	s_and_saveexec_b64 s[4:5], vcc
	s_cbranch_execz .LBB220_23
.LBB220_32:
	v_mov_b32_e32 v1, s3
	s_waitcnt vmcnt(0)
	v_cndmask_b32_e64 v3, v4, v1, s[0:1]
	v_add_u32_e32 v1, s2, v0
	v_mov_b32_e32 v2, 0
	v_lshlrev_b64 v[1:2], 1, v[1:2]
	v_mov_b32_e32 v4, s9
	v_add_co_u32_e32 v1, vcc, s8, v1
	v_addc_co_u32_e32 v2, vcc, v4, v2, vcc
	v_add_u32_e32 v0, 0x100, v0
	global_store_short v[1:2], v3, off
	s_or_b64 exec, exec, s[4:5]
	v_cmp_gt_i32_e32 vcc, s6, v0
	s_and_saveexec_b64 s[4:5], vcc
	s_cbranch_execz .LBB220_24
.LBB220_33:
	v_mov_b32_e32 v1, s3
	s_waitcnt vmcnt(0)
	v_cndmask_b32_e64 v3, v8, v1, s[0:1]
	v_add_u32_e32 v1, s2, v0
	v_mov_b32_e32 v2, 0
	v_lshlrev_b64 v[1:2], 1, v[1:2]
	v_mov_b32_e32 v4, s9
	v_add_co_u32_e32 v1, vcc, s8, v1
	v_addc_co_u32_e32 v2, vcc, v4, v2, vcc
	v_add_u32_e32 v0, 0x100, v0
	global_store_short v[1:2], v3, off
	s_or_b64 exec, exec, s[4:5]
	v_cmp_gt_i32_e32 vcc, s6, v0
	s_and_saveexec_b64 s[4:5], vcc
	s_cbranch_execz .LBB220_25
.LBB220_34:
	v_mov_b32_e32 v1, s3
	s_waitcnt vmcnt(0)
	v_cndmask_b32_e64 v3, v5, v1, s[0:1]
	v_add_u32_e32 v1, s2, v0
	v_mov_b32_e32 v2, 0
	v_lshlrev_b64 v[1:2], 1, v[1:2]
	v_mov_b32_e32 v4, s9
	v_add_co_u32_e32 v1, vcc, s8, v1
	v_addc_co_u32_e32 v2, vcc, v4, v2, vcc
	v_add_u32_e32 v0, 0x100, v0
	global_store_short v[1:2], v3, off
	s_or_b64 exec, exec, s[4:5]
	v_cmp_gt_i32_e32 vcc, s6, v0
	s_and_saveexec_b64 s[4:5], vcc
	s_cbranch_execz .LBB220_26
.LBB220_35:
	v_mov_b32_e32 v1, s3
	s_waitcnt vmcnt(0)
	v_cndmask_b32_e64 v3, v9, v1, s[0:1]
	v_add_u32_e32 v1, s2, v0
	v_mov_b32_e32 v2, 0
	v_lshlrev_b64 v[1:2], 1, v[1:2]
	v_mov_b32_e32 v4, s9
	v_add_co_u32_e32 v1, vcc, s8, v1
	v_addc_co_u32_e32 v2, vcc, v4, v2, vcc
	v_add_u32_e32 v0, 0x100, v0
	global_store_short v[1:2], v3, off
	s_or_b64 exec, exec, s[4:5]
	v_cmp_gt_i32_e32 vcc, s6, v0
	s_and_saveexec_b64 s[4:5], vcc
	s_cbranch_execnz .LBB220_27
	s_branch .LBB220_28
	.section	.rodata,"a",@progbits
	.p2align	6, 0x0
	.amdhsa_kernel _ZN2at6native29vectorized_elementwise_kernelILi2ENS0_13AUnaryFunctorIN3c108BFloat16ES4_S4_ZNS0_12_GLOBAL__N_121threshold_kernel_implIS4_EEvRNS_18TensorIteratorBaseET_S9_EUlS4_S4_E_EESt5arrayIPcLm2EEEEviT0_T1_
		.amdhsa_group_segment_fixed_size 0
		.amdhsa_private_segment_fixed_size 0
		.amdhsa_kernarg_size 32
		.amdhsa_user_sgpr_count 6
		.amdhsa_user_sgpr_private_segment_buffer 1
		.amdhsa_user_sgpr_dispatch_ptr 0
		.amdhsa_user_sgpr_queue_ptr 0
		.amdhsa_user_sgpr_kernarg_segment_ptr 1
		.amdhsa_user_sgpr_dispatch_id 0
		.amdhsa_user_sgpr_flat_scratch_init 0
		.amdhsa_user_sgpr_private_segment_size 0
		.amdhsa_uses_dynamic_stack 0
		.amdhsa_system_sgpr_private_segment_wavefront_offset 0
		.amdhsa_system_sgpr_workgroup_id_x 1
		.amdhsa_system_sgpr_workgroup_id_y 0
		.amdhsa_system_sgpr_workgroup_id_z 0
		.amdhsa_system_sgpr_workgroup_info 0
		.amdhsa_system_vgpr_workitem_id 0
		.amdhsa_next_free_vgpr 13
		.amdhsa_next_free_sgpr 14
		.amdhsa_reserve_vcc 1
		.amdhsa_reserve_flat_scratch 0
		.amdhsa_float_round_mode_32 0
		.amdhsa_float_round_mode_16_64 0
		.amdhsa_float_denorm_mode_32 3
		.amdhsa_float_denorm_mode_16_64 3
		.amdhsa_dx10_clamp 1
		.amdhsa_ieee_mode 1
		.amdhsa_fp16_overflow 0
		.amdhsa_exception_fp_ieee_invalid_op 0
		.amdhsa_exception_fp_denorm_src 0
		.amdhsa_exception_fp_ieee_div_zero 0
		.amdhsa_exception_fp_ieee_overflow 0
		.amdhsa_exception_fp_ieee_underflow 0
		.amdhsa_exception_fp_ieee_inexact 0
		.amdhsa_exception_int_div_zero 0
	.end_amdhsa_kernel
	.section	.text._ZN2at6native29vectorized_elementwise_kernelILi2ENS0_13AUnaryFunctorIN3c108BFloat16ES4_S4_ZNS0_12_GLOBAL__N_121threshold_kernel_implIS4_EEvRNS_18TensorIteratorBaseET_S9_EUlS4_S4_E_EESt5arrayIPcLm2EEEEviT0_T1_,"axG",@progbits,_ZN2at6native29vectorized_elementwise_kernelILi2ENS0_13AUnaryFunctorIN3c108BFloat16ES4_S4_ZNS0_12_GLOBAL__N_121threshold_kernel_implIS4_EEvRNS_18TensorIteratorBaseET_S9_EUlS4_S4_E_EESt5arrayIPcLm2EEEEviT0_T1_,comdat
.Lfunc_end220:
	.size	_ZN2at6native29vectorized_elementwise_kernelILi2ENS0_13AUnaryFunctorIN3c108BFloat16ES4_S4_ZNS0_12_GLOBAL__N_121threshold_kernel_implIS4_EEvRNS_18TensorIteratorBaseET_S9_EUlS4_S4_E_EESt5arrayIPcLm2EEEEviT0_T1_, .Lfunc_end220-_ZN2at6native29vectorized_elementwise_kernelILi2ENS0_13AUnaryFunctorIN3c108BFloat16ES4_S4_ZNS0_12_GLOBAL__N_121threshold_kernel_implIS4_EEvRNS_18TensorIteratorBaseET_S9_EUlS4_S4_E_EESt5arrayIPcLm2EEEEviT0_T1_
                                        ; -- End function
	.set _ZN2at6native29vectorized_elementwise_kernelILi2ENS0_13AUnaryFunctorIN3c108BFloat16ES4_S4_ZNS0_12_GLOBAL__N_121threshold_kernel_implIS4_EEvRNS_18TensorIteratorBaseET_S9_EUlS4_S4_E_EESt5arrayIPcLm2EEEEviT0_T1_.num_vgpr, 13
	.set _ZN2at6native29vectorized_elementwise_kernelILi2ENS0_13AUnaryFunctorIN3c108BFloat16ES4_S4_ZNS0_12_GLOBAL__N_121threshold_kernel_implIS4_EEvRNS_18TensorIteratorBaseET_S9_EUlS4_S4_E_EESt5arrayIPcLm2EEEEviT0_T1_.num_agpr, 0
	.set _ZN2at6native29vectorized_elementwise_kernelILi2ENS0_13AUnaryFunctorIN3c108BFloat16ES4_S4_ZNS0_12_GLOBAL__N_121threshold_kernel_implIS4_EEvRNS_18TensorIteratorBaseET_S9_EUlS4_S4_E_EESt5arrayIPcLm2EEEEviT0_T1_.numbered_sgpr, 14
	.set _ZN2at6native29vectorized_elementwise_kernelILi2ENS0_13AUnaryFunctorIN3c108BFloat16ES4_S4_ZNS0_12_GLOBAL__N_121threshold_kernel_implIS4_EEvRNS_18TensorIteratorBaseET_S9_EUlS4_S4_E_EESt5arrayIPcLm2EEEEviT0_T1_.num_named_barrier, 0
	.set _ZN2at6native29vectorized_elementwise_kernelILi2ENS0_13AUnaryFunctorIN3c108BFloat16ES4_S4_ZNS0_12_GLOBAL__N_121threshold_kernel_implIS4_EEvRNS_18TensorIteratorBaseET_S9_EUlS4_S4_E_EESt5arrayIPcLm2EEEEviT0_T1_.private_seg_size, 0
	.set _ZN2at6native29vectorized_elementwise_kernelILi2ENS0_13AUnaryFunctorIN3c108BFloat16ES4_S4_ZNS0_12_GLOBAL__N_121threshold_kernel_implIS4_EEvRNS_18TensorIteratorBaseET_S9_EUlS4_S4_E_EESt5arrayIPcLm2EEEEviT0_T1_.uses_vcc, 1
	.set _ZN2at6native29vectorized_elementwise_kernelILi2ENS0_13AUnaryFunctorIN3c108BFloat16ES4_S4_ZNS0_12_GLOBAL__N_121threshold_kernel_implIS4_EEvRNS_18TensorIteratorBaseET_S9_EUlS4_S4_E_EESt5arrayIPcLm2EEEEviT0_T1_.uses_flat_scratch, 0
	.set _ZN2at6native29vectorized_elementwise_kernelILi2ENS0_13AUnaryFunctorIN3c108BFloat16ES4_S4_ZNS0_12_GLOBAL__N_121threshold_kernel_implIS4_EEvRNS_18TensorIteratorBaseET_S9_EUlS4_S4_E_EESt5arrayIPcLm2EEEEviT0_T1_.has_dyn_sized_stack, 0
	.set _ZN2at6native29vectorized_elementwise_kernelILi2ENS0_13AUnaryFunctorIN3c108BFloat16ES4_S4_ZNS0_12_GLOBAL__N_121threshold_kernel_implIS4_EEvRNS_18TensorIteratorBaseET_S9_EUlS4_S4_E_EESt5arrayIPcLm2EEEEviT0_T1_.has_recursion, 0
	.set _ZN2at6native29vectorized_elementwise_kernelILi2ENS0_13AUnaryFunctorIN3c108BFloat16ES4_S4_ZNS0_12_GLOBAL__N_121threshold_kernel_implIS4_EEvRNS_18TensorIteratorBaseET_S9_EUlS4_S4_E_EESt5arrayIPcLm2EEEEviT0_T1_.has_indirect_call, 0
	.section	.AMDGPU.csdata,"",@progbits
; Kernel info:
; codeLenInByte = 1644
; TotalNumSgprs: 18
; NumVgprs: 13
; ScratchSize: 0
; MemoryBound: 0
; FloatMode: 240
; IeeeMode: 1
; LDSByteSize: 0 bytes/workgroup (compile time only)
; SGPRBlocks: 2
; VGPRBlocks: 3
; NumSGPRsForWavesPerEU: 18
; NumVGPRsForWavesPerEU: 13
; Occupancy: 10
; WaveLimiterHint : 1
; COMPUTE_PGM_RSRC2:SCRATCH_EN: 0
; COMPUTE_PGM_RSRC2:USER_SGPR: 6
; COMPUTE_PGM_RSRC2:TRAP_HANDLER: 0
; COMPUTE_PGM_RSRC2:TGID_X_EN: 1
; COMPUTE_PGM_RSRC2:TGID_Y_EN: 0
; COMPUTE_PGM_RSRC2:TGID_Z_EN: 0
; COMPUTE_PGM_RSRC2:TIDIG_COMP_CNT: 0
	.section	.text._ZN2at6native27unrolled_elementwise_kernelINS0_13AUnaryFunctorIN3c108BFloat16ES4_S4_ZNS0_12_GLOBAL__N_121threshold_kernel_implIS4_EEvRNS_18TensorIteratorBaseET_S9_EUlS4_S4_E_EESt5arrayIPcLm2EELi4E23TrivialOffsetCalculatorILi1EjESG_NS0_6memory15LoadWithoutCastENSH_16StoreWithoutCastEEEviS9_T0_T2_T3_T4_T5_,"axG",@progbits,_ZN2at6native27unrolled_elementwise_kernelINS0_13AUnaryFunctorIN3c108BFloat16ES4_S4_ZNS0_12_GLOBAL__N_121threshold_kernel_implIS4_EEvRNS_18TensorIteratorBaseET_S9_EUlS4_S4_E_EESt5arrayIPcLm2EELi4E23TrivialOffsetCalculatorILi1EjESG_NS0_6memory15LoadWithoutCastENSH_16StoreWithoutCastEEEviS9_T0_T2_T3_T4_T5_,comdat
	.globl	_ZN2at6native27unrolled_elementwise_kernelINS0_13AUnaryFunctorIN3c108BFloat16ES4_S4_ZNS0_12_GLOBAL__N_121threshold_kernel_implIS4_EEvRNS_18TensorIteratorBaseET_S9_EUlS4_S4_E_EESt5arrayIPcLm2EELi4E23TrivialOffsetCalculatorILi1EjESG_NS0_6memory15LoadWithoutCastENSH_16StoreWithoutCastEEEviS9_T0_T2_T3_T4_T5_ ; -- Begin function _ZN2at6native27unrolled_elementwise_kernelINS0_13AUnaryFunctorIN3c108BFloat16ES4_S4_ZNS0_12_GLOBAL__N_121threshold_kernel_implIS4_EEvRNS_18TensorIteratorBaseET_S9_EUlS4_S4_E_EESt5arrayIPcLm2EELi4E23TrivialOffsetCalculatorILi1EjESG_NS0_6memory15LoadWithoutCastENSH_16StoreWithoutCastEEEviS9_T0_T2_T3_T4_T5_
	.p2align	8
	.type	_ZN2at6native27unrolled_elementwise_kernelINS0_13AUnaryFunctorIN3c108BFloat16ES4_S4_ZNS0_12_GLOBAL__N_121threshold_kernel_implIS4_EEvRNS_18TensorIteratorBaseET_S9_EUlS4_S4_E_EESt5arrayIPcLm2EELi4E23TrivialOffsetCalculatorILi1EjESG_NS0_6memory15LoadWithoutCastENSH_16StoreWithoutCastEEEviS9_T0_T2_T3_T4_T5_,@function
_ZN2at6native27unrolled_elementwise_kernelINS0_13AUnaryFunctorIN3c108BFloat16ES4_S4_ZNS0_12_GLOBAL__N_121threshold_kernel_implIS4_EEvRNS_18TensorIteratorBaseET_S9_EUlS4_S4_E_EESt5arrayIPcLm2EELi4E23TrivialOffsetCalculatorILi1EjESG_NS0_6memory15LoadWithoutCastENSH_16StoreWithoutCastEEEviS9_T0_T2_T3_T4_T5_: ; @_ZN2at6native27unrolled_elementwise_kernelINS0_13AUnaryFunctorIN3c108BFloat16ES4_S4_ZNS0_12_GLOBAL__N_121threshold_kernel_implIS4_EEvRNS_18TensorIteratorBaseET_S9_EUlS4_S4_E_EESt5arrayIPcLm2EELi4E23TrivialOffsetCalculatorILi1EjESG_NS0_6memory15LoadWithoutCastENSH_16StoreWithoutCastEEEviS9_T0_T2_T3_T4_T5_
; %bb.0:
	s_load_dwordx2 s[2:3], s[4:5], 0x0
	s_load_dwordx4 s[8:11], s[4:5], 0x10
	s_lshl_b32 s12, s6, 10
	v_mov_b32_e32 v3, 0
	v_or_b32_e32 v1, s12, v0
	s_waitcnt lgkmcnt(0)
	s_sub_i32 s13, s2, s12
	v_cmp_gt_i32_e32 vcc, s13, v0
	v_mov_b32_e32 v5, 0
	v_mov_b32_e32 v2, v0
	s_and_saveexec_b64 s[6:7], vcc
	s_cbranch_execz .LBB221_2
; %bb.1:
	v_mov_b32_e32 v2, 0
	v_lshlrev_b64 v[4:5], 1, v[1:2]
	v_mov_b32_e32 v2, s11
	v_add_co_u32_e64 v4, s[0:1], s10, v4
	v_addc_co_u32_e64 v5, s[0:1], v2, v5, s[0:1]
	global_load_ushort v5, v[4:5], off
	v_or_b32_e32 v2, 0x100, v0
.LBB221_2:
	s_or_b64 exec, exec, s[6:7]
	v_cmp_gt_i32_e64 s[0:1], s13, v2
	s_and_saveexec_b64 s[6:7], s[0:1]
	s_cbranch_execz .LBB221_4
; %bb.3:
	v_add_u32_e32 v3, s12, v2
	v_mov_b32_e32 v4, 0
	v_lshlrev_b64 v[3:4], 1, v[3:4]
	v_mov_b32_e32 v6, s11
	v_add_co_u32_e64 v3, s[0:1], s10, v3
	v_addc_co_u32_e64 v4, s[0:1], v6, v4, s[0:1]
	global_load_ushort v3, v[3:4], off
	v_add_u32_e32 v2, 0x100, v2
.LBB221_4:
	s_or_b64 exec, exec, s[6:7]
	v_cmp_gt_i32_e64 s[0:1], s13, v2
	v_mov_b32_e32 v4, 0
	v_mov_b32_e32 v6, 0
	s_and_saveexec_b64 s[6:7], s[0:1]
	s_cbranch_execz .LBB221_6
; %bb.5:
	v_add_u32_e32 v6, s12, v2
	v_mov_b32_e32 v7, 0
	v_lshlrev_b64 v[6:7], 1, v[6:7]
	v_mov_b32_e32 v8, s11
	v_add_co_u32_e64 v6, s[0:1], s10, v6
	v_addc_co_u32_e64 v7, s[0:1], v8, v7, s[0:1]
	global_load_ushort v6, v[6:7], off
	v_add_u32_e32 v2, 0x100, v2
.LBB221_6:
	s_or_b64 exec, exec, s[6:7]
	s_load_dword s2, s[4:5], 0x8
	v_cmp_gt_i32_e64 s[0:1], s13, v2
	s_and_saveexec_b64 s[4:5], s[0:1]
	s_cbranch_execz .LBB221_8
; %bb.7:
	v_add_u32_e32 v7, s12, v2
	v_mov_b32_e32 v8, 0
	v_lshlrev_b64 v[7:8], 1, v[7:8]
	v_mov_b32_e32 v2, s11
	v_add_co_u32_e64 v7, s[0:1], s10, v7
	v_addc_co_u32_e64 v8, s[0:1], v2, v8, s[0:1]
	global_load_ushort v4, v[7:8], off
.LBB221_8:
	s_or_b64 exec, exec, s[4:5]
	s_lshl_b32 s1, s3, 16
	s_waitcnt lgkmcnt(0)
	s_lshl_b32 s0, s2, 16
	v_mov_b32_e32 v2, s1
	s_lshr_b32 s4, s3, 16
	v_cmp_le_f32_e64 s[0:1], s0, v2
	s_and_saveexec_b64 s[2:3], vcc
	s_cbranch_execnz .LBB221_13
; %bb.9:
	s_or_b64 exec, exec, s[2:3]
	v_cmp_gt_i32_e32 vcc, s13, v0
	s_and_saveexec_b64 s[2:3], vcc
	s_cbranch_execnz .LBB221_14
.LBB221_10:
	s_or_b64 exec, exec, s[2:3]
	v_cmp_gt_i32_e32 vcc, s13, v0
	s_and_saveexec_b64 s[2:3], vcc
	s_cbranch_execnz .LBB221_15
.LBB221_11:
	s_or_b64 exec, exec, s[2:3]
	v_cmp_gt_i32_e32 vcc, s13, v0
	s_and_saveexec_b64 s[2:3], vcc
	s_cbranch_execnz .LBB221_16
.LBB221_12:
	s_endpgm
.LBB221_13:
	v_mov_b32_e32 v2, 0
	v_lshlrev_b64 v[1:2], 1, v[1:2]
	v_mov_b32_e32 v7, s9
	v_add_co_u32_e32 v1, vcc, s8, v1
	v_addc_co_u32_e32 v2, vcc, v7, v2, vcc
	v_mov_b32_e32 v7, s4
	v_or_b32_e32 v0, 0x100, v0
	s_waitcnt vmcnt(0)
	v_cndmask_b32_e64 v5, v5, v7, s[0:1]
	global_store_short v[1:2], v5, off
	s_or_b64 exec, exec, s[2:3]
	v_cmp_gt_i32_e32 vcc, s13, v0
	s_and_saveexec_b64 s[2:3], vcc
	s_cbranch_execz .LBB221_10
.LBB221_14:
	v_mov_b32_e32 v1, s4
	s_waitcnt vmcnt(0)
	v_cndmask_b32_e64 v2, v3, v1, s[0:1]
	v_add_u32_e32 v3, 0x100, v0
	v_add_u32_e32 v0, s12, v0
	v_mov_b32_e32 v1, 0
	v_lshlrev_b64 v[0:1], 1, v[0:1]
	v_mov_b32_e32 v5, s9
	v_add_co_u32_e32 v0, vcc, s8, v0
	v_addc_co_u32_e32 v1, vcc, v5, v1, vcc
	global_store_short v[0:1], v2, off
	v_mov_b32_e32 v0, v3
	s_or_b64 exec, exec, s[2:3]
	v_cmp_gt_i32_e32 vcc, s13, v0
	s_and_saveexec_b64 s[2:3], vcc
	s_cbranch_execz .LBB221_11
.LBB221_15:
	v_mov_b32_e32 v1, s4
	s_waitcnt vmcnt(0)
	v_cndmask_b32_e64 v2, v6, v1, s[0:1]
	v_add_u32_e32 v3, 0x100, v0
	v_add_u32_e32 v0, s12, v0
	v_mov_b32_e32 v1, 0
	v_lshlrev_b64 v[0:1], 1, v[0:1]
	v_mov_b32_e32 v5, s9
	v_add_co_u32_e32 v0, vcc, s8, v0
	v_addc_co_u32_e32 v1, vcc, v5, v1, vcc
	global_store_short v[0:1], v2, off
	v_mov_b32_e32 v0, v3
	s_or_b64 exec, exec, s[2:3]
	v_cmp_gt_i32_e32 vcc, s13, v0
	s_and_saveexec_b64 s[2:3], vcc
	s_cbranch_execz .LBB221_12
.LBB221_16:
	v_mov_b32_e32 v1, s4
	s_waitcnt vmcnt(0)
	v_cndmask_b32_e64 v2, v4, v1, s[0:1]
	v_add_u32_e32 v0, s12, v0
	v_mov_b32_e32 v1, 0
	v_lshlrev_b64 v[0:1], 1, v[0:1]
	v_mov_b32_e32 v3, s9
	v_add_co_u32_e32 v0, vcc, s8, v0
	v_addc_co_u32_e32 v1, vcc, v3, v1, vcc
	global_store_short v[0:1], v2, off
	s_endpgm
	.section	.rodata,"a",@progbits
	.p2align	6, 0x0
	.amdhsa_kernel _ZN2at6native27unrolled_elementwise_kernelINS0_13AUnaryFunctorIN3c108BFloat16ES4_S4_ZNS0_12_GLOBAL__N_121threshold_kernel_implIS4_EEvRNS_18TensorIteratorBaseET_S9_EUlS4_S4_E_EESt5arrayIPcLm2EELi4E23TrivialOffsetCalculatorILi1EjESG_NS0_6memory15LoadWithoutCastENSH_16StoreWithoutCastEEEviS9_T0_T2_T3_T4_T5_
		.amdhsa_group_segment_fixed_size 0
		.amdhsa_private_segment_fixed_size 0
		.amdhsa_kernarg_size 36
		.amdhsa_user_sgpr_count 6
		.amdhsa_user_sgpr_private_segment_buffer 1
		.amdhsa_user_sgpr_dispatch_ptr 0
		.amdhsa_user_sgpr_queue_ptr 0
		.amdhsa_user_sgpr_kernarg_segment_ptr 1
		.amdhsa_user_sgpr_dispatch_id 0
		.amdhsa_user_sgpr_flat_scratch_init 0
		.amdhsa_user_sgpr_private_segment_size 0
		.amdhsa_uses_dynamic_stack 0
		.amdhsa_system_sgpr_private_segment_wavefront_offset 0
		.amdhsa_system_sgpr_workgroup_id_x 1
		.amdhsa_system_sgpr_workgroup_id_y 0
		.amdhsa_system_sgpr_workgroup_id_z 0
		.amdhsa_system_sgpr_workgroup_info 0
		.amdhsa_system_vgpr_workitem_id 0
		.amdhsa_next_free_vgpr 9
		.amdhsa_next_free_sgpr 14
		.amdhsa_reserve_vcc 1
		.amdhsa_reserve_flat_scratch 0
		.amdhsa_float_round_mode_32 0
		.amdhsa_float_round_mode_16_64 0
		.amdhsa_float_denorm_mode_32 3
		.amdhsa_float_denorm_mode_16_64 3
		.amdhsa_dx10_clamp 1
		.amdhsa_ieee_mode 1
		.amdhsa_fp16_overflow 0
		.amdhsa_exception_fp_ieee_invalid_op 0
		.amdhsa_exception_fp_denorm_src 0
		.amdhsa_exception_fp_ieee_div_zero 0
		.amdhsa_exception_fp_ieee_overflow 0
		.amdhsa_exception_fp_ieee_underflow 0
		.amdhsa_exception_fp_ieee_inexact 0
		.amdhsa_exception_int_div_zero 0
	.end_amdhsa_kernel
	.section	.text._ZN2at6native27unrolled_elementwise_kernelINS0_13AUnaryFunctorIN3c108BFloat16ES4_S4_ZNS0_12_GLOBAL__N_121threshold_kernel_implIS4_EEvRNS_18TensorIteratorBaseET_S9_EUlS4_S4_E_EESt5arrayIPcLm2EELi4E23TrivialOffsetCalculatorILi1EjESG_NS0_6memory15LoadWithoutCastENSH_16StoreWithoutCastEEEviS9_T0_T2_T3_T4_T5_,"axG",@progbits,_ZN2at6native27unrolled_elementwise_kernelINS0_13AUnaryFunctorIN3c108BFloat16ES4_S4_ZNS0_12_GLOBAL__N_121threshold_kernel_implIS4_EEvRNS_18TensorIteratorBaseET_S9_EUlS4_S4_E_EESt5arrayIPcLm2EELi4E23TrivialOffsetCalculatorILi1EjESG_NS0_6memory15LoadWithoutCastENSH_16StoreWithoutCastEEEviS9_T0_T2_T3_T4_T5_,comdat
.Lfunc_end221:
	.size	_ZN2at6native27unrolled_elementwise_kernelINS0_13AUnaryFunctorIN3c108BFloat16ES4_S4_ZNS0_12_GLOBAL__N_121threshold_kernel_implIS4_EEvRNS_18TensorIteratorBaseET_S9_EUlS4_S4_E_EESt5arrayIPcLm2EELi4E23TrivialOffsetCalculatorILi1EjESG_NS0_6memory15LoadWithoutCastENSH_16StoreWithoutCastEEEviS9_T0_T2_T3_T4_T5_, .Lfunc_end221-_ZN2at6native27unrolled_elementwise_kernelINS0_13AUnaryFunctorIN3c108BFloat16ES4_S4_ZNS0_12_GLOBAL__N_121threshold_kernel_implIS4_EEvRNS_18TensorIteratorBaseET_S9_EUlS4_S4_E_EESt5arrayIPcLm2EELi4E23TrivialOffsetCalculatorILi1EjESG_NS0_6memory15LoadWithoutCastENSH_16StoreWithoutCastEEEviS9_T0_T2_T3_T4_T5_
                                        ; -- End function
	.set _ZN2at6native27unrolled_elementwise_kernelINS0_13AUnaryFunctorIN3c108BFloat16ES4_S4_ZNS0_12_GLOBAL__N_121threshold_kernel_implIS4_EEvRNS_18TensorIteratorBaseET_S9_EUlS4_S4_E_EESt5arrayIPcLm2EELi4E23TrivialOffsetCalculatorILi1EjESG_NS0_6memory15LoadWithoutCastENSH_16StoreWithoutCastEEEviS9_T0_T2_T3_T4_T5_.num_vgpr, 9
	.set _ZN2at6native27unrolled_elementwise_kernelINS0_13AUnaryFunctorIN3c108BFloat16ES4_S4_ZNS0_12_GLOBAL__N_121threshold_kernel_implIS4_EEvRNS_18TensorIteratorBaseET_S9_EUlS4_S4_E_EESt5arrayIPcLm2EELi4E23TrivialOffsetCalculatorILi1EjESG_NS0_6memory15LoadWithoutCastENSH_16StoreWithoutCastEEEviS9_T0_T2_T3_T4_T5_.num_agpr, 0
	.set _ZN2at6native27unrolled_elementwise_kernelINS0_13AUnaryFunctorIN3c108BFloat16ES4_S4_ZNS0_12_GLOBAL__N_121threshold_kernel_implIS4_EEvRNS_18TensorIteratorBaseET_S9_EUlS4_S4_E_EESt5arrayIPcLm2EELi4E23TrivialOffsetCalculatorILi1EjESG_NS0_6memory15LoadWithoutCastENSH_16StoreWithoutCastEEEviS9_T0_T2_T3_T4_T5_.numbered_sgpr, 14
	.set _ZN2at6native27unrolled_elementwise_kernelINS0_13AUnaryFunctorIN3c108BFloat16ES4_S4_ZNS0_12_GLOBAL__N_121threshold_kernel_implIS4_EEvRNS_18TensorIteratorBaseET_S9_EUlS4_S4_E_EESt5arrayIPcLm2EELi4E23TrivialOffsetCalculatorILi1EjESG_NS0_6memory15LoadWithoutCastENSH_16StoreWithoutCastEEEviS9_T0_T2_T3_T4_T5_.num_named_barrier, 0
	.set _ZN2at6native27unrolled_elementwise_kernelINS0_13AUnaryFunctorIN3c108BFloat16ES4_S4_ZNS0_12_GLOBAL__N_121threshold_kernel_implIS4_EEvRNS_18TensorIteratorBaseET_S9_EUlS4_S4_E_EESt5arrayIPcLm2EELi4E23TrivialOffsetCalculatorILi1EjESG_NS0_6memory15LoadWithoutCastENSH_16StoreWithoutCastEEEviS9_T0_T2_T3_T4_T5_.private_seg_size, 0
	.set _ZN2at6native27unrolled_elementwise_kernelINS0_13AUnaryFunctorIN3c108BFloat16ES4_S4_ZNS0_12_GLOBAL__N_121threshold_kernel_implIS4_EEvRNS_18TensorIteratorBaseET_S9_EUlS4_S4_E_EESt5arrayIPcLm2EELi4E23TrivialOffsetCalculatorILi1EjESG_NS0_6memory15LoadWithoutCastENSH_16StoreWithoutCastEEEviS9_T0_T2_T3_T4_T5_.uses_vcc, 1
	.set _ZN2at6native27unrolled_elementwise_kernelINS0_13AUnaryFunctorIN3c108BFloat16ES4_S4_ZNS0_12_GLOBAL__N_121threshold_kernel_implIS4_EEvRNS_18TensorIteratorBaseET_S9_EUlS4_S4_E_EESt5arrayIPcLm2EELi4E23TrivialOffsetCalculatorILi1EjESG_NS0_6memory15LoadWithoutCastENSH_16StoreWithoutCastEEEviS9_T0_T2_T3_T4_T5_.uses_flat_scratch, 0
	.set _ZN2at6native27unrolled_elementwise_kernelINS0_13AUnaryFunctorIN3c108BFloat16ES4_S4_ZNS0_12_GLOBAL__N_121threshold_kernel_implIS4_EEvRNS_18TensorIteratorBaseET_S9_EUlS4_S4_E_EESt5arrayIPcLm2EELi4E23TrivialOffsetCalculatorILi1EjESG_NS0_6memory15LoadWithoutCastENSH_16StoreWithoutCastEEEviS9_T0_T2_T3_T4_T5_.has_dyn_sized_stack, 0
	.set _ZN2at6native27unrolled_elementwise_kernelINS0_13AUnaryFunctorIN3c108BFloat16ES4_S4_ZNS0_12_GLOBAL__N_121threshold_kernel_implIS4_EEvRNS_18TensorIteratorBaseET_S9_EUlS4_S4_E_EESt5arrayIPcLm2EELi4E23TrivialOffsetCalculatorILi1EjESG_NS0_6memory15LoadWithoutCastENSH_16StoreWithoutCastEEEviS9_T0_T2_T3_T4_T5_.has_recursion, 0
	.set _ZN2at6native27unrolled_elementwise_kernelINS0_13AUnaryFunctorIN3c108BFloat16ES4_S4_ZNS0_12_GLOBAL__N_121threshold_kernel_implIS4_EEvRNS_18TensorIteratorBaseET_S9_EUlS4_S4_E_EESt5arrayIPcLm2EELi4E23TrivialOffsetCalculatorILi1EjESG_NS0_6memory15LoadWithoutCastENSH_16StoreWithoutCastEEEviS9_T0_T2_T3_T4_T5_.has_indirect_call, 0
	.section	.AMDGPU.csdata,"",@progbits
; Kernel info:
; codeLenInByte = 708
; TotalNumSgprs: 18
; NumVgprs: 9
; ScratchSize: 0
; MemoryBound: 0
; FloatMode: 240
; IeeeMode: 1
; LDSByteSize: 0 bytes/workgroup (compile time only)
; SGPRBlocks: 2
; VGPRBlocks: 2
; NumSGPRsForWavesPerEU: 18
; NumVGPRsForWavesPerEU: 9
; Occupancy: 10
; WaveLimiterHint : 0
; COMPUTE_PGM_RSRC2:SCRATCH_EN: 0
; COMPUTE_PGM_RSRC2:USER_SGPR: 6
; COMPUTE_PGM_RSRC2:TRAP_HANDLER: 0
; COMPUTE_PGM_RSRC2:TGID_X_EN: 1
; COMPUTE_PGM_RSRC2:TGID_Y_EN: 0
; COMPUTE_PGM_RSRC2:TGID_Z_EN: 0
; COMPUTE_PGM_RSRC2:TIDIG_COMP_CNT: 0
	.section	.text._ZN2at6native32elementwise_kernel_manual_unrollILi128ELi8EZNS0_22gpu_kernel_impl_nocastINS0_13AUnaryFunctorIN3c108BFloat16ES5_S5_ZNS0_12_GLOBAL__N_121threshold_kernel_implIS5_EEvRNS_18TensorIteratorBaseET_SA_EUlS5_S5_E_EEEEvS9_RKSA_EUlibE_EEviT1_,"axG",@progbits,_ZN2at6native32elementwise_kernel_manual_unrollILi128ELi8EZNS0_22gpu_kernel_impl_nocastINS0_13AUnaryFunctorIN3c108BFloat16ES5_S5_ZNS0_12_GLOBAL__N_121threshold_kernel_implIS5_EEvRNS_18TensorIteratorBaseET_SA_EUlS5_S5_E_EEEEvS9_RKSA_EUlibE_EEviT1_,comdat
	.globl	_ZN2at6native32elementwise_kernel_manual_unrollILi128ELi8EZNS0_22gpu_kernel_impl_nocastINS0_13AUnaryFunctorIN3c108BFloat16ES5_S5_ZNS0_12_GLOBAL__N_121threshold_kernel_implIS5_EEvRNS_18TensorIteratorBaseET_SA_EUlS5_S5_E_EEEEvS9_RKSA_EUlibE_EEviT1_ ; -- Begin function _ZN2at6native32elementwise_kernel_manual_unrollILi128ELi8EZNS0_22gpu_kernel_impl_nocastINS0_13AUnaryFunctorIN3c108BFloat16ES5_S5_ZNS0_12_GLOBAL__N_121threshold_kernel_implIS5_EEvRNS_18TensorIteratorBaseET_SA_EUlS5_S5_E_EEEEvS9_RKSA_EUlibE_EEviT1_
	.p2align	8
	.type	_ZN2at6native32elementwise_kernel_manual_unrollILi128ELi8EZNS0_22gpu_kernel_impl_nocastINS0_13AUnaryFunctorIN3c108BFloat16ES5_S5_ZNS0_12_GLOBAL__N_121threshold_kernel_implIS5_EEvRNS_18TensorIteratorBaseET_SA_EUlS5_S5_E_EEEEvS9_RKSA_EUlibE_EEviT1_,@function
_ZN2at6native32elementwise_kernel_manual_unrollILi128ELi8EZNS0_22gpu_kernel_impl_nocastINS0_13AUnaryFunctorIN3c108BFloat16ES5_S5_ZNS0_12_GLOBAL__N_121threshold_kernel_implIS5_EEvRNS_18TensorIteratorBaseET_SA_EUlS5_S5_E_EEEEvS9_RKSA_EUlibE_EEviT1_: ; @_ZN2at6native32elementwise_kernel_manual_unrollILi128ELi8EZNS0_22gpu_kernel_impl_nocastINS0_13AUnaryFunctorIN3c108BFloat16ES5_S5_ZNS0_12_GLOBAL__N_121threshold_kernel_implIS5_EEvRNS_18TensorIteratorBaseET_SA_EUlS5_S5_E_EEEEvS9_RKSA_EUlibE_EEviT1_
; %bb.0:
	s_load_dword s58, s[4:5], 0x0
	s_load_dword s33, s[4:5], 0x8
	s_add_u32 s34, s4, 8
	s_addc_u32 s35, s5, 0
	v_lshl_or_b32 v19, s6, 10, v0
	v_or_b32_e32 v25, 0x380, v19
	s_waitcnt lgkmcnt(0)
	s_add_i32 s56, s33, -1
	s_cmp_gt_u32 s56, 1
	v_cmp_le_i32_e32 vcc, s58, v25
	s_cselect_b64 s[2:3], -1, 0
	s_and_saveexec_b64 s[0:1], vcc
	s_xor_b64 s[40:41], exec, s[0:1]
	s_cbranch_execz .LBB222_7
; %bb.1:
	s_load_dwordx4 s[24:27], s[34:35], 0x4
	s_load_dwordx2 s[42:43], s[34:35], 0x14
	s_load_dwordx2 s[0:1], s[34:35], 0x158
	s_cmp_lg_u32 s33, 0
	s_cselect_b64 s[48:49], -1, 0
	s_add_u32 s46, s34, 0xc4
	s_addc_u32 s47, s35, 0
	s_min_u32 s59, s56, 15
	s_load_dwordx4 s[28:31], s[34:35], 0xc4
	s_load_dwordx4 s[20:23], s[34:35], 0x148
	s_cmp_gt_u32 s33, 1
	s_cselect_b64 s[44:45], -1, 0
	s_waitcnt lgkmcnt(0)
	s_lshr_b32 s57, s0, 16
	s_lshl_b32 s0, s0, 16
	s_lshl_b32 s1, s1, 16
	v_mov_b32_e32 v0, s0
	v_cmp_le_f32_e64 s[0:1], s1, v0
	v_cmp_gt_i32_e32 vcc, s58, v19
	s_and_saveexec_b64 s[50:51], vcc
	s_cbranch_execz .LBB222_14
; %bb.2:
	s_andn2_b64 vcc, exec, s[2:3]
	s_cbranch_vccnz .LBB222_21
; %bb.3:
	s_andn2_b64 vcc, exec, s[48:49]
	s_cbranch_vccnz .LBB222_129
; %bb.4:
	s_add_i32 s61, s59, 1
	s_cmp_eq_u32 s56, 2
	s_cbranch_scc1 .LBB222_131
; %bb.5:
	s_and_b32 s60, s61, 28
	v_mov_b32_e32 v2, 0
	s_mov_b32 s62, 0
	s_mov_b64 s[52:53], s[34:35]
	s_mov_b64 s[54:55], s[46:47]
	v_mov_b32_e32 v0, 0
	v_mov_b32_e32 v1, v19
.LBB222_6:                              ; =>This Inner Loop Header: Depth=1
	s_load_dwordx8 s[12:19], s[52:53], 0x4
	s_load_dwordx4 s[36:39], s[52:53], 0x24
	s_load_dwordx8 s[4:11], s[54:55], 0x0
	s_add_u32 s52, s52, 48
	s_addc_u32 s53, s53, 0
	s_waitcnt lgkmcnt(0)
	v_mul_hi_u32 v3, s13, v1
	s_add_i32 s62, s62, 4
	s_add_u32 s54, s54, 32
	s_addc_u32 s55, s55, 0
	v_add_u32_e32 v3, v1, v3
	v_lshrrev_b32_e32 v3, s14, v3
	v_mul_lo_u32 v4, v3, s12
	v_mul_hi_u32 v5, s16, v3
	s_cmp_lg_u32 s60, s62
	v_sub_u32_e32 v1, v1, v4
	v_add_u32_e32 v4, v3, v5
	v_mul_lo_u32 v5, v1, s4
	v_mul_lo_u32 v6, v1, s5
	v_lshrrev_b32_e32 v1, s17, v4
	v_mul_lo_u32 v4, v1, s15
	v_mul_hi_u32 v7, s19, v1
	v_sub_u32_e32 v3, v3, v4
	v_add_u32_e32 v4, v1, v7
	v_lshrrev_b32_e32 v4, s36, v4
	v_mul_hi_u32 v8, s38, v4
	v_mul_lo_u32 v9, v4, s18
	v_mul_lo_u32 v7, v3, s6
	;; [unrolled: 1-line block ×3, first 2 shown]
	v_sub_u32_e32 v9, v1, v9
	v_add_u32_e32 v1, v4, v8
	v_lshrrev_b32_e32 v1, s39, v1
	v_mul_lo_u32 v8, v1, s37
	v_mul_lo_u32 v10, v9, s8
	;; [unrolled: 1-line block ×3, first 2 shown]
	v_add3_u32 v0, v5, v0, v7
	v_sub_u32_e32 v4, v4, v8
	v_mul_lo_u32 v8, v4, s10
	v_mul_lo_u32 v4, v4, s11
	v_add3_u32 v2, v6, v2, v3
	v_add3_u32 v0, v10, v0, v8
	;; [unrolled: 1-line block ×3, first 2 shown]
	s_cbranch_scc1 .LBB222_6
	s_branch .LBB222_132
.LBB222_7:
	s_andn2_saveexec_b64 s[0:1], s[40:41]
	s_cbranch_execz .LBB222_221
.LBB222_8:
	v_cndmask_b32_e64 v0, 0, 1, s[2:3]
	v_cmp_ne_u32_e64 s[0:1], 1, v0
	s_andn2_b64 vcc, exec, s[2:3]
	s_cbranch_vccnz .LBB222_20
; %bb.9:
	s_cmp_lg_u32 s33, 0
	s_mov_b32 s26, 0
	s_cbranch_scc0 .LBB222_23
; %bb.10:
	s_min_u32 s27, s56, 15
	s_add_i32 s27, s27, 1
	s_cmp_eq_u32 s56, 2
	s_cbranch_scc1 .LBB222_24
; %bb.11:
	s_and_b32 s26, s27, 28
	s_add_u32 s2, s34, 0xc4
	s_addc_u32 s3, s35, 0
	v_mov_b32_e32 v2, 0
	s_mov_b32 s28, 0
	s_mov_b64 s[24:25], s[34:35]
	v_mov_b32_e32 v0, 0
	v_mov_b32_e32 v1, v19
.LBB222_12:                             ; =>This Inner Loop Header: Depth=1
	s_load_dwordx8 s[12:19], s[24:25], 0x4
	s_load_dwordx4 s[20:23], s[24:25], 0x24
	s_load_dwordx8 s[4:11], s[2:3], 0x0
	s_add_u32 s24, s24, 48
	s_addc_u32 s25, s25, 0
	s_waitcnt lgkmcnt(0)
	v_mul_hi_u32 v3, s13, v1
	s_add_i32 s28, s28, 4
	s_add_u32 s2, s2, 32
	s_addc_u32 s3, s3, 0
	v_add_u32_e32 v3, v1, v3
	v_lshrrev_b32_e32 v3, s14, v3
	v_mul_lo_u32 v4, v3, s12
	v_mul_hi_u32 v5, s16, v3
	s_cmp_lg_u32 s26, s28
	v_sub_u32_e32 v1, v1, v4
	v_add_u32_e32 v4, v3, v5
	v_mul_lo_u32 v5, v1, s4
	v_mul_lo_u32 v6, v1, s5
	v_lshrrev_b32_e32 v1, s17, v4
	v_mul_lo_u32 v4, v1, s15
	v_mul_hi_u32 v7, s19, v1
	v_sub_u32_e32 v3, v3, v4
	v_add_u32_e32 v4, v1, v7
	v_lshrrev_b32_e32 v4, s20, v4
	v_mul_hi_u32 v8, s22, v4
	v_mul_lo_u32 v9, v4, s18
	v_mul_lo_u32 v7, v3, s6
	;; [unrolled: 1-line block ×3, first 2 shown]
	v_sub_u32_e32 v9, v1, v9
	v_add_u32_e32 v1, v4, v8
	v_lshrrev_b32_e32 v1, s23, v1
	v_mul_lo_u32 v8, v1, s21
	v_mul_lo_u32 v10, v9, s8
	;; [unrolled: 1-line block ×3, first 2 shown]
	v_add3_u32 v0, v5, v0, v7
	v_sub_u32_e32 v4, v4, v8
	v_mul_lo_u32 v8, v4, s10
	v_mul_lo_u32 v4, v4, s11
	v_add3_u32 v2, v6, v2, v3
	v_add3_u32 v0, v10, v0, v8
	;; [unrolled: 1-line block ×3, first 2 shown]
	s_cbranch_scc1 .LBB222_12
; %bb.13:
	s_and_b32 s6, s27, 3
	s_cmp_eq_u32 s6, 0
	s_cbranch_scc0 .LBB222_25
	s_branch .LBB222_27
.LBB222_14:
	s_or_b64 exec, exec, s[50:51]
	v_cmp_gt_i32_e32 vcc, s58, v19
	s_and_saveexec_b64 s[50:51], vcc
	s_cbranch_execz .LBB222_139
.LBB222_15:
	s_andn2_b64 vcc, exec, s[2:3]
	s_cbranch_vccnz .LBB222_22
; %bb.16:
	s_andn2_b64 vcc, exec, s[48:49]
	s_cbranch_vccnz .LBB222_130
; %bb.17:
	s_add_i32 s61, s59, 1
	s_cmp_eq_u32 s56, 2
	s_cbranch_scc1 .LBB222_147
; %bb.18:
	s_and_b32 s60, s61, 28
	v_mov_b32_e32 v2, 0
	s_mov_b32 s62, 0
	s_mov_b64 s[52:53], s[34:35]
	s_mov_b64 s[54:55], s[46:47]
	v_mov_b32_e32 v0, 0
	v_mov_b32_e32 v1, v19
.LBB222_19:                             ; =>This Inner Loop Header: Depth=1
	s_load_dwordx8 s[12:19], s[52:53], 0x4
	s_load_dwordx4 s[36:39], s[52:53], 0x24
	s_load_dwordx8 s[4:11], s[54:55], 0x0
	s_add_u32 s52, s52, 48
	s_addc_u32 s53, s53, 0
	s_waitcnt lgkmcnt(0)
	v_mul_hi_u32 v3, s13, v1
	s_add_i32 s62, s62, 4
	s_add_u32 s54, s54, 32
	s_addc_u32 s55, s55, 0
	v_add_u32_e32 v3, v1, v3
	v_lshrrev_b32_e32 v3, s14, v3
	v_mul_lo_u32 v4, v3, s12
	v_mul_hi_u32 v5, s16, v3
	s_cmp_eq_u32 s60, s62
	v_sub_u32_e32 v1, v1, v4
	v_add_u32_e32 v4, v3, v5
	v_mul_lo_u32 v5, v1, s4
	v_mul_lo_u32 v6, v1, s5
	v_lshrrev_b32_e32 v1, s17, v4
	v_mul_lo_u32 v4, v1, s15
	v_mul_hi_u32 v7, s19, v1
	v_sub_u32_e32 v3, v3, v4
	v_add_u32_e32 v4, v1, v7
	v_lshrrev_b32_e32 v4, s36, v4
	v_mul_hi_u32 v8, s38, v4
	v_mul_lo_u32 v9, v4, s18
	v_mul_lo_u32 v7, v3, s6
	v_mul_lo_u32 v3, v3, s7
	v_sub_u32_e32 v9, v1, v9
	v_add_u32_e32 v1, v4, v8
	v_lshrrev_b32_e32 v1, s39, v1
	v_mul_lo_u32 v8, v1, s37
	v_mul_lo_u32 v10, v9, s8
	;; [unrolled: 1-line block ×3, first 2 shown]
	v_add3_u32 v0, v5, v0, v7
	v_sub_u32_e32 v4, v4, v8
	v_mul_lo_u32 v8, v4, s10
	v_mul_lo_u32 v4, v4, s11
	v_add3_u32 v2, v6, v2, v3
	v_add3_u32 v0, v10, v0, v8
	;; [unrolled: 1-line block ×3, first 2 shown]
	s_cbranch_scc0 .LBB222_19
	s_branch .LBB222_148
.LBB222_20:
                                        ; implicit-def: $vgpr0
                                        ; implicit-def: $vgpr2
	s_branch .LBB222_28
.LBB222_21:
                                        ; implicit-def: $vgpr0
                                        ; implicit-def: $vgpr2
	s_branch .LBB222_136
.LBB222_22:
                                        ; implicit-def: $vgpr0
                                        ; implicit-def: $vgpr2
	s_branch .LBB222_152
.LBB222_23:
	v_mov_b32_e32 v0, 0
	v_mov_b32_e32 v2, 0
	s_branch .LBB222_27
.LBB222_24:
	v_mov_b32_e32 v0, 0
	v_mov_b32_e32 v2, 0
	;; [unrolled: 1-line block ×3, first 2 shown]
	s_and_b32 s6, s27, 3
	s_cmp_eq_u32 s6, 0
	s_cbranch_scc1 .LBB222_27
.LBB222_25:
	s_lshl_b32 s2, s26, 3
	s_add_u32 s2, s34, s2
	s_addc_u32 s3, s35, 0
	s_add_u32 s2, s2, 0xc4
	s_addc_u32 s3, s3, 0
	s_mul_i32 s4, s26, 12
	s_add_u32 s4, s34, s4
	s_addc_u32 s5, s35, 0
.LBB222_26:                             ; =>This Inner Loop Header: Depth=1
	s_load_dwordx2 s[8:9], s[4:5], 0x4
	s_load_dword s7, s[4:5], 0xc
	s_load_dwordx2 s[10:11], s[2:3], 0x0
	s_add_u32 s4, s4, 12
	s_addc_u32 s5, s5, 0
	s_waitcnt lgkmcnt(0)
	v_mul_hi_u32 v4, s9, v1
	s_add_u32 s2, s2, 8
	s_addc_u32 s3, s3, 0
	s_add_i32 s6, s6, -1
	v_add_u32_e32 v4, v1, v4
	v_lshrrev_b32_e32 v4, s7, v4
	v_mul_lo_u32 v5, v4, s8
	s_cmp_lg_u32 s6, 0
	v_sub_u32_e32 v5, v1, v5
	v_mad_u64_u32 v[0:1], s[8:9], v5, s10, v[0:1]
	v_mad_u64_u32 v[2:3], s[8:9], v5, s11, v[2:3]
	v_mov_b32_e32 v1, v4
	s_cbranch_scc1 .LBB222_26
.LBB222_27:
	s_cbranch_execnz .LBB222_30
.LBB222_28:
	s_load_dwordx4 s[4:7], s[34:35], 0x4
	s_load_dwordx2 s[2:3], s[34:35], 0xc4
	s_cmp_lt_u32 s33, 2
	s_waitcnt lgkmcnt(0)
	v_mul_hi_u32 v0, s5, v19
	v_add_u32_e32 v0, v19, v0
	v_lshrrev_b32_e32 v1, s6, v0
	v_mul_lo_u32 v0, v1, s4
	v_sub_u32_e32 v2, v19, v0
	v_mul_lo_u32 v0, v2, s2
	v_mul_lo_u32 v2, v2, s3
	s_cbranch_scc1 .LBB222_30
; %bb.29:
	s_load_dwordx4 s[4:7], s[34:35], 0x10
	s_load_dwordx2 s[2:3], s[34:35], 0xcc
	s_waitcnt lgkmcnt(0)
	v_mul_hi_u32 v3, s5, v1
	v_add_u32_e32 v3, v1, v3
	v_lshrrev_b32_e32 v3, s6, v3
	v_mul_lo_u32 v3, v3, s4
	v_sub_u32_e32 v3, v1, v3
	v_mad_u64_u32 v[0:1], s[4:5], v3, s2, v[0:1]
	v_mad_u64_u32 v[2:3], s[2:3], v3, s3, v[2:3]
.LBB222_30:
	s_and_b64 vcc, exec, s[0:1]
	v_add_u32_e32 v1, 0x80, v19
	s_cbranch_vccnz .LBB222_36
; %bb.31:
	s_cmp_lg_u32 s33, 0
	s_mov_b32 s26, 0
	s_cbranch_scc0 .LBB222_37
; %bb.32:
	s_min_u32 s27, s56, 15
	s_add_i32 s27, s27, 1
	s_cmp_eq_u32 s56, 2
	s_cbranch_scc1 .LBB222_38
; %bb.33:
	s_and_b32 s26, s27, 28
	s_add_u32 s2, s34, 0xc4
	s_addc_u32 s3, s35, 0
	v_mov_b32_e32 v5, 0
	s_mov_b32 s28, 0
	s_mov_b64 s[24:25], s[34:35]
	v_mov_b32_e32 v3, 0
	v_mov_b32_e32 v4, v1
.LBB222_34:                             ; =>This Inner Loop Header: Depth=1
	s_load_dwordx8 s[12:19], s[24:25], 0x4
	s_load_dwordx4 s[20:23], s[24:25], 0x24
	s_load_dwordx8 s[4:11], s[2:3], 0x0
	s_add_u32 s24, s24, 48
	s_addc_u32 s25, s25, 0
	s_waitcnt lgkmcnt(0)
	v_mul_hi_u32 v6, s13, v4
	s_add_i32 s28, s28, 4
	s_add_u32 s2, s2, 32
	s_addc_u32 s3, s3, 0
	v_add_u32_e32 v6, v4, v6
	v_lshrrev_b32_e32 v6, s14, v6
	v_mul_lo_u32 v7, v6, s12
	v_mul_hi_u32 v8, s16, v6
	s_cmp_lg_u32 s26, s28
	v_sub_u32_e32 v4, v4, v7
	v_add_u32_e32 v7, v6, v8
	v_mul_lo_u32 v8, v4, s4
	v_mul_lo_u32 v9, v4, s5
	v_lshrrev_b32_e32 v4, s17, v7
	v_mul_lo_u32 v7, v4, s15
	v_mul_hi_u32 v10, s19, v4
	v_sub_u32_e32 v6, v6, v7
	v_add_u32_e32 v7, v4, v10
	v_lshrrev_b32_e32 v7, s20, v7
	v_mul_hi_u32 v11, s22, v7
	v_mul_lo_u32 v12, v7, s18
	v_mul_lo_u32 v10, v6, s6
	;; [unrolled: 1-line block ×3, first 2 shown]
	v_sub_u32_e32 v12, v4, v12
	v_add_u32_e32 v4, v7, v11
	v_lshrrev_b32_e32 v4, s23, v4
	v_mul_lo_u32 v11, v4, s21
	v_mul_lo_u32 v13, v12, s8
	;; [unrolled: 1-line block ×3, first 2 shown]
	v_add3_u32 v3, v8, v3, v10
	v_sub_u32_e32 v7, v7, v11
	v_mul_lo_u32 v11, v7, s10
	v_mul_lo_u32 v7, v7, s11
	v_add3_u32 v5, v9, v5, v6
	v_add3_u32 v3, v13, v3, v11
	;; [unrolled: 1-line block ×3, first 2 shown]
	s_cbranch_scc1 .LBB222_34
; %bb.35:
	s_and_b32 s6, s27, 3
	s_cmp_eq_u32 s6, 0
	s_cbranch_scc0 .LBB222_39
	s_branch .LBB222_41
.LBB222_36:
                                        ; implicit-def: $vgpr3
                                        ; implicit-def: $vgpr5
	s_branch .LBB222_42
.LBB222_37:
	v_mov_b32_e32 v3, 0
	v_mov_b32_e32 v5, 0
	s_branch .LBB222_41
.LBB222_38:
	v_mov_b32_e32 v3, 0
	v_mov_b32_e32 v5, 0
	;; [unrolled: 1-line block ×3, first 2 shown]
	s_and_b32 s6, s27, 3
	s_cmp_eq_u32 s6, 0
	s_cbranch_scc1 .LBB222_41
.LBB222_39:
	s_lshl_b32 s2, s26, 3
	s_add_u32 s2, s34, s2
	s_addc_u32 s3, s35, 0
	s_add_u32 s2, s2, 0xc4
	s_addc_u32 s3, s3, 0
	s_mul_i32 s4, s26, 12
	s_add_u32 s4, s34, s4
	s_addc_u32 s5, s35, 0
.LBB222_40:                             ; =>This Inner Loop Header: Depth=1
	s_load_dwordx2 s[8:9], s[4:5], 0x4
	s_load_dword s7, s[4:5], 0xc
	s_load_dwordx2 s[10:11], s[2:3], 0x0
	s_add_u32 s4, s4, 12
	s_addc_u32 s5, s5, 0
	s_waitcnt lgkmcnt(0)
	v_mul_hi_u32 v7, s9, v4
	s_add_u32 s2, s2, 8
	s_addc_u32 s3, s3, 0
	s_add_i32 s6, s6, -1
	v_add_u32_e32 v7, v4, v7
	v_lshrrev_b32_e32 v7, s7, v7
	v_mul_lo_u32 v8, v7, s8
	s_cmp_lg_u32 s6, 0
	v_sub_u32_e32 v8, v4, v8
	v_mad_u64_u32 v[3:4], s[8:9], v8, s10, v[3:4]
	v_mad_u64_u32 v[5:6], s[8:9], v8, s11, v[5:6]
	v_mov_b32_e32 v4, v7
	s_cbranch_scc1 .LBB222_40
.LBB222_41:
	s_cbranch_execnz .LBB222_44
.LBB222_42:
	s_load_dwordx4 s[4:7], s[34:35], 0x4
	s_load_dwordx2 s[2:3], s[34:35], 0xc4
	s_cmp_lt_u32 s33, 2
	s_waitcnt lgkmcnt(0)
	v_mul_hi_u32 v3, s5, v1
	v_add_u32_e32 v3, v1, v3
	v_lshrrev_b32_e32 v4, s6, v3
	v_mul_lo_u32 v3, v4, s4
	v_sub_u32_e32 v1, v1, v3
	v_mul_lo_u32 v3, v1, s2
	v_mul_lo_u32 v5, v1, s3
	s_cbranch_scc1 .LBB222_44
; %bb.43:
	s_load_dwordx4 s[4:7], s[34:35], 0x10
	s_load_dwordx2 s[2:3], s[34:35], 0xcc
	s_waitcnt lgkmcnt(0)
	v_mul_hi_u32 v1, s5, v4
	v_add_u32_e32 v1, v4, v1
	v_lshrrev_b32_e32 v1, s6, v1
	v_mul_lo_u32 v1, v1, s4
	v_sub_u32_e32 v1, v4, v1
	v_mad_u64_u32 v[3:4], s[4:5], v1, s2, v[3:4]
	v_mad_u64_u32 v[5:6], s[2:3], v1, s3, v[5:6]
.LBB222_44:
	s_and_b64 vcc, exec, s[0:1]
	v_add_u32_e32 v1, 0x100, v19
	s_cbranch_vccnz .LBB222_50
; %bb.45:
	s_cmp_lg_u32 s33, 0
	s_mov_b32 s26, 0
	s_cbranch_scc0 .LBB222_51
; %bb.46:
	s_min_u32 s27, s56, 15
	s_add_i32 s27, s27, 1
	s_cmp_eq_u32 s56, 2
	s_cbranch_scc1 .LBB222_52
; %bb.47:
	s_and_b32 s26, s27, 28
	s_add_u32 s2, s34, 0xc4
	s_addc_u32 s3, s35, 0
	v_mov_b32_e32 v8, 0
	s_mov_b32 s28, 0
	s_mov_b64 s[24:25], s[34:35]
	v_mov_b32_e32 v6, 0
	v_mov_b32_e32 v4, v1
.LBB222_48:                             ; =>This Inner Loop Header: Depth=1
	s_load_dwordx8 s[12:19], s[24:25], 0x4
	s_load_dwordx4 s[20:23], s[24:25], 0x24
	s_load_dwordx8 s[4:11], s[2:3], 0x0
	s_add_u32 s24, s24, 48
	s_addc_u32 s25, s25, 0
	s_waitcnt lgkmcnt(0)
	v_mul_hi_u32 v7, s13, v4
	s_add_i32 s28, s28, 4
	s_add_u32 s2, s2, 32
	s_addc_u32 s3, s3, 0
	v_add_u32_e32 v7, v4, v7
	v_lshrrev_b32_e32 v7, s14, v7
	v_mul_lo_u32 v9, v7, s12
	v_mul_hi_u32 v10, s16, v7
	s_cmp_lg_u32 s26, s28
	v_sub_u32_e32 v4, v4, v9
	v_add_u32_e32 v9, v7, v10
	v_mul_lo_u32 v10, v4, s4
	v_mul_lo_u32 v11, v4, s5
	v_lshrrev_b32_e32 v4, s17, v9
	v_mul_lo_u32 v9, v4, s15
	v_mul_hi_u32 v12, s19, v4
	v_sub_u32_e32 v7, v7, v9
	v_add_u32_e32 v9, v4, v12
	v_lshrrev_b32_e32 v9, s20, v9
	v_mul_hi_u32 v13, s22, v9
	v_mul_lo_u32 v14, v9, s18
	v_mul_lo_u32 v12, v7, s6
	;; [unrolled: 1-line block ×3, first 2 shown]
	v_sub_u32_e32 v14, v4, v14
	v_add_u32_e32 v4, v9, v13
	v_lshrrev_b32_e32 v4, s23, v4
	v_mul_lo_u32 v13, v4, s21
	v_mul_lo_u32 v15, v14, s8
	;; [unrolled: 1-line block ×3, first 2 shown]
	v_add3_u32 v6, v10, v6, v12
	v_sub_u32_e32 v9, v9, v13
	v_mul_lo_u32 v13, v9, s10
	v_mul_lo_u32 v9, v9, s11
	v_add3_u32 v7, v11, v8, v7
	v_add3_u32 v6, v15, v6, v13
	;; [unrolled: 1-line block ×3, first 2 shown]
	s_cbranch_scc1 .LBB222_48
; %bb.49:
	s_and_b32 s6, s27, 3
	s_cmp_eq_u32 s6, 0
	s_cbranch_scc0 .LBB222_53
	s_branch .LBB222_55
.LBB222_50:
                                        ; implicit-def: $vgpr6
                                        ; implicit-def: $vgpr8
	s_branch .LBB222_56
.LBB222_51:
	v_mov_b32_e32 v6, 0
	v_mov_b32_e32 v8, 0
	s_branch .LBB222_55
.LBB222_52:
	v_mov_b32_e32 v6, 0
	v_mov_b32_e32 v8, 0
	;; [unrolled: 1-line block ×3, first 2 shown]
	s_and_b32 s6, s27, 3
	s_cmp_eq_u32 s6, 0
	s_cbranch_scc1 .LBB222_55
.LBB222_53:
	s_lshl_b32 s2, s26, 3
	s_add_u32 s2, s34, s2
	s_addc_u32 s3, s35, 0
	s_add_u32 s2, s2, 0xc4
	s_addc_u32 s3, s3, 0
	s_mul_i32 s4, s26, 12
	s_add_u32 s4, s34, s4
	s_addc_u32 s5, s35, 0
.LBB222_54:                             ; =>This Inner Loop Header: Depth=1
	s_load_dwordx2 s[8:9], s[4:5], 0x4
	s_load_dword s7, s[4:5], 0xc
	s_load_dwordx2 s[10:11], s[2:3], 0x0
	s_add_u32 s4, s4, 12
	s_addc_u32 s5, s5, 0
	s_waitcnt lgkmcnt(0)
	v_mul_hi_u32 v7, s9, v4
	s_add_u32 s2, s2, 8
	s_addc_u32 s3, s3, 0
	s_add_i32 s6, s6, -1
	v_add_u32_e32 v7, v4, v7
	v_lshrrev_b32_e32 v10, s7, v7
	v_mul_lo_u32 v7, v10, s8
	s_cmp_lg_u32 s6, 0
	v_sub_u32_e32 v4, v4, v7
	v_mad_u64_u32 v[6:7], s[8:9], v4, s10, v[6:7]
	v_mad_u64_u32 v[8:9], s[8:9], v4, s11, v[8:9]
	v_mov_b32_e32 v4, v10
	s_cbranch_scc1 .LBB222_54
.LBB222_55:
	s_cbranch_execnz .LBB222_58
.LBB222_56:
	s_load_dwordx4 s[4:7], s[34:35], 0x4
	s_load_dwordx2 s[2:3], s[34:35], 0xc4
	s_cmp_lt_u32 s33, 2
	s_waitcnt lgkmcnt(0)
	v_mul_hi_u32 v4, s5, v1
	v_add_u32_e32 v4, v1, v4
	v_lshrrev_b32_e32 v4, s6, v4
	v_mul_lo_u32 v6, v4, s4
	v_sub_u32_e32 v1, v1, v6
	v_mul_lo_u32 v6, v1, s2
	v_mul_lo_u32 v8, v1, s3
	s_cbranch_scc1 .LBB222_58
; %bb.57:
	s_load_dwordx4 s[4:7], s[34:35], 0x10
	s_load_dwordx2 s[2:3], s[34:35], 0xcc
	s_waitcnt lgkmcnt(0)
	v_mul_hi_u32 v1, s5, v4
	v_add_u32_e32 v1, v4, v1
	v_lshrrev_b32_e32 v1, s6, v1
	v_mul_lo_u32 v1, v1, s4
	v_sub_u32_e32 v1, v4, v1
	v_mad_u64_u32 v[6:7], s[4:5], v1, s2, v[6:7]
	v_mad_u64_u32 v[8:9], s[2:3], v1, s3, v[8:9]
.LBB222_58:
	s_and_b64 vcc, exec, s[0:1]
	v_add_u32_e32 v1, 0x180, v19
	s_cbranch_vccnz .LBB222_64
; %bb.59:
	s_cmp_lg_u32 s33, 0
	s_mov_b32 s26, 0
	s_cbranch_scc0 .LBB222_65
; %bb.60:
	s_min_u32 s27, s56, 15
	s_add_i32 s27, s27, 1
	s_cmp_eq_u32 s56, 2
	s_cbranch_scc1 .LBB222_66
; %bb.61:
	s_and_b32 s26, s27, 28
	s_add_u32 s2, s34, 0xc4
	s_addc_u32 s3, s35, 0
	v_mov_b32_e32 v11, 0
	s_mov_b32 s28, 0
	s_mov_b64 s[24:25], s[34:35]
	v_mov_b32_e32 v9, 0
	v_mov_b32_e32 v4, v1
.LBB222_62:                             ; =>This Inner Loop Header: Depth=1
	s_load_dwordx8 s[12:19], s[24:25], 0x4
	s_load_dwordx4 s[20:23], s[24:25], 0x24
	s_load_dwordx8 s[4:11], s[2:3], 0x0
	s_add_u32 s24, s24, 48
	s_addc_u32 s25, s25, 0
	s_waitcnt lgkmcnt(0)
	v_mul_hi_u32 v7, s13, v4
	s_add_i32 s28, s28, 4
	s_add_u32 s2, s2, 32
	s_addc_u32 s3, s3, 0
	v_add_u32_e32 v7, v4, v7
	v_lshrrev_b32_e32 v7, s14, v7
	v_mul_lo_u32 v10, v7, s12
	v_mul_hi_u32 v12, s16, v7
	s_cmp_lg_u32 s26, s28
	v_sub_u32_e32 v4, v4, v10
	v_add_u32_e32 v10, v7, v12
	v_mul_lo_u32 v12, v4, s4
	v_mul_lo_u32 v13, v4, s5
	v_lshrrev_b32_e32 v4, s17, v10
	v_mul_lo_u32 v10, v4, s15
	v_mul_hi_u32 v14, s19, v4
	v_sub_u32_e32 v7, v7, v10
	v_add_u32_e32 v10, v4, v14
	v_lshrrev_b32_e32 v10, s20, v10
	v_mul_hi_u32 v15, s22, v10
	v_mul_lo_u32 v16, v10, s18
	v_mul_lo_u32 v14, v7, s6
	;; [unrolled: 1-line block ×3, first 2 shown]
	v_sub_u32_e32 v16, v4, v16
	v_add_u32_e32 v4, v10, v15
	v_lshrrev_b32_e32 v4, s23, v4
	v_mul_lo_u32 v15, v4, s21
	v_mul_lo_u32 v17, v16, s8
	;; [unrolled: 1-line block ×3, first 2 shown]
	v_add3_u32 v9, v12, v9, v14
	v_sub_u32_e32 v10, v10, v15
	v_mul_lo_u32 v15, v10, s10
	v_mul_lo_u32 v10, v10, s11
	v_add3_u32 v7, v13, v11, v7
	v_add3_u32 v9, v17, v9, v15
	;; [unrolled: 1-line block ×3, first 2 shown]
	s_cbranch_scc1 .LBB222_62
; %bb.63:
	s_and_b32 s6, s27, 3
	s_cmp_eq_u32 s6, 0
	s_cbranch_scc0 .LBB222_67
	s_branch .LBB222_69
.LBB222_64:
                                        ; implicit-def: $vgpr9
                                        ; implicit-def: $vgpr11
	s_branch .LBB222_70
.LBB222_65:
	v_mov_b32_e32 v9, 0
	v_mov_b32_e32 v11, 0
	s_branch .LBB222_69
.LBB222_66:
	v_mov_b32_e32 v9, 0
	v_mov_b32_e32 v11, 0
	;; [unrolled: 1-line block ×3, first 2 shown]
	s_and_b32 s6, s27, 3
	s_cmp_eq_u32 s6, 0
	s_cbranch_scc1 .LBB222_69
.LBB222_67:
	s_lshl_b32 s2, s26, 3
	s_add_u32 s2, s34, s2
	s_addc_u32 s3, s35, 0
	s_add_u32 s2, s2, 0xc4
	s_addc_u32 s3, s3, 0
	s_mul_i32 s4, s26, 12
	s_add_u32 s4, s34, s4
	s_addc_u32 s5, s35, 0
.LBB222_68:                             ; =>This Inner Loop Header: Depth=1
	s_load_dwordx2 s[8:9], s[4:5], 0x4
	s_load_dword s7, s[4:5], 0xc
	s_load_dwordx2 s[10:11], s[2:3], 0x0
	s_add_u32 s4, s4, 12
	s_addc_u32 s5, s5, 0
	s_waitcnt lgkmcnt(0)
	v_mul_hi_u32 v7, s9, v4
	s_add_u32 s2, s2, 8
	s_addc_u32 s3, s3, 0
	s_add_i32 s6, s6, -1
	v_add_u32_e32 v7, v4, v7
	v_lshrrev_b32_e32 v7, s7, v7
	v_mul_lo_u32 v10, v7, s8
	s_cmp_lg_u32 s6, 0
	v_sub_u32_e32 v4, v4, v10
	v_mad_u64_u32 v[9:10], s[8:9], v4, s10, v[9:10]
	v_mad_u64_u32 v[11:12], s[8:9], v4, s11, v[11:12]
	v_mov_b32_e32 v4, v7
	s_cbranch_scc1 .LBB222_68
.LBB222_69:
	s_cbranch_execnz .LBB222_72
.LBB222_70:
	s_load_dwordx4 s[4:7], s[34:35], 0x4
	s_load_dwordx2 s[2:3], s[34:35], 0xc4
	s_cmp_lt_u32 s33, 2
	s_waitcnt lgkmcnt(0)
	v_mul_hi_u32 v4, s5, v1
	v_add_u32_e32 v4, v1, v4
	v_lshrrev_b32_e32 v4, s6, v4
	v_mul_lo_u32 v7, v4, s4
	v_sub_u32_e32 v1, v1, v7
	v_mul_lo_u32 v9, v1, s2
	v_mul_lo_u32 v11, v1, s3
	s_cbranch_scc1 .LBB222_72
; %bb.71:
	s_load_dwordx4 s[4:7], s[34:35], 0x10
	s_load_dwordx2 s[2:3], s[34:35], 0xcc
	s_waitcnt lgkmcnt(0)
	v_mul_hi_u32 v1, s5, v4
	v_add_u32_e32 v1, v4, v1
	v_lshrrev_b32_e32 v1, s6, v1
	v_mul_lo_u32 v1, v1, s4
	v_sub_u32_e32 v1, v4, v1
	v_mad_u64_u32 v[9:10], s[4:5], v1, s2, v[9:10]
	v_mad_u64_u32 v[11:12], s[2:3], v1, s3, v[11:12]
.LBB222_72:
	s_and_b64 vcc, exec, s[0:1]
	v_add_u32_e32 v1, 0x200, v19
	s_cbranch_vccnz .LBB222_78
; %bb.73:
	s_cmp_lg_u32 s33, 0
	s_mov_b32 s26, 0
	s_cbranch_scc0 .LBB222_79
; %bb.74:
	s_min_u32 s27, s56, 15
	s_add_i32 s27, s27, 1
	s_cmp_eq_u32 s56, 2
	s_cbranch_scc1 .LBB222_80
; %bb.75:
	s_and_b32 s26, s27, 28
	s_add_u32 s2, s34, 0xc4
	s_addc_u32 s3, s35, 0
	v_mov_b32_e32 v14, 0
	s_mov_b32 s28, 0
	s_mov_b64 s[24:25], s[34:35]
	v_mov_b32_e32 v12, 0
	v_mov_b32_e32 v4, v1
.LBB222_76:                             ; =>This Inner Loop Header: Depth=1
	s_load_dwordx8 s[12:19], s[24:25], 0x4
	s_load_dwordx4 s[20:23], s[24:25], 0x24
	s_load_dwordx8 s[4:11], s[2:3], 0x0
	s_add_u32 s24, s24, 48
	s_addc_u32 s25, s25, 0
	s_waitcnt lgkmcnt(0)
	v_mul_hi_u32 v7, s13, v4
	s_add_i32 s28, s28, 4
	s_add_u32 s2, s2, 32
	s_addc_u32 s3, s3, 0
	v_add_u32_e32 v7, v4, v7
	v_lshrrev_b32_e32 v7, s14, v7
	v_mul_lo_u32 v10, v7, s12
	v_mul_hi_u32 v13, s16, v7
	s_cmp_lg_u32 s26, s28
	v_sub_u32_e32 v4, v4, v10
	v_add_u32_e32 v10, v7, v13
	v_mul_lo_u32 v13, v4, s4
	v_mul_lo_u32 v15, v4, s5
	v_lshrrev_b32_e32 v4, s17, v10
	v_mul_lo_u32 v10, v4, s15
	v_mul_hi_u32 v16, s19, v4
	v_sub_u32_e32 v7, v7, v10
	v_add_u32_e32 v10, v4, v16
	v_lshrrev_b32_e32 v10, s20, v10
	v_mul_hi_u32 v17, s22, v10
	v_mul_lo_u32 v18, v10, s18
	v_mul_lo_u32 v16, v7, s6
	v_mul_lo_u32 v7, v7, s7
	v_sub_u32_e32 v18, v4, v18
	v_add_u32_e32 v4, v10, v17
	v_lshrrev_b32_e32 v4, s23, v4
	v_mul_lo_u32 v17, v4, s21
	v_mul_lo_u32 v20, v18, s8
	;; [unrolled: 1-line block ×3, first 2 shown]
	v_add3_u32 v12, v13, v12, v16
	v_sub_u32_e32 v10, v10, v17
	v_mul_lo_u32 v17, v10, s10
	v_mul_lo_u32 v10, v10, s11
	v_add3_u32 v7, v15, v14, v7
	v_add3_u32 v12, v20, v12, v17
	;; [unrolled: 1-line block ×3, first 2 shown]
	s_cbranch_scc1 .LBB222_76
; %bb.77:
	s_and_b32 s6, s27, 3
	s_cmp_eq_u32 s6, 0
	s_cbranch_scc0 .LBB222_81
	s_branch .LBB222_83
.LBB222_78:
                                        ; implicit-def: $vgpr12
                                        ; implicit-def: $vgpr14
	s_branch .LBB222_84
.LBB222_79:
	v_mov_b32_e32 v12, 0
	v_mov_b32_e32 v14, 0
	s_branch .LBB222_83
.LBB222_80:
	v_mov_b32_e32 v12, 0
	v_mov_b32_e32 v14, 0
	;; [unrolled: 1-line block ×3, first 2 shown]
	s_and_b32 s6, s27, 3
	s_cmp_eq_u32 s6, 0
	s_cbranch_scc1 .LBB222_83
.LBB222_81:
	s_lshl_b32 s2, s26, 3
	s_add_u32 s2, s34, s2
	s_addc_u32 s3, s35, 0
	s_add_u32 s2, s2, 0xc4
	s_addc_u32 s3, s3, 0
	s_mul_i32 s4, s26, 12
	s_add_u32 s4, s34, s4
	s_addc_u32 s5, s35, 0
.LBB222_82:                             ; =>This Inner Loop Header: Depth=1
	s_load_dwordx2 s[8:9], s[4:5], 0x4
	s_load_dword s7, s[4:5], 0xc
	s_load_dwordx2 s[10:11], s[2:3], 0x0
	s_add_u32 s4, s4, 12
	s_addc_u32 s5, s5, 0
	s_waitcnt lgkmcnt(0)
	v_mul_hi_u32 v7, s9, v4
	s_add_u32 s2, s2, 8
	s_addc_u32 s3, s3, 0
	s_add_i32 s6, s6, -1
	v_add_u32_e32 v7, v4, v7
	v_lshrrev_b32_e32 v7, s7, v7
	v_mul_lo_u32 v10, v7, s8
	s_cmp_lg_u32 s6, 0
	v_sub_u32_e32 v4, v4, v10
	v_mad_u64_u32 v[12:13], s[8:9], v4, s10, v[12:13]
	v_mad_u64_u32 v[14:15], s[8:9], v4, s11, v[14:15]
	v_mov_b32_e32 v4, v7
	s_cbranch_scc1 .LBB222_82
.LBB222_83:
	s_cbranch_execnz .LBB222_86
.LBB222_84:
	s_load_dwordx4 s[4:7], s[34:35], 0x4
	s_load_dwordx2 s[2:3], s[34:35], 0xc4
	s_cmp_lt_u32 s33, 2
	s_waitcnt lgkmcnt(0)
	v_mul_hi_u32 v4, s5, v1
	v_add_u32_e32 v4, v1, v4
	v_lshrrev_b32_e32 v4, s6, v4
	v_mul_lo_u32 v7, v4, s4
	v_sub_u32_e32 v1, v1, v7
	v_mul_lo_u32 v12, v1, s2
	v_mul_lo_u32 v14, v1, s3
	s_cbranch_scc1 .LBB222_86
; %bb.85:
	s_load_dwordx4 s[4:7], s[34:35], 0x10
	s_load_dwordx2 s[2:3], s[34:35], 0xcc
	s_waitcnt lgkmcnt(0)
	v_mul_hi_u32 v1, s5, v4
	v_add_u32_e32 v1, v4, v1
	v_lshrrev_b32_e32 v1, s6, v1
	v_mul_lo_u32 v1, v1, s4
	v_sub_u32_e32 v1, v4, v1
	v_mad_u64_u32 v[12:13], s[4:5], v1, s2, v[12:13]
	v_mad_u64_u32 v[14:15], s[2:3], v1, s3, v[14:15]
.LBB222_86:
	s_and_b64 vcc, exec, s[0:1]
	v_add_u32_e32 v1, 0x280, v19
	s_cbranch_vccnz .LBB222_92
; %bb.87:
	s_cmp_lg_u32 s33, 0
	s_mov_b32 s26, 0
	s_cbranch_scc0 .LBB222_93
; %bb.88:
	s_min_u32 s27, s56, 15
	s_add_i32 s27, s27, 1
	s_cmp_eq_u32 s56, 2
	s_cbranch_scc1 .LBB222_94
; %bb.89:
	s_and_b32 s26, s27, 28
	s_add_u32 s2, s34, 0xc4
	s_addc_u32 s3, s35, 0
	v_mov_b32_e32 v17, 0
	s_mov_b32 s28, 0
	s_mov_b64 s[24:25], s[34:35]
	v_mov_b32_e32 v15, 0
	v_mov_b32_e32 v4, v1
.LBB222_90:                             ; =>This Inner Loop Header: Depth=1
	s_load_dwordx8 s[12:19], s[24:25], 0x4
	s_load_dwordx4 s[20:23], s[24:25], 0x24
	s_load_dwordx8 s[4:11], s[2:3], 0x0
	s_add_u32 s24, s24, 48
	s_addc_u32 s25, s25, 0
	s_waitcnt lgkmcnt(0)
	v_mul_hi_u32 v7, s13, v4
	s_add_i32 s28, s28, 4
	s_add_u32 s2, s2, 32
	s_addc_u32 s3, s3, 0
	v_add_u32_e32 v7, v4, v7
	v_lshrrev_b32_e32 v7, s14, v7
	v_mul_lo_u32 v10, v7, s12
	v_mul_hi_u32 v13, s16, v7
	s_cmp_lg_u32 s26, s28
	v_sub_u32_e32 v4, v4, v10
	v_add_u32_e32 v10, v7, v13
	v_mul_lo_u32 v13, v4, s4
	v_mul_lo_u32 v16, v4, s5
	v_lshrrev_b32_e32 v4, s17, v10
	v_mul_lo_u32 v10, v4, s15
	v_mul_hi_u32 v18, s19, v4
	v_sub_u32_e32 v7, v7, v10
	v_add_u32_e32 v10, v4, v18
	v_lshrrev_b32_e32 v10, s20, v10
	v_mul_hi_u32 v20, s22, v10
	v_mul_lo_u32 v21, v10, s18
	v_mul_lo_u32 v18, v7, s6
	;; [unrolled: 1-line block ×3, first 2 shown]
	v_sub_u32_e32 v21, v4, v21
	v_add_u32_e32 v4, v10, v20
	v_lshrrev_b32_e32 v4, s23, v4
	v_mul_lo_u32 v20, v4, s21
	v_mul_lo_u32 v22, v21, s8
	;; [unrolled: 1-line block ×3, first 2 shown]
	v_add3_u32 v13, v13, v15, v18
	v_sub_u32_e32 v10, v10, v20
	v_mul_lo_u32 v20, v10, s10
	v_mul_lo_u32 v10, v10, s11
	v_add3_u32 v7, v16, v17, v7
	v_add3_u32 v15, v22, v13, v20
	;; [unrolled: 1-line block ×3, first 2 shown]
	s_cbranch_scc1 .LBB222_90
; %bb.91:
	s_and_b32 s6, s27, 3
	s_cmp_eq_u32 s6, 0
	s_cbranch_scc0 .LBB222_95
	s_branch .LBB222_97
.LBB222_92:
                                        ; implicit-def: $vgpr15
                                        ; implicit-def: $vgpr17
	s_branch .LBB222_98
.LBB222_93:
	v_mov_b32_e32 v15, 0
	v_mov_b32_e32 v17, 0
	s_branch .LBB222_97
.LBB222_94:
	v_mov_b32_e32 v15, 0
	v_mov_b32_e32 v17, 0
	;; [unrolled: 1-line block ×3, first 2 shown]
	s_and_b32 s6, s27, 3
	s_cmp_eq_u32 s6, 0
	s_cbranch_scc1 .LBB222_97
.LBB222_95:
	s_lshl_b32 s2, s26, 3
	s_add_u32 s2, s34, s2
	s_addc_u32 s3, s35, 0
	s_add_u32 s2, s2, 0xc4
	s_addc_u32 s3, s3, 0
	s_mul_i32 s4, s26, 12
	s_add_u32 s4, s34, s4
	s_addc_u32 s5, s35, 0
.LBB222_96:                             ; =>This Inner Loop Header: Depth=1
	s_load_dwordx2 s[8:9], s[4:5], 0x4
	s_load_dword s7, s[4:5], 0xc
	s_load_dwordx2 s[10:11], s[2:3], 0x0
	s_add_u32 s4, s4, 12
	s_addc_u32 s5, s5, 0
	s_waitcnt lgkmcnt(0)
	v_mul_hi_u32 v7, s9, v4
	s_add_u32 s2, s2, 8
	s_addc_u32 s3, s3, 0
	s_add_i32 s6, s6, -1
	v_add_u32_e32 v7, v4, v7
	v_lshrrev_b32_e32 v7, s7, v7
	v_mul_lo_u32 v10, v7, s8
	s_cmp_lg_u32 s6, 0
	v_sub_u32_e32 v4, v4, v10
	v_mad_u64_u32 v[15:16], s[8:9], v4, s10, v[15:16]
	v_mad_u64_u32 v[17:18], s[8:9], v4, s11, v[17:18]
	v_mov_b32_e32 v4, v7
	s_cbranch_scc1 .LBB222_96
.LBB222_97:
	s_cbranch_execnz .LBB222_100
.LBB222_98:
	s_load_dwordx4 s[4:7], s[34:35], 0x4
	s_load_dwordx2 s[2:3], s[34:35], 0xc4
	s_cmp_lt_u32 s33, 2
	s_waitcnt lgkmcnt(0)
	v_mul_hi_u32 v4, s5, v1
	v_add_u32_e32 v4, v1, v4
	v_lshrrev_b32_e32 v4, s6, v4
	v_mul_lo_u32 v7, v4, s4
	v_sub_u32_e32 v1, v1, v7
	v_mul_lo_u32 v15, v1, s2
	v_mul_lo_u32 v17, v1, s3
	s_cbranch_scc1 .LBB222_100
; %bb.99:
	s_load_dwordx4 s[4:7], s[34:35], 0x10
	s_load_dwordx2 s[2:3], s[34:35], 0xcc
	s_waitcnt lgkmcnt(0)
	v_mul_hi_u32 v1, s5, v4
	v_add_u32_e32 v1, v4, v1
	v_lshrrev_b32_e32 v1, s6, v1
	v_mul_lo_u32 v1, v1, s4
	v_sub_u32_e32 v1, v4, v1
	v_mad_u64_u32 v[15:16], s[4:5], v1, s2, v[15:16]
	v_mad_u64_u32 v[17:18], s[2:3], v1, s3, v[17:18]
.LBB222_100:
	s_and_b64 vcc, exec, s[0:1]
	v_add_u32_e32 v1, 0x300, v19
	s_cbranch_vccnz .LBB222_106
; %bb.101:
	s_cmp_lg_u32 s33, 0
	s_mov_b32 s26, 0
	s_cbranch_scc0 .LBB222_107
; %bb.102:
	s_min_u32 s27, s56, 15
	s_add_i32 s27, s27, 1
	s_cmp_eq_u32 s56, 2
	s_cbranch_scc1 .LBB222_108
; %bb.103:
	s_and_b32 s26, s27, 28
	s_add_u32 s2, s34, 0xc4
	s_addc_u32 s3, s35, 0
	v_mov_b32_e32 v20, 0
	s_mov_b32 s28, 0
	s_mov_b64 s[24:25], s[34:35]
	v_mov_b32_e32 v18, 0
	v_mov_b32_e32 v4, v1
.LBB222_104:                            ; =>This Inner Loop Header: Depth=1
	s_load_dwordx8 s[12:19], s[24:25], 0x4
	s_load_dwordx4 s[20:23], s[24:25], 0x24
	s_load_dwordx8 s[4:11], s[2:3], 0x0
	s_add_u32 s24, s24, 48
	s_addc_u32 s25, s25, 0
	s_waitcnt lgkmcnt(0)
	v_mul_hi_u32 v7, s13, v4
	s_add_i32 s28, s28, 4
	s_add_u32 s2, s2, 32
	s_addc_u32 s3, s3, 0
	v_add_u32_e32 v7, v4, v7
	v_lshrrev_b32_e32 v7, s14, v7
	v_mul_lo_u32 v10, v7, s12
	v_mul_hi_u32 v13, s16, v7
	s_cmp_lg_u32 s26, s28
	v_sub_u32_e32 v4, v4, v10
	v_add_u32_e32 v10, v7, v13
	v_mul_lo_u32 v13, v4, s4
	v_mul_lo_u32 v16, v4, s5
	v_lshrrev_b32_e32 v4, s17, v10
	v_mul_lo_u32 v10, v4, s15
	v_mul_hi_u32 v19, s19, v4
	v_sub_u32_e32 v7, v7, v10
	v_add_u32_e32 v10, v4, v19
	v_lshrrev_b32_e32 v10, s20, v10
	v_mul_hi_u32 v21, s22, v10
	v_mul_lo_u32 v22, v10, s18
	v_mul_lo_u32 v19, v7, s6
	;; [unrolled: 1-line block ×3, first 2 shown]
	v_sub_u32_e32 v22, v4, v22
	v_add_u32_e32 v4, v10, v21
	v_lshrrev_b32_e32 v4, s23, v4
	v_mul_lo_u32 v21, v4, s21
	v_mul_lo_u32 v23, v22, s8
	;; [unrolled: 1-line block ×3, first 2 shown]
	v_add3_u32 v13, v13, v18, v19
	v_sub_u32_e32 v10, v10, v21
	v_mul_lo_u32 v21, v10, s10
	v_mul_lo_u32 v10, v10, s11
	v_add3_u32 v7, v16, v20, v7
	v_add3_u32 v18, v23, v13, v21
	;; [unrolled: 1-line block ×3, first 2 shown]
	s_cbranch_scc1 .LBB222_104
; %bb.105:
	s_and_b32 s6, s27, 3
	s_cmp_eq_u32 s6, 0
	s_cbranch_scc0 .LBB222_109
	s_branch .LBB222_111
.LBB222_106:
                                        ; implicit-def: $vgpr18
                                        ; implicit-def: $vgpr20
	s_branch .LBB222_112
.LBB222_107:
	v_mov_b32_e32 v18, 0
	v_mov_b32_e32 v20, 0
	s_branch .LBB222_111
.LBB222_108:
	v_mov_b32_e32 v18, 0
	v_mov_b32_e32 v20, 0
	;; [unrolled: 1-line block ×3, first 2 shown]
	s_and_b32 s6, s27, 3
	s_cmp_eq_u32 s6, 0
	s_cbranch_scc1 .LBB222_111
.LBB222_109:
	s_lshl_b32 s2, s26, 3
	s_add_u32 s2, s34, s2
	s_addc_u32 s3, s35, 0
	s_add_u32 s2, s2, 0xc4
	s_addc_u32 s3, s3, 0
	s_mul_i32 s4, s26, 12
	s_add_u32 s4, s34, s4
	s_addc_u32 s5, s35, 0
.LBB222_110:                            ; =>This Inner Loop Header: Depth=1
	s_load_dwordx2 s[8:9], s[4:5], 0x4
	s_load_dword s7, s[4:5], 0xc
	s_load_dwordx2 s[10:11], s[2:3], 0x0
	s_add_u32 s4, s4, 12
	s_addc_u32 s5, s5, 0
	s_waitcnt lgkmcnt(0)
	v_mul_hi_u32 v7, s9, v4
	s_add_u32 s2, s2, 8
	s_addc_u32 s3, s3, 0
	s_add_i32 s6, s6, -1
	v_add_u32_e32 v7, v4, v7
	v_lshrrev_b32_e32 v7, s7, v7
	v_mul_lo_u32 v10, v7, s8
	s_cmp_lg_u32 s6, 0
	v_sub_u32_e32 v4, v4, v10
	v_mad_u64_u32 v[18:19], s[8:9], v4, s10, v[18:19]
	v_mad_u64_u32 v[20:21], s[8:9], v4, s11, v[20:21]
	v_mov_b32_e32 v4, v7
	s_cbranch_scc1 .LBB222_110
.LBB222_111:
	s_cbranch_execnz .LBB222_114
.LBB222_112:
	s_load_dwordx4 s[4:7], s[34:35], 0x4
	s_load_dwordx2 s[2:3], s[34:35], 0xc4
	s_cmp_lt_u32 s33, 2
	s_waitcnt lgkmcnt(0)
	v_mul_hi_u32 v4, s5, v1
	v_add_u32_e32 v4, v1, v4
	v_lshrrev_b32_e32 v4, s6, v4
	v_mul_lo_u32 v7, v4, s4
	v_sub_u32_e32 v1, v1, v7
	v_mul_lo_u32 v18, v1, s2
	v_mul_lo_u32 v20, v1, s3
	s_cbranch_scc1 .LBB222_114
; %bb.113:
	s_load_dwordx4 s[4:7], s[34:35], 0x10
	s_load_dwordx2 s[2:3], s[34:35], 0xcc
	s_waitcnt lgkmcnt(0)
	v_mul_hi_u32 v1, s5, v4
	v_add_u32_e32 v1, v4, v1
	v_lshrrev_b32_e32 v1, s6, v1
	v_mul_lo_u32 v1, v1, s4
	v_sub_u32_e32 v1, v4, v1
	v_mad_u64_u32 v[18:19], s[4:5], v1, s2, v[18:19]
	v_mad_u64_u32 v[20:21], s[2:3], v1, s3, v[20:21]
.LBB222_114:
	s_and_b64 vcc, exec, s[0:1]
	s_cbranch_vccnz .LBB222_120
; %bb.115:
	s_cmp_lg_u32 s33, 0
	s_mov_b32 s24, 0
	s_cbranch_scc0 .LBB222_121
; %bb.116:
	s_min_u32 s25, s56, 15
	s_add_i32 s25, s25, 1
	s_cmp_eq_u32 s56, 2
	s_cbranch_scc1 .LBB222_122
; %bb.117:
	s_and_b32 s24, s25, 28
	s_add_u32 s20, s34, 0xc4
	s_addc_u32 s21, s35, 0
	v_mov_b32_e32 v23, 0
	s_mov_b32 s26, 0
	s_mov_b64 s[22:23], s[34:35]
	v_mov_b32_e32 v21, 0
	v_mov_b32_e32 v1, v25
.LBB222_118:                            ; =>This Inner Loop Header: Depth=1
	s_load_dwordx8 s[8:15], s[22:23], 0x4
	s_load_dwordx4 s[16:19], s[22:23], 0x24
	s_load_dwordx8 s[0:7], s[20:21], 0x0
	s_add_u32 s22, s22, 48
	s_addc_u32 s23, s23, 0
	s_waitcnt lgkmcnt(0)
	v_mul_hi_u32 v4, s9, v1
	s_add_i32 s26, s26, 4
	s_add_u32 s20, s20, 32
	s_addc_u32 s21, s21, 0
	v_add_u32_e32 v4, v1, v4
	v_lshrrev_b32_e32 v4, s10, v4
	v_mul_lo_u32 v7, v4, s8
	v_mul_hi_u32 v10, s12, v4
	s_cmp_lg_u32 s24, s26
	v_sub_u32_e32 v1, v1, v7
	v_add_u32_e32 v7, v4, v10
	v_mul_lo_u32 v10, v1, s0
	v_mul_lo_u32 v13, v1, s1
	v_lshrrev_b32_e32 v1, s13, v7
	v_mul_lo_u32 v7, v1, s11
	v_mul_hi_u32 v16, s15, v1
	v_sub_u32_e32 v4, v4, v7
	v_add_u32_e32 v7, v1, v16
	v_lshrrev_b32_e32 v7, s16, v7
	v_mul_hi_u32 v19, s18, v7
	v_mul_lo_u32 v22, v7, s14
	v_mul_lo_u32 v16, v4, s2
	;; [unrolled: 1-line block ×3, first 2 shown]
	v_sub_u32_e32 v22, v1, v22
	v_add_u32_e32 v1, v7, v19
	v_lshrrev_b32_e32 v1, s19, v1
	v_mul_lo_u32 v19, v1, s17
	v_mul_lo_u32 v24, v22, s4
	;; [unrolled: 1-line block ×3, first 2 shown]
	v_add3_u32 v10, v10, v21, v16
	v_sub_u32_e32 v7, v7, v19
	v_mul_lo_u32 v19, v7, s6
	v_mul_lo_u32 v7, v7, s7
	v_add3_u32 v4, v13, v23, v4
	v_add3_u32 v21, v24, v10, v19
	;; [unrolled: 1-line block ×3, first 2 shown]
	s_cbranch_scc1 .LBB222_118
; %bb.119:
	s_and_b32 s4, s25, 3
	s_cmp_eq_u32 s4, 0
	s_cbranch_scc0 .LBB222_123
	s_branch .LBB222_125
.LBB222_120:
                                        ; implicit-def: $vgpr21
                                        ; implicit-def: $vgpr23
	s_branch .LBB222_126
.LBB222_121:
	v_mov_b32_e32 v21, 0
	v_mov_b32_e32 v23, 0
	s_branch .LBB222_125
.LBB222_122:
	v_mov_b32_e32 v21, 0
	v_mov_b32_e32 v23, 0
	;; [unrolled: 1-line block ×3, first 2 shown]
	s_and_b32 s4, s25, 3
	s_cmp_eq_u32 s4, 0
	s_cbranch_scc1 .LBB222_125
.LBB222_123:
	s_lshl_b32 s0, s24, 3
	s_add_u32 s0, s34, s0
	s_addc_u32 s1, s35, 0
	s_add_u32 s0, s0, 0xc4
	s_addc_u32 s1, s1, 0
	s_mul_i32 s2, s24, 12
	s_add_u32 s2, s34, s2
	s_addc_u32 s3, s35, 0
.LBB222_124:                            ; =>This Inner Loop Header: Depth=1
	s_load_dwordx2 s[6:7], s[2:3], 0x4
	s_load_dword s5, s[2:3], 0xc
	s_load_dwordx2 s[8:9], s[0:1], 0x0
	s_add_u32 s2, s2, 12
	s_addc_u32 s3, s3, 0
	s_waitcnt lgkmcnt(0)
	v_mul_hi_u32 v4, s7, v1
	s_add_u32 s0, s0, 8
	s_addc_u32 s1, s1, 0
	s_add_i32 s4, s4, -1
	v_add_u32_e32 v4, v1, v4
	v_lshrrev_b32_e32 v4, s5, v4
	v_mul_lo_u32 v7, v4, s6
	s_cmp_lg_u32 s4, 0
	v_sub_u32_e32 v1, v1, v7
	v_mad_u64_u32 v[21:22], s[6:7], v1, s8, v[21:22]
	v_mad_u64_u32 v[23:24], s[6:7], v1, s9, v[23:24]
	v_mov_b32_e32 v1, v4
	s_cbranch_scc1 .LBB222_124
.LBB222_125:
	s_cbranch_execnz .LBB222_128
.LBB222_126:
	s_load_dwordx4 s[0:3], s[34:35], 0x4
	s_load_dwordx2 s[4:5], s[34:35], 0xc4
	s_cmp_lt_u32 s33, 2
	s_waitcnt lgkmcnt(0)
	v_mul_hi_u32 v1, s1, v25
	v_add_u32_e32 v1, v25, v1
	v_lshrrev_b32_e32 v1, s2, v1
	v_mul_lo_u32 v4, v1, s0
	v_sub_u32_e32 v4, v25, v4
	v_mul_lo_u32 v21, v4, s4
	v_mul_lo_u32 v23, v4, s5
	s_cbranch_scc1 .LBB222_128
; %bb.127:
	s_load_dwordx4 s[0:3], s[34:35], 0x10
	s_load_dwordx2 s[4:5], s[34:35], 0xcc
	s_waitcnt lgkmcnt(0)
	v_mul_hi_u32 v4, s1, v1
	v_add_u32_e32 v4, v1, v4
	v_lshrrev_b32_e32 v4, s2, v4
	v_mul_lo_u32 v4, v4, s0
	v_sub_u32_e32 v1, v1, v4
	v_mad_u64_u32 v[21:22], s[0:1], v1, s4, v[21:22]
	v_mad_u64_u32 v[23:24], s[0:1], v1, s5, v[23:24]
.LBB222_128:
	s_load_dwordx4 s[0:3], s[34:35], 0x148
	s_load_dwordx2 s[4:5], s[34:35], 0x158
	s_waitcnt lgkmcnt(0)
	global_load_ushort v1, v2, s[2:3]
	global_load_ushort v4, v5, s[2:3]
	;; [unrolled: 1-line block ×8, first 2 shown]
	s_lshl_b32 s3, s4, 16
	s_lshr_b32 s2, s4, 16
	s_lshl_b32 s4, s5, 16
	v_mov_b32_e32 v2, s3
	v_mov_b32_e32 v5, s2
	v_cmp_le_f32_e32 vcc, s4, v2
	s_waitcnt vmcnt(7)
	v_cndmask_b32_e32 v1, v1, v5, vcc
	s_waitcnt vmcnt(6)
	v_cndmask_b32_e32 v2, v4, v5, vcc
	;; [unrolled: 2-line block ×8, first 2 shown]
	global_store_short v0, v1, s[0:1]
	global_store_short v3, v2, s[0:1]
	;; [unrolled: 1-line block ×8, first 2 shown]
	s_endpgm
.LBB222_129:
	v_mov_b32_e32 v0, 0
	v_mov_b32_e32 v2, 0
	s_branch .LBB222_135
.LBB222_130:
	v_mov_b32_e32 v0, 0
	v_mov_b32_e32 v2, 0
	s_branch .LBB222_151
.LBB222_131:
	s_mov_b32 s60, 0
	v_mov_b32_e32 v0, 0
	v_mov_b32_e32 v2, 0
	;; [unrolled: 1-line block ×3, first 2 shown]
.LBB222_132:
	s_and_b32 s8, s61, 3
	s_cmp_eq_u32 s8, 0
	s_cbranch_scc1 .LBB222_135
; %bb.133:
	s_lshl_b32 s4, s60, 3
	s_add_u32 s4, s34, s4
	s_addc_u32 s5, s35, 0
	s_add_u32 s4, s4, 0xc4
	s_addc_u32 s5, s5, 0
	s_mul_i32 s6, s60, 12
	s_add_u32 s6, s34, s6
	s_addc_u32 s7, s35, 0
.LBB222_134:                            ; =>This Inner Loop Header: Depth=1
	s_load_dwordx2 s[10:11], s[6:7], 0x4
	s_load_dword s9, s[6:7], 0xc
	s_load_dwordx2 s[12:13], s[4:5], 0x0
	s_add_u32 s6, s6, 12
	s_addc_u32 s7, s7, 0
	s_waitcnt lgkmcnt(0)
	v_mul_hi_u32 v3, s11, v1
	s_add_u32 s4, s4, 8
	s_addc_u32 s5, s5, 0
	s_add_i32 s8, s8, -1
	v_add_u32_e32 v3, v1, v3
	v_lshrrev_b32_e32 v4, s9, v3
	v_mul_lo_u32 v3, v4, s10
	s_cmp_lg_u32 s8, 0
	v_sub_u32_e32 v3, v1, v3
	v_mad_u64_u32 v[0:1], s[10:11], v3, s12, v[0:1]
	v_mad_u64_u32 v[2:3], s[10:11], v3, s13, v[2:3]
	v_mov_b32_e32 v1, v4
	s_cbranch_scc1 .LBB222_134
.LBB222_135:
	s_cbranch_execnz .LBB222_138
.LBB222_136:
	v_mul_hi_u32 v0, s25, v19
	s_andn2_b64 vcc, exec, s[44:45]
	v_add_u32_e32 v0, v19, v0
	v_lshrrev_b32_e32 v1, s26, v0
	v_mul_lo_u32 v0, v1, s24
	v_sub_u32_e32 v2, v19, v0
	v_mul_lo_u32 v0, v2, s28
	v_mul_lo_u32 v2, v2, s29
	s_cbranch_vccnz .LBB222_138
; %bb.137:
	v_mul_hi_u32 v3, s42, v1
	v_add_u32_e32 v3, v1, v3
	v_lshrrev_b32_e32 v3, s43, v3
	v_mul_lo_u32 v3, v3, s27
	v_sub_u32_e32 v3, v1, v3
	v_mad_u64_u32 v[0:1], s[4:5], v3, s30, v[0:1]
	v_mad_u64_u32 v[2:3], s[4:5], v3, s31, v[2:3]
.LBB222_138:
	global_load_ushort v1, v2, s[22:23]
	v_mov_b32_e32 v2, s57
	v_add_u32_e32 v19, 0x80, v19
	s_waitcnt vmcnt(0)
	v_cndmask_b32_e64 v1, v1, v2, s[0:1]
	global_store_short v0, v1, s[20:21]
	s_or_b64 exec, exec, s[50:51]
	v_cmp_gt_i32_e32 vcc, s58, v19
	s_and_saveexec_b64 s[50:51], vcc
	s_cbranch_execnz .LBB222_15
.LBB222_139:
	s_or_b64 exec, exec, s[50:51]
	v_cmp_gt_i32_e32 vcc, s58, v19
	s_and_saveexec_b64 s[50:51], vcc
	s_cbranch_execz .LBB222_155
.LBB222_140:
	s_andn2_b64 vcc, exec, s[2:3]
	s_cbranch_vccnz .LBB222_145
; %bb.141:
	s_andn2_b64 vcc, exec, s[48:49]
	s_cbranch_vccnz .LBB222_146
; %bb.142:
	s_add_i32 s61, s59, 1
	s_cmp_eq_u32 s56, 2
	s_cbranch_scc1 .LBB222_163
; %bb.143:
	s_and_b32 s60, s61, 28
	v_mov_b32_e32 v2, 0
	s_mov_b32 s62, 0
	s_mov_b64 s[52:53], s[34:35]
	s_mov_b64 s[54:55], s[46:47]
	v_mov_b32_e32 v0, 0
	v_mov_b32_e32 v1, v19
.LBB222_144:                            ; =>This Inner Loop Header: Depth=1
	s_load_dwordx8 s[12:19], s[52:53], 0x4
	s_load_dwordx4 s[36:39], s[52:53], 0x24
	s_load_dwordx8 s[4:11], s[54:55], 0x0
	s_add_u32 s52, s52, 48
	s_addc_u32 s53, s53, 0
	s_waitcnt lgkmcnt(0)
	v_mul_hi_u32 v3, s13, v1
	s_add_i32 s62, s62, 4
	s_add_u32 s54, s54, 32
	s_addc_u32 s55, s55, 0
	v_add_u32_e32 v3, v1, v3
	v_lshrrev_b32_e32 v3, s14, v3
	v_mul_lo_u32 v4, v3, s12
	v_mul_hi_u32 v5, s16, v3
	s_cmp_eq_u32 s60, s62
	v_sub_u32_e32 v1, v1, v4
	v_add_u32_e32 v4, v3, v5
	v_mul_lo_u32 v5, v1, s4
	v_mul_lo_u32 v6, v1, s5
	v_lshrrev_b32_e32 v1, s17, v4
	v_mul_lo_u32 v4, v1, s15
	v_mul_hi_u32 v7, s19, v1
	v_sub_u32_e32 v3, v3, v4
	v_add_u32_e32 v4, v1, v7
	v_lshrrev_b32_e32 v4, s36, v4
	v_mul_hi_u32 v8, s38, v4
	v_mul_lo_u32 v9, v4, s18
	v_mul_lo_u32 v7, v3, s6
	v_mul_lo_u32 v3, v3, s7
	v_sub_u32_e32 v9, v1, v9
	v_add_u32_e32 v1, v4, v8
	v_lshrrev_b32_e32 v1, s39, v1
	v_mul_lo_u32 v8, v1, s37
	v_mul_lo_u32 v10, v9, s8
	v_mul_lo_u32 v9, v9, s9
	v_add3_u32 v0, v5, v0, v7
	v_sub_u32_e32 v4, v4, v8
	v_mul_lo_u32 v8, v4, s10
	v_mul_lo_u32 v4, v4, s11
	v_add3_u32 v2, v6, v2, v3
	v_add3_u32 v0, v10, v0, v8
	;; [unrolled: 1-line block ×3, first 2 shown]
	s_cbranch_scc0 .LBB222_144
	s_branch .LBB222_164
.LBB222_145:
                                        ; implicit-def: $vgpr0
                                        ; implicit-def: $vgpr2
	s_branch .LBB222_168
.LBB222_146:
	v_mov_b32_e32 v0, 0
	v_mov_b32_e32 v2, 0
	s_branch .LBB222_167
.LBB222_147:
	s_mov_b32 s60, 0
	v_mov_b32_e32 v0, 0
	v_mov_b32_e32 v2, 0
	;; [unrolled: 1-line block ×3, first 2 shown]
.LBB222_148:
	s_and_b32 s8, s61, 3
	s_cmp_eq_u32 s8, 0
	s_cbranch_scc1 .LBB222_151
; %bb.149:
	s_lshl_b32 s4, s60, 3
	s_add_u32 s4, s34, s4
	s_addc_u32 s5, s35, 0
	s_add_u32 s4, s4, 0xc4
	s_addc_u32 s5, s5, 0
	s_mul_i32 s6, s60, 12
	s_add_u32 s6, s34, s6
	s_addc_u32 s7, s35, 0
.LBB222_150:                            ; =>This Inner Loop Header: Depth=1
	s_load_dwordx2 s[10:11], s[6:7], 0x4
	s_load_dword s9, s[6:7], 0xc
	s_load_dwordx2 s[12:13], s[4:5], 0x0
	s_add_u32 s6, s6, 12
	s_addc_u32 s7, s7, 0
	s_waitcnt lgkmcnt(0)
	v_mul_hi_u32 v3, s11, v1
	s_add_u32 s4, s4, 8
	s_addc_u32 s5, s5, 0
	s_add_i32 s8, s8, -1
	v_add_u32_e32 v3, v1, v3
	v_lshrrev_b32_e32 v4, s9, v3
	v_mul_lo_u32 v3, v4, s10
	s_cmp_lg_u32 s8, 0
	v_sub_u32_e32 v3, v1, v3
	v_mad_u64_u32 v[0:1], s[10:11], v3, s12, v[0:1]
	v_mad_u64_u32 v[2:3], s[10:11], v3, s13, v[2:3]
	v_mov_b32_e32 v1, v4
	s_cbranch_scc1 .LBB222_150
.LBB222_151:
	s_cbranch_execnz .LBB222_154
.LBB222_152:
	v_mul_hi_u32 v0, s25, v19
	s_andn2_b64 vcc, exec, s[44:45]
	v_add_u32_e32 v0, v19, v0
	v_lshrrev_b32_e32 v1, s26, v0
	v_mul_lo_u32 v0, v1, s24
	v_sub_u32_e32 v2, v19, v0
	v_mul_lo_u32 v0, v2, s28
	v_mul_lo_u32 v2, v2, s29
	s_cbranch_vccnz .LBB222_154
; %bb.153:
	v_mul_hi_u32 v3, s42, v1
	v_add_u32_e32 v3, v1, v3
	v_lshrrev_b32_e32 v3, s43, v3
	v_mul_lo_u32 v3, v3, s27
	v_sub_u32_e32 v3, v1, v3
	v_mad_u64_u32 v[0:1], s[4:5], v3, s30, v[0:1]
	v_mad_u64_u32 v[2:3], s[4:5], v3, s31, v[2:3]
.LBB222_154:
	global_load_ushort v1, v2, s[22:23]
	v_mov_b32_e32 v2, s57
	v_add_u32_e32 v19, 0x80, v19
	s_waitcnt vmcnt(0)
	v_cndmask_b32_e64 v1, v1, v2, s[0:1]
	global_store_short v0, v1, s[20:21]
	s_or_b64 exec, exec, s[50:51]
	v_cmp_gt_i32_e32 vcc, s58, v19
	s_and_saveexec_b64 s[50:51], vcc
	s_cbranch_execnz .LBB222_140
.LBB222_155:
	s_or_b64 exec, exec, s[50:51]
	v_cmp_gt_i32_e32 vcc, s58, v19
	s_and_saveexec_b64 s[50:51], vcc
	s_cbranch_execz .LBB222_171
.LBB222_156:
	s_andn2_b64 vcc, exec, s[2:3]
	s_cbranch_vccnz .LBB222_161
; %bb.157:
	s_andn2_b64 vcc, exec, s[48:49]
	s_cbranch_vccnz .LBB222_162
; %bb.158:
	s_add_i32 s61, s59, 1
	s_cmp_eq_u32 s56, 2
	s_cbranch_scc1 .LBB222_179
; %bb.159:
	s_and_b32 s60, s61, 28
	v_mov_b32_e32 v2, 0
	s_mov_b32 s62, 0
	s_mov_b64 s[52:53], s[34:35]
	s_mov_b64 s[54:55], s[46:47]
	v_mov_b32_e32 v0, 0
	v_mov_b32_e32 v1, v19
.LBB222_160:                            ; =>This Inner Loop Header: Depth=1
	s_load_dwordx8 s[12:19], s[52:53], 0x4
	s_load_dwordx4 s[36:39], s[52:53], 0x24
	s_load_dwordx8 s[4:11], s[54:55], 0x0
	s_add_u32 s52, s52, 48
	s_addc_u32 s53, s53, 0
	s_waitcnt lgkmcnt(0)
	v_mul_hi_u32 v3, s13, v1
	s_add_i32 s62, s62, 4
	s_add_u32 s54, s54, 32
	s_addc_u32 s55, s55, 0
	v_add_u32_e32 v3, v1, v3
	v_lshrrev_b32_e32 v3, s14, v3
	v_mul_lo_u32 v4, v3, s12
	v_mul_hi_u32 v5, s16, v3
	s_cmp_eq_u32 s60, s62
	v_sub_u32_e32 v1, v1, v4
	v_add_u32_e32 v4, v3, v5
	v_mul_lo_u32 v5, v1, s4
	v_mul_lo_u32 v6, v1, s5
	v_lshrrev_b32_e32 v1, s17, v4
	v_mul_lo_u32 v4, v1, s15
	v_mul_hi_u32 v7, s19, v1
	v_sub_u32_e32 v3, v3, v4
	v_add_u32_e32 v4, v1, v7
	v_lshrrev_b32_e32 v4, s36, v4
	v_mul_hi_u32 v8, s38, v4
	v_mul_lo_u32 v9, v4, s18
	v_mul_lo_u32 v7, v3, s6
	;; [unrolled: 1-line block ×3, first 2 shown]
	v_sub_u32_e32 v9, v1, v9
	v_add_u32_e32 v1, v4, v8
	v_lshrrev_b32_e32 v1, s39, v1
	v_mul_lo_u32 v8, v1, s37
	v_mul_lo_u32 v10, v9, s8
	;; [unrolled: 1-line block ×3, first 2 shown]
	v_add3_u32 v0, v5, v0, v7
	v_sub_u32_e32 v4, v4, v8
	v_mul_lo_u32 v8, v4, s10
	v_mul_lo_u32 v4, v4, s11
	v_add3_u32 v2, v6, v2, v3
	v_add3_u32 v0, v10, v0, v8
	v_add3_u32 v2, v9, v2, v4
	s_cbranch_scc0 .LBB222_160
	s_branch .LBB222_180
.LBB222_161:
                                        ; implicit-def: $vgpr0
                                        ; implicit-def: $vgpr2
	s_branch .LBB222_184
.LBB222_162:
	v_mov_b32_e32 v0, 0
	v_mov_b32_e32 v2, 0
	s_branch .LBB222_183
.LBB222_163:
	s_mov_b32 s60, 0
	v_mov_b32_e32 v0, 0
	v_mov_b32_e32 v2, 0
	;; [unrolled: 1-line block ×3, first 2 shown]
.LBB222_164:
	s_and_b32 s8, s61, 3
	s_cmp_eq_u32 s8, 0
	s_cbranch_scc1 .LBB222_167
; %bb.165:
	s_lshl_b32 s4, s60, 3
	s_add_u32 s4, s34, s4
	s_addc_u32 s5, s35, 0
	s_add_u32 s4, s4, 0xc4
	s_addc_u32 s5, s5, 0
	s_mul_i32 s6, s60, 12
	s_add_u32 s6, s34, s6
	s_addc_u32 s7, s35, 0
.LBB222_166:                            ; =>This Inner Loop Header: Depth=1
	s_load_dwordx2 s[10:11], s[6:7], 0x4
	s_load_dword s9, s[6:7], 0xc
	s_load_dwordx2 s[12:13], s[4:5], 0x0
	s_add_u32 s6, s6, 12
	s_addc_u32 s7, s7, 0
	s_waitcnt lgkmcnt(0)
	v_mul_hi_u32 v3, s11, v1
	s_add_u32 s4, s4, 8
	s_addc_u32 s5, s5, 0
	s_add_i32 s8, s8, -1
	v_add_u32_e32 v3, v1, v3
	v_lshrrev_b32_e32 v4, s9, v3
	v_mul_lo_u32 v3, v4, s10
	s_cmp_lg_u32 s8, 0
	v_sub_u32_e32 v3, v1, v3
	v_mad_u64_u32 v[0:1], s[10:11], v3, s12, v[0:1]
	v_mad_u64_u32 v[2:3], s[10:11], v3, s13, v[2:3]
	v_mov_b32_e32 v1, v4
	s_cbranch_scc1 .LBB222_166
.LBB222_167:
	s_cbranch_execnz .LBB222_170
.LBB222_168:
	v_mul_hi_u32 v0, s25, v19
	s_andn2_b64 vcc, exec, s[44:45]
	v_add_u32_e32 v0, v19, v0
	v_lshrrev_b32_e32 v1, s26, v0
	v_mul_lo_u32 v0, v1, s24
	v_sub_u32_e32 v2, v19, v0
	v_mul_lo_u32 v0, v2, s28
	v_mul_lo_u32 v2, v2, s29
	s_cbranch_vccnz .LBB222_170
; %bb.169:
	v_mul_hi_u32 v3, s42, v1
	v_add_u32_e32 v3, v1, v3
	v_lshrrev_b32_e32 v3, s43, v3
	v_mul_lo_u32 v3, v3, s27
	v_sub_u32_e32 v3, v1, v3
	v_mad_u64_u32 v[0:1], s[4:5], v3, s30, v[0:1]
	v_mad_u64_u32 v[2:3], s[4:5], v3, s31, v[2:3]
.LBB222_170:
	global_load_ushort v1, v2, s[22:23]
	v_mov_b32_e32 v2, s57
	v_add_u32_e32 v19, 0x80, v19
	s_waitcnt vmcnt(0)
	v_cndmask_b32_e64 v1, v1, v2, s[0:1]
	global_store_short v0, v1, s[20:21]
	s_or_b64 exec, exec, s[50:51]
	v_cmp_gt_i32_e32 vcc, s58, v19
	s_and_saveexec_b64 s[50:51], vcc
	s_cbranch_execnz .LBB222_156
.LBB222_171:
	s_or_b64 exec, exec, s[50:51]
	v_cmp_gt_i32_e32 vcc, s58, v19
	s_and_saveexec_b64 s[50:51], vcc
	s_cbranch_execz .LBB222_187
.LBB222_172:
	s_andn2_b64 vcc, exec, s[2:3]
	s_cbranch_vccnz .LBB222_177
; %bb.173:
	s_andn2_b64 vcc, exec, s[48:49]
	s_cbranch_vccnz .LBB222_178
; %bb.174:
	s_add_i32 s61, s59, 1
	s_cmp_eq_u32 s56, 2
	s_cbranch_scc1 .LBB222_195
; %bb.175:
	s_and_b32 s60, s61, 28
	v_mov_b32_e32 v2, 0
	s_mov_b32 s62, 0
	s_mov_b64 s[52:53], s[34:35]
	s_mov_b64 s[54:55], s[46:47]
	v_mov_b32_e32 v0, 0
	v_mov_b32_e32 v1, v19
.LBB222_176:                            ; =>This Inner Loop Header: Depth=1
	s_load_dwordx8 s[12:19], s[52:53], 0x4
	s_load_dwordx4 s[36:39], s[52:53], 0x24
	s_load_dwordx8 s[4:11], s[54:55], 0x0
	s_add_u32 s52, s52, 48
	s_addc_u32 s53, s53, 0
	s_waitcnt lgkmcnt(0)
	v_mul_hi_u32 v3, s13, v1
	s_add_i32 s62, s62, 4
	s_add_u32 s54, s54, 32
	s_addc_u32 s55, s55, 0
	v_add_u32_e32 v3, v1, v3
	v_lshrrev_b32_e32 v3, s14, v3
	v_mul_lo_u32 v4, v3, s12
	v_mul_hi_u32 v5, s16, v3
	s_cmp_eq_u32 s60, s62
	v_sub_u32_e32 v1, v1, v4
	v_add_u32_e32 v4, v3, v5
	v_mul_lo_u32 v5, v1, s4
	v_mul_lo_u32 v6, v1, s5
	v_lshrrev_b32_e32 v1, s17, v4
	v_mul_lo_u32 v4, v1, s15
	v_mul_hi_u32 v7, s19, v1
	v_sub_u32_e32 v3, v3, v4
	v_add_u32_e32 v4, v1, v7
	v_lshrrev_b32_e32 v4, s36, v4
	v_mul_hi_u32 v8, s38, v4
	v_mul_lo_u32 v9, v4, s18
	v_mul_lo_u32 v7, v3, s6
	;; [unrolled: 1-line block ×3, first 2 shown]
	v_sub_u32_e32 v9, v1, v9
	v_add_u32_e32 v1, v4, v8
	v_lshrrev_b32_e32 v1, s39, v1
	v_mul_lo_u32 v8, v1, s37
	v_mul_lo_u32 v10, v9, s8
	;; [unrolled: 1-line block ×3, first 2 shown]
	v_add3_u32 v0, v5, v0, v7
	v_sub_u32_e32 v4, v4, v8
	v_mul_lo_u32 v8, v4, s10
	v_mul_lo_u32 v4, v4, s11
	v_add3_u32 v2, v6, v2, v3
	v_add3_u32 v0, v10, v0, v8
	;; [unrolled: 1-line block ×3, first 2 shown]
	s_cbranch_scc0 .LBB222_176
	s_branch .LBB222_196
.LBB222_177:
                                        ; implicit-def: $vgpr0
                                        ; implicit-def: $vgpr2
	s_branch .LBB222_200
.LBB222_178:
	v_mov_b32_e32 v0, 0
	v_mov_b32_e32 v2, 0
	s_branch .LBB222_199
.LBB222_179:
	s_mov_b32 s60, 0
	v_mov_b32_e32 v0, 0
	v_mov_b32_e32 v2, 0
	;; [unrolled: 1-line block ×3, first 2 shown]
.LBB222_180:
	s_and_b32 s8, s61, 3
	s_cmp_eq_u32 s8, 0
	s_cbranch_scc1 .LBB222_183
; %bb.181:
	s_lshl_b32 s4, s60, 3
	s_add_u32 s4, s34, s4
	s_addc_u32 s5, s35, 0
	s_add_u32 s4, s4, 0xc4
	s_addc_u32 s5, s5, 0
	s_mul_i32 s6, s60, 12
	s_add_u32 s6, s34, s6
	s_addc_u32 s7, s35, 0
.LBB222_182:                            ; =>This Inner Loop Header: Depth=1
	s_load_dwordx2 s[10:11], s[6:7], 0x4
	s_load_dword s9, s[6:7], 0xc
	s_load_dwordx2 s[12:13], s[4:5], 0x0
	s_add_u32 s6, s6, 12
	s_addc_u32 s7, s7, 0
	s_waitcnt lgkmcnt(0)
	v_mul_hi_u32 v3, s11, v1
	s_add_u32 s4, s4, 8
	s_addc_u32 s5, s5, 0
	s_add_i32 s8, s8, -1
	v_add_u32_e32 v3, v1, v3
	v_lshrrev_b32_e32 v4, s9, v3
	v_mul_lo_u32 v3, v4, s10
	s_cmp_lg_u32 s8, 0
	v_sub_u32_e32 v3, v1, v3
	v_mad_u64_u32 v[0:1], s[10:11], v3, s12, v[0:1]
	v_mad_u64_u32 v[2:3], s[10:11], v3, s13, v[2:3]
	v_mov_b32_e32 v1, v4
	s_cbranch_scc1 .LBB222_182
.LBB222_183:
	s_cbranch_execnz .LBB222_186
.LBB222_184:
	v_mul_hi_u32 v0, s25, v19
	s_andn2_b64 vcc, exec, s[44:45]
	v_add_u32_e32 v0, v19, v0
	v_lshrrev_b32_e32 v1, s26, v0
	v_mul_lo_u32 v0, v1, s24
	v_sub_u32_e32 v2, v19, v0
	v_mul_lo_u32 v0, v2, s28
	v_mul_lo_u32 v2, v2, s29
	s_cbranch_vccnz .LBB222_186
; %bb.185:
	v_mul_hi_u32 v3, s42, v1
	v_add_u32_e32 v3, v1, v3
	v_lshrrev_b32_e32 v3, s43, v3
	v_mul_lo_u32 v3, v3, s27
	v_sub_u32_e32 v3, v1, v3
	v_mad_u64_u32 v[0:1], s[4:5], v3, s30, v[0:1]
	v_mad_u64_u32 v[2:3], s[4:5], v3, s31, v[2:3]
.LBB222_186:
	global_load_ushort v1, v2, s[22:23]
	v_mov_b32_e32 v2, s57
	v_add_u32_e32 v19, 0x80, v19
	s_waitcnt vmcnt(0)
	v_cndmask_b32_e64 v1, v1, v2, s[0:1]
	global_store_short v0, v1, s[20:21]
	s_or_b64 exec, exec, s[50:51]
	v_cmp_gt_i32_e32 vcc, s58, v19
	s_and_saveexec_b64 s[50:51], vcc
	s_cbranch_execnz .LBB222_172
.LBB222_187:
	s_or_b64 exec, exec, s[50:51]
	v_cmp_gt_i32_e32 vcc, s58, v19
	s_and_saveexec_b64 s[50:51], vcc
	s_cbranch_execz .LBB222_203
.LBB222_188:
	s_andn2_b64 vcc, exec, s[2:3]
	s_cbranch_vccnz .LBB222_193
; %bb.189:
	s_andn2_b64 vcc, exec, s[48:49]
	s_cbranch_vccnz .LBB222_194
; %bb.190:
	s_add_i32 s61, s59, 1
	s_cmp_eq_u32 s56, 2
	s_cbranch_scc1 .LBB222_211
; %bb.191:
	s_and_b32 s60, s61, 28
	v_mov_b32_e32 v2, 0
	s_mov_b32 s62, 0
	s_mov_b64 s[52:53], s[34:35]
	s_mov_b64 s[54:55], s[46:47]
	v_mov_b32_e32 v0, 0
	v_mov_b32_e32 v1, v19
.LBB222_192:                            ; =>This Inner Loop Header: Depth=1
	s_load_dwordx8 s[12:19], s[52:53], 0x4
	s_load_dwordx4 s[36:39], s[52:53], 0x24
	s_load_dwordx8 s[4:11], s[54:55], 0x0
	s_add_u32 s52, s52, 48
	s_addc_u32 s53, s53, 0
	s_waitcnt lgkmcnt(0)
	v_mul_hi_u32 v3, s13, v1
	s_add_i32 s62, s62, 4
	s_add_u32 s54, s54, 32
	s_addc_u32 s55, s55, 0
	v_add_u32_e32 v3, v1, v3
	v_lshrrev_b32_e32 v3, s14, v3
	v_mul_lo_u32 v4, v3, s12
	v_mul_hi_u32 v5, s16, v3
	s_cmp_eq_u32 s60, s62
	v_sub_u32_e32 v1, v1, v4
	v_add_u32_e32 v4, v3, v5
	v_mul_lo_u32 v5, v1, s4
	v_mul_lo_u32 v6, v1, s5
	v_lshrrev_b32_e32 v1, s17, v4
	v_mul_lo_u32 v4, v1, s15
	v_mul_hi_u32 v7, s19, v1
	v_sub_u32_e32 v3, v3, v4
	v_add_u32_e32 v4, v1, v7
	v_lshrrev_b32_e32 v4, s36, v4
	v_mul_hi_u32 v8, s38, v4
	v_mul_lo_u32 v9, v4, s18
	v_mul_lo_u32 v7, v3, s6
	;; [unrolled: 1-line block ×3, first 2 shown]
	v_sub_u32_e32 v9, v1, v9
	v_add_u32_e32 v1, v4, v8
	v_lshrrev_b32_e32 v1, s39, v1
	v_mul_lo_u32 v8, v1, s37
	v_mul_lo_u32 v10, v9, s8
	v_mul_lo_u32 v9, v9, s9
	v_add3_u32 v0, v5, v0, v7
	v_sub_u32_e32 v4, v4, v8
	v_mul_lo_u32 v8, v4, s10
	v_mul_lo_u32 v4, v4, s11
	v_add3_u32 v2, v6, v2, v3
	v_add3_u32 v0, v10, v0, v8
	;; [unrolled: 1-line block ×3, first 2 shown]
	s_cbranch_scc0 .LBB222_192
	s_branch .LBB222_212
.LBB222_193:
                                        ; implicit-def: $vgpr0
                                        ; implicit-def: $vgpr2
	s_branch .LBB222_216
.LBB222_194:
	v_mov_b32_e32 v0, 0
	v_mov_b32_e32 v2, 0
	s_branch .LBB222_215
.LBB222_195:
	s_mov_b32 s60, 0
	v_mov_b32_e32 v0, 0
	v_mov_b32_e32 v2, 0
	;; [unrolled: 1-line block ×3, first 2 shown]
.LBB222_196:
	s_and_b32 s8, s61, 3
	s_cmp_eq_u32 s8, 0
	s_cbranch_scc1 .LBB222_199
; %bb.197:
	s_lshl_b32 s4, s60, 3
	s_add_u32 s4, s34, s4
	s_addc_u32 s5, s35, 0
	s_add_u32 s4, s4, 0xc4
	s_addc_u32 s5, s5, 0
	s_mul_i32 s6, s60, 12
	s_add_u32 s6, s34, s6
	s_addc_u32 s7, s35, 0
.LBB222_198:                            ; =>This Inner Loop Header: Depth=1
	s_load_dwordx2 s[10:11], s[6:7], 0x4
	s_load_dword s9, s[6:7], 0xc
	s_load_dwordx2 s[12:13], s[4:5], 0x0
	s_add_u32 s6, s6, 12
	s_addc_u32 s7, s7, 0
	s_waitcnt lgkmcnt(0)
	v_mul_hi_u32 v3, s11, v1
	s_add_u32 s4, s4, 8
	s_addc_u32 s5, s5, 0
	s_add_i32 s8, s8, -1
	v_add_u32_e32 v3, v1, v3
	v_lshrrev_b32_e32 v4, s9, v3
	v_mul_lo_u32 v3, v4, s10
	s_cmp_lg_u32 s8, 0
	v_sub_u32_e32 v3, v1, v3
	v_mad_u64_u32 v[0:1], s[10:11], v3, s12, v[0:1]
	v_mad_u64_u32 v[2:3], s[10:11], v3, s13, v[2:3]
	v_mov_b32_e32 v1, v4
	s_cbranch_scc1 .LBB222_198
.LBB222_199:
	s_cbranch_execnz .LBB222_202
.LBB222_200:
	v_mul_hi_u32 v0, s25, v19
	s_andn2_b64 vcc, exec, s[44:45]
	v_add_u32_e32 v0, v19, v0
	v_lshrrev_b32_e32 v1, s26, v0
	v_mul_lo_u32 v0, v1, s24
	v_sub_u32_e32 v2, v19, v0
	v_mul_lo_u32 v0, v2, s28
	v_mul_lo_u32 v2, v2, s29
	s_cbranch_vccnz .LBB222_202
; %bb.201:
	v_mul_hi_u32 v3, s42, v1
	v_add_u32_e32 v3, v1, v3
	v_lshrrev_b32_e32 v3, s43, v3
	v_mul_lo_u32 v3, v3, s27
	v_sub_u32_e32 v3, v1, v3
	v_mad_u64_u32 v[0:1], s[4:5], v3, s30, v[0:1]
	v_mad_u64_u32 v[2:3], s[4:5], v3, s31, v[2:3]
.LBB222_202:
	global_load_ushort v1, v2, s[22:23]
	v_mov_b32_e32 v2, s57
	v_add_u32_e32 v19, 0x80, v19
	s_waitcnt vmcnt(0)
	v_cndmask_b32_e64 v1, v1, v2, s[0:1]
	global_store_short v0, v1, s[20:21]
	s_or_b64 exec, exec, s[50:51]
	v_cmp_gt_i32_e32 vcc, s58, v19
	s_and_saveexec_b64 s[50:51], vcc
	s_cbranch_execnz .LBB222_188
.LBB222_203:
	s_or_b64 exec, exec, s[50:51]
	v_cmp_gt_i32_e32 vcc, s58, v19
	s_and_saveexec_b64 s[50:51], vcc
	s_cbranch_execz .LBB222_219
.LBB222_204:
	s_andn2_b64 vcc, exec, s[2:3]
	s_cbranch_vccnz .LBB222_209
; %bb.205:
	s_andn2_b64 vcc, exec, s[48:49]
	s_cbranch_vccnz .LBB222_210
; %bb.206:
	s_add_i32 s61, s59, 1
	s_cmp_eq_u32 s56, 2
	s_cbranch_scc1 .LBB222_222
; %bb.207:
	s_and_b32 s60, s61, 28
	v_mov_b32_e32 v2, 0
	s_mov_b32 s62, 0
	s_mov_b64 s[52:53], s[34:35]
	s_mov_b64 s[54:55], s[46:47]
	v_mov_b32_e32 v0, 0
	v_mov_b32_e32 v1, v19
.LBB222_208:                            ; =>This Inner Loop Header: Depth=1
	s_load_dwordx8 s[12:19], s[52:53], 0x4
	s_load_dwordx4 s[36:39], s[52:53], 0x24
	s_load_dwordx8 s[4:11], s[54:55], 0x0
	s_add_u32 s52, s52, 48
	s_addc_u32 s53, s53, 0
	s_waitcnt lgkmcnt(0)
	v_mul_hi_u32 v3, s13, v1
	s_add_i32 s62, s62, 4
	s_add_u32 s54, s54, 32
	s_addc_u32 s55, s55, 0
	v_add_u32_e32 v3, v1, v3
	v_lshrrev_b32_e32 v3, s14, v3
	v_mul_lo_u32 v4, v3, s12
	v_mul_hi_u32 v5, s16, v3
	s_cmp_eq_u32 s60, s62
	v_sub_u32_e32 v1, v1, v4
	v_add_u32_e32 v4, v3, v5
	v_mul_lo_u32 v5, v1, s4
	v_mul_lo_u32 v6, v1, s5
	v_lshrrev_b32_e32 v1, s17, v4
	v_mul_lo_u32 v4, v1, s15
	v_mul_hi_u32 v7, s19, v1
	v_sub_u32_e32 v3, v3, v4
	v_add_u32_e32 v4, v1, v7
	v_lshrrev_b32_e32 v4, s36, v4
	v_mul_hi_u32 v8, s38, v4
	v_mul_lo_u32 v9, v4, s18
	v_mul_lo_u32 v7, v3, s6
	v_mul_lo_u32 v3, v3, s7
	v_sub_u32_e32 v9, v1, v9
	v_add_u32_e32 v1, v4, v8
	v_lshrrev_b32_e32 v1, s39, v1
	v_mul_lo_u32 v8, v1, s37
	v_mul_lo_u32 v10, v9, s8
	;; [unrolled: 1-line block ×3, first 2 shown]
	v_add3_u32 v0, v5, v0, v7
	v_sub_u32_e32 v4, v4, v8
	v_mul_lo_u32 v8, v4, s10
	v_mul_lo_u32 v4, v4, s11
	v_add3_u32 v2, v6, v2, v3
	v_add3_u32 v0, v10, v0, v8
	;; [unrolled: 1-line block ×3, first 2 shown]
	s_cbranch_scc0 .LBB222_208
	s_branch .LBB222_223
.LBB222_209:
                                        ; implicit-def: $vgpr0
                                        ; implicit-def: $vgpr2
	s_branch .LBB222_227
.LBB222_210:
	v_mov_b32_e32 v0, 0
	v_mov_b32_e32 v2, 0
	s_branch .LBB222_226
.LBB222_211:
	s_mov_b32 s60, 0
	v_mov_b32_e32 v0, 0
	v_mov_b32_e32 v2, 0
	v_mov_b32_e32 v1, v19
.LBB222_212:
	s_and_b32 s8, s61, 3
	s_cmp_eq_u32 s8, 0
	s_cbranch_scc1 .LBB222_215
; %bb.213:
	s_lshl_b32 s4, s60, 3
	s_add_u32 s4, s34, s4
	s_addc_u32 s5, s35, 0
	s_add_u32 s4, s4, 0xc4
	s_addc_u32 s5, s5, 0
	s_mul_i32 s6, s60, 12
	s_add_u32 s6, s34, s6
	s_addc_u32 s7, s35, 0
.LBB222_214:                            ; =>This Inner Loop Header: Depth=1
	s_load_dwordx2 s[10:11], s[6:7], 0x4
	s_load_dword s9, s[6:7], 0xc
	s_load_dwordx2 s[12:13], s[4:5], 0x0
	s_add_u32 s6, s6, 12
	s_addc_u32 s7, s7, 0
	s_waitcnt lgkmcnt(0)
	v_mul_hi_u32 v3, s11, v1
	s_add_u32 s4, s4, 8
	s_addc_u32 s5, s5, 0
	s_add_i32 s8, s8, -1
	v_add_u32_e32 v3, v1, v3
	v_lshrrev_b32_e32 v4, s9, v3
	v_mul_lo_u32 v3, v4, s10
	s_cmp_lg_u32 s8, 0
	v_sub_u32_e32 v3, v1, v3
	v_mad_u64_u32 v[0:1], s[10:11], v3, s12, v[0:1]
	v_mad_u64_u32 v[2:3], s[10:11], v3, s13, v[2:3]
	v_mov_b32_e32 v1, v4
	s_cbranch_scc1 .LBB222_214
.LBB222_215:
	s_cbranch_execnz .LBB222_218
.LBB222_216:
	v_mul_hi_u32 v0, s25, v19
	s_andn2_b64 vcc, exec, s[44:45]
	v_add_u32_e32 v0, v19, v0
	v_lshrrev_b32_e32 v1, s26, v0
	v_mul_lo_u32 v0, v1, s24
	v_sub_u32_e32 v2, v19, v0
	v_mul_lo_u32 v0, v2, s28
	v_mul_lo_u32 v2, v2, s29
	s_cbranch_vccnz .LBB222_218
; %bb.217:
	v_mul_hi_u32 v3, s42, v1
	v_add_u32_e32 v3, v1, v3
	v_lshrrev_b32_e32 v3, s43, v3
	v_mul_lo_u32 v3, v3, s27
	v_sub_u32_e32 v3, v1, v3
	v_mad_u64_u32 v[0:1], s[4:5], v3, s30, v[0:1]
	v_mad_u64_u32 v[2:3], s[4:5], v3, s31, v[2:3]
.LBB222_218:
	global_load_ushort v1, v2, s[22:23]
	v_mov_b32_e32 v2, s57
	v_add_u32_e32 v19, 0x80, v19
	s_waitcnt vmcnt(0)
	v_cndmask_b32_e64 v1, v1, v2, s[0:1]
	global_store_short v0, v1, s[20:21]
	s_or_b64 exec, exec, s[50:51]
	v_cmp_gt_i32_e32 vcc, s58, v19
	s_and_saveexec_b64 s[50:51], vcc
	s_cbranch_execnz .LBB222_204
.LBB222_219:
	s_or_b64 exec, exec, s[50:51]
	v_cmp_gt_i32_e32 vcc, s58, v19
	s_and_saveexec_b64 s[50:51], vcc
	s_cbranch_execnz .LBB222_230
.LBB222_220:
	s_or_b64 exec, exec, s[50:51]
                                        ; implicit-def: $vgpr25
                                        ; implicit-def: $vgpr19
	s_andn2_saveexec_b64 s[0:1], s[40:41]
	s_cbranch_execnz .LBB222_8
.LBB222_221:
	s_endpgm
.LBB222_222:
	s_mov_b32 s60, 0
	v_mov_b32_e32 v0, 0
	v_mov_b32_e32 v2, 0
	;; [unrolled: 1-line block ×3, first 2 shown]
.LBB222_223:
	s_and_b32 s8, s61, 3
	s_cmp_eq_u32 s8, 0
	s_cbranch_scc1 .LBB222_226
; %bb.224:
	s_lshl_b32 s4, s60, 3
	s_add_u32 s4, s34, s4
	s_addc_u32 s5, s35, 0
	s_add_u32 s4, s4, 0xc4
	s_addc_u32 s5, s5, 0
	s_mul_i32 s6, s60, 12
	s_add_u32 s6, s34, s6
	s_addc_u32 s7, s35, 0
.LBB222_225:                            ; =>This Inner Loop Header: Depth=1
	s_load_dwordx2 s[10:11], s[6:7], 0x4
	s_load_dword s9, s[6:7], 0xc
	s_load_dwordx2 s[12:13], s[4:5], 0x0
	s_add_u32 s6, s6, 12
	s_addc_u32 s7, s7, 0
	s_waitcnt lgkmcnt(0)
	v_mul_hi_u32 v3, s11, v1
	s_add_u32 s4, s4, 8
	s_addc_u32 s5, s5, 0
	s_add_i32 s8, s8, -1
	v_add_u32_e32 v3, v1, v3
	v_lshrrev_b32_e32 v4, s9, v3
	v_mul_lo_u32 v3, v4, s10
	s_cmp_lg_u32 s8, 0
	v_sub_u32_e32 v3, v1, v3
	v_mad_u64_u32 v[0:1], s[10:11], v3, s12, v[0:1]
	v_mad_u64_u32 v[2:3], s[10:11], v3, s13, v[2:3]
	v_mov_b32_e32 v1, v4
	s_cbranch_scc1 .LBB222_225
.LBB222_226:
	s_cbranch_execnz .LBB222_229
.LBB222_227:
	v_mul_hi_u32 v0, s25, v19
	s_andn2_b64 vcc, exec, s[44:45]
	v_add_u32_e32 v0, v19, v0
	v_lshrrev_b32_e32 v1, s26, v0
	v_mul_lo_u32 v0, v1, s24
	v_sub_u32_e32 v2, v19, v0
	v_mul_lo_u32 v0, v2, s28
	v_mul_lo_u32 v2, v2, s29
	s_cbranch_vccnz .LBB222_229
; %bb.228:
	v_mul_hi_u32 v3, s42, v1
	v_add_u32_e32 v3, v1, v3
	v_lshrrev_b32_e32 v3, s43, v3
	v_mul_lo_u32 v3, v3, s27
	v_sub_u32_e32 v3, v1, v3
	v_mad_u64_u32 v[0:1], s[4:5], v3, s30, v[0:1]
	v_mad_u64_u32 v[2:3], s[4:5], v3, s31, v[2:3]
.LBB222_229:
	global_load_ushort v1, v2, s[22:23]
	v_mov_b32_e32 v2, s57
	v_add_u32_e32 v19, 0x80, v19
	s_waitcnt vmcnt(0)
	v_cndmask_b32_e64 v1, v1, v2, s[0:1]
	global_store_short v0, v1, s[20:21]
	s_or_b64 exec, exec, s[50:51]
	v_cmp_gt_i32_e32 vcc, s58, v19
	s_and_saveexec_b64 s[50:51], vcc
	s_cbranch_execz .LBB222_220
.LBB222_230:
	s_andn2_b64 vcc, exec, s[2:3]
	s_cbranch_vccnz .LBB222_235
; %bb.231:
	s_andn2_b64 vcc, exec, s[48:49]
	s_cbranch_vccnz .LBB222_236
; %bb.232:
	s_add_i32 s59, s59, 1
	s_cmp_eq_u32 s56, 2
	s_cbranch_scc1 .LBB222_237
; %bb.233:
	s_and_b32 s52, s59, 28
	v_mov_b32_e32 v2, 0
	s_mov_b32 s53, 0
	s_mov_b64 s[48:49], s[34:35]
	v_mov_b32_e32 v0, 0
	v_mov_b32_e32 v1, v19
.LBB222_234:                            ; =>This Inner Loop Header: Depth=1
	s_load_dwordx8 s[12:19], s[48:49], 0x4
	s_load_dwordx4 s[36:39], s[48:49], 0x24
	s_load_dwordx8 s[4:11], s[46:47], 0x0
	s_add_u32 s48, s48, 48
	s_addc_u32 s49, s49, 0
	s_waitcnt lgkmcnt(0)
	v_mul_hi_u32 v3, s13, v1
	s_add_i32 s53, s53, 4
	s_add_u32 s46, s46, 32
	s_addc_u32 s47, s47, 0
	v_add_u32_e32 v3, v1, v3
	v_lshrrev_b32_e32 v3, s14, v3
	v_mul_lo_u32 v4, v3, s12
	v_mul_hi_u32 v5, s16, v3
	s_cmp_eq_u32 s52, s53
	v_sub_u32_e32 v1, v1, v4
	v_add_u32_e32 v4, v3, v5
	v_mul_lo_u32 v5, v1, s4
	v_mul_lo_u32 v6, v1, s5
	v_lshrrev_b32_e32 v1, s17, v4
	v_mul_lo_u32 v4, v1, s15
	v_mul_hi_u32 v7, s19, v1
	v_sub_u32_e32 v3, v3, v4
	v_add_u32_e32 v4, v1, v7
	v_lshrrev_b32_e32 v4, s36, v4
	v_mul_hi_u32 v8, s38, v4
	v_mul_lo_u32 v9, v4, s18
	v_mul_lo_u32 v7, v3, s6
	v_mul_lo_u32 v3, v3, s7
	v_sub_u32_e32 v9, v1, v9
	v_add_u32_e32 v1, v4, v8
	v_lshrrev_b32_e32 v1, s39, v1
	v_mul_lo_u32 v8, v1, s37
	v_mul_lo_u32 v10, v9, s8
	;; [unrolled: 1-line block ×3, first 2 shown]
	v_add3_u32 v0, v5, v0, v7
	v_sub_u32_e32 v4, v4, v8
	v_mul_lo_u32 v8, v4, s10
	v_mul_lo_u32 v4, v4, s11
	v_add3_u32 v2, v6, v2, v3
	v_add3_u32 v0, v10, v0, v8
	;; [unrolled: 1-line block ×3, first 2 shown]
	s_cbranch_scc0 .LBB222_234
	s_branch .LBB222_238
.LBB222_235:
                                        ; implicit-def: $vgpr0
                                        ; implicit-def: $vgpr2
	s_branch .LBB222_242
.LBB222_236:
	v_mov_b32_e32 v0, 0
	v_mov_b32_e32 v2, 0
	s_branch .LBB222_241
.LBB222_237:
	s_mov_b32 s52, 0
	v_mov_b32_e32 v0, 0
	v_mov_b32_e32 v2, 0
	;; [unrolled: 1-line block ×3, first 2 shown]
.LBB222_238:
	s_and_b32 s8, s59, 3
	s_cmp_eq_u32 s8, 0
	s_cbranch_scc1 .LBB222_241
; %bb.239:
	s_lshl_b32 s4, s52, 3
	s_add_u32 s4, s34, s4
	s_addc_u32 s5, s35, 0
	s_add_u32 s4, s4, 0xc4
	s_addc_u32 s5, s5, 0
	s_mul_i32 s6, s52, 12
	s_add_u32 s6, s34, s6
	s_addc_u32 s7, s35, 0
.LBB222_240:                            ; =>This Inner Loop Header: Depth=1
	s_load_dwordx2 s[10:11], s[6:7], 0x4
	s_load_dword s9, s[6:7], 0xc
	s_load_dwordx2 s[12:13], s[4:5], 0x0
	s_add_u32 s6, s6, 12
	s_addc_u32 s7, s7, 0
	s_waitcnt lgkmcnt(0)
	v_mul_hi_u32 v3, s11, v1
	s_add_u32 s4, s4, 8
	s_addc_u32 s5, s5, 0
	s_add_i32 s8, s8, -1
	v_add_u32_e32 v3, v1, v3
	v_lshrrev_b32_e32 v4, s9, v3
	v_mul_lo_u32 v3, v4, s10
	s_cmp_lg_u32 s8, 0
	v_sub_u32_e32 v3, v1, v3
	v_mad_u64_u32 v[0:1], s[10:11], v3, s12, v[0:1]
	v_mad_u64_u32 v[2:3], s[10:11], v3, s13, v[2:3]
	v_mov_b32_e32 v1, v4
	s_cbranch_scc1 .LBB222_240
.LBB222_241:
	s_cbranch_execnz .LBB222_244
.LBB222_242:
	v_mul_hi_u32 v0, s25, v19
	s_andn2_b64 vcc, exec, s[44:45]
	v_add_u32_e32 v0, v19, v0
	v_lshrrev_b32_e32 v1, s26, v0
	v_mul_lo_u32 v0, v1, s24
	v_sub_u32_e32 v2, v19, v0
	v_mul_lo_u32 v0, v2, s28
	v_mul_lo_u32 v2, v2, s29
	s_cbranch_vccnz .LBB222_244
; %bb.243:
	v_mul_hi_u32 v3, s42, v1
	v_add_u32_e32 v3, v1, v3
	v_lshrrev_b32_e32 v3, s43, v3
	v_mul_lo_u32 v3, v3, s27
	v_sub_u32_e32 v3, v1, v3
	v_mad_u64_u32 v[0:1], s[4:5], v3, s30, v[0:1]
	v_mad_u64_u32 v[2:3], s[4:5], v3, s31, v[2:3]
.LBB222_244:
	global_load_ushort v1, v2, s[22:23]
	v_mov_b32_e32 v2, s57
	s_waitcnt vmcnt(0)
	v_cndmask_b32_e64 v1, v1, v2, s[0:1]
	global_store_short v0, v1, s[20:21]
	s_or_b64 exec, exec, s[50:51]
                                        ; implicit-def: $vgpr25
                                        ; implicit-def: $vgpr19
	s_andn2_saveexec_b64 s[0:1], s[40:41]
	s_cbranch_execz .LBB222_221
	s_branch .LBB222_8
	.section	.rodata,"a",@progbits
	.p2align	6, 0x0
	.amdhsa_kernel _ZN2at6native32elementwise_kernel_manual_unrollILi128ELi8EZNS0_22gpu_kernel_impl_nocastINS0_13AUnaryFunctorIN3c108BFloat16ES5_S5_ZNS0_12_GLOBAL__N_121threshold_kernel_implIS5_EEvRNS_18TensorIteratorBaseET_SA_EUlS5_S5_E_EEEEvS9_RKSA_EUlibE_EEviT1_
		.amdhsa_group_segment_fixed_size 0
		.amdhsa_private_segment_fixed_size 0
		.amdhsa_kernarg_size 360
		.amdhsa_user_sgpr_count 6
		.amdhsa_user_sgpr_private_segment_buffer 1
		.amdhsa_user_sgpr_dispatch_ptr 0
		.amdhsa_user_sgpr_queue_ptr 0
		.amdhsa_user_sgpr_kernarg_segment_ptr 1
		.amdhsa_user_sgpr_dispatch_id 0
		.amdhsa_user_sgpr_flat_scratch_init 0
		.amdhsa_user_sgpr_private_segment_size 0
		.amdhsa_uses_dynamic_stack 0
		.amdhsa_system_sgpr_private_segment_wavefront_offset 0
		.amdhsa_system_sgpr_workgroup_id_x 1
		.amdhsa_system_sgpr_workgroup_id_y 0
		.amdhsa_system_sgpr_workgroup_id_z 0
		.amdhsa_system_sgpr_workgroup_info 0
		.amdhsa_system_vgpr_workitem_id 0
		.amdhsa_next_free_vgpr 26
		.amdhsa_next_free_sgpr 63
		.amdhsa_reserve_vcc 1
		.amdhsa_reserve_flat_scratch 0
		.amdhsa_float_round_mode_32 0
		.amdhsa_float_round_mode_16_64 0
		.amdhsa_float_denorm_mode_32 3
		.amdhsa_float_denorm_mode_16_64 3
		.amdhsa_dx10_clamp 1
		.amdhsa_ieee_mode 1
		.amdhsa_fp16_overflow 0
		.amdhsa_exception_fp_ieee_invalid_op 0
		.amdhsa_exception_fp_denorm_src 0
		.amdhsa_exception_fp_ieee_div_zero 0
		.amdhsa_exception_fp_ieee_overflow 0
		.amdhsa_exception_fp_ieee_underflow 0
		.amdhsa_exception_fp_ieee_inexact 0
		.amdhsa_exception_int_div_zero 0
	.end_amdhsa_kernel
	.section	.text._ZN2at6native32elementwise_kernel_manual_unrollILi128ELi8EZNS0_22gpu_kernel_impl_nocastINS0_13AUnaryFunctorIN3c108BFloat16ES5_S5_ZNS0_12_GLOBAL__N_121threshold_kernel_implIS5_EEvRNS_18TensorIteratorBaseET_SA_EUlS5_S5_E_EEEEvS9_RKSA_EUlibE_EEviT1_,"axG",@progbits,_ZN2at6native32elementwise_kernel_manual_unrollILi128ELi8EZNS0_22gpu_kernel_impl_nocastINS0_13AUnaryFunctorIN3c108BFloat16ES5_S5_ZNS0_12_GLOBAL__N_121threshold_kernel_implIS5_EEvRNS_18TensorIteratorBaseET_SA_EUlS5_S5_E_EEEEvS9_RKSA_EUlibE_EEviT1_,comdat
.Lfunc_end222:
	.size	_ZN2at6native32elementwise_kernel_manual_unrollILi128ELi8EZNS0_22gpu_kernel_impl_nocastINS0_13AUnaryFunctorIN3c108BFloat16ES5_S5_ZNS0_12_GLOBAL__N_121threshold_kernel_implIS5_EEvRNS_18TensorIteratorBaseET_SA_EUlS5_S5_E_EEEEvS9_RKSA_EUlibE_EEviT1_, .Lfunc_end222-_ZN2at6native32elementwise_kernel_manual_unrollILi128ELi8EZNS0_22gpu_kernel_impl_nocastINS0_13AUnaryFunctorIN3c108BFloat16ES5_S5_ZNS0_12_GLOBAL__N_121threshold_kernel_implIS5_EEvRNS_18TensorIteratorBaseET_SA_EUlS5_S5_E_EEEEvS9_RKSA_EUlibE_EEviT1_
                                        ; -- End function
	.set _ZN2at6native32elementwise_kernel_manual_unrollILi128ELi8EZNS0_22gpu_kernel_impl_nocastINS0_13AUnaryFunctorIN3c108BFloat16ES5_S5_ZNS0_12_GLOBAL__N_121threshold_kernel_implIS5_EEvRNS_18TensorIteratorBaseET_SA_EUlS5_S5_E_EEEEvS9_RKSA_EUlibE_EEviT1_.num_vgpr, 26
	.set _ZN2at6native32elementwise_kernel_manual_unrollILi128ELi8EZNS0_22gpu_kernel_impl_nocastINS0_13AUnaryFunctorIN3c108BFloat16ES5_S5_ZNS0_12_GLOBAL__N_121threshold_kernel_implIS5_EEvRNS_18TensorIteratorBaseET_SA_EUlS5_S5_E_EEEEvS9_RKSA_EUlibE_EEviT1_.num_agpr, 0
	.set _ZN2at6native32elementwise_kernel_manual_unrollILi128ELi8EZNS0_22gpu_kernel_impl_nocastINS0_13AUnaryFunctorIN3c108BFloat16ES5_S5_ZNS0_12_GLOBAL__N_121threshold_kernel_implIS5_EEvRNS_18TensorIteratorBaseET_SA_EUlS5_S5_E_EEEEvS9_RKSA_EUlibE_EEviT1_.numbered_sgpr, 63
	.set _ZN2at6native32elementwise_kernel_manual_unrollILi128ELi8EZNS0_22gpu_kernel_impl_nocastINS0_13AUnaryFunctorIN3c108BFloat16ES5_S5_ZNS0_12_GLOBAL__N_121threshold_kernel_implIS5_EEvRNS_18TensorIteratorBaseET_SA_EUlS5_S5_E_EEEEvS9_RKSA_EUlibE_EEviT1_.num_named_barrier, 0
	.set _ZN2at6native32elementwise_kernel_manual_unrollILi128ELi8EZNS0_22gpu_kernel_impl_nocastINS0_13AUnaryFunctorIN3c108BFloat16ES5_S5_ZNS0_12_GLOBAL__N_121threshold_kernel_implIS5_EEvRNS_18TensorIteratorBaseET_SA_EUlS5_S5_E_EEEEvS9_RKSA_EUlibE_EEviT1_.private_seg_size, 0
	.set _ZN2at6native32elementwise_kernel_manual_unrollILi128ELi8EZNS0_22gpu_kernel_impl_nocastINS0_13AUnaryFunctorIN3c108BFloat16ES5_S5_ZNS0_12_GLOBAL__N_121threshold_kernel_implIS5_EEvRNS_18TensorIteratorBaseET_SA_EUlS5_S5_E_EEEEvS9_RKSA_EUlibE_EEviT1_.uses_vcc, 1
	.set _ZN2at6native32elementwise_kernel_manual_unrollILi128ELi8EZNS0_22gpu_kernel_impl_nocastINS0_13AUnaryFunctorIN3c108BFloat16ES5_S5_ZNS0_12_GLOBAL__N_121threshold_kernel_implIS5_EEvRNS_18TensorIteratorBaseET_SA_EUlS5_S5_E_EEEEvS9_RKSA_EUlibE_EEviT1_.uses_flat_scratch, 0
	.set _ZN2at6native32elementwise_kernel_manual_unrollILi128ELi8EZNS0_22gpu_kernel_impl_nocastINS0_13AUnaryFunctorIN3c108BFloat16ES5_S5_ZNS0_12_GLOBAL__N_121threshold_kernel_implIS5_EEvRNS_18TensorIteratorBaseET_SA_EUlS5_S5_E_EEEEvS9_RKSA_EUlibE_EEviT1_.has_dyn_sized_stack, 0
	.set _ZN2at6native32elementwise_kernel_manual_unrollILi128ELi8EZNS0_22gpu_kernel_impl_nocastINS0_13AUnaryFunctorIN3c108BFloat16ES5_S5_ZNS0_12_GLOBAL__N_121threshold_kernel_implIS5_EEvRNS_18TensorIteratorBaseET_SA_EUlS5_S5_E_EEEEvS9_RKSA_EUlibE_EEviT1_.has_recursion, 0
	.set _ZN2at6native32elementwise_kernel_manual_unrollILi128ELi8EZNS0_22gpu_kernel_impl_nocastINS0_13AUnaryFunctorIN3c108BFloat16ES5_S5_ZNS0_12_GLOBAL__N_121threshold_kernel_implIS5_EEvRNS_18TensorIteratorBaseET_SA_EUlS5_S5_E_EEEEvS9_RKSA_EUlibE_EEviT1_.has_indirect_call, 0
	.section	.AMDGPU.csdata,"",@progbits
; Kernel info:
; codeLenInByte = 11300
; TotalNumSgprs: 67
; NumVgprs: 26
; ScratchSize: 0
; MemoryBound: 0
; FloatMode: 240
; IeeeMode: 1
; LDSByteSize: 0 bytes/workgroup (compile time only)
; SGPRBlocks: 8
; VGPRBlocks: 6
; NumSGPRsForWavesPerEU: 67
; NumVGPRsForWavesPerEU: 26
; Occupancy: 9
; WaveLimiterHint : 1
; COMPUTE_PGM_RSRC2:SCRATCH_EN: 0
; COMPUTE_PGM_RSRC2:USER_SGPR: 6
; COMPUTE_PGM_RSRC2:TRAP_HANDLER: 0
; COMPUTE_PGM_RSRC2:TGID_X_EN: 1
; COMPUTE_PGM_RSRC2:TGID_Y_EN: 0
; COMPUTE_PGM_RSRC2:TGID_Z_EN: 0
; COMPUTE_PGM_RSRC2:TIDIG_COMP_CNT: 0
	.section	.text._ZN2at6native32elementwise_kernel_manual_unrollILi128ELi4EZNS0_15gpu_kernel_implINS0_13AUnaryFunctorIN3c108BFloat16ES5_S5_ZNS0_12_GLOBAL__N_121threshold_kernel_implIS5_EEvRNS_18TensorIteratorBaseET_SA_EUlS5_S5_E_EEEEvS9_RKSA_EUlibE_EEviT1_,"axG",@progbits,_ZN2at6native32elementwise_kernel_manual_unrollILi128ELi4EZNS0_15gpu_kernel_implINS0_13AUnaryFunctorIN3c108BFloat16ES5_S5_ZNS0_12_GLOBAL__N_121threshold_kernel_implIS5_EEvRNS_18TensorIteratorBaseET_SA_EUlS5_S5_E_EEEEvS9_RKSA_EUlibE_EEviT1_,comdat
	.globl	_ZN2at6native32elementwise_kernel_manual_unrollILi128ELi4EZNS0_15gpu_kernel_implINS0_13AUnaryFunctorIN3c108BFloat16ES5_S5_ZNS0_12_GLOBAL__N_121threshold_kernel_implIS5_EEvRNS_18TensorIteratorBaseET_SA_EUlS5_S5_E_EEEEvS9_RKSA_EUlibE_EEviT1_ ; -- Begin function _ZN2at6native32elementwise_kernel_manual_unrollILi128ELi4EZNS0_15gpu_kernel_implINS0_13AUnaryFunctorIN3c108BFloat16ES5_S5_ZNS0_12_GLOBAL__N_121threshold_kernel_implIS5_EEvRNS_18TensorIteratorBaseET_SA_EUlS5_S5_E_EEEEvS9_RKSA_EUlibE_EEviT1_
	.p2align	8
	.type	_ZN2at6native32elementwise_kernel_manual_unrollILi128ELi4EZNS0_15gpu_kernel_implINS0_13AUnaryFunctorIN3c108BFloat16ES5_S5_ZNS0_12_GLOBAL__N_121threshold_kernel_implIS5_EEvRNS_18TensorIteratorBaseET_SA_EUlS5_S5_E_EEEEvS9_RKSA_EUlibE_EEviT1_,@function
_ZN2at6native32elementwise_kernel_manual_unrollILi128ELi4EZNS0_15gpu_kernel_implINS0_13AUnaryFunctorIN3c108BFloat16ES5_S5_ZNS0_12_GLOBAL__N_121threshold_kernel_implIS5_EEvRNS_18TensorIteratorBaseET_SA_EUlS5_S5_E_EEEEvS9_RKSA_EUlibE_EEviT1_: ; @_ZN2at6native32elementwise_kernel_manual_unrollILi128ELi4EZNS0_15gpu_kernel_implINS0_13AUnaryFunctorIN3c108BFloat16ES5_S5_ZNS0_12_GLOBAL__N_121threshold_kernel_implIS5_EEvRNS_18TensorIteratorBaseET_SA_EUlS5_S5_E_EEEEvS9_RKSA_EUlibE_EEviT1_
; %bb.0:
	s_load_dwordx8 s[8:15], s[4:5], 0x8
	s_load_dword s0, s[4:5], 0x24
	s_load_dword s40, s[4:5], 0x0
	v_lshl_or_b32 v2, s6, 9, v0
	v_or_b32_e32 v0, 0x180, v2
	s_waitcnt lgkmcnt(0)
	s_lshr_b32 s33, s14, 16
	s_and_b32 s45, s14, 0xffff
	s_and_b32 s46, s15, 0xffff
	s_lshr_b32 s44, s0, 16
	s_lshr_b32 s47, s0, 24
	v_cmp_le_i32_e32 vcc, s40, v0
	s_mov_b64 s[4:5], 0
	s_mov_b64 s[14:15], 0
	s_and_saveexec_b64 s[0:1], vcc
	s_xor_b64 s[6:7], exec, s[0:1]
	s_cbranch_execz .LBB223_1029
; %bb.1:
	s_lshl_b32 s1, s45, 16
	s_lshl_b32 s0, s46, 16
	v_mov_b32_e32 v0, s1
	v_cmp_le_f32_e64 s[0:1], s0, v0
	v_cmp_gt_i32_e32 vcc, s40, v2
	s_mov_b64 s[2:3], -1
	s_mov_b64 s[22:23], 0
	s_mov_b64 s[16:17], 0
	s_and_saveexec_b64 s[18:19], vcc
	s_cbranch_execz .LBB223_252
; %bb.2:
	v_mul_lo_u32 v0, v2, s13
	v_mov_b32_e32 v1, s11
	s_and_b32 s24, 0xffff, s47
	s_cmp_lt_i32 s24, 11
	v_ashrrev_i32_e32 v3, 31, v0
	v_add_co_u32_e32 v0, vcc, s10, v0
	v_addc_co_u32_e32 v1, vcc, v1, v3, vcc
	s_cbranch_scc1 .LBB223_9
; %bb.3:
	s_cmp_gt_i32 s24, 25
	s_cbranch_scc0 .LBB223_18
; %bb.4:
	s_cmp_gt_i32 s24, 28
	s_cbranch_scc0 .LBB223_22
	;; [unrolled: 3-line block ×4, first 2 shown]
; %bb.7:
	s_cmp_eq_u32 s24, 46
	s_cbranch_scc0 .LBB223_28
; %bb.8:
	global_load_dword v3, v[0:1], off
	s_branch .LBB223_30
.LBB223_9:
                                        ; implicit-def: $vgpr3
	s_mov_b64 s[2:3], 0
	s_cbranch_execnz .LBB223_203
.LBB223_10:
	s_andn2_b64 vcc, exec, s[2:3]
	s_cbranch_vccnz .LBB223_250
.LBB223_11:
	v_mul_lo_u32 v0, v2, s12
	v_mov_b32_e32 v1, s33
	v_mov_b32_e32 v4, s9
	s_waitcnt vmcnt(0)
	v_cndmask_b32_e64 v3, v3, v1, s[0:1]
	v_ashrrev_i32_e32 v1, 31, v0
	s_and_b32 s26, s44, 0xff
	v_add_co_u32_e32 v0, vcc, s8, v0
	s_cmp_lt_i32 s26, 11
	v_addc_co_u32_e32 v1, vcc, v4, v1, vcc
	s_cbranch_scc1 .LBB223_19
; %bb.12:
	s_and_b32 s27, 0xffff, s26
	s_cmp_gt_i32 s27, 25
	s_cbranch_scc0 .LBB223_23
; %bb.13:
	s_cmp_gt_i32 s27, 28
	s_cbranch_scc0 .LBB223_25
; %bb.14:
	;; [unrolled: 3-line block ×4, first 2 shown]
	s_mov_b64 s[20:21], 0
	s_mov_b64 s[2:3], -1
	s_cmp_eq_u32 s27, 46
	s_mov_b64 s[14:15], 0
	s_cbranch_scc0 .LBB223_34
; %bb.17:
	v_and_b32_e32 v4, 0xffff, v3
	global_store_dword v[0:1], v4, off
	s_mov_b64 s[14:15], -1
	s_mov_b64 s[2:3], 0
	s_branch .LBB223_34
.LBB223_18:
	s_mov_b64 s[2:3], 0
                                        ; implicit-def: $vgpr3
	s_cbranch_execnz .LBB223_168
	s_branch .LBB223_202
.LBB223_19:
	s_mov_b64 s[2:3], 0
	s_mov_b64 s[14:15], 0
	s_cbranch_execnz .LBB223_103
.LBB223_20:
	s_andn2_b64 vcc, exec, s[14:15]
	s_cbranch_vccnz .LBB223_141
.LBB223_21:
	v_add_u32_e32 v2, 0x80, v2
	s_mov_b64 s[20:21], -1
	s_branch .LBB223_251
.LBB223_22:
	s_mov_b64 s[14:15], -1
	s_mov_b64 s[2:3], 0
                                        ; implicit-def: $vgpr3
	s_branch .LBB223_149
.LBB223_23:
	s_mov_b64 s[20:21], -1
	s_mov_b64 s[2:3], 0
	s_mov_b64 s[14:15], 0
	s_branch .LBB223_61
.LBB223_24:
	s_mov_b64 s[14:15], -1
	s_mov_b64 s[2:3], 0
                                        ; implicit-def: $vgpr3
	s_branch .LBB223_144
.LBB223_25:
	s_mov_b64 s[20:21], -1
	s_mov_b64 s[2:3], 0
	s_mov_b64 s[14:15], 0
	s_branch .LBB223_44
.LBB223_26:
	s_mov_b64 s[14:15], -1
	s_branch .LBB223_29
.LBB223_27:
	s_mov_b64 s[20:21], -1
	s_mov_b64 s[2:3], 0
	s_mov_b64 s[14:15], 0
	s_branch .LBB223_40
.LBB223_28:
	s_mov_b64 s[16:17], -1
.LBB223_29:
	s_mov_b64 s[2:3], 0
                                        ; implicit-def: $vgpr3
.LBB223_30:
	s_and_b64 vcc, exec, s[14:15]
	s_cbranch_vccz .LBB223_143
; %bb.31:
	s_cmp_eq_u32 s24, 44
	s_cbranch_scc0 .LBB223_142
; %bb.32:
	global_load_ubyte v3, v[0:1], off
	s_movk_i32 s14, 0xff
	v_mov_b32_e32 v4, 0x7f800001
	v_mov_b32_e32 v5, 0x400000
	;; [unrolled: 1-line block ×3, first 2 shown]
	s_mov_b64 s[2:3], -1
	s_mov_b64 s[16:17], 0
	s_waitcnt vmcnt(0)
	v_lshlrev_b32_e32 v7, 23, v3
	v_cmp_ne_u32_e32 vcc, s14, v3
	v_cndmask_b32_e32 v4, v4, v7, vcc
	v_cmp_ne_u32_e32 vcc, 0, v3
	v_cndmask_b32_e32 v3, v5, v4, vcc
	v_add_u32_e32 v4, 0x7fff, v3
	v_cmp_o_f32_e32 vcc, v3, v3
	v_cndmask_b32_sdwa v3, v6, v4, vcc dst_sel:DWORD dst_unused:UNUSED_PAD src0_sel:DWORD src1_sel:WORD_1
	s_branch .LBB223_143
.LBB223_33:
	s_mov_b64 s[20:21], -1
	s_mov_b64 s[2:3], 0
	s_mov_b64 s[14:15], 0
.LBB223_34:
	s_and_b64 vcc, exec, s[20:21]
	s_cbranch_vccz .LBB223_39
; %bb.35:
	s_cmp_eq_u32 s27, 44
	s_mov_b64 s[2:3], -1
	s_cbranch_scc0 .LBB223_39
; %bb.36:
	v_and_b32_e32 v5, 0xffff, v3
	v_bfe_u32 v4, v5, 7, 8
	s_movk_i32 s2, 0xff
	v_cmp_ne_u32_e32 vcc, s2, v4
	v_mov_b32_e32 v6, 0xff
	s_and_saveexec_b64 s[14:15], vcc
	s_cbranch_execz .LBB223_38
; %bb.37:
	v_lshlrev_b32_e32 v7, 16, v5
	s_mov_b32 s2, 0x3f0000
	v_lshrrev_b32_e32 v6, 7, v5
	v_and_b32_e32 v5, 64, v5
	v_and_or_b32 v4, v7, s2, v4
	v_cmp_ne_u32_e32 vcc, 0, v5
	v_cmp_ne_u32_e64 s[2:3], 0, v4
	s_and_b64 s[2:3], vcc, s[2:3]
	v_cndmask_b32_e64 v4, 0, 1, s[2:3]
	v_add_u32_e32 v6, v6, v4
.LBB223_38:
	s_or_b64 exec, exec, s[14:15]
	s_mov_b64 s[14:15], -1
	s_mov_b64 s[2:3], 0
	global_store_byte v[0:1], v6, off
.LBB223_39:
	s_mov_b64 s[20:21], 0
.LBB223_40:
	s_and_b64 vcc, exec, s[20:21]
	s_cbranch_vccz .LBB223_43
; %bb.41:
	s_cmp_eq_u32 s27, 29
	s_mov_b64 s[2:3], -1
	s_cbranch_scc0 .LBB223_43
; %bb.42:
	v_lshlrev_b32_e32 v4, 16, v3
	v_trunc_f32_e32 v4, v4
	v_mul_f32_e32 v5, 0x2f800000, v4
	v_floor_f32_e32 v6, v5
	v_fmac_f32_e32 v4, 0xcf800000, v6
	v_cvt_u32_f32_e32 v5, v6
	v_cvt_u32_f32_e32 v4, v4
	s_mov_b64 s[14:15], -1
	s_mov_b64 s[2:3], 0
	s_mov_b64 s[20:21], 0
	global_store_dwordx2 v[0:1], v[4:5], off
	s_branch .LBB223_44
.LBB223_43:
	s_mov_b64 s[20:21], 0
.LBB223_44:
	s_and_b64 vcc, exec, s[20:21]
	s_cbranch_vccz .LBB223_60
; %bb.45:
	s_cmp_lt_i32 s27, 27
	s_mov_b64 s[14:15], -1
	s_cbranch_scc1 .LBB223_51
; %bb.46:
	s_cmp_gt_i32 s27, 27
	s_cbranch_scc0 .LBB223_48
; %bb.47:
	v_lshlrev_b32_e32 v4, 16, v3
	v_cvt_u32_f32_e32 v4, v4
	s_mov_b64 s[14:15], 0
	global_store_dword v[0:1], v4, off
.LBB223_48:
	s_andn2_b64 vcc, exec, s[14:15]
	s_cbranch_vccnz .LBB223_50
; %bb.49:
	v_lshlrev_b32_e32 v4, 16, v3
	v_cvt_u32_f32_e32 v4, v4
	global_store_short v[0:1], v4, off
.LBB223_50:
	s_mov_b64 s[14:15], 0
.LBB223_51:
	s_andn2_b64 vcc, exec, s[14:15]
	s_cbranch_vccnz .LBB223_59
; %bb.52:
	v_lshlrev_b32_e32 v6, 16, v3
	v_and_b32_e32 v5, 0x7fffffff, v6
	s_mov_b32 s14, 0x43800000
	v_cmp_gt_u32_e32 vcc, s14, v5
	v_mov_b32_e32 v7, 0x80
	s_and_saveexec_b64 s[14:15], vcc
	s_cbranch_execz .LBB223_58
; %bb.53:
	s_mov_b32 s20, 0x3bffffff
	v_and_b32_e32 v4, 0xffff, v3
	v_cmp_lt_u32_e32 vcc, s20, v5
	s_mov_b64 s[20:21], 0
                                        ; implicit-def: $vgpr5
	s_and_saveexec_b64 s[24:25], vcc
	s_xor_b64 s[24:25], exec, s[24:25]
	s_cbranch_execz .LBB223_279
; %bb.54:
	v_bfe_u32 v5, v4, 4, 1
	s_mov_b32 s28, 0x487ffff
	v_add3_u32 v5, v6, v5, s28
	s_mov_b64 s[20:21], exec
	v_lshrrev_b32_e32 v5, 20, v5
                                        ; implicit-def: $vgpr6
	s_andn2_saveexec_b64 s[24:25], s[24:25]
	s_cbranch_execnz .LBB223_280
.LBB223_55:
	s_or_b64 exec, exec, s[24:25]
	v_mov_b32_e32 v7, 0
	s_and_saveexec_b64 s[24:25], s[20:21]
.LBB223_56:
	v_lshrrev_b32_e32 v4, 8, v4
	s_movk_i32 s20, 0x80
	v_and_or_b32 v7, v4, s20, v5
.LBB223_57:
	s_or_b64 exec, exec, s[24:25]
.LBB223_58:
	s_or_b64 exec, exec, s[14:15]
	global_store_byte v[0:1], v7, off
.LBB223_59:
	s_mov_b64 s[14:15], -1
.LBB223_60:
	s_mov_b64 s[20:21], 0
.LBB223_61:
	s_and_b64 vcc, exec, s[20:21]
	s_cbranch_vccz .LBB223_102
; %bb.62:
	s_cmp_gt_i32 s27, 22
	s_mov_b64 s[20:21], -1
	s_cbranch_scc0 .LBB223_94
; %bb.63:
	s_cmp_lt_i32 s27, 24
	s_mov_b64 s[14:15], -1
	s_cbranch_scc1 .LBB223_83
; %bb.64:
	s_cmp_gt_i32 s27, 24
	s_cbranch_scc0 .LBB223_72
; %bb.65:
	v_lshlrev_b32_e32 v6, 16, v3
	v_and_b32_e32 v5, 0x7fffffff, v6
	s_mov_b32 s14, 0x47800000
	v_cmp_gt_u32_e32 vcc, s14, v5
	v_mov_b32_e32 v7, 0x80
	s_and_saveexec_b64 s[14:15], vcc
	s_cbranch_execz .LBB223_71
; %bb.66:
	s_mov_b32 s20, 0x37ffffff
	v_and_b32_e32 v4, 0xffff, v3
	v_cmp_lt_u32_e32 vcc, s20, v5
	s_mov_b64 s[20:21], 0
                                        ; implicit-def: $vgpr5
	s_and_saveexec_b64 s[24:25], vcc
	s_xor_b64 s[24:25], exec, s[24:25]
	s_cbranch_execz .LBB223_283
; %bb.67:
	v_bfe_u32 v5, v4, 5, 1
	s_mov_b32 s28, 0x88fffff
	v_add3_u32 v5, v6, v5, s28
	s_mov_b64 s[20:21], exec
	v_lshrrev_b32_e32 v5, 21, v5
                                        ; implicit-def: $vgpr6
	s_andn2_saveexec_b64 s[24:25], s[24:25]
	s_cbranch_execnz .LBB223_284
.LBB223_68:
	s_or_b64 exec, exec, s[24:25]
	v_mov_b32_e32 v7, 0
	s_and_saveexec_b64 s[24:25], s[20:21]
.LBB223_69:
	v_lshrrev_b32_e32 v4, 8, v4
	s_movk_i32 s20, 0x80
	v_and_or_b32 v7, v4, s20, v5
.LBB223_70:
	s_or_b64 exec, exec, s[24:25]
.LBB223_71:
	s_or_b64 exec, exec, s[14:15]
	s_mov_b64 s[14:15], 0
	global_store_byte v[0:1], v7, off
.LBB223_72:
	s_and_b64 vcc, exec, s[14:15]
	s_cbranch_vccz .LBB223_82
; %bb.73:
	v_lshlrev_b32_e32 v6, 16, v3
	v_and_b32_e32 v7, 0x7fffffff, v6
	s_mov_b32 s14, 0x43f00000
	v_and_b32_e32 v4, 0xffff, v3
	v_cmp_gt_u32_e32 vcc, s14, v7
                                        ; implicit-def: $vgpr5
	s_and_saveexec_b64 s[14:15], vcc
	s_xor_b64 s[14:15], exec, s[14:15]
	s_cbranch_execz .LBB223_79
; %bb.74:
	s_mov_b32 s20, 0x3c7fffff
	v_cmp_lt_u32_e32 vcc, s20, v7
                                        ; implicit-def: $vgpr5
	s_and_saveexec_b64 s[20:21], vcc
	s_xor_b64 s[20:21], exec, s[20:21]
; %bb.75:
	v_bfe_u32 v5, v4, 4, 1
	s_mov_b32 s24, 0x407ffff
	v_add3_u32 v5, v6, v5, s24
	v_lshrrev_b32_e32 v6, 20, v5
	v_and_b32_e32 v5, 0xff00000, v5
	s_mov_b32 s24, 0x7f00000
	v_mov_b32_e32 v7, 0x7e
	v_cmp_ne_u32_e32 vcc, s24, v5
	v_cndmask_b32_e32 v5, v7, v6, vcc
                                        ; implicit-def: $vgpr6
; %bb.76:
	s_andn2_saveexec_b64 s[20:21], s[20:21]
; %bb.77:
	s_mov_b32 s24, 0x46800000
	v_add_f32_e64 v5, |v6|, s24
; %bb.78:
	s_or_b64 exec, exec, s[20:21]
                                        ; implicit-def: $vgpr7
.LBB223_79:
	s_andn2_saveexec_b64 s[14:15], s[14:15]
; %bb.80:
	s_mov_b32 s20, 0x7f800000
	v_mov_b32_e32 v5, 0x7e
	v_mov_b32_e32 v6, 0x7f
	v_cmp_lt_u32_e32 vcc, s20, v7
	v_cndmask_b32_e32 v5, v5, v6, vcc
; %bb.81:
	s_or_b64 exec, exec, s[14:15]
	v_lshrrev_b32_e32 v4, 8, v4
	s_movk_i32 s14, 0x80
	v_and_or_b32 v4, v4, s14, v5
	global_store_byte v[0:1], v4, off
.LBB223_82:
	s_mov_b64 s[14:15], 0
.LBB223_83:
	s_andn2_b64 vcc, exec, s[14:15]
	s_cbranch_vccnz .LBB223_93
; %bb.84:
	v_lshlrev_b32_e32 v6, 16, v3
	v_and_b32_e32 v7, 0x7fffffff, v6
	s_mov_b32 s14, 0x47800000
	v_and_b32_e32 v4, 0xffff, v3
	v_cmp_gt_u32_e32 vcc, s14, v7
                                        ; implicit-def: $vgpr5
	s_and_saveexec_b64 s[14:15], vcc
	s_xor_b64 s[14:15], exec, s[14:15]
	s_cbranch_execz .LBB223_90
; %bb.85:
	s_mov_b32 s20, 0x387fffff
	v_cmp_lt_u32_e32 vcc, s20, v7
                                        ; implicit-def: $vgpr5
	s_and_saveexec_b64 s[20:21], vcc
	s_xor_b64 s[20:21], exec, s[20:21]
; %bb.86:
	v_bfe_u32 v5, v4, 5, 1
	s_mov_b32 s24, 0x80fffff
	v_add3_u32 v5, v6, v5, s24
	v_lshrrev_b32_e32 v5, 21, v5
                                        ; implicit-def: $vgpr6
; %bb.87:
	s_andn2_saveexec_b64 s[20:21], s[20:21]
; %bb.88:
	s_mov_b32 s24, 0x43000000
	v_add_f32_e64 v5, |v6|, s24
; %bb.89:
	s_or_b64 exec, exec, s[20:21]
                                        ; implicit-def: $vgpr7
.LBB223_90:
	s_andn2_saveexec_b64 s[14:15], s[14:15]
; %bb.91:
	s_mov_b32 s20, 0x7f800000
	v_mov_b32_e32 v5, 0x7c
	v_mov_b32_e32 v6, 0x7f
	v_cmp_lt_u32_e32 vcc, s20, v7
	v_cndmask_b32_e32 v5, v5, v6, vcc
; %bb.92:
	s_or_b64 exec, exec, s[14:15]
	v_lshrrev_b32_e32 v4, 8, v4
	s_movk_i32 s14, 0x80
	v_and_or_b32 v4, v4, s14, v5
	global_store_byte v[0:1], v4, off
.LBB223_93:
	s_mov_b64 s[20:21], 0
	s_mov_b64 s[14:15], -1
.LBB223_94:
	s_andn2_b64 vcc, exec, s[20:21]
	s_cbranch_vccnz .LBB223_102
; %bb.95:
	s_cmp_gt_i32 s27, 14
	s_mov_b64 s[20:21], -1
	s_cbranch_scc0 .LBB223_99
; %bb.96:
	s_cmp_eq_u32 s27, 15
	s_mov_b64 s[2:3], -1
	s_cbranch_scc0 .LBB223_98
; %bb.97:
	global_store_short v[0:1], v3, off
	s_mov_b64 s[14:15], -1
	s_mov_b64 s[2:3], 0
.LBB223_98:
	s_mov_b64 s[20:21], 0
.LBB223_99:
	s_and_b64 vcc, exec, s[20:21]
	s_cbranch_vccz .LBB223_102
; %bb.100:
	s_cmp_eq_u32 s27, 11
	s_mov_b64 s[2:3], -1
	s_cbranch_scc0 .LBB223_102
; %bb.101:
	v_and_b32_e32 v4, 0x7fff, v3
	v_cmp_ne_u16_e32 vcc, 0, v4
	v_cndmask_b32_e64 v4, 0, 1, vcc
	s_mov_b64 s[14:15], -1
	s_mov_b64 s[2:3], 0
	global_store_byte v[0:1], v4, off
.LBB223_102:
	s_branch .LBB223_20
.LBB223_103:
	s_and_b32 s20, 0xffff, s26
	s_cmp_lt_i32 s20, 5
	s_mov_b64 s[14:15], -1
	s_cbranch_scc1 .LBB223_124
; %bb.104:
	s_cmp_lt_i32 s20, 8
	s_cbranch_scc1 .LBB223_114
; %bb.105:
	s_cmp_lt_i32 s20, 9
	s_cbranch_scc1 .LBB223_111
; %bb.106:
	s_cmp_gt_i32 s20, 9
	s_cbranch_scc0 .LBB223_108
; %bb.107:
	v_lshlrev_b32_e32 v4, 16, v3
	v_cvt_f64_f32_e32 v[4:5], v4
	v_mov_b32_e32 v6, 0
	v_mov_b32_e32 v7, v6
	s_mov_b64 s[14:15], 0
	global_store_dwordx4 v[0:1], v[4:7], off
.LBB223_108:
	s_andn2_b64 vcc, exec, s[14:15]
	s_cbranch_vccnz .LBB223_110
; %bb.109:
	v_lshlrev_b32_e32 v4, 16, v3
	v_mov_b32_e32 v5, 0
	global_store_dwordx2 v[0:1], v[4:5], off
.LBB223_110:
	s_mov_b64 s[14:15], 0
.LBB223_111:
	s_andn2_b64 vcc, exec, s[14:15]
	s_cbranch_vccnz .LBB223_113
; %bb.112:
	v_lshlrev_b32_e32 v4, 16, v3
	v_cvt_f16_f32_e32 v4, v4
	global_store_dword v[0:1], v4, off
.LBB223_113:
	s_mov_b64 s[14:15], 0
.LBB223_114:
	s_andn2_b64 vcc, exec, s[14:15]
	s_cbranch_vccnz .LBB223_123
; %bb.115:
	s_cmp_lt_i32 s20, 6
	s_mov_b64 s[14:15], -1
	s_cbranch_scc1 .LBB223_121
; %bb.116:
	s_cmp_gt_i32 s20, 6
	s_cbranch_scc0 .LBB223_118
; %bb.117:
	v_lshlrev_b32_e32 v4, 16, v3
	v_cvt_f64_f32_e32 v[4:5], v4
	s_mov_b64 s[14:15], 0
	global_store_dwordx2 v[0:1], v[4:5], off
.LBB223_118:
	s_andn2_b64 vcc, exec, s[14:15]
	s_cbranch_vccnz .LBB223_120
; %bb.119:
	v_lshlrev_b32_e32 v4, 16, v3
	global_store_dword v[0:1], v4, off
.LBB223_120:
	s_mov_b64 s[14:15], 0
.LBB223_121:
	s_andn2_b64 vcc, exec, s[14:15]
	s_cbranch_vccnz .LBB223_123
; %bb.122:
	v_lshlrev_b32_e32 v4, 16, v3
	v_cvt_f16_f32_e32 v4, v4
	global_store_short v[0:1], v4, off
.LBB223_123:
	s_mov_b64 s[14:15], 0
.LBB223_124:
	s_andn2_b64 vcc, exec, s[14:15]
	s_cbranch_vccnz .LBB223_140
; %bb.125:
	s_cmp_lt_i32 s20, 2
	s_mov_b64 s[14:15], -1
	s_cbranch_scc1 .LBB223_135
; %bb.126:
	s_cmp_lt_i32 s20, 3
	s_cbranch_scc1 .LBB223_132
; %bb.127:
	s_cmp_gt_i32 s20, 3
	s_cbranch_scc0 .LBB223_129
; %bb.128:
	v_lshlrev_b32_e32 v4, 16, v3
	v_trunc_f32_e32 v4, v4
	s_mov_b32 s14, 0x2f800000
	v_mul_f32_e64 v5, |v4|, s14
	v_floor_f32_e32 v5, v5
	s_mov_b32 s14, 0xcf800000
	v_cvt_u32_f32_e32 v6, v5
	v_fma_f32 v5, v5, s14, |v4|
	v_cvt_u32_f32_e32 v5, v5
	v_ashrrev_i32_e32 v7, 31, v4
	v_xor_b32_e32 v6, v6, v7
	s_mov_b64 s[14:15], 0
	v_xor_b32_e32 v4, v5, v7
	v_sub_co_u32_e32 v4, vcc, v4, v7
	v_subb_co_u32_e32 v5, vcc, v6, v7, vcc
	global_store_dwordx2 v[0:1], v[4:5], off
.LBB223_129:
	s_andn2_b64 vcc, exec, s[14:15]
	s_cbranch_vccnz .LBB223_131
; %bb.130:
	v_lshlrev_b32_e32 v4, 16, v3
	v_cvt_i32_f32_e32 v4, v4
	global_store_dword v[0:1], v4, off
.LBB223_131:
	s_mov_b64 s[14:15], 0
.LBB223_132:
	s_andn2_b64 vcc, exec, s[14:15]
	s_cbranch_vccnz .LBB223_134
; %bb.133:
	v_lshlrev_b32_e32 v4, 16, v3
	v_cvt_i32_f32_e32 v4, v4
	global_store_short v[0:1], v4, off
.LBB223_134:
	s_mov_b64 s[14:15], 0
.LBB223_135:
	s_andn2_b64 vcc, exec, s[14:15]
	s_cbranch_vccnz .LBB223_140
; %bb.136:
	s_mov_b64 s[14:15], -1
	s_cmp_gt_i32 s20, 0
	v_lshlrev_b32_e32 v3, 16, v3
	s_cbranch_scc0 .LBB223_138
; %bb.137:
	v_cvt_i32_f32_e32 v4, v3
	s_mov_b64 s[14:15], 0
	global_store_byte v[0:1], v4, off
.LBB223_138:
	s_andn2_b64 vcc, exec, s[14:15]
	s_cbranch_vccnz .LBB223_140
; %bb.139:
	v_trunc_f32_e32 v3, v3
	s_mov_b32 s14, 0x2f800000
	v_mul_f32_e64 v4, |v3|, s14
	v_floor_f32_e32 v4, v4
	s_mov_b32 s14, 0xcf800000
	v_fma_f32 v4, v4, s14, |v3|
	v_cvt_u32_f32_e32 v4, v4
	v_ashrrev_i32_e32 v3, 31, v3
	v_xor_b32_e32 v4, v4, v3
	v_sub_u32_e32 v3, v4, v3
	global_store_byte v[0:1], v3, off
.LBB223_140:
	s_branch .LBB223_21
.LBB223_141:
	s_mov_b64 s[20:21], 0
                                        ; implicit-def: $vgpr2
	s_branch .LBB223_251
.LBB223_142:
	s_mov_b64 s[16:17], -1
                                        ; implicit-def: $vgpr3
.LBB223_143:
	s_mov_b64 s[14:15], 0
.LBB223_144:
	s_and_b64 vcc, exec, s[14:15]
	s_cbranch_vccz .LBB223_148
; %bb.145:
	s_cmp_eq_u32 s24, 29
	s_cbranch_scc0 .LBB223_147
; %bb.146:
	global_load_dwordx2 v[3:4], v[0:1], off
	s_movk_i32 s14, 0x7fff
	s_mov_b64 s[2:3], -1
	s_mov_b64 s[16:17], 0
	s_waitcnt vmcnt(0)
	v_ffbh_u32_e32 v5, v4
	v_min_u32_e32 v5, 32, v5
	v_lshlrev_b64 v[3:4], v5, v[3:4]
	v_min_u32_e32 v3, 1, v3
	v_or_b32_e32 v3, v4, v3
	v_cvt_f32_u32_e32 v3, v3
	v_sub_u32_e32 v4, 32, v5
	v_ldexp_f32 v3, v3, v4
	v_bfe_u32 v4, v3, 16, 1
	v_add3_u32 v3, v3, v4, s14
	v_lshrrev_b32_e32 v3, 16, v3
	s_branch .LBB223_148
.LBB223_147:
	s_mov_b64 s[16:17], -1
                                        ; implicit-def: $vgpr3
.LBB223_148:
	s_mov_b64 s[14:15], 0
.LBB223_149:
	s_and_b64 vcc, exec, s[14:15]
	s_cbranch_vccz .LBB223_167
; %bb.150:
	s_cmp_lt_i32 s24, 27
	s_cbranch_scc1 .LBB223_153
; %bb.151:
	s_cmp_gt_i32 s24, 27
	s_cbranch_scc0 .LBB223_154
; %bb.152:
	global_load_dword v3, v[0:1], off
	s_movk_i32 s2, 0x7fff
	s_waitcnt vmcnt(0)
	v_cvt_f32_u32_e32 v3, v3
	v_bfe_u32 v4, v3, 16, 1
	v_add3_u32 v3, v3, v4, s2
	v_lshrrev_b32_e32 v3, 16, v3
	s_mov_b64 s[2:3], 0
	s_branch .LBB223_155
.LBB223_153:
	s_mov_b64 s[2:3], -1
                                        ; implicit-def: $vgpr3
	s_branch .LBB223_158
.LBB223_154:
	s_mov_b64 s[2:3], -1
                                        ; implicit-def: $vgpr3
.LBB223_155:
	s_andn2_b64 vcc, exec, s[2:3]
	s_cbranch_vccnz .LBB223_157
; %bb.156:
	global_load_ushort v3, v[0:1], off
	s_movk_i32 s2, 0x7fff
	s_waitcnt vmcnt(0)
	v_cvt_f32_u32_e32 v3, v3
	v_bfe_u32 v4, v3, 16, 1
	v_add3_u32 v3, v3, v4, s2
	v_lshrrev_b32_e32 v3, 16, v3
.LBB223_157:
	s_mov_b64 s[2:3], 0
.LBB223_158:
	s_andn2_b64 vcc, exec, s[2:3]
	s_cbranch_vccnz .LBB223_166
; %bb.159:
	global_load_ubyte v3, v[0:1], off
	s_movk_i32 s2, 0x7f
	s_waitcnt vmcnt(0)
	v_cmp_lt_i16_e32 vcc, s2, v3
	s_mov_b64 s[2:3], 0
	s_and_saveexec_b64 s[14:15], vcc
	s_xor_b64 s[14:15], exec, s[14:15]
	s_cbranch_execz .LBB223_179
; %bb.160:
	s_movk_i32 s2, 0x80
	v_cmp_eq_u16_e32 vcc, s2, v3
	s_mov_b64 s[2:3], -1
	s_and_saveexec_b64 s[20:21], vcc
; %bb.161:
	s_xor_b64 s[2:3], exec, -1
; %bb.162:
	s_or_b64 exec, exec, s[20:21]
	s_and_b64 s[2:3], s[2:3], exec
	s_or_saveexec_b64 s[14:15], s[14:15]
	v_mov_b32_e32 v4, 0x7f800001
	s_xor_b64 exec, exec, s[14:15]
	s_cbranch_execnz .LBB223_180
.LBB223_163:
	s_or_b64 exec, exec, s[14:15]
	s_and_saveexec_b64 s[14:15], s[2:3]
	s_cbranch_execz .LBB223_165
.LBB223_164:
	v_lshlrev_b32_e32 v4, 24, v3
	v_and_b32_e32 v3, 0xffff, v3
	v_and_b32_e32 v5, 7, v3
	v_ffbh_u32_e32 v7, v5
	v_min_u32_e32 v7, 32, v7
	v_subrev_u32_e32 v8, 28, v7
	v_bfe_u32 v6, v3, 3, 4
	v_lshlrev_b32_e32 v3, v8, v3
	v_sub_u32_e32 v7, 29, v7
	v_and_b32_e32 v3, 7, v3
	v_cmp_eq_u32_e32 vcc, 0, v6
	v_cndmask_b32_e32 v6, v6, v7, vcc
	v_cndmask_b32_e32 v3, v5, v3, vcc
	v_mov_b32_e32 v5, 0x3b800000
	v_lshlrev_b32_e32 v3, 20, v3
	v_and_b32_e32 v4, 0x80000000, v4
	v_lshl_add_u32 v5, v6, 23, v5
	v_or3_b32 v4, v4, v5, v3
.LBB223_165:
	s_or_b64 exec, exec, s[14:15]
	v_bfe_u32 v3, v4, 16, 1
	s_movk_i32 s2, 0x7fff
	v_add3_u32 v3, v4, v3, s2
	v_cmp_o_f32_e32 vcc, v4, v4
	v_mov_b32_e32 v4, 0x7fc0
	v_cndmask_b32_sdwa v3, v4, v3, vcc dst_sel:DWORD dst_unused:UNUSED_PAD src0_sel:DWORD src1_sel:WORD_1
.LBB223_166:
	s_mov_b64 s[2:3], -1
.LBB223_167:
	s_branch .LBB223_202
.LBB223_168:
	s_cmp_gt_i32 s24, 22
	s_cbranch_scc0 .LBB223_178
; %bb.169:
	s_cmp_lt_i32 s24, 24
	s_cbranch_scc1 .LBB223_181
; %bb.170:
	s_cmp_gt_i32 s24, 24
	s_cbranch_scc0 .LBB223_182
; %bb.171:
	global_load_ubyte v3, v[0:1], off
	s_movk_i32 s2, 0x7f
	s_waitcnt vmcnt(0)
	v_cmp_lt_i16_e32 vcc, s2, v3
	s_mov_b64 s[2:3], 0
	s_and_saveexec_b64 s[14:15], vcc
	s_xor_b64 s[14:15], exec, s[14:15]
	s_cbranch_execz .LBB223_194
; %bb.172:
	s_movk_i32 s2, 0x80
	v_cmp_eq_u16_e32 vcc, s2, v3
	s_mov_b64 s[2:3], -1
	s_and_saveexec_b64 s[20:21], vcc
; %bb.173:
	s_xor_b64 s[2:3], exec, -1
; %bb.174:
	s_or_b64 exec, exec, s[20:21]
	s_and_b64 s[2:3], s[2:3], exec
	s_or_saveexec_b64 s[14:15], s[14:15]
	v_mov_b32_e32 v4, 0x7f800001
	s_xor_b64 exec, exec, s[14:15]
	s_cbranch_execnz .LBB223_195
.LBB223_175:
	s_or_b64 exec, exec, s[14:15]
	s_and_saveexec_b64 s[14:15], s[2:3]
	s_cbranch_execz .LBB223_177
.LBB223_176:
	v_lshlrev_b32_e32 v4, 24, v3
	v_and_b32_e32 v3, 0xffff, v3
	v_and_b32_e32 v5, 3, v3
	v_ffbh_u32_e32 v7, v5
	v_min_u32_e32 v7, 32, v7
	v_subrev_u32_e32 v8, 29, v7
	v_bfe_u32 v6, v3, 2, 5
	v_lshlrev_b32_e32 v3, v8, v3
	v_sub_u32_e32 v7, 30, v7
	v_and_b32_e32 v3, 3, v3
	v_cmp_eq_u32_e32 vcc, 0, v6
	v_cndmask_b32_e32 v6, v6, v7, vcc
	v_cndmask_b32_e32 v3, v5, v3, vcc
	v_mov_b32_e32 v5, 0x37800000
	v_lshlrev_b32_e32 v3, 21, v3
	v_and_b32_e32 v4, 0x80000000, v4
	v_lshl_add_u32 v5, v6, 23, v5
	v_or3_b32 v4, v4, v5, v3
.LBB223_177:
	s_or_b64 exec, exec, s[14:15]
	v_bfe_u32 v3, v4, 16, 1
	s_movk_i32 s2, 0x7fff
	v_add3_u32 v3, v4, v3, s2
	v_cmp_o_f32_e32 vcc, v4, v4
	v_mov_b32_e32 v4, 0x7fc0
	v_cndmask_b32_sdwa v3, v4, v3, vcc dst_sel:DWORD dst_unused:UNUSED_PAD src0_sel:DWORD src1_sel:WORD_1
	s_mov_b64 s[2:3], 0
	s_branch .LBB223_183
.LBB223_178:
	s_mov_b64 s[14:15], -1
                                        ; implicit-def: $vgpr3
	s_branch .LBB223_189
.LBB223_179:
	s_or_saveexec_b64 s[14:15], s[14:15]
	v_mov_b32_e32 v4, 0x7f800001
	s_xor_b64 exec, exec, s[14:15]
	s_cbranch_execz .LBB223_163
.LBB223_180:
	v_cmp_ne_u16_e32 vcc, 0, v3
	s_andn2_b64 s[2:3], s[2:3], exec
	s_and_b64 s[20:21], vcc, exec
	v_mov_b32_e32 v4, 0
	s_or_b64 s[2:3], s[2:3], s[20:21]
	s_or_b64 exec, exec, s[14:15]
	s_and_saveexec_b64 s[14:15], s[2:3]
	s_cbranch_execnz .LBB223_164
	s_branch .LBB223_165
.LBB223_181:
	s_mov_b64 s[2:3], -1
                                        ; implicit-def: $vgpr3
	s_branch .LBB223_186
.LBB223_182:
	s_mov_b64 s[2:3], -1
                                        ; implicit-def: $vgpr3
.LBB223_183:
	s_and_b64 vcc, exec, s[2:3]
	s_cbranch_vccz .LBB223_185
; %bb.184:
	global_load_ubyte v3, v[0:1], off
	s_mov_b32 s2, 0x7f800000
	s_brev_b32 s3, 1
	s_movk_i32 s14, 0x7fff
	s_waitcnt vmcnt(0)
	v_lshlrev_b32_e32 v3, 24, v3
	v_and_b32_e32 v4, 0x7f000000, v3
	v_ffbh_u32_e32 v5, v4
	v_min_u32_e32 v5, 32, v5
	v_sub_u32_e64 v5, v5, 4 clamp
	v_lshlrev_b32_e32 v7, v5, v4
	v_lshlrev_b32_e32 v5, 23, v5
	v_lshrrev_b32_e32 v7, 4, v7
	v_add_u32_e32 v6, 0x1000000, v4
	v_sub_u32_e32 v5, v7, v5
	v_ashrrev_i32_e32 v6, 8, v6
	v_add_u32_e32 v5, 0x3c000000, v5
	v_and_or_b32 v5, v6, s2, v5
	v_cmp_ne_u32_e32 vcc, 0, v4
	v_cndmask_b32_e32 v4, 0, v5, vcc
	v_and_or_b32 v3, v3, s3, v4
	v_bfe_u32 v4, v4, 16, 1
	v_add3_u32 v4, v3, v4, s14
	v_cmp_o_f32_e32 vcc, v3, v3
	v_mov_b32_e32 v3, 0x7fc0
	v_cndmask_b32_sdwa v3, v3, v4, vcc dst_sel:DWORD dst_unused:UNUSED_PAD src0_sel:DWORD src1_sel:WORD_1
.LBB223_185:
	s_mov_b64 s[2:3], 0
.LBB223_186:
	s_andn2_b64 vcc, exec, s[2:3]
	s_cbranch_vccnz .LBB223_188
; %bb.187:
	global_load_ubyte v3, v[0:1], off
	s_movk_i32 s2, 0x7f00
	s_brev_b32 s3, 16
	s_brev_b32 s14, 1
	s_movk_i32 s15, 0x7fff
	s_waitcnt vmcnt(0)
	v_lshlrev_b16_e32 v4, 8, v3
	v_lshlrev_b32_e32 v3, 25, v3
	v_lshrrev_b32_e32 v5, 4, v3
	v_and_or_b32 v6, v4, s2, 0.5
	v_or_b32_e32 v5, 0x70000000, v5
	v_add_f32_e32 v6, -0.5, v6
	v_mul_f32_e32 v5, 0x7800000, v5
	v_cmp_gt_u32_e32 vcc, s3, v3
	v_bfe_i32 v4, v4, 0, 16
	v_cndmask_b32_e32 v3, v5, v6, vcc
	v_and_or_b32 v4, v4, s14, v3
	v_bfe_u32 v3, v3, 16, 1
	v_add3_u32 v3, v4, v3, s15
	v_cmp_o_f32_e32 vcc, v4, v4
	v_mov_b32_e32 v4, 0x7fc0
	v_cndmask_b32_sdwa v3, v4, v3, vcc dst_sel:DWORD dst_unused:UNUSED_PAD src0_sel:DWORD src1_sel:WORD_1
.LBB223_188:
	s_mov_b64 s[14:15], 0
	s_mov_b64 s[2:3], -1
.LBB223_189:
	s_andn2_b64 vcc, exec, s[14:15]
	s_cbranch_vccnz .LBB223_202
; %bb.190:
	s_cmp_gt_i32 s24, 14
	s_cbranch_scc0 .LBB223_193
; %bb.191:
	s_cmp_eq_u32 s24, 15
	s_cbranch_scc0 .LBB223_196
; %bb.192:
	global_load_ushort v3, v[0:1], off
	s_mov_b64 s[2:3], -1
	s_mov_b64 s[16:17], 0
	s_branch .LBB223_197
.LBB223_193:
	s_mov_b64 s[14:15], -1
                                        ; implicit-def: $vgpr3
	s_branch .LBB223_198
.LBB223_194:
	s_or_saveexec_b64 s[14:15], s[14:15]
	v_mov_b32_e32 v4, 0x7f800001
	s_xor_b64 exec, exec, s[14:15]
	s_cbranch_execz .LBB223_175
.LBB223_195:
	v_cmp_ne_u16_e32 vcc, 0, v3
	s_andn2_b64 s[2:3], s[2:3], exec
	s_and_b64 s[20:21], vcc, exec
	v_mov_b32_e32 v4, 0
	s_or_b64 s[2:3], s[2:3], s[20:21]
	s_or_b64 exec, exec, s[14:15]
	s_and_saveexec_b64 s[14:15], s[2:3]
	s_cbranch_execnz .LBB223_176
	s_branch .LBB223_177
.LBB223_196:
	s_mov_b64 s[16:17], -1
                                        ; implicit-def: $vgpr3
.LBB223_197:
	s_mov_b64 s[14:15], 0
.LBB223_198:
	s_and_b64 vcc, exec, s[14:15]
	s_cbranch_vccz .LBB223_202
; %bb.199:
	s_cmp_eq_u32 s24, 11
	s_cbranch_scc0 .LBB223_201
; %bb.200:
	global_load_ubyte v3, v[0:1], off
	s_mov_b64 s[2:3], -1
	s_mov_b64 s[16:17], 0
	s_waitcnt vmcnt(0)
	v_cmp_ne_u16_e32 vcc, 0, v3
	v_cndmask_b32_e64 v3, 0, 1.0, vcc
	v_lshrrev_b32_e32 v3, 16, v3
	s_branch .LBB223_202
.LBB223_201:
	s_mov_b64 s[16:17], -1
                                        ; implicit-def: $vgpr3
.LBB223_202:
	s_branch .LBB223_10
.LBB223_203:
	s_cmp_lt_i32 s24, 5
	s_cbranch_scc1 .LBB223_208
; %bb.204:
	s_cmp_lt_i32 s24, 8
	s_cbranch_scc1 .LBB223_209
; %bb.205:
	;; [unrolled: 3-line block ×3, first 2 shown]
	s_cmp_gt_i32 s24, 9
	s_cbranch_scc0 .LBB223_211
; %bb.207:
	global_load_dwordx2 v[3:4], v[0:1], off
	s_movk_i32 s2, 0x7fff
	s_waitcnt vmcnt(0)
	v_cvt_f32_f64_e32 v3, v[3:4]
	v_mov_b32_e32 v4, 0x7fc0
	v_bfe_u32 v5, v3, 16, 1
	v_cmp_o_f32_e32 vcc, v3, v3
	v_add3_u32 v3, v3, v5, s2
	v_cndmask_b32_sdwa v3, v4, v3, vcc dst_sel:DWORD dst_unused:UNUSED_PAD src0_sel:DWORD src1_sel:WORD_1
	s_mov_b64 s[2:3], 0
	s_branch .LBB223_212
.LBB223_208:
                                        ; implicit-def: $vgpr3
	s_branch .LBB223_230
.LBB223_209:
	s_mov_b64 s[2:3], -1
                                        ; implicit-def: $vgpr3
	s_branch .LBB223_218
.LBB223_210:
	s_mov_b64 s[2:3], -1
                                        ; implicit-def: $vgpr3
	s_branch .LBB223_215
.LBB223_211:
	s_mov_b64 s[2:3], -1
                                        ; implicit-def: $vgpr3
.LBB223_212:
	s_andn2_b64 vcc, exec, s[2:3]
	s_cbranch_vccnz .LBB223_214
; %bb.213:
	global_load_dword v3, v[0:1], off
	s_movk_i32 s2, 0x7fff
	v_mov_b32_e32 v4, 0x7fc0
	s_waitcnt vmcnt(0)
	v_bfe_u32 v5, v3, 16, 1
	v_cmp_o_f32_e32 vcc, v3, v3
	v_add3_u32 v3, v3, v5, s2
	v_cndmask_b32_sdwa v3, v4, v3, vcc dst_sel:DWORD dst_unused:UNUSED_PAD src0_sel:DWORD src1_sel:WORD_1
.LBB223_214:
	s_mov_b64 s[2:3], 0
.LBB223_215:
	s_andn2_b64 vcc, exec, s[2:3]
	s_cbranch_vccnz .LBB223_217
; %bb.216:
	global_load_dword v3, v[0:1], off
	s_movk_i32 s2, 0x7fff
	v_mov_b32_e32 v5, 0x7fc0
	s_waitcnt vmcnt(0)
	v_cvt_f32_f16_e32 v4, v3
	v_cmp_o_f16_e32 vcc, v3, v3
	v_bfe_u32 v3, v4, 16, 1
	v_add3_u32 v3, v4, v3, s2
	v_cndmask_b32_sdwa v3, v5, v3, vcc dst_sel:DWORD dst_unused:UNUSED_PAD src0_sel:DWORD src1_sel:WORD_1
.LBB223_217:
	s_mov_b64 s[2:3], 0
.LBB223_218:
	s_andn2_b64 vcc, exec, s[2:3]
	s_cbranch_vccnz .LBB223_229
; %bb.219:
	s_cmp_lt_i32 s24, 6
	s_cbranch_scc1 .LBB223_222
; %bb.220:
	s_cmp_gt_i32 s24, 6
	s_cbranch_scc0 .LBB223_223
; %bb.221:
	global_load_dwordx2 v[3:4], v[0:1], off
	s_movk_i32 s2, 0x7fff
	s_waitcnt vmcnt(0)
	v_cvt_f32_f64_e32 v3, v[3:4]
	v_mov_b32_e32 v4, 0x7fc0
	v_bfe_u32 v5, v3, 16, 1
	v_cmp_o_f32_e32 vcc, v3, v3
	v_add3_u32 v3, v3, v5, s2
	v_cndmask_b32_sdwa v3, v4, v3, vcc dst_sel:DWORD dst_unused:UNUSED_PAD src0_sel:DWORD src1_sel:WORD_1
	s_mov_b64 s[2:3], 0
	s_branch .LBB223_224
.LBB223_222:
	s_mov_b64 s[2:3], -1
                                        ; implicit-def: $vgpr3
	s_branch .LBB223_227
.LBB223_223:
	s_mov_b64 s[2:3], -1
                                        ; implicit-def: $vgpr3
.LBB223_224:
	s_andn2_b64 vcc, exec, s[2:3]
	s_cbranch_vccnz .LBB223_226
; %bb.225:
	global_load_dword v3, v[0:1], off
	s_movk_i32 s2, 0x7fff
	v_mov_b32_e32 v4, 0x7fc0
	s_waitcnt vmcnt(0)
	v_bfe_u32 v5, v3, 16, 1
	v_cmp_o_f32_e32 vcc, v3, v3
	v_add3_u32 v3, v3, v5, s2
	v_cndmask_b32_sdwa v3, v4, v3, vcc dst_sel:DWORD dst_unused:UNUSED_PAD src0_sel:DWORD src1_sel:WORD_1
.LBB223_226:
	s_mov_b64 s[2:3], 0
.LBB223_227:
	s_andn2_b64 vcc, exec, s[2:3]
	s_cbranch_vccnz .LBB223_229
; %bb.228:
	global_load_ushort v3, v[0:1], off
	s_movk_i32 s2, 0x7fff
	v_mov_b32_e32 v5, 0x7fc0
	s_waitcnt vmcnt(0)
	v_cvt_f32_f16_e32 v4, v3
	v_cmp_o_f16_e32 vcc, v3, v3
	v_bfe_u32 v3, v4, 16, 1
	v_add3_u32 v3, v4, v3, s2
	v_cndmask_b32_sdwa v3, v5, v3, vcc dst_sel:DWORD dst_unused:UNUSED_PAD src0_sel:DWORD src1_sel:WORD_1
.LBB223_229:
	s_cbranch_execnz .LBB223_249
.LBB223_230:
	s_cmp_lt_i32 s24, 2
	s_cbranch_scc1 .LBB223_234
; %bb.231:
	s_cmp_lt_i32 s24, 3
	s_cbranch_scc1 .LBB223_235
; %bb.232:
	s_cmp_gt_i32 s24, 3
	s_cbranch_scc0 .LBB223_236
; %bb.233:
	global_load_dwordx2 v[3:4], v[0:1], off
	s_movk_i32 s2, 0x7fff
	s_waitcnt vmcnt(0)
	v_xor_b32_e32 v6, v3, v4
	v_ffbh_i32_e32 v5, v4
	v_ashrrev_i32_e32 v6, 31, v6
	v_add_u32_e32 v5, -1, v5
	v_add_u32_e32 v6, 32, v6
	v_min_u32_e32 v5, v5, v6
	v_lshlrev_b64 v[3:4], v5, v[3:4]
	v_min_u32_e32 v3, 1, v3
	v_or_b32_e32 v3, v4, v3
	v_cvt_f32_i32_e32 v3, v3
	v_sub_u32_e32 v4, 32, v5
	v_ldexp_f32 v3, v3, v4
	v_bfe_u32 v4, v3, 16, 1
	v_add3_u32 v3, v3, v4, s2
	v_lshrrev_b32_e32 v3, 16, v3
	s_mov_b64 s[2:3], 0
	s_branch .LBB223_237
.LBB223_234:
	s_mov_b64 s[2:3], -1
                                        ; implicit-def: $vgpr3
	s_branch .LBB223_243
.LBB223_235:
	s_mov_b64 s[2:3], -1
                                        ; implicit-def: $vgpr3
	s_branch .LBB223_240
.LBB223_236:
	s_mov_b64 s[2:3], -1
                                        ; implicit-def: $vgpr3
.LBB223_237:
	s_andn2_b64 vcc, exec, s[2:3]
	s_cbranch_vccnz .LBB223_239
; %bb.238:
	global_load_dword v3, v[0:1], off
	s_movk_i32 s2, 0x7fff
	s_waitcnt vmcnt(0)
	v_cvt_f32_i32_e32 v3, v3
	v_bfe_u32 v4, v3, 16, 1
	v_add3_u32 v3, v3, v4, s2
	v_lshrrev_b32_e32 v3, 16, v3
.LBB223_239:
	s_mov_b64 s[2:3], 0
.LBB223_240:
	s_andn2_b64 vcc, exec, s[2:3]
	s_cbranch_vccnz .LBB223_242
; %bb.241:
	global_load_sshort v3, v[0:1], off
	s_movk_i32 s2, 0x7fff
	s_waitcnt vmcnt(0)
	v_cvt_f32_i32_e32 v3, v3
	v_bfe_u32 v4, v3, 16, 1
	v_add3_u32 v3, v3, v4, s2
	v_lshrrev_b32_e32 v3, 16, v3
.LBB223_242:
	s_mov_b64 s[2:3], 0
.LBB223_243:
	s_andn2_b64 vcc, exec, s[2:3]
	s_cbranch_vccnz .LBB223_249
; %bb.244:
	s_cmp_gt_i32 s24, 0
	s_cbranch_scc0 .LBB223_246
; %bb.245:
	global_load_sbyte v3, v[0:1], off
	s_movk_i32 s2, 0x7fff
	s_waitcnt vmcnt(0)
	v_cvt_f32_i32_e32 v3, v3
	v_bfe_u32 v4, v3, 16, 1
	v_add3_u32 v3, v3, v4, s2
	v_lshrrev_b32_e32 v3, 16, v3
	s_mov_b64 s[2:3], 0
	s_branch .LBB223_247
.LBB223_246:
	s_mov_b64 s[2:3], -1
                                        ; implicit-def: $vgpr3
.LBB223_247:
	s_andn2_b64 vcc, exec, s[2:3]
	s_cbranch_vccnz .LBB223_249
; %bb.248:
	global_load_ubyte v0, v[0:1], off
	s_movk_i32 s2, 0x7fff
	s_waitcnt vmcnt(0)
	v_cvt_f32_ubyte0_e32 v0, v0
	v_bfe_u32 v1, v0, 16, 1
	v_add3_u32 v0, v0, v1, s2
	v_lshrrev_b32_e32 v3, 16, v0
.LBB223_249:
	s_branch .LBB223_11
.LBB223_250:
	s_mov_b64 s[2:3], 0
                                        ; implicit-def: $vgpr2
	s_mov_b64 s[20:21], 0
.LBB223_251:
	s_and_b64 s[14:15], s[2:3], exec
	s_and_b64 s[16:17], s[16:17], exec
	s_orn2_b64 s[2:3], s[20:21], exec
.LBB223_252:
	s_or_b64 exec, exec, s[18:19]
	s_mov_b64 s[26:27], 0
	s_mov_b64 s[24:25], 0
                                        ; implicit-def: $vgpr0_vgpr1
                                        ; implicit-def: $vgpr4
	s_and_saveexec_b64 s[18:19], s[2:3]
	s_cbranch_execz .LBB223_261
; %bb.253:
	v_cmp_gt_i32_e32 vcc, s40, v2
	s_mov_b64 s[2:3], -1
	s_mov_b64 s[20:21], s[16:17]
	s_mov_b64 s[22:23], s[14:15]
	s_and_saveexec_b64 s[24:25], vcc
	s_cbranch_execz .LBB223_514
; %bb.254:
	v_mul_lo_u32 v0, v2, s13
	v_mov_b32_e32 v1, s11
	s_and_b32 s28, 0xffff, s47
	s_cmp_lt_i32 s28, 11
	s_waitcnt vmcnt(0)
	v_ashrrev_i32_e32 v3, 31, v0
	v_add_co_u32_e32 v0, vcc, s10, v0
	v_addc_co_u32_e32 v1, vcc, v1, v3, vcc
	s_cbranch_scc1 .LBB223_264
; %bb.255:
	s_cmp_gt_i32 s28, 25
	s_cbranch_scc0 .LBB223_273
; %bb.256:
	s_cmp_gt_i32 s28, 28
	s_cbranch_scc0 .LBB223_275
; %bb.257:
	s_cmp_gt_i32 s28, 43
	s_cbranch_scc0 .LBB223_277
; %bb.258:
	s_cmp_gt_i32 s28, 45
	s_cbranch_scc0 .LBB223_281
; %bb.259:
	s_cmp_eq_u32 s28, 46
	s_mov_b64 s[22:23], 0
	s_cbranch_scc0 .LBB223_285
; %bb.260:
	global_load_dword v3, v[0:1], off
	s_mov_b64 s[20:21], 0
	s_branch .LBB223_286
.LBB223_261:
	s_or_b64 exec, exec, s[18:19]
	s_mov_b64 s[2:3], 0
	s_and_saveexec_b64 s[18:19], s[16:17]
	s_cbranch_execnz .LBB223_861
.LBB223_262:
	s_or_b64 exec, exec, s[18:19]
	s_and_saveexec_b64 s[16:17], s[22:23]
	s_xor_b64 s[16:17], exec, s[16:17]
	s_cbranch_execz .LBB223_862
.LBB223_263:
	global_load_ubyte v3, v[0:1], off
	s_or_b64 s[24:25], s[24:25], exec
	s_waitcnt vmcnt(0)
	v_cmp_ne_u16_e32 vcc, 0, v3
	v_cndmask_b32_e64 v3, 0, 1.0, vcc
	v_lshrrev_b32_e32 v4, 16, v3
	s_or_b64 exec, exec, s[16:17]
	s_and_saveexec_b64 s[16:17], s[26:27]
	s_cbranch_execz .LBB223_908
	s_branch .LBB223_863
.LBB223_264:
	s_mov_b64 s[2:3], 0
                                        ; implicit-def: $vgpr3
	s_mov_b64 s[20:21], s[16:17]
	s_cbranch_execnz .LBB223_463
.LBB223_265:
	s_andn2_b64 vcc, exec, s[2:3]
	s_cbranch_vccnz .LBB223_511
.LBB223_266:
	v_mul_lo_u32 v0, v2, s12
	v_mov_b32_e32 v1, s33
	v_mov_b32_e32 v4, s9
	s_waitcnt vmcnt(0)
	v_cndmask_b32_e64 v3, v3, v1, s[0:1]
	v_ashrrev_i32_e32 v1, 31, v0
	s_and_b32 s30, s44, 0xff
	v_add_co_u32_e32 v0, vcc, s8, v0
	s_cmp_lt_i32 s30, 11
	v_addc_co_u32_e32 v1, vcc, v4, v1, vcc
	s_cbranch_scc1 .LBB223_274
; %bb.267:
	s_and_b32 s31, 0xffff, s30
	s_cmp_gt_i32 s31, 25
	s_cbranch_scc0 .LBB223_276
; %bb.268:
	s_cmp_gt_i32 s31, 28
	s_cbranch_scc0 .LBB223_278
; %bb.269:
	;; [unrolled: 3-line block ×4, first 2 shown]
	s_mov_b64 s[26:27], 0
	s_mov_b64 s[2:3], -1
	s_cmp_eq_u32 s31, 46
	s_mov_b64 s[22:23], 0
	s_cbranch_scc0 .LBB223_290
; %bb.272:
	v_and_b32_e32 v4, 0xffff, v3
	global_store_dword v[0:1], v4, off
	s_mov_b64 s[22:23], -1
	s_mov_b64 s[2:3], 0
	s_branch .LBB223_290
.LBB223_273:
	s_mov_b64 s[22:23], -1
	s_mov_b64 s[2:3], 0
	s_mov_b64 s[20:21], s[16:17]
                                        ; implicit-def: $vgpr3
	s_branch .LBB223_427
.LBB223_274:
	s_mov_b64 s[26:27], -1
	s_mov_b64 s[22:23], 0
	s_mov_b64 s[2:3], s[14:15]
	s_branch .LBB223_359
.LBB223_275:
	s_mov_b64 s[22:23], -1
	s_mov_b64 s[2:3], 0
	s_mov_b64 s[20:21], s[16:17]
                                        ; implicit-def: $vgpr3
	s_branch .LBB223_408
.LBB223_276:
	s_mov_b64 s[26:27], -1
	s_mov_b64 s[22:23], 0
	s_mov_b64 s[2:3], s[14:15]
	s_branch .LBB223_317
.LBB223_277:
	s_mov_b64 s[22:23], -1
	s_mov_b64 s[2:3], 0
	s_mov_b64 s[20:21], s[16:17]
                                        ; implicit-def: $vgpr3
	s_branch .LBB223_403
.LBB223_278:
	s_mov_b64 s[26:27], -1
	s_mov_b64 s[22:23], 0
	s_mov_b64 s[2:3], s[14:15]
	s_branch .LBB223_300
.LBB223_279:
	s_andn2_saveexec_b64 s[24:25], s[24:25]
	s_cbranch_execz .LBB223_55
.LBB223_280:
	s_mov_b32 s28, 0x46000000
	v_add_f32_e64 v5, |v6|, s28
	v_and_b32_e32 v5, 0xff, v5
	v_cmp_ne_u32_e32 vcc, 0, v5
	s_andn2_b64 s[20:21], s[20:21], exec
	s_and_b64 s[28:29], vcc, exec
	s_or_b64 s[20:21], s[20:21], s[28:29]
	s_or_b64 exec, exec, s[24:25]
	v_mov_b32_e32 v7, 0
	s_and_saveexec_b64 s[24:25], s[20:21]
	s_cbranch_execnz .LBB223_56
	s_branch .LBB223_57
.LBB223_281:
	s_mov_b64 s[22:23], -1
	s_mov_b64 s[2:3], 0
	s_mov_b64 s[20:21], s[16:17]
                                        ; implicit-def: $vgpr3
	s_branch .LBB223_286
.LBB223_282:
	s_mov_b64 s[26:27], -1
	s_mov_b64 s[22:23], 0
	s_mov_b64 s[2:3], s[14:15]
	s_branch .LBB223_296
.LBB223_283:
	s_andn2_saveexec_b64 s[24:25], s[24:25]
	s_cbranch_execz .LBB223_68
.LBB223_284:
	s_mov_b32 s28, 0x42800000
	v_add_f32_e64 v5, |v6|, s28
	v_and_b32_e32 v5, 0xff, v5
	v_cmp_ne_u32_e32 vcc, 0, v5
	s_andn2_b64 s[20:21], s[20:21], exec
	s_and_b64 s[28:29], vcc, exec
	s_or_b64 s[20:21], s[20:21], s[28:29]
	s_or_b64 exec, exec, s[24:25]
	v_mov_b32_e32 v7, 0
	s_and_saveexec_b64 s[24:25], s[20:21]
	s_cbranch_execnz .LBB223_69
	s_branch .LBB223_70
.LBB223_285:
	s_mov_b64 s[20:21], -1
                                        ; implicit-def: $vgpr3
	s_mov_b64 s[2:3], 0
.LBB223_286:
	s_and_b64 vcc, exec, s[22:23]
	s_cbranch_vccz .LBB223_402
; %bb.287:
	s_cmp_eq_u32 s28, 44
	s_cbranch_scc0 .LBB223_401
; %bb.288:
	global_load_ubyte v3, v[0:1], off
	s_movk_i32 s20, 0xff
	v_mov_b32_e32 v4, 0x7f800001
	v_mov_b32_e32 v5, 0x400000
	v_mov_b32_e32 v6, 0x7fc0
	s_mov_b64 s[2:3], -1
	s_waitcnt vmcnt(0)
	v_lshlrev_b32_e32 v7, 23, v3
	v_cmp_ne_u32_e32 vcc, s20, v3
	v_cndmask_b32_e32 v4, v4, v7, vcc
	v_cmp_ne_u32_e32 vcc, 0, v3
	v_cndmask_b32_e32 v3, v5, v4, vcc
	v_add_u32_e32 v4, 0x7fff, v3
	v_cmp_o_f32_e32 vcc, v3, v3
	v_cndmask_b32_sdwa v3, v6, v4, vcc dst_sel:DWORD dst_unused:UNUSED_PAD src0_sel:DWORD src1_sel:WORD_1
	s_mov_b64 s[20:21], 0
	s_branch .LBB223_402
.LBB223_289:
	s_mov_b64 s[26:27], -1
	s_mov_b64 s[22:23], 0
	s_mov_b64 s[2:3], s[14:15]
.LBB223_290:
	s_and_b64 vcc, exec, s[26:27]
	s_cbranch_vccz .LBB223_295
; %bb.291:
	s_cmp_eq_u32 s31, 44
	s_mov_b64 s[2:3], -1
	s_cbranch_scc0 .LBB223_295
; %bb.292:
	v_and_b32_e32 v5, 0xffff, v3
	v_bfe_u32 v4, v5, 7, 8
	s_movk_i32 s2, 0xff
	v_cmp_ne_u32_e32 vcc, s2, v4
	v_mov_b32_e32 v6, 0xff
	s_and_saveexec_b64 s[22:23], vcc
	s_cbranch_execz .LBB223_294
; %bb.293:
	v_lshlrev_b32_e32 v7, 16, v5
	s_mov_b32 s2, 0x3f0000
	v_lshrrev_b32_e32 v6, 7, v5
	v_and_b32_e32 v5, 64, v5
	v_and_or_b32 v4, v7, s2, v4
	v_cmp_ne_u32_e32 vcc, 0, v5
	v_cmp_ne_u32_e64 s[2:3], 0, v4
	s_and_b64 s[2:3], vcc, s[2:3]
	v_cndmask_b32_e64 v4, 0, 1, s[2:3]
	v_add_u32_e32 v6, v6, v4
.LBB223_294:
	s_or_b64 exec, exec, s[22:23]
	s_mov_b64 s[22:23], -1
	s_mov_b64 s[2:3], 0
	global_store_byte v[0:1], v6, off
.LBB223_295:
	s_mov_b64 s[26:27], 0
.LBB223_296:
	s_and_b64 vcc, exec, s[26:27]
	s_cbranch_vccz .LBB223_299
; %bb.297:
	s_cmp_eq_u32 s31, 29
	s_mov_b64 s[2:3], -1
	s_cbranch_scc0 .LBB223_299
; %bb.298:
	v_lshlrev_b32_e32 v4, 16, v3
	v_trunc_f32_e32 v4, v4
	v_mul_f32_e32 v5, 0x2f800000, v4
	v_floor_f32_e32 v6, v5
	v_fmac_f32_e32 v4, 0xcf800000, v6
	v_cvt_u32_f32_e32 v5, v6
	v_cvt_u32_f32_e32 v4, v4
	s_mov_b64 s[22:23], -1
	s_mov_b64 s[2:3], 0
	s_mov_b64 s[26:27], 0
	global_store_dwordx2 v[0:1], v[4:5], off
	s_branch .LBB223_300
.LBB223_299:
	s_mov_b64 s[26:27], 0
.LBB223_300:
	s_and_b64 vcc, exec, s[26:27]
	s_cbranch_vccz .LBB223_316
; %bb.301:
	s_cmp_lt_i32 s31, 27
	s_mov_b64 s[22:23], -1
	s_cbranch_scc1 .LBB223_307
; %bb.302:
	s_cmp_gt_i32 s31, 27
	s_cbranch_scc0 .LBB223_304
; %bb.303:
	v_lshlrev_b32_e32 v4, 16, v3
	v_cvt_u32_f32_e32 v4, v4
	s_mov_b64 s[22:23], 0
	global_store_dword v[0:1], v4, off
.LBB223_304:
	s_andn2_b64 vcc, exec, s[22:23]
	s_cbranch_vccnz .LBB223_306
; %bb.305:
	v_lshlrev_b32_e32 v4, 16, v3
	v_cvt_u32_f32_e32 v4, v4
	global_store_short v[0:1], v4, off
.LBB223_306:
	s_mov_b64 s[22:23], 0
.LBB223_307:
	s_andn2_b64 vcc, exec, s[22:23]
	s_cbranch_vccnz .LBB223_315
; %bb.308:
	v_lshlrev_b32_e32 v6, 16, v3
	v_and_b32_e32 v5, 0x7fffffff, v6
	s_mov_b32 s22, 0x43800000
	v_cmp_gt_u32_e32 vcc, s22, v5
	v_mov_b32_e32 v7, 0x80
	s_and_saveexec_b64 s[22:23], vcc
	s_cbranch_execz .LBB223_314
; %bb.309:
	s_mov_b32 s26, 0x3bffffff
	v_and_b32_e32 v4, 0xffff, v3
	v_cmp_lt_u32_e32 vcc, s26, v5
	s_mov_b64 s[26:27], 0
                                        ; implicit-def: $vgpr5
	s_and_saveexec_b64 s[28:29], vcc
	s_xor_b64 s[28:29], exec, s[28:29]
	s_cbranch_execz .LBB223_527
; %bb.310:
	v_bfe_u32 v5, v4, 4, 1
	s_mov_b32 s34, 0x487ffff
	v_add3_u32 v5, v6, v5, s34
	s_mov_b64 s[26:27], exec
	v_lshrrev_b32_e32 v5, 20, v5
                                        ; implicit-def: $vgpr6
	s_andn2_saveexec_b64 s[28:29], s[28:29]
	s_cbranch_execnz .LBB223_528
.LBB223_311:
	s_or_b64 exec, exec, s[28:29]
	v_mov_b32_e32 v7, 0
	s_and_saveexec_b64 s[28:29], s[26:27]
.LBB223_312:
	v_lshrrev_b32_e32 v4, 8, v4
	s_movk_i32 s26, 0x80
	v_and_or_b32 v7, v4, s26, v5
.LBB223_313:
	s_or_b64 exec, exec, s[28:29]
.LBB223_314:
	s_or_b64 exec, exec, s[22:23]
	global_store_byte v[0:1], v7, off
.LBB223_315:
	s_mov_b64 s[22:23], -1
.LBB223_316:
	s_mov_b64 s[26:27], 0
.LBB223_317:
	s_and_b64 vcc, exec, s[26:27]
	s_cbranch_vccz .LBB223_358
; %bb.318:
	s_cmp_gt_i32 s31, 22
	s_mov_b64 s[26:27], -1
	s_cbranch_scc0 .LBB223_350
; %bb.319:
	s_cmp_lt_i32 s31, 24
	s_mov_b64 s[22:23], -1
	s_cbranch_scc1 .LBB223_339
; %bb.320:
	s_cmp_gt_i32 s31, 24
	s_cbranch_scc0 .LBB223_328
; %bb.321:
	v_lshlrev_b32_e32 v6, 16, v3
	v_and_b32_e32 v5, 0x7fffffff, v6
	s_mov_b32 s22, 0x47800000
	v_cmp_gt_u32_e32 vcc, s22, v5
	v_mov_b32_e32 v7, 0x80
	s_and_saveexec_b64 s[22:23], vcc
	s_cbranch_execz .LBB223_327
; %bb.322:
	s_mov_b32 s26, 0x37ffffff
	v_and_b32_e32 v4, 0xffff, v3
	v_cmp_lt_u32_e32 vcc, s26, v5
	s_mov_b64 s[26:27], 0
                                        ; implicit-def: $vgpr5
	s_and_saveexec_b64 s[28:29], vcc
	s_xor_b64 s[28:29], exec, s[28:29]
	s_cbranch_execz .LBB223_530
; %bb.323:
	v_bfe_u32 v5, v4, 5, 1
	s_mov_b32 s34, 0x88fffff
	v_add3_u32 v5, v6, v5, s34
	s_mov_b64 s[26:27], exec
	v_lshrrev_b32_e32 v5, 21, v5
                                        ; implicit-def: $vgpr6
	s_andn2_saveexec_b64 s[28:29], s[28:29]
	s_cbranch_execnz .LBB223_531
.LBB223_324:
	s_or_b64 exec, exec, s[28:29]
	v_mov_b32_e32 v7, 0
	s_and_saveexec_b64 s[28:29], s[26:27]
.LBB223_325:
	v_lshrrev_b32_e32 v4, 8, v4
	s_movk_i32 s26, 0x80
	v_and_or_b32 v7, v4, s26, v5
.LBB223_326:
	s_or_b64 exec, exec, s[28:29]
.LBB223_327:
	s_or_b64 exec, exec, s[22:23]
	s_mov_b64 s[22:23], 0
	global_store_byte v[0:1], v7, off
.LBB223_328:
	s_and_b64 vcc, exec, s[22:23]
	s_cbranch_vccz .LBB223_338
; %bb.329:
	v_lshlrev_b32_e32 v6, 16, v3
	v_and_b32_e32 v7, 0x7fffffff, v6
	s_mov_b32 s22, 0x43f00000
	v_and_b32_e32 v4, 0xffff, v3
	v_cmp_gt_u32_e32 vcc, s22, v7
                                        ; implicit-def: $vgpr5
	s_and_saveexec_b64 s[22:23], vcc
	s_xor_b64 s[22:23], exec, s[22:23]
	s_cbranch_execz .LBB223_335
; %bb.330:
	s_mov_b32 s26, 0x3c7fffff
	v_cmp_lt_u32_e32 vcc, s26, v7
                                        ; implicit-def: $vgpr5
	s_and_saveexec_b64 s[26:27], vcc
	s_xor_b64 s[26:27], exec, s[26:27]
; %bb.331:
	v_bfe_u32 v5, v4, 4, 1
	s_mov_b32 s28, 0x407ffff
	v_add3_u32 v5, v6, v5, s28
	v_lshrrev_b32_e32 v6, 20, v5
	v_and_b32_e32 v5, 0xff00000, v5
	s_mov_b32 s28, 0x7f00000
	v_mov_b32_e32 v7, 0x7e
	v_cmp_ne_u32_e32 vcc, s28, v5
	v_cndmask_b32_e32 v5, v7, v6, vcc
                                        ; implicit-def: $vgpr6
; %bb.332:
	s_andn2_saveexec_b64 s[26:27], s[26:27]
; %bb.333:
	s_mov_b32 s28, 0x46800000
	v_add_f32_e64 v5, |v6|, s28
; %bb.334:
	s_or_b64 exec, exec, s[26:27]
                                        ; implicit-def: $vgpr7
.LBB223_335:
	s_andn2_saveexec_b64 s[22:23], s[22:23]
; %bb.336:
	s_mov_b32 s26, 0x7f800000
	v_mov_b32_e32 v5, 0x7e
	v_mov_b32_e32 v6, 0x7f
	v_cmp_lt_u32_e32 vcc, s26, v7
	v_cndmask_b32_e32 v5, v5, v6, vcc
; %bb.337:
	s_or_b64 exec, exec, s[22:23]
	v_lshrrev_b32_e32 v4, 8, v4
	s_movk_i32 s22, 0x80
	v_and_or_b32 v4, v4, s22, v5
	global_store_byte v[0:1], v4, off
.LBB223_338:
	s_mov_b64 s[22:23], 0
.LBB223_339:
	s_andn2_b64 vcc, exec, s[22:23]
	s_cbranch_vccnz .LBB223_349
; %bb.340:
	v_lshlrev_b32_e32 v6, 16, v3
	v_and_b32_e32 v7, 0x7fffffff, v6
	s_mov_b32 s22, 0x47800000
	v_and_b32_e32 v4, 0xffff, v3
	v_cmp_gt_u32_e32 vcc, s22, v7
                                        ; implicit-def: $vgpr5
	s_and_saveexec_b64 s[22:23], vcc
	s_xor_b64 s[22:23], exec, s[22:23]
	s_cbranch_execz .LBB223_346
; %bb.341:
	s_mov_b32 s26, 0x387fffff
	v_cmp_lt_u32_e32 vcc, s26, v7
                                        ; implicit-def: $vgpr5
	s_and_saveexec_b64 s[26:27], vcc
	s_xor_b64 s[26:27], exec, s[26:27]
; %bb.342:
	v_bfe_u32 v5, v4, 5, 1
	s_mov_b32 s28, 0x80fffff
	v_add3_u32 v5, v6, v5, s28
	v_lshrrev_b32_e32 v5, 21, v5
                                        ; implicit-def: $vgpr6
; %bb.343:
	s_andn2_saveexec_b64 s[26:27], s[26:27]
; %bb.344:
	s_mov_b32 s28, 0x43000000
	v_add_f32_e64 v5, |v6|, s28
; %bb.345:
	s_or_b64 exec, exec, s[26:27]
                                        ; implicit-def: $vgpr7
.LBB223_346:
	s_andn2_saveexec_b64 s[22:23], s[22:23]
; %bb.347:
	s_mov_b32 s26, 0x7f800000
	v_mov_b32_e32 v5, 0x7c
	v_mov_b32_e32 v6, 0x7f
	v_cmp_lt_u32_e32 vcc, s26, v7
	v_cndmask_b32_e32 v5, v5, v6, vcc
; %bb.348:
	s_or_b64 exec, exec, s[22:23]
	v_lshrrev_b32_e32 v4, 8, v4
	s_movk_i32 s22, 0x80
	v_and_or_b32 v4, v4, s22, v5
	global_store_byte v[0:1], v4, off
.LBB223_349:
	s_mov_b64 s[26:27], 0
	s_mov_b64 s[22:23], -1
.LBB223_350:
	s_andn2_b64 vcc, exec, s[26:27]
	s_cbranch_vccnz .LBB223_358
; %bb.351:
	s_cmp_gt_i32 s31, 14
	s_mov_b64 s[26:27], -1
	s_cbranch_scc0 .LBB223_355
; %bb.352:
	s_cmp_eq_u32 s31, 15
	s_mov_b64 s[2:3], -1
	s_cbranch_scc0 .LBB223_354
; %bb.353:
	global_store_short v[0:1], v3, off
	s_mov_b64 s[22:23], -1
	s_mov_b64 s[2:3], 0
.LBB223_354:
	s_mov_b64 s[26:27], 0
.LBB223_355:
	s_and_b64 vcc, exec, s[26:27]
	s_cbranch_vccz .LBB223_358
; %bb.356:
	s_cmp_eq_u32 s31, 11
	s_mov_b64 s[2:3], -1
	s_cbranch_scc0 .LBB223_358
; %bb.357:
	v_and_b32_e32 v4, 0x7fff, v3
	v_cmp_ne_u16_e32 vcc, 0, v4
	v_cndmask_b32_e64 v4, 0, 1, vcc
	s_mov_b64 s[22:23], -1
	s_mov_b64 s[2:3], 0
	global_store_byte v[0:1], v4, off
.LBB223_358:
	s_mov_b64 s[26:27], 0
.LBB223_359:
	s_and_b64 vcc, exec, s[26:27]
	s_cbranch_vccz .LBB223_398
; %bb.360:
	s_and_b32 s26, 0xffff, s30
	s_cmp_lt_i32 s26, 5
	s_mov_b64 s[22:23], -1
	s_cbranch_scc1 .LBB223_381
; %bb.361:
	s_cmp_lt_i32 s26, 8
	s_cbranch_scc1 .LBB223_371
; %bb.362:
	s_cmp_lt_i32 s26, 9
	s_cbranch_scc1 .LBB223_368
; %bb.363:
	s_cmp_gt_i32 s26, 9
	s_cbranch_scc0 .LBB223_365
; %bb.364:
	v_lshlrev_b32_e32 v4, 16, v3
	v_cvt_f64_f32_e32 v[4:5], v4
	v_mov_b32_e32 v6, 0
	v_mov_b32_e32 v7, v6
	s_mov_b64 s[22:23], 0
	global_store_dwordx4 v[0:1], v[4:7], off
.LBB223_365:
	s_andn2_b64 vcc, exec, s[22:23]
	s_cbranch_vccnz .LBB223_367
; %bb.366:
	v_lshlrev_b32_e32 v4, 16, v3
	v_mov_b32_e32 v5, 0
	global_store_dwordx2 v[0:1], v[4:5], off
.LBB223_367:
	s_mov_b64 s[22:23], 0
.LBB223_368:
	s_andn2_b64 vcc, exec, s[22:23]
	s_cbranch_vccnz .LBB223_370
; %bb.369:
	v_lshlrev_b32_e32 v4, 16, v3
	v_cvt_f16_f32_e32 v4, v4
	global_store_dword v[0:1], v4, off
.LBB223_370:
	s_mov_b64 s[22:23], 0
.LBB223_371:
	s_andn2_b64 vcc, exec, s[22:23]
	s_cbranch_vccnz .LBB223_380
; %bb.372:
	s_cmp_lt_i32 s26, 6
	s_mov_b64 s[22:23], -1
	s_cbranch_scc1 .LBB223_378
; %bb.373:
	s_cmp_gt_i32 s26, 6
	s_cbranch_scc0 .LBB223_375
; %bb.374:
	v_lshlrev_b32_e32 v4, 16, v3
	v_cvt_f64_f32_e32 v[4:5], v4
	s_mov_b64 s[22:23], 0
	global_store_dwordx2 v[0:1], v[4:5], off
.LBB223_375:
	s_andn2_b64 vcc, exec, s[22:23]
	s_cbranch_vccnz .LBB223_377
; %bb.376:
	v_lshlrev_b32_e32 v4, 16, v3
	global_store_dword v[0:1], v4, off
.LBB223_377:
	s_mov_b64 s[22:23], 0
.LBB223_378:
	s_andn2_b64 vcc, exec, s[22:23]
	s_cbranch_vccnz .LBB223_380
; %bb.379:
	v_lshlrev_b32_e32 v4, 16, v3
	v_cvt_f16_f32_e32 v4, v4
	global_store_short v[0:1], v4, off
.LBB223_380:
	s_mov_b64 s[22:23], 0
.LBB223_381:
	s_andn2_b64 vcc, exec, s[22:23]
	s_cbranch_vccnz .LBB223_397
; %bb.382:
	s_cmp_lt_i32 s26, 2
	s_mov_b64 s[22:23], -1
	s_cbranch_scc1 .LBB223_392
; %bb.383:
	s_cmp_lt_i32 s26, 3
	s_cbranch_scc1 .LBB223_389
; %bb.384:
	s_cmp_gt_i32 s26, 3
	s_cbranch_scc0 .LBB223_386
; %bb.385:
	v_lshlrev_b32_e32 v4, 16, v3
	v_trunc_f32_e32 v4, v4
	s_mov_b32 s22, 0x2f800000
	v_mul_f32_e64 v5, |v4|, s22
	v_floor_f32_e32 v5, v5
	s_mov_b32 s22, 0xcf800000
	v_cvt_u32_f32_e32 v6, v5
	v_fma_f32 v5, v5, s22, |v4|
	v_cvt_u32_f32_e32 v5, v5
	v_ashrrev_i32_e32 v7, 31, v4
	v_xor_b32_e32 v6, v6, v7
	s_mov_b64 s[22:23], 0
	v_xor_b32_e32 v4, v5, v7
	v_sub_co_u32_e32 v4, vcc, v4, v7
	v_subb_co_u32_e32 v5, vcc, v6, v7, vcc
	global_store_dwordx2 v[0:1], v[4:5], off
.LBB223_386:
	s_andn2_b64 vcc, exec, s[22:23]
	s_cbranch_vccnz .LBB223_388
; %bb.387:
	v_lshlrev_b32_e32 v4, 16, v3
	v_cvt_i32_f32_e32 v4, v4
	global_store_dword v[0:1], v4, off
.LBB223_388:
	s_mov_b64 s[22:23], 0
.LBB223_389:
	s_andn2_b64 vcc, exec, s[22:23]
	s_cbranch_vccnz .LBB223_391
; %bb.390:
	v_lshlrev_b32_e32 v4, 16, v3
	v_cvt_i32_f32_e32 v4, v4
	global_store_short v[0:1], v4, off
.LBB223_391:
	s_mov_b64 s[22:23], 0
.LBB223_392:
	s_andn2_b64 vcc, exec, s[22:23]
	s_cbranch_vccnz .LBB223_397
; %bb.393:
	s_mov_b64 s[22:23], -1
	s_cmp_gt_i32 s26, 0
	v_lshlrev_b32_e32 v3, 16, v3
	s_cbranch_scc0 .LBB223_395
; %bb.394:
	v_cvt_i32_f32_e32 v4, v3
	s_mov_b64 s[22:23], 0
	global_store_byte v[0:1], v4, off
.LBB223_395:
	s_andn2_b64 vcc, exec, s[22:23]
	s_cbranch_vccnz .LBB223_397
; %bb.396:
	v_trunc_f32_e32 v3, v3
	s_mov_b32 s22, 0x2f800000
	v_mul_f32_e64 v4, |v3|, s22
	v_floor_f32_e32 v4, v4
	s_mov_b32 s22, 0xcf800000
	v_fma_f32 v4, v4, s22, |v3|
	v_cvt_u32_f32_e32 v4, v4
	v_ashrrev_i32_e32 v3, 31, v3
	v_xor_b32_e32 v4, v4, v3
	v_sub_u32_e32 v3, v4, v3
	global_store_byte v[0:1], v3, off
.LBB223_397:
	s_mov_b64 s[22:23], -1
.LBB223_398:
	s_andn2_b64 vcc, exec, s[22:23]
	s_cbranch_vccnz .LBB223_400
; %bb.399:
	v_add_u32_e32 v2, 0x80, v2
	s_mov_b64 s[26:27], -1
	s_branch .LBB223_513
.LBB223_400:
	s_mov_b64 s[26:27], 0
	s_branch .LBB223_512
.LBB223_401:
	s_mov_b64 s[20:21], -1
                                        ; implicit-def: $vgpr3
.LBB223_402:
	s_mov_b64 s[22:23], 0
.LBB223_403:
	s_and_b64 vcc, exec, s[22:23]
	s_cbranch_vccz .LBB223_407
; %bb.404:
	s_cmp_eq_u32 s28, 29
	s_cbranch_scc0 .LBB223_406
; %bb.405:
	global_load_dwordx2 v[3:4], v[0:1], off
	s_movk_i32 s20, 0x7fff
	s_mov_b64 s[2:3], -1
	s_mov_b64 s[22:23], 0
	s_waitcnt vmcnt(0)
	v_ffbh_u32_e32 v5, v4
	v_min_u32_e32 v5, 32, v5
	v_lshlrev_b64 v[3:4], v5, v[3:4]
	v_min_u32_e32 v3, 1, v3
	v_or_b32_e32 v3, v4, v3
	v_cvt_f32_u32_e32 v3, v3
	v_sub_u32_e32 v4, 32, v5
	v_ldexp_f32 v3, v3, v4
	v_bfe_u32 v4, v3, 16, 1
	v_add3_u32 v3, v3, v4, s20
	v_lshrrev_b32_e32 v3, 16, v3
	s_mov_b64 s[20:21], 0
	s_branch .LBB223_408
.LBB223_406:
	s_mov_b64 s[20:21], -1
                                        ; implicit-def: $vgpr3
.LBB223_407:
	s_mov_b64 s[22:23], 0
.LBB223_408:
	s_and_b64 vcc, exec, s[22:23]
	s_cbranch_vccz .LBB223_426
; %bb.409:
	s_cmp_lt_i32 s28, 27
	s_cbranch_scc1 .LBB223_412
; %bb.410:
	s_cmp_gt_i32 s28, 27
	s_cbranch_scc0 .LBB223_413
; %bb.411:
	global_load_dword v3, v[0:1], off
	s_movk_i32 s2, 0x7fff
	s_waitcnt vmcnt(0)
	v_cvt_f32_u32_e32 v3, v3
	v_bfe_u32 v4, v3, 16, 1
	v_add3_u32 v3, v3, v4, s2
	v_lshrrev_b32_e32 v3, 16, v3
	s_mov_b64 s[2:3], 0
	s_branch .LBB223_414
.LBB223_412:
	s_mov_b64 s[2:3], -1
                                        ; implicit-def: $vgpr3
	s_branch .LBB223_417
.LBB223_413:
	s_mov_b64 s[2:3], -1
                                        ; implicit-def: $vgpr3
.LBB223_414:
	s_andn2_b64 vcc, exec, s[2:3]
	s_cbranch_vccnz .LBB223_416
; %bb.415:
	global_load_ushort v3, v[0:1], off
	s_movk_i32 s2, 0x7fff
	s_waitcnt vmcnt(0)
	v_cvt_f32_u32_e32 v3, v3
	v_bfe_u32 v4, v3, 16, 1
	v_add3_u32 v3, v3, v4, s2
	v_lshrrev_b32_e32 v3, 16, v3
.LBB223_416:
	s_mov_b64 s[2:3], 0
.LBB223_417:
	s_andn2_b64 vcc, exec, s[2:3]
	s_cbranch_vccnz .LBB223_425
; %bb.418:
	global_load_ubyte v3, v[0:1], off
	s_movk_i32 s2, 0x7f
	s_waitcnt vmcnt(0)
	v_cmp_lt_i16_e32 vcc, s2, v3
	s_mov_b64 s[2:3], 0
	s_and_saveexec_b64 s[22:23], vcc
	s_xor_b64 s[22:23], exec, s[22:23]
	s_cbranch_execz .LBB223_439
; %bb.419:
	s_movk_i32 s2, 0x80
	v_cmp_eq_u16_e32 vcc, s2, v3
	s_mov_b64 s[2:3], -1
	s_and_saveexec_b64 s[26:27], vcc
; %bb.420:
	s_xor_b64 s[2:3], exec, -1
; %bb.421:
	s_or_b64 exec, exec, s[26:27]
	s_and_b64 s[2:3], s[2:3], exec
	s_or_saveexec_b64 s[22:23], s[22:23]
	v_mov_b32_e32 v4, 0x7f800001
	s_xor_b64 exec, exec, s[22:23]
	s_cbranch_execnz .LBB223_440
.LBB223_422:
	s_or_b64 exec, exec, s[22:23]
	s_and_saveexec_b64 s[22:23], s[2:3]
	s_cbranch_execz .LBB223_424
.LBB223_423:
	v_lshlrev_b32_e32 v4, 24, v3
	v_and_b32_e32 v3, 0xffff, v3
	v_and_b32_e32 v5, 7, v3
	v_ffbh_u32_e32 v7, v5
	v_min_u32_e32 v7, 32, v7
	v_subrev_u32_e32 v8, 28, v7
	v_bfe_u32 v6, v3, 3, 4
	v_lshlrev_b32_e32 v3, v8, v3
	v_sub_u32_e32 v7, 29, v7
	v_and_b32_e32 v3, 7, v3
	v_cmp_eq_u32_e32 vcc, 0, v6
	v_cndmask_b32_e32 v6, v6, v7, vcc
	v_cndmask_b32_e32 v3, v5, v3, vcc
	v_mov_b32_e32 v5, 0x3b800000
	v_lshlrev_b32_e32 v3, 20, v3
	v_and_b32_e32 v4, 0x80000000, v4
	v_lshl_add_u32 v5, v6, 23, v5
	v_or3_b32 v4, v4, v5, v3
.LBB223_424:
	s_or_b64 exec, exec, s[22:23]
	v_bfe_u32 v3, v4, 16, 1
	s_movk_i32 s2, 0x7fff
	v_add3_u32 v3, v4, v3, s2
	v_cmp_o_f32_e32 vcc, v4, v4
	v_mov_b32_e32 v4, 0x7fc0
	v_cndmask_b32_sdwa v3, v4, v3, vcc dst_sel:DWORD dst_unused:UNUSED_PAD src0_sel:DWORD src1_sel:WORD_1
.LBB223_425:
	s_mov_b64 s[2:3], -1
.LBB223_426:
	s_mov_b64 s[22:23], 0
.LBB223_427:
	s_and_b64 vcc, exec, s[22:23]
	s_cbranch_vccz .LBB223_462
; %bb.428:
	s_cmp_gt_i32 s28, 22
	s_cbranch_scc0 .LBB223_438
; %bb.429:
	s_cmp_lt_i32 s28, 24
	s_cbranch_scc1 .LBB223_441
; %bb.430:
	s_cmp_gt_i32 s28, 24
	s_cbranch_scc0 .LBB223_442
; %bb.431:
	global_load_ubyte v3, v[0:1], off
	s_movk_i32 s2, 0x7f
	s_waitcnt vmcnt(0)
	v_cmp_lt_i16_e32 vcc, s2, v3
	s_mov_b64 s[2:3], 0
	s_and_saveexec_b64 s[22:23], vcc
	s_xor_b64 s[22:23], exec, s[22:23]
	s_cbranch_execz .LBB223_454
; %bb.432:
	s_movk_i32 s2, 0x80
	v_cmp_eq_u16_e32 vcc, s2, v3
	s_mov_b64 s[2:3], -1
	s_and_saveexec_b64 s[26:27], vcc
; %bb.433:
	s_xor_b64 s[2:3], exec, -1
; %bb.434:
	s_or_b64 exec, exec, s[26:27]
	s_and_b64 s[2:3], s[2:3], exec
	s_or_saveexec_b64 s[22:23], s[22:23]
	v_mov_b32_e32 v4, 0x7f800001
	s_xor_b64 exec, exec, s[22:23]
	s_cbranch_execnz .LBB223_455
.LBB223_435:
	s_or_b64 exec, exec, s[22:23]
	s_and_saveexec_b64 s[22:23], s[2:3]
	s_cbranch_execz .LBB223_437
.LBB223_436:
	v_lshlrev_b32_e32 v4, 24, v3
	v_and_b32_e32 v3, 0xffff, v3
	v_and_b32_e32 v5, 3, v3
	v_ffbh_u32_e32 v7, v5
	v_min_u32_e32 v7, 32, v7
	v_subrev_u32_e32 v8, 29, v7
	v_bfe_u32 v6, v3, 2, 5
	v_lshlrev_b32_e32 v3, v8, v3
	v_sub_u32_e32 v7, 30, v7
	v_and_b32_e32 v3, 3, v3
	v_cmp_eq_u32_e32 vcc, 0, v6
	v_cndmask_b32_e32 v6, v6, v7, vcc
	v_cndmask_b32_e32 v3, v5, v3, vcc
	v_mov_b32_e32 v5, 0x37800000
	v_lshlrev_b32_e32 v3, 21, v3
	v_and_b32_e32 v4, 0x80000000, v4
	v_lshl_add_u32 v5, v6, 23, v5
	v_or3_b32 v4, v4, v5, v3
.LBB223_437:
	s_or_b64 exec, exec, s[22:23]
	v_bfe_u32 v3, v4, 16, 1
	s_movk_i32 s2, 0x7fff
	v_add3_u32 v3, v4, v3, s2
	v_cmp_o_f32_e32 vcc, v4, v4
	v_mov_b32_e32 v4, 0x7fc0
	v_cndmask_b32_sdwa v3, v4, v3, vcc dst_sel:DWORD dst_unused:UNUSED_PAD src0_sel:DWORD src1_sel:WORD_1
	s_mov_b64 s[2:3], 0
	s_branch .LBB223_443
.LBB223_438:
	s_mov_b64 s[22:23], -1
                                        ; implicit-def: $vgpr3
	s_branch .LBB223_449
.LBB223_439:
	s_or_saveexec_b64 s[22:23], s[22:23]
	v_mov_b32_e32 v4, 0x7f800001
	s_xor_b64 exec, exec, s[22:23]
	s_cbranch_execz .LBB223_422
.LBB223_440:
	v_cmp_ne_u16_e32 vcc, 0, v3
	s_andn2_b64 s[2:3], s[2:3], exec
	s_and_b64 s[26:27], vcc, exec
	v_mov_b32_e32 v4, 0
	s_or_b64 s[2:3], s[2:3], s[26:27]
	s_or_b64 exec, exec, s[22:23]
	s_and_saveexec_b64 s[22:23], s[2:3]
	s_cbranch_execnz .LBB223_423
	s_branch .LBB223_424
.LBB223_441:
	s_mov_b64 s[2:3], -1
                                        ; implicit-def: $vgpr3
	s_branch .LBB223_446
.LBB223_442:
	s_mov_b64 s[2:3], -1
                                        ; implicit-def: $vgpr3
.LBB223_443:
	s_and_b64 vcc, exec, s[2:3]
	s_cbranch_vccz .LBB223_445
; %bb.444:
	global_load_ubyte v3, v[0:1], off
	s_mov_b32 s2, 0x7f800000
	s_brev_b32 s3, 1
	s_movk_i32 s22, 0x7fff
	s_waitcnt vmcnt(0)
	v_lshlrev_b32_e32 v3, 24, v3
	v_and_b32_e32 v4, 0x7f000000, v3
	v_ffbh_u32_e32 v5, v4
	v_min_u32_e32 v5, 32, v5
	v_sub_u32_e64 v5, v5, 4 clamp
	v_lshlrev_b32_e32 v7, v5, v4
	v_lshlrev_b32_e32 v5, 23, v5
	v_lshrrev_b32_e32 v7, 4, v7
	v_add_u32_e32 v6, 0x1000000, v4
	v_sub_u32_e32 v5, v7, v5
	v_ashrrev_i32_e32 v6, 8, v6
	v_add_u32_e32 v5, 0x3c000000, v5
	v_and_or_b32 v5, v6, s2, v5
	v_cmp_ne_u32_e32 vcc, 0, v4
	v_cndmask_b32_e32 v4, 0, v5, vcc
	v_and_or_b32 v3, v3, s3, v4
	v_bfe_u32 v4, v4, 16, 1
	v_add3_u32 v4, v3, v4, s22
	v_cmp_o_f32_e32 vcc, v3, v3
	v_mov_b32_e32 v3, 0x7fc0
	v_cndmask_b32_sdwa v3, v3, v4, vcc dst_sel:DWORD dst_unused:UNUSED_PAD src0_sel:DWORD src1_sel:WORD_1
.LBB223_445:
	s_mov_b64 s[2:3], 0
.LBB223_446:
	s_andn2_b64 vcc, exec, s[2:3]
	s_cbranch_vccnz .LBB223_448
; %bb.447:
	global_load_ubyte v3, v[0:1], off
	s_movk_i32 s2, 0x7f00
	s_brev_b32 s3, 16
	s_brev_b32 s22, 1
	s_movk_i32 s23, 0x7fff
	s_waitcnt vmcnt(0)
	v_lshlrev_b16_e32 v4, 8, v3
	v_lshlrev_b32_e32 v3, 25, v3
	v_lshrrev_b32_e32 v5, 4, v3
	v_and_or_b32 v6, v4, s2, 0.5
	v_or_b32_e32 v5, 0x70000000, v5
	v_add_f32_e32 v6, -0.5, v6
	v_mul_f32_e32 v5, 0x7800000, v5
	v_cmp_gt_u32_e32 vcc, s3, v3
	v_bfe_i32 v4, v4, 0, 16
	v_cndmask_b32_e32 v3, v5, v6, vcc
	v_and_or_b32 v4, v4, s22, v3
	v_bfe_u32 v3, v3, 16, 1
	v_add3_u32 v3, v4, v3, s23
	v_cmp_o_f32_e32 vcc, v4, v4
	v_mov_b32_e32 v4, 0x7fc0
	v_cndmask_b32_sdwa v3, v4, v3, vcc dst_sel:DWORD dst_unused:UNUSED_PAD src0_sel:DWORD src1_sel:WORD_1
.LBB223_448:
	s_mov_b64 s[22:23], 0
	s_mov_b64 s[2:3], -1
.LBB223_449:
	s_andn2_b64 vcc, exec, s[22:23]
	s_cbranch_vccnz .LBB223_462
; %bb.450:
	s_cmp_gt_i32 s28, 14
	s_cbranch_scc0 .LBB223_453
; %bb.451:
	s_cmp_eq_u32 s28, 15
	s_cbranch_scc0 .LBB223_456
; %bb.452:
	global_load_ushort v3, v[0:1], off
	s_mov_b64 s[2:3], -1
	s_mov_b64 s[20:21], 0
	s_branch .LBB223_457
.LBB223_453:
	s_mov_b64 s[22:23], -1
                                        ; implicit-def: $vgpr3
	s_branch .LBB223_458
.LBB223_454:
	s_or_saveexec_b64 s[22:23], s[22:23]
	v_mov_b32_e32 v4, 0x7f800001
	s_xor_b64 exec, exec, s[22:23]
	s_cbranch_execz .LBB223_435
.LBB223_455:
	v_cmp_ne_u16_e32 vcc, 0, v3
	s_andn2_b64 s[2:3], s[2:3], exec
	s_and_b64 s[26:27], vcc, exec
	v_mov_b32_e32 v4, 0
	s_or_b64 s[2:3], s[2:3], s[26:27]
	s_or_b64 exec, exec, s[22:23]
	s_and_saveexec_b64 s[22:23], s[2:3]
	s_cbranch_execnz .LBB223_436
	s_branch .LBB223_437
.LBB223_456:
	s_mov_b64 s[20:21], -1
                                        ; implicit-def: $vgpr3
.LBB223_457:
	s_mov_b64 s[22:23], 0
.LBB223_458:
	s_and_b64 vcc, exec, s[22:23]
	s_cbranch_vccz .LBB223_462
; %bb.459:
	s_cmp_eq_u32 s28, 11
	s_cbranch_scc0 .LBB223_461
; %bb.460:
	global_load_ubyte v3, v[0:1], off
	s_mov_b64 s[2:3], -1
	s_mov_b64 s[20:21], 0
	s_waitcnt vmcnt(0)
	v_cmp_ne_u16_e32 vcc, 0, v3
	v_cndmask_b32_e64 v3, 0, 1.0, vcc
	v_lshrrev_b32_e32 v3, 16, v3
	s_branch .LBB223_462
.LBB223_461:
	s_mov_b64 s[20:21], -1
                                        ; implicit-def: $vgpr3
.LBB223_462:
	s_branch .LBB223_265
.LBB223_463:
	s_cmp_lt_i32 s28, 5
	s_cbranch_scc1 .LBB223_468
; %bb.464:
	s_cmp_lt_i32 s28, 8
	s_cbranch_scc1 .LBB223_469
; %bb.465:
	;; [unrolled: 3-line block ×3, first 2 shown]
	s_cmp_gt_i32 s28, 9
	s_cbranch_scc0 .LBB223_471
; %bb.467:
	global_load_dwordx2 v[3:4], v[0:1], off
	s_movk_i32 s2, 0x7fff
	s_waitcnt vmcnt(0)
	v_cvt_f32_f64_e32 v3, v[3:4]
	v_mov_b32_e32 v4, 0x7fc0
	v_bfe_u32 v5, v3, 16, 1
	v_cmp_o_f32_e32 vcc, v3, v3
	v_add3_u32 v3, v3, v5, s2
	v_cndmask_b32_sdwa v3, v4, v3, vcc dst_sel:DWORD dst_unused:UNUSED_PAD src0_sel:DWORD src1_sel:WORD_1
	s_mov_b64 s[2:3], 0
	s_branch .LBB223_472
.LBB223_468:
	s_mov_b64 s[2:3], -1
                                        ; implicit-def: $vgpr3
	s_branch .LBB223_490
.LBB223_469:
	s_mov_b64 s[2:3], -1
                                        ; implicit-def: $vgpr3
	s_branch .LBB223_478
.LBB223_470:
	s_mov_b64 s[2:3], -1
                                        ; implicit-def: $vgpr3
	s_branch .LBB223_475
.LBB223_471:
	s_mov_b64 s[2:3], -1
                                        ; implicit-def: $vgpr3
.LBB223_472:
	s_andn2_b64 vcc, exec, s[2:3]
	s_cbranch_vccnz .LBB223_474
; %bb.473:
	global_load_dword v3, v[0:1], off
	s_movk_i32 s2, 0x7fff
	v_mov_b32_e32 v4, 0x7fc0
	s_waitcnt vmcnt(0)
	v_bfe_u32 v5, v3, 16, 1
	v_cmp_o_f32_e32 vcc, v3, v3
	v_add3_u32 v3, v3, v5, s2
	v_cndmask_b32_sdwa v3, v4, v3, vcc dst_sel:DWORD dst_unused:UNUSED_PAD src0_sel:DWORD src1_sel:WORD_1
.LBB223_474:
	s_mov_b64 s[2:3], 0
.LBB223_475:
	s_andn2_b64 vcc, exec, s[2:3]
	s_cbranch_vccnz .LBB223_477
; %bb.476:
	global_load_dword v3, v[0:1], off
	s_movk_i32 s2, 0x7fff
	v_mov_b32_e32 v5, 0x7fc0
	s_waitcnt vmcnt(0)
	v_cvt_f32_f16_e32 v4, v3
	v_cmp_o_f16_e32 vcc, v3, v3
	v_bfe_u32 v3, v4, 16, 1
	v_add3_u32 v3, v4, v3, s2
	v_cndmask_b32_sdwa v3, v5, v3, vcc dst_sel:DWORD dst_unused:UNUSED_PAD src0_sel:DWORD src1_sel:WORD_1
.LBB223_477:
	s_mov_b64 s[2:3], 0
.LBB223_478:
	s_andn2_b64 vcc, exec, s[2:3]
	s_cbranch_vccnz .LBB223_489
; %bb.479:
	s_cmp_lt_i32 s28, 6
	s_cbranch_scc1 .LBB223_482
; %bb.480:
	s_cmp_gt_i32 s28, 6
	s_cbranch_scc0 .LBB223_483
; %bb.481:
	global_load_dwordx2 v[3:4], v[0:1], off
	s_movk_i32 s2, 0x7fff
	s_waitcnt vmcnt(0)
	v_cvt_f32_f64_e32 v3, v[3:4]
	v_mov_b32_e32 v4, 0x7fc0
	v_bfe_u32 v5, v3, 16, 1
	v_cmp_o_f32_e32 vcc, v3, v3
	v_add3_u32 v3, v3, v5, s2
	v_cndmask_b32_sdwa v3, v4, v3, vcc dst_sel:DWORD dst_unused:UNUSED_PAD src0_sel:DWORD src1_sel:WORD_1
	s_mov_b64 s[2:3], 0
	s_branch .LBB223_484
.LBB223_482:
	s_mov_b64 s[2:3], -1
                                        ; implicit-def: $vgpr3
	s_branch .LBB223_487
.LBB223_483:
	s_mov_b64 s[2:3], -1
                                        ; implicit-def: $vgpr3
.LBB223_484:
	s_andn2_b64 vcc, exec, s[2:3]
	s_cbranch_vccnz .LBB223_486
; %bb.485:
	global_load_dword v3, v[0:1], off
	s_movk_i32 s2, 0x7fff
	v_mov_b32_e32 v4, 0x7fc0
	s_waitcnt vmcnt(0)
	v_bfe_u32 v5, v3, 16, 1
	v_cmp_o_f32_e32 vcc, v3, v3
	v_add3_u32 v3, v3, v5, s2
	v_cndmask_b32_sdwa v3, v4, v3, vcc dst_sel:DWORD dst_unused:UNUSED_PAD src0_sel:DWORD src1_sel:WORD_1
.LBB223_486:
	s_mov_b64 s[2:3], 0
.LBB223_487:
	s_andn2_b64 vcc, exec, s[2:3]
	s_cbranch_vccnz .LBB223_489
; %bb.488:
	global_load_ushort v3, v[0:1], off
	s_movk_i32 s2, 0x7fff
	v_mov_b32_e32 v5, 0x7fc0
	s_waitcnt vmcnt(0)
	v_cvt_f32_f16_e32 v4, v3
	v_cmp_o_f16_e32 vcc, v3, v3
	v_bfe_u32 v3, v4, 16, 1
	v_add3_u32 v3, v4, v3, s2
	v_cndmask_b32_sdwa v3, v5, v3, vcc dst_sel:DWORD dst_unused:UNUSED_PAD src0_sel:DWORD src1_sel:WORD_1
.LBB223_489:
	s_mov_b64 s[2:3], 0
.LBB223_490:
	s_andn2_b64 vcc, exec, s[2:3]
	s_cbranch_vccnz .LBB223_510
; %bb.491:
	s_cmp_lt_i32 s28, 2
	s_cbranch_scc1 .LBB223_495
; %bb.492:
	s_cmp_lt_i32 s28, 3
	s_cbranch_scc1 .LBB223_496
; %bb.493:
	s_cmp_gt_i32 s28, 3
	s_cbranch_scc0 .LBB223_497
; %bb.494:
	global_load_dwordx2 v[3:4], v[0:1], off
	s_movk_i32 s2, 0x7fff
	s_waitcnt vmcnt(0)
	v_xor_b32_e32 v6, v3, v4
	v_ffbh_i32_e32 v5, v4
	v_ashrrev_i32_e32 v6, 31, v6
	v_add_u32_e32 v5, -1, v5
	v_add_u32_e32 v6, 32, v6
	v_min_u32_e32 v5, v5, v6
	v_lshlrev_b64 v[3:4], v5, v[3:4]
	v_min_u32_e32 v3, 1, v3
	v_or_b32_e32 v3, v4, v3
	v_cvt_f32_i32_e32 v3, v3
	v_sub_u32_e32 v4, 32, v5
	v_ldexp_f32 v3, v3, v4
	v_bfe_u32 v4, v3, 16, 1
	v_add3_u32 v3, v3, v4, s2
	v_lshrrev_b32_e32 v3, 16, v3
	s_mov_b64 s[2:3], 0
	s_branch .LBB223_498
.LBB223_495:
	s_mov_b64 s[2:3], -1
                                        ; implicit-def: $vgpr3
	s_branch .LBB223_504
.LBB223_496:
	s_mov_b64 s[2:3], -1
                                        ; implicit-def: $vgpr3
	s_branch .LBB223_501
.LBB223_497:
	s_mov_b64 s[2:3], -1
                                        ; implicit-def: $vgpr3
.LBB223_498:
	s_andn2_b64 vcc, exec, s[2:3]
	s_cbranch_vccnz .LBB223_500
; %bb.499:
	global_load_dword v3, v[0:1], off
	s_movk_i32 s2, 0x7fff
	s_waitcnt vmcnt(0)
	v_cvt_f32_i32_e32 v3, v3
	v_bfe_u32 v4, v3, 16, 1
	v_add3_u32 v3, v3, v4, s2
	v_lshrrev_b32_e32 v3, 16, v3
.LBB223_500:
	s_mov_b64 s[2:3], 0
.LBB223_501:
	s_andn2_b64 vcc, exec, s[2:3]
	s_cbranch_vccnz .LBB223_503
; %bb.502:
	global_load_sshort v3, v[0:1], off
	s_movk_i32 s2, 0x7fff
	s_waitcnt vmcnt(0)
	v_cvt_f32_i32_e32 v3, v3
	v_bfe_u32 v4, v3, 16, 1
	v_add3_u32 v3, v3, v4, s2
	v_lshrrev_b32_e32 v3, 16, v3
.LBB223_503:
	s_mov_b64 s[2:3], 0
.LBB223_504:
	s_andn2_b64 vcc, exec, s[2:3]
	s_cbranch_vccnz .LBB223_510
; %bb.505:
	s_cmp_gt_i32 s28, 0
	s_cbranch_scc0 .LBB223_507
; %bb.506:
	global_load_sbyte v3, v[0:1], off
	s_movk_i32 s2, 0x7fff
	s_waitcnt vmcnt(0)
	v_cvt_f32_i32_e32 v3, v3
	v_bfe_u32 v4, v3, 16, 1
	v_add3_u32 v3, v3, v4, s2
	v_lshrrev_b32_e32 v3, 16, v3
	s_mov_b64 s[2:3], 0
	s_branch .LBB223_508
.LBB223_507:
	s_mov_b64 s[2:3], -1
                                        ; implicit-def: $vgpr3
.LBB223_508:
	s_andn2_b64 vcc, exec, s[2:3]
	s_cbranch_vccnz .LBB223_510
; %bb.509:
	global_load_ubyte v0, v[0:1], off
	s_movk_i32 s2, 0x7fff
	s_waitcnt vmcnt(0)
	v_cvt_f32_ubyte0_e32 v0, v0
	v_bfe_u32 v1, v0, 16, 1
	v_add3_u32 v0, v0, v1, s2
	v_lshrrev_b32_e32 v3, 16, v0
.LBB223_510:
	s_branch .LBB223_266
.LBB223_511:
	s_mov_b64 s[26:27], 0
	s_mov_b64 s[2:3], s[14:15]
.LBB223_512:
                                        ; implicit-def: $vgpr2
.LBB223_513:
	s_andn2_b64 s[22:23], s[14:15], exec
	s_and_b64 s[2:3], s[2:3], exec
	s_or_b64 s[22:23], s[22:23], s[2:3]
	s_andn2_b64 s[2:3], s[16:17], exec
	s_and_b64 s[20:21], s[20:21], exec
	s_or_b64 s[20:21], s[2:3], s[20:21]
	s_orn2_b64 s[2:3], s[26:27], exec
.LBB223_514:
	s_or_b64 exec, exec, s[24:25]
	s_mov_b64 s[28:29], 0
	s_mov_b64 s[26:27], 0
	;; [unrolled: 1-line block ×3, first 2 shown]
                                        ; implicit-def: $vgpr0_vgpr1
                                        ; implicit-def: $vgpr4
	s_and_saveexec_b64 s[24:25], s[2:3]
	s_cbranch_execz .LBB223_860
; %bb.515:
	v_cmp_gt_i32_e32 vcc, s40, v2
	s_mov_b64 s[36:37], -1
	s_mov_b64 s[2:3], s[20:21]
	s_mov_b64 s[30:31], s[22:23]
	s_and_saveexec_b64 s[26:27], vcc
	s_cbranch_execz .LBB223_774
; %bb.516:
	v_mul_lo_u32 v0, v2, s13
	v_mov_b32_e32 v1, s11
	s_and_b32 s36, 0xffff, s47
	s_cmp_lt_i32 s36, 11
	s_waitcnt vmcnt(0)
	v_ashrrev_i32_e32 v3, 31, v0
	v_add_co_u32_e32 v0, vcc, s10, v0
	v_addc_co_u32_e32 v1, vcc, v1, v3, vcc
	s_cbranch_scc1 .LBB223_523
; %bb.517:
	s_cmp_gt_i32 s36, 25
	s_cbranch_scc0 .LBB223_524
; %bb.518:
	s_cmp_gt_i32 s36, 28
	s_cbranch_scc0 .LBB223_525
	;; [unrolled: 3-line block ×4, first 2 shown]
; %bb.521:
	s_cmp_eq_u32 s36, 46
	s_mov_b64 s[30:31], 0
	s_cbranch_scc0 .LBB223_532
; %bb.522:
	global_load_dword v3, v[0:1], off
	s_mov_b64 s[2:3], -1
	s_branch .LBB223_533
.LBB223_523:
	s_mov_b64 s[30:31], -1
	s_mov_b64 s[2:3], 0
                                        ; implicit-def: $vgpr3
	s_mov_b64 s[28:29], s[20:21]
	s_branch .LBB223_598
.LBB223_524:
	s_mov_b64 s[30:31], -1
	s_mov_b64 s[2:3], 0
	s_mov_b64 s[28:29], s[20:21]
                                        ; implicit-def: $vgpr3
	s_branch .LBB223_562
.LBB223_525:
	s_mov_b64 s[30:31], -1
	s_mov_b64 s[2:3], 0
	s_mov_b64 s[28:29], s[20:21]
                                        ; implicit-def: $vgpr3
	s_branch .LBB223_543
.LBB223_526:
	s_mov_b64 s[30:31], -1
	s_mov_b64 s[2:3], 0
	s_mov_b64 s[28:29], s[20:21]
                                        ; implicit-def: $vgpr3
	s_branch .LBB223_538
.LBB223_527:
	s_andn2_saveexec_b64 s[28:29], s[28:29]
	s_cbranch_execz .LBB223_311
.LBB223_528:
	s_mov_b32 s34, 0x46000000
	v_add_f32_e64 v5, |v6|, s34
	v_and_b32_e32 v5, 0xff, v5
	v_cmp_ne_u32_e32 vcc, 0, v5
	s_andn2_b64 s[26:27], s[26:27], exec
	s_and_b64 s[34:35], vcc, exec
	s_or_b64 s[26:27], s[26:27], s[34:35]
	s_or_b64 exec, exec, s[28:29]
	v_mov_b32_e32 v7, 0
	s_and_saveexec_b64 s[28:29], s[26:27]
	s_cbranch_execnz .LBB223_312
	s_branch .LBB223_313
.LBB223_529:
	s_mov_b64 s[30:31], -1
	s_mov_b64 s[2:3], 0
	s_mov_b64 s[28:29], s[20:21]
                                        ; implicit-def: $vgpr3
	s_branch .LBB223_533
.LBB223_530:
	s_andn2_saveexec_b64 s[28:29], s[28:29]
	s_cbranch_execz .LBB223_324
.LBB223_531:
	s_mov_b32 s34, 0x42800000
	v_add_f32_e64 v5, |v6|, s34
	v_and_b32_e32 v5, 0xff, v5
	v_cmp_ne_u32_e32 vcc, 0, v5
	s_andn2_b64 s[26:27], s[26:27], exec
	s_and_b64 s[34:35], vcc, exec
	s_or_b64 s[26:27], s[26:27], s[34:35]
	s_or_b64 exec, exec, s[28:29]
	v_mov_b32_e32 v7, 0
	s_and_saveexec_b64 s[28:29], s[26:27]
	s_cbranch_execnz .LBB223_325
	s_branch .LBB223_326
.LBB223_532:
	s_mov_b64 s[28:29], -1
                                        ; implicit-def: $vgpr3
	s_mov_b64 s[2:3], 0
.LBB223_533:
	s_and_b64 vcc, exec, s[30:31]
	s_cbranch_vccz .LBB223_537
; %bb.534:
	s_cmp_eq_u32 s36, 44
	s_cbranch_scc0 .LBB223_536
; %bb.535:
	global_load_ubyte v3, v[0:1], off
	s_movk_i32 s28, 0xff
	v_mov_b32_e32 v4, 0x7f800001
	v_mov_b32_e32 v5, 0x400000
	;; [unrolled: 1-line block ×3, first 2 shown]
	s_mov_b64 s[2:3], -1
	s_waitcnt vmcnt(0)
	v_lshlrev_b32_e32 v7, 23, v3
	v_cmp_ne_u32_e32 vcc, s28, v3
	v_cndmask_b32_e32 v4, v4, v7, vcc
	v_cmp_ne_u32_e32 vcc, 0, v3
	v_cndmask_b32_e32 v3, v5, v4, vcc
	v_add_u32_e32 v4, 0x7fff, v3
	v_cmp_o_f32_e32 vcc, v3, v3
	v_cndmask_b32_sdwa v3, v6, v4, vcc dst_sel:DWORD dst_unused:UNUSED_PAD src0_sel:DWORD src1_sel:WORD_1
	s_mov_b64 s[28:29], 0
	s_branch .LBB223_537
.LBB223_536:
	s_mov_b64 s[28:29], -1
                                        ; implicit-def: $vgpr3
.LBB223_537:
	s_mov_b64 s[30:31], 0
.LBB223_538:
	s_and_b64 vcc, exec, s[30:31]
	s_cbranch_vccz .LBB223_542
; %bb.539:
	s_cmp_eq_u32 s36, 29
	s_cbranch_scc0 .LBB223_541
; %bb.540:
	global_load_dwordx2 v[3:4], v[0:1], off
	s_movk_i32 s28, 0x7fff
	s_mov_b64 s[2:3], -1
	s_mov_b64 s[30:31], 0
	s_waitcnt vmcnt(0)
	v_ffbh_u32_e32 v5, v4
	v_min_u32_e32 v5, 32, v5
	v_lshlrev_b64 v[3:4], v5, v[3:4]
	v_min_u32_e32 v3, 1, v3
	v_or_b32_e32 v3, v4, v3
	v_cvt_f32_u32_e32 v3, v3
	v_sub_u32_e32 v4, 32, v5
	v_ldexp_f32 v3, v3, v4
	v_bfe_u32 v4, v3, 16, 1
	v_add3_u32 v3, v3, v4, s28
	v_lshrrev_b32_e32 v3, 16, v3
	s_mov_b64 s[28:29], 0
	s_branch .LBB223_543
.LBB223_541:
	s_mov_b64 s[28:29], -1
                                        ; implicit-def: $vgpr3
.LBB223_542:
	s_mov_b64 s[30:31], 0
.LBB223_543:
	s_and_b64 vcc, exec, s[30:31]
	s_cbranch_vccz .LBB223_561
; %bb.544:
	s_cmp_lt_i32 s36, 27
	s_cbranch_scc1 .LBB223_547
; %bb.545:
	s_cmp_gt_i32 s36, 27
	s_cbranch_scc0 .LBB223_548
; %bb.546:
	global_load_dword v3, v[0:1], off
	s_movk_i32 s2, 0x7fff
	s_waitcnt vmcnt(0)
	v_cvt_f32_u32_e32 v3, v3
	v_bfe_u32 v4, v3, 16, 1
	v_add3_u32 v3, v3, v4, s2
	v_lshrrev_b32_e32 v3, 16, v3
	s_mov_b64 s[2:3], 0
	s_branch .LBB223_549
.LBB223_547:
	s_mov_b64 s[2:3], -1
                                        ; implicit-def: $vgpr3
	s_branch .LBB223_552
.LBB223_548:
	s_mov_b64 s[2:3], -1
                                        ; implicit-def: $vgpr3
.LBB223_549:
	s_andn2_b64 vcc, exec, s[2:3]
	s_cbranch_vccnz .LBB223_551
; %bb.550:
	global_load_ushort v3, v[0:1], off
	s_movk_i32 s2, 0x7fff
	s_waitcnt vmcnt(0)
	v_cvt_f32_u32_e32 v3, v3
	v_bfe_u32 v4, v3, 16, 1
	v_add3_u32 v3, v3, v4, s2
	v_lshrrev_b32_e32 v3, 16, v3
.LBB223_551:
	s_mov_b64 s[2:3], 0
.LBB223_552:
	s_andn2_b64 vcc, exec, s[2:3]
	s_cbranch_vccnz .LBB223_560
; %bb.553:
	global_load_ubyte v3, v[0:1], off
	s_movk_i32 s2, 0x7f
	s_waitcnt vmcnt(0)
	v_cmp_lt_i16_e32 vcc, s2, v3
	s_mov_b64 s[2:3], 0
	s_and_saveexec_b64 s[30:31], vcc
	s_xor_b64 s[30:31], exec, s[30:31]
	s_cbranch_execz .LBB223_574
; %bb.554:
	s_movk_i32 s2, 0x80
	v_cmp_eq_u16_e32 vcc, s2, v3
	s_mov_b64 s[2:3], -1
	s_and_saveexec_b64 s[34:35], vcc
; %bb.555:
	s_xor_b64 s[2:3], exec, -1
; %bb.556:
	s_or_b64 exec, exec, s[34:35]
	s_and_b64 s[2:3], s[2:3], exec
	s_or_saveexec_b64 s[30:31], s[30:31]
	v_mov_b32_e32 v4, 0x7f800001
	s_xor_b64 exec, exec, s[30:31]
	s_cbranch_execnz .LBB223_575
.LBB223_557:
	s_or_b64 exec, exec, s[30:31]
	s_and_saveexec_b64 s[30:31], s[2:3]
	s_cbranch_execz .LBB223_559
.LBB223_558:
	v_lshlrev_b32_e32 v4, 24, v3
	v_and_b32_e32 v3, 0xffff, v3
	v_and_b32_e32 v5, 7, v3
	v_ffbh_u32_e32 v7, v5
	v_min_u32_e32 v7, 32, v7
	v_subrev_u32_e32 v8, 28, v7
	v_bfe_u32 v6, v3, 3, 4
	v_lshlrev_b32_e32 v3, v8, v3
	v_sub_u32_e32 v7, 29, v7
	v_and_b32_e32 v3, 7, v3
	v_cmp_eq_u32_e32 vcc, 0, v6
	v_cndmask_b32_e32 v6, v6, v7, vcc
	v_cndmask_b32_e32 v3, v5, v3, vcc
	v_mov_b32_e32 v5, 0x3b800000
	v_lshlrev_b32_e32 v3, 20, v3
	v_and_b32_e32 v4, 0x80000000, v4
	v_lshl_add_u32 v5, v6, 23, v5
	v_or3_b32 v4, v4, v5, v3
.LBB223_559:
	s_or_b64 exec, exec, s[30:31]
	v_bfe_u32 v3, v4, 16, 1
	s_movk_i32 s2, 0x7fff
	v_add3_u32 v3, v4, v3, s2
	v_cmp_o_f32_e32 vcc, v4, v4
	v_mov_b32_e32 v4, 0x7fc0
	v_cndmask_b32_sdwa v3, v4, v3, vcc dst_sel:DWORD dst_unused:UNUSED_PAD src0_sel:DWORD src1_sel:WORD_1
.LBB223_560:
	s_mov_b64 s[2:3], -1
.LBB223_561:
	s_mov_b64 s[30:31], 0
.LBB223_562:
	s_and_b64 vcc, exec, s[30:31]
	s_cbranch_vccz .LBB223_597
; %bb.563:
	s_cmp_gt_i32 s36, 22
	s_cbranch_scc0 .LBB223_573
; %bb.564:
	s_cmp_lt_i32 s36, 24
	s_cbranch_scc1 .LBB223_576
; %bb.565:
	s_cmp_gt_i32 s36, 24
	s_cbranch_scc0 .LBB223_577
; %bb.566:
	global_load_ubyte v3, v[0:1], off
	s_movk_i32 s2, 0x7f
	s_waitcnt vmcnt(0)
	v_cmp_lt_i16_e32 vcc, s2, v3
	s_mov_b64 s[2:3], 0
	s_and_saveexec_b64 s[30:31], vcc
	s_xor_b64 s[30:31], exec, s[30:31]
	s_cbranch_execz .LBB223_589
; %bb.567:
	s_movk_i32 s2, 0x80
	v_cmp_eq_u16_e32 vcc, s2, v3
	s_mov_b64 s[2:3], -1
	s_and_saveexec_b64 s[34:35], vcc
; %bb.568:
	s_xor_b64 s[2:3], exec, -1
; %bb.569:
	s_or_b64 exec, exec, s[34:35]
	s_and_b64 s[2:3], s[2:3], exec
	s_or_saveexec_b64 s[30:31], s[30:31]
	v_mov_b32_e32 v4, 0x7f800001
	s_xor_b64 exec, exec, s[30:31]
	s_cbranch_execnz .LBB223_590
.LBB223_570:
	s_or_b64 exec, exec, s[30:31]
	s_and_saveexec_b64 s[30:31], s[2:3]
	s_cbranch_execz .LBB223_572
.LBB223_571:
	v_lshlrev_b32_e32 v4, 24, v3
	v_and_b32_e32 v3, 0xffff, v3
	v_and_b32_e32 v5, 3, v3
	v_ffbh_u32_e32 v7, v5
	v_min_u32_e32 v7, 32, v7
	v_subrev_u32_e32 v8, 29, v7
	v_bfe_u32 v6, v3, 2, 5
	v_lshlrev_b32_e32 v3, v8, v3
	v_sub_u32_e32 v7, 30, v7
	v_and_b32_e32 v3, 3, v3
	v_cmp_eq_u32_e32 vcc, 0, v6
	v_cndmask_b32_e32 v6, v6, v7, vcc
	v_cndmask_b32_e32 v3, v5, v3, vcc
	v_mov_b32_e32 v5, 0x37800000
	v_lshlrev_b32_e32 v3, 21, v3
	v_and_b32_e32 v4, 0x80000000, v4
	v_lshl_add_u32 v5, v6, 23, v5
	v_or3_b32 v4, v4, v5, v3
.LBB223_572:
	s_or_b64 exec, exec, s[30:31]
	v_bfe_u32 v3, v4, 16, 1
	s_movk_i32 s2, 0x7fff
	v_add3_u32 v3, v4, v3, s2
	v_cmp_o_f32_e32 vcc, v4, v4
	v_mov_b32_e32 v4, 0x7fc0
	v_cndmask_b32_sdwa v3, v4, v3, vcc dst_sel:DWORD dst_unused:UNUSED_PAD src0_sel:DWORD src1_sel:WORD_1
	s_mov_b64 s[2:3], 0
	s_branch .LBB223_578
.LBB223_573:
	s_mov_b64 s[30:31], -1
                                        ; implicit-def: $vgpr3
	s_branch .LBB223_584
.LBB223_574:
	s_or_saveexec_b64 s[30:31], s[30:31]
	v_mov_b32_e32 v4, 0x7f800001
	s_xor_b64 exec, exec, s[30:31]
	s_cbranch_execz .LBB223_557
.LBB223_575:
	v_cmp_ne_u16_e32 vcc, 0, v3
	s_andn2_b64 s[2:3], s[2:3], exec
	s_and_b64 s[34:35], vcc, exec
	v_mov_b32_e32 v4, 0
	s_or_b64 s[2:3], s[2:3], s[34:35]
	s_or_b64 exec, exec, s[30:31]
	s_and_saveexec_b64 s[30:31], s[2:3]
	s_cbranch_execnz .LBB223_558
	s_branch .LBB223_559
.LBB223_576:
	s_mov_b64 s[2:3], -1
                                        ; implicit-def: $vgpr3
	s_branch .LBB223_581
.LBB223_577:
	s_mov_b64 s[2:3], -1
                                        ; implicit-def: $vgpr3
.LBB223_578:
	s_and_b64 vcc, exec, s[2:3]
	s_cbranch_vccz .LBB223_580
; %bb.579:
	global_load_ubyte v3, v[0:1], off
	s_mov_b32 s2, 0x7f800000
	s_brev_b32 s3, 1
	s_movk_i32 s30, 0x7fff
	s_waitcnt vmcnt(0)
	v_lshlrev_b32_e32 v3, 24, v3
	v_and_b32_e32 v4, 0x7f000000, v3
	v_ffbh_u32_e32 v5, v4
	v_min_u32_e32 v5, 32, v5
	v_sub_u32_e64 v5, v5, 4 clamp
	v_lshlrev_b32_e32 v7, v5, v4
	v_lshlrev_b32_e32 v5, 23, v5
	v_lshrrev_b32_e32 v7, 4, v7
	v_add_u32_e32 v6, 0x1000000, v4
	v_sub_u32_e32 v5, v7, v5
	v_ashrrev_i32_e32 v6, 8, v6
	v_add_u32_e32 v5, 0x3c000000, v5
	v_and_or_b32 v5, v6, s2, v5
	v_cmp_ne_u32_e32 vcc, 0, v4
	v_cndmask_b32_e32 v4, 0, v5, vcc
	v_and_or_b32 v3, v3, s3, v4
	v_bfe_u32 v4, v4, 16, 1
	v_add3_u32 v4, v3, v4, s30
	v_cmp_o_f32_e32 vcc, v3, v3
	v_mov_b32_e32 v3, 0x7fc0
	v_cndmask_b32_sdwa v3, v3, v4, vcc dst_sel:DWORD dst_unused:UNUSED_PAD src0_sel:DWORD src1_sel:WORD_1
.LBB223_580:
	s_mov_b64 s[2:3], 0
.LBB223_581:
	s_andn2_b64 vcc, exec, s[2:3]
	s_cbranch_vccnz .LBB223_583
; %bb.582:
	global_load_ubyte v3, v[0:1], off
	s_movk_i32 s2, 0x7f00
	s_brev_b32 s3, 16
	s_brev_b32 s30, 1
	s_movk_i32 s31, 0x7fff
	s_waitcnt vmcnt(0)
	v_lshlrev_b16_e32 v4, 8, v3
	v_lshlrev_b32_e32 v3, 25, v3
	v_lshrrev_b32_e32 v5, 4, v3
	v_and_or_b32 v6, v4, s2, 0.5
	v_or_b32_e32 v5, 0x70000000, v5
	v_add_f32_e32 v6, -0.5, v6
	v_mul_f32_e32 v5, 0x7800000, v5
	v_cmp_gt_u32_e32 vcc, s3, v3
	v_bfe_i32 v4, v4, 0, 16
	v_cndmask_b32_e32 v3, v5, v6, vcc
	v_and_or_b32 v4, v4, s30, v3
	v_bfe_u32 v3, v3, 16, 1
	v_add3_u32 v3, v4, v3, s31
	v_cmp_o_f32_e32 vcc, v4, v4
	v_mov_b32_e32 v4, 0x7fc0
	v_cndmask_b32_sdwa v3, v4, v3, vcc dst_sel:DWORD dst_unused:UNUSED_PAD src0_sel:DWORD src1_sel:WORD_1
.LBB223_583:
	s_mov_b64 s[30:31], 0
	s_mov_b64 s[2:3], -1
.LBB223_584:
	s_andn2_b64 vcc, exec, s[30:31]
	s_cbranch_vccnz .LBB223_597
; %bb.585:
	s_cmp_gt_i32 s36, 14
	s_cbranch_scc0 .LBB223_588
; %bb.586:
	s_cmp_eq_u32 s36, 15
	s_cbranch_scc0 .LBB223_591
; %bb.587:
	global_load_ushort v3, v[0:1], off
	s_mov_b64 s[2:3], -1
	s_mov_b64 s[28:29], 0
	s_branch .LBB223_592
.LBB223_588:
	s_mov_b64 s[30:31], -1
                                        ; implicit-def: $vgpr3
	s_branch .LBB223_593
.LBB223_589:
	s_or_saveexec_b64 s[30:31], s[30:31]
	v_mov_b32_e32 v4, 0x7f800001
	s_xor_b64 exec, exec, s[30:31]
	s_cbranch_execz .LBB223_570
.LBB223_590:
	v_cmp_ne_u16_e32 vcc, 0, v3
	s_andn2_b64 s[2:3], s[2:3], exec
	s_and_b64 s[34:35], vcc, exec
	v_mov_b32_e32 v4, 0
	s_or_b64 s[2:3], s[2:3], s[34:35]
	s_or_b64 exec, exec, s[30:31]
	s_and_saveexec_b64 s[30:31], s[2:3]
	s_cbranch_execnz .LBB223_571
	s_branch .LBB223_572
.LBB223_591:
	s_mov_b64 s[28:29], -1
                                        ; implicit-def: $vgpr3
.LBB223_592:
	s_mov_b64 s[30:31], 0
.LBB223_593:
	s_and_b64 vcc, exec, s[30:31]
	s_cbranch_vccz .LBB223_597
; %bb.594:
	s_cmp_eq_u32 s36, 11
	s_cbranch_scc0 .LBB223_596
; %bb.595:
	global_load_ubyte v3, v[0:1], off
	s_mov_b64 s[2:3], -1
	s_mov_b64 s[28:29], 0
	s_waitcnt vmcnt(0)
	v_cmp_ne_u16_e32 vcc, 0, v3
	v_cndmask_b32_e64 v3, 0, 1.0, vcc
	v_lshrrev_b32_e32 v3, 16, v3
	s_branch .LBB223_597
.LBB223_596:
	s_mov_b64 s[28:29], -1
                                        ; implicit-def: $vgpr3
.LBB223_597:
	s_mov_b64 s[30:31], 0
.LBB223_598:
	s_and_b64 vcc, exec, s[30:31]
	s_cbranch_vccz .LBB223_647
; %bb.599:
	s_cmp_lt_i32 s36, 5
	s_cbranch_scc1 .LBB223_604
; %bb.600:
	s_cmp_lt_i32 s36, 8
	s_cbranch_scc1 .LBB223_605
	;; [unrolled: 3-line block ×3, first 2 shown]
; %bb.602:
	s_cmp_gt_i32 s36, 9
	s_cbranch_scc0 .LBB223_607
; %bb.603:
	global_load_dwordx2 v[3:4], v[0:1], off
	s_movk_i32 s2, 0x7fff
	s_waitcnt vmcnt(0)
	v_cvt_f32_f64_e32 v3, v[3:4]
	v_mov_b32_e32 v4, 0x7fc0
	v_bfe_u32 v5, v3, 16, 1
	v_cmp_o_f32_e32 vcc, v3, v3
	v_add3_u32 v3, v3, v5, s2
	v_cndmask_b32_sdwa v3, v4, v3, vcc dst_sel:DWORD dst_unused:UNUSED_PAD src0_sel:DWORD src1_sel:WORD_1
	s_mov_b64 s[2:3], 0
	s_branch .LBB223_608
.LBB223_604:
	s_mov_b64 s[2:3], -1
                                        ; implicit-def: $vgpr3
	s_branch .LBB223_626
.LBB223_605:
	s_mov_b64 s[2:3], -1
                                        ; implicit-def: $vgpr3
	s_branch .LBB223_614
.LBB223_606:
	s_mov_b64 s[2:3], -1
                                        ; implicit-def: $vgpr3
	s_branch .LBB223_611
.LBB223_607:
	s_mov_b64 s[2:3], -1
                                        ; implicit-def: $vgpr3
.LBB223_608:
	s_andn2_b64 vcc, exec, s[2:3]
	s_cbranch_vccnz .LBB223_610
; %bb.609:
	global_load_dword v3, v[0:1], off
	s_movk_i32 s2, 0x7fff
	v_mov_b32_e32 v4, 0x7fc0
	s_waitcnt vmcnt(0)
	v_bfe_u32 v5, v3, 16, 1
	v_cmp_o_f32_e32 vcc, v3, v3
	v_add3_u32 v3, v3, v5, s2
	v_cndmask_b32_sdwa v3, v4, v3, vcc dst_sel:DWORD dst_unused:UNUSED_PAD src0_sel:DWORD src1_sel:WORD_1
.LBB223_610:
	s_mov_b64 s[2:3], 0
.LBB223_611:
	s_andn2_b64 vcc, exec, s[2:3]
	s_cbranch_vccnz .LBB223_613
; %bb.612:
	global_load_dword v3, v[0:1], off
	s_movk_i32 s2, 0x7fff
	v_mov_b32_e32 v5, 0x7fc0
	s_waitcnt vmcnt(0)
	v_cvt_f32_f16_e32 v4, v3
	v_cmp_o_f16_e32 vcc, v3, v3
	v_bfe_u32 v3, v4, 16, 1
	v_add3_u32 v3, v4, v3, s2
	v_cndmask_b32_sdwa v3, v5, v3, vcc dst_sel:DWORD dst_unused:UNUSED_PAD src0_sel:DWORD src1_sel:WORD_1
.LBB223_613:
	s_mov_b64 s[2:3], 0
.LBB223_614:
	s_andn2_b64 vcc, exec, s[2:3]
	s_cbranch_vccnz .LBB223_625
; %bb.615:
	s_cmp_lt_i32 s36, 6
	s_cbranch_scc1 .LBB223_618
; %bb.616:
	s_cmp_gt_i32 s36, 6
	s_cbranch_scc0 .LBB223_619
; %bb.617:
	global_load_dwordx2 v[3:4], v[0:1], off
	s_movk_i32 s2, 0x7fff
	s_waitcnt vmcnt(0)
	v_cvt_f32_f64_e32 v3, v[3:4]
	v_mov_b32_e32 v4, 0x7fc0
	v_bfe_u32 v5, v3, 16, 1
	v_cmp_o_f32_e32 vcc, v3, v3
	v_add3_u32 v3, v3, v5, s2
	v_cndmask_b32_sdwa v3, v4, v3, vcc dst_sel:DWORD dst_unused:UNUSED_PAD src0_sel:DWORD src1_sel:WORD_1
	s_mov_b64 s[2:3], 0
	s_branch .LBB223_620
.LBB223_618:
	s_mov_b64 s[2:3], -1
                                        ; implicit-def: $vgpr3
	s_branch .LBB223_623
.LBB223_619:
	s_mov_b64 s[2:3], -1
                                        ; implicit-def: $vgpr3
.LBB223_620:
	s_andn2_b64 vcc, exec, s[2:3]
	s_cbranch_vccnz .LBB223_622
; %bb.621:
	global_load_dword v3, v[0:1], off
	s_movk_i32 s2, 0x7fff
	v_mov_b32_e32 v4, 0x7fc0
	s_waitcnt vmcnt(0)
	v_bfe_u32 v5, v3, 16, 1
	v_cmp_o_f32_e32 vcc, v3, v3
	v_add3_u32 v3, v3, v5, s2
	v_cndmask_b32_sdwa v3, v4, v3, vcc dst_sel:DWORD dst_unused:UNUSED_PAD src0_sel:DWORD src1_sel:WORD_1
.LBB223_622:
	s_mov_b64 s[2:3], 0
.LBB223_623:
	s_andn2_b64 vcc, exec, s[2:3]
	s_cbranch_vccnz .LBB223_625
; %bb.624:
	global_load_ushort v3, v[0:1], off
	s_movk_i32 s2, 0x7fff
	v_mov_b32_e32 v5, 0x7fc0
	s_waitcnt vmcnt(0)
	v_cvt_f32_f16_e32 v4, v3
	v_cmp_o_f16_e32 vcc, v3, v3
	v_bfe_u32 v3, v4, 16, 1
	v_add3_u32 v3, v4, v3, s2
	v_cndmask_b32_sdwa v3, v5, v3, vcc dst_sel:DWORD dst_unused:UNUSED_PAD src0_sel:DWORD src1_sel:WORD_1
.LBB223_625:
	s_mov_b64 s[2:3], 0
.LBB223_626:
	s_andn2_b64 vcc, exec, s[2:3]
	s_cbranch_vccnz .LBB223_646
; %bb.627:
	s_cmp_lt_i32 s36, 2
	s_cbranch_scc1 .LBB223_631
; %bb.628:
	s_cmp_lt_i32 s36, 3
	s_cbranch_scc1 .LBB223_632
; %bb.629:
	s_cmp_gt_i32 s36, 3
	s_cbranch_scc0 .LBB223_633
; %bb.630:
	global_load_dwordx2 v[3:4], v[0:1], off
	s_movk_i32 s2, 0x7fff
	s_waitcnt vmcnt(0)
	v_xor_b32_e32 v6, v3, v4
	v_ffbh_i32_e32 v5, v4
	v_ashrrev_i32_e32 v6, 31, v6
	v_add_u32_e32 v5, -1, v5
	v_add_u32_e32 v6, 32, v6
	v_min_u32_e32 v5, v5, v6
	v_lshlrev_b64 v[3:4], v5, v[3:4]
	v_min_u32_e32 v3, 1, v3
	v_or_b32_e32 v3, v4, v3
	v_cvt_f32_i32_e32 v3, v3
	v_sub_u32_e32 v4, 32, v5
	v_ldexp_f32 v3, v3, v4
	v_bfe_u32 v4, v3, 16, 1
	v_add3_u32 v3, v3, v4, s2
	v_lshrrev_b32_e32 v3, 16, v3
	s_mov_b64 s[2:3], 0
	s_branch .LBB223_634
.LBB223_631:
	s_mov_b64 s[2:3], -1
                                        ; implicit-def: $vgpr3
	s_branch .LBB223_640
.LBB223_632:
	s_mov_b64 s[2:3], -1
                                        ; implicit-def: $vgpr3
	s_branch .LBB223_637
.LBB223_633:
	s_mov_b64 s[2:3], -1
                                        ; implicit-def: $vgpr3
.LBB223_634:
	s_andn2_b64 vcc, exec, s[2:3]
	s_cbranch_vccnz .LBB223_636
; %bb.635:
	global_load_dword v3, v[0:1], off
	s_movk_i32 s2, 0x7fff
	s_waitcnt vmcnt(0)
	v_cvt_f32_i32_e32 v3, v3
	v_bfe_u32 v4, v3, 16, 1
	v_add3_u32 v3, v3, v4, s2
	v_lshrrev_b32_e32 v3, 16, v3
.LBB223_636:
	s_mov_b64 s[2:3], 0
.LBB223_637:
	s_andn2_b64 vcc, exec, s[2:3]
	s_cbranch_vccnz .LBB223_639
; %bb.638:
	global_load_sshort v3, v[0:1], off
	s_movk_i32 s2, 0x7fff
	s_waitcnt vmcnt(0)
	v_cvt_f32_i32_e32 v3, v3
	v_bfe_u32 v4, v3, 16, 1
	v_add3_u32 v3, v3, v4, s2
	v_lshrrev_b32_e32 v3, 16, v3
.LBB223_639:
	s_mov_b64 s[2:3], 0
.LBB223_640:
	s_andn2_b64 vcc, exec, s[2:3]
	s_cbranch_vccnz .LBB223_646
; %bb.641:
	s_cmp_gt_i32 s36, 0
	s_cbranch_scc0 .LBB223_643
; %bb.642:
	global_load_sbyte v3, v[0:1], off
	s_movk_i32 s2, 0x7fff
	s_waitcnt vmcnt(0)
	v_cvt_f32_i32_e32 v3, v3
	v_bfe_u32 v4, v3, 16, 1
	v_add3_u32 v3, v3, v4, s2
	v_lshrrev_b32_e32 v3, 16, v3
	s_mov_b64 s[2:3], 0
	s_branch .LBB223_644
.LBB223_643:
	s_mov_b64 s[2:3], -1
                                        ; implicit-def: $vgpr3
.LBB223_644:
	s_andn2_b64 vcc, exec, s[2:3]
	s_cbranch_vccnz .LBB223_646
; %bb.645:
	global_load_ubyte v0, v[0:1], off
	s_movk_i32 s2, 0x7fff
	s_waitcnt vmcnt(0)
	v_cvt_f32_ubyte0_e32 v0, v0
	v_bfe_u32 v1, v0, 16, 1
	v_add3_u32 v0, v0, v1, s2
	v_lshrrev_b32_e32 v3, 16, v0
.LBB223_646:
	s_mov_b64 s[2:3], -1
.LBB223_647:
	s_andn2_b64 vcc, exec, s[2:3]
	s_cbranch_vccnz .LBB223_655
; %bb.648:
	v_mul_lo_u32 v0, v2, s12
	v_mov_b32_e32 v1, s33
	v_mov_b32_e32 v4, s9
	s_waitcnt vmcnt(0)
	v_cndmask_b32_e64 v3, v3, v1, s[0:1]
	v_ashrrev_i32_e32 v1, 31, v0
	s_and_b32 s38, s44, 0xff
	v_add_co_u32_e32 v0, vcc, s8, v0
	s_cmp_lt_i32 s38, 11
	v_addc_co_u32_e32 v1, vcc, v4, v1, vcc
	s_cbranch_scc1 .LBB223_656
; %bb.649:
	s_and_b32 s39, 0xffff, s38
	s_cmp_gt_i32 s39, 25
	s_cbranch_scc0 .LBB223_657
; %bb.650:
	s_cmp_gt_i32 s39, 28
	s_cbranch_scc0 .LBB223_658
; %bb.651:
	;; [unrolled: 3-line block ×4, first 2 shown]
	s_mov_b64 s[34:35], 0
	s_mov_b64 s[2:3], -1
	s_cmp_eq_u32 s39, 46
	s_mov_b64 s[30:31], 0
	s_cbranch_scc0 .LBB223_661
; %bb.654:
	v_and_b32_e32 v4, 0xffff, v3
	global_store_dword v[0:1], v4, off
	s_mov_b64 s[30:31], -1
	s_mov_b64 s[2:3], 0
	s_branch .LBB223_661
.LBB223_655:
	s_mov_b64 s[34:35], 0
	s_mov_b64 s[2:3], s[22:23]
	s_branch .LBB223_772
.LBB223_656:
	s_mov_b64 s[34:35], -1
	s_mov_b64 s[30:31], 0
	s_mov_b64 s[2:3], s[22:23]
	s_branch .LBB223_730
.LBB223_657:
	s_mov_b64 s[34:35], -1
	s_mov_b64 s[30:31], 0
	s_mov_b64 s[2:3], s[22:23]
	s_branch .LBB223_688
.LBB223_658:
	s_mov_b64 s[34:35], -1
	s_mov_b64 s[30:31], 0
	s_mov_b64 s[2:3], s[22:23]
	s_branch .LBB223_671
.LBB223_659:
	s_mov_b64 s[34:35], -1
	s_mov_b64 s[30:31], 0
	s_mov_b64 s[2:3], s[22:23]
	s_branch .LBB223_667
.LBB223_660:
	s_mov_b64 s[34:35], -1
	s_mov_b64 s[30:31], 0
	s_mov_b64 s[2:3], s[22:23]
.LBB223_661:
	s_and_b64 vcc, exec, s[34:35]
	s_cbranch_vccz .LBB223_666
; %bb.662:
	s_cmp_eq_u32 s39, 44
	s_mov_b64 s[2:3], -1
	s_cbranch_scc0 .LBB223_666
; %bb.663:
	v_and_b32_e32 v5, 0xffff, v3
	v_bfe_u32 v4, v5, 7, 8
	s_movk_i32 s2, 0xff
	v_cmp_ne_u32_e32 vcc, s2, v4
	v_mov_b32_e32 v6, 0xff
	s_and_saveexec_b64 s[30:31], vcc
	s_cbranch_execz .LBB223_665
; %bb.664:
	v_lshlrev_b32_e32 v7, 16, v5
	s_mov_b32 s2, 0x3f0000
	v_lshrrev_b32_e32 v6, 7, v5
	v_and_b32_e32 v5, 64, v5
	v_and_or_b32 v4, v7, s2, v4
	v_cmp_ne_u32_e32 vcc, 0, v5
	v_cmp_ne_u32_e64 s[2:3], 0, v4
	s_and_b64 s[2:3], vcc, s[2:3]
	v_cndmask_b32_e64 v4, 0, 1, s[2:3]
	v_add_u32_e32 v6, v6, v4
.LBB223_665:
	s_or_b64 exec, exec, s[30:31]
	s_mov_b64 s[30:31], -1
	s_mov_b64 s[2:3], 0
	global_store_byte v[0:1], v6, off
.LBB223_666:
	s_mov_b64 s[34:35], 0
.LBB223_667:
	s_and_b64 vcc, exec, s[34:35]
	s_cbranch_vccz .LBB223_670
; %bb.668:
	s_cmp_eq_u32 s39, 29
	s_mov_b64 s[2:3], -1
	s_cbranch_scc0 .LBB223_670
; %bb.669:
	v_lshlrev_b32_e32 v4, 16, v3
	v_trunc_f32_e32 v4, v4
	v_mul_f32_e32 v5, 0x2f800000, v4
	v_floor_f32_e32 v6, v5
	v_fmac_f32_e32 v4, 0xcf800000, v6
	v_cvt_u32_f32_e32 v5, v6
	v_cvt_u32_f32_e32 v4, v4
	s_mov_b64 s[30:31], -1
	s_mov_b64 s[2:3], 0
	s_mov_b64 s[34:35], 0
	global_store_dwordx2 v[0:1], v[4:5], off
	s_branch .LBB223_671
.LBB223_670:
	s_mov_b64 s[34:35], 0
.LBB223_671:
	s_and_b64 vcc, exec, s[34:35]
	s_cbranch_vccz .LBB223_687
; %bb.672:
	s_cmp_lt_i32 s39, 27
	s_mov_b64 s[30:31], -1
	s_cbranch_scc1 .LBB223_678
; %bb.673:
	s_cmp_gt_i32 s39, 27
	s_cbranch_scc0 .LBB223_675
; %bb.674:
	v_lshlrev_b32_e32 v4, 16, v3
	v_cvt_u32_f32_e32 v4, v4
	s_mov_b64 s[30:31], 0
	global_store_dword v[0:1], v4, off
.LBB223_675:
	s_andn2_b64 vcc, exec, s[30:31]
	s_cbranch_vccnz .LBB223_677
; %bb.676:
	v_lshlrev_b32_e32 v4, 16, v3
	v_cvt_u32_f32_e32 v4, v4
	global_store_short v[0:1], v4, off
.LBB223_677:
	s_mov_b64 s[30:31], 0
.LBB223_678:
	s_andn2_b64 vcc, exec, s[30:31]
	s_cbranch_vccnz .LBB223_686
; %bb.679:
	v_lshlrev_b32_e32 v6, 16, v3
	v_and_b32_e32 v5, 0x7fffffff, v6
	s_mov_b32 s30, 0x43800000
	v_cmp_gt_u32_e32 vcc, s30, v5
	v_mov_b32_e32 v7, 0x80
	s_and_saveexec_b64 s[30:31], vcc
	s_cbranch_execz .LBB223_685
; %bb.680:
	s_mov_b32 s34, 0x3bffffff
	v_and_b32_e32 v4, 0xffff, v3
	v_cmp_lt_u32_e32 vcc, s34, v5
	s_mov_b64 s[34:35], 0
                                        ; implicit-def: $vgpr5
	s_and_saveexec_b64 s[36:37], vcc
	s_xor_b64 s[36:37], exec, s[36:37]
	s_cbranch_execz .LBB223_787
; %bb.681:
	v_bfe_u32 v5, v4, 4, 1
	s_mov_b32 s41, 0x487ffff
	v_add3_u32 v5, v6, v5, s41
	s_mov_b64 s[34:35], exec
	v_lshrrev_b32_e32 v5, 20, v5
                                        ; implicit-def: $vgpr6
	s_andn2_saveexec_b64 s[36:37], s[36:37]
	s_cbranch_execnz .LBB223_788
.LBB223_682:
	s_or_b64 exec, exec, s[36:37]
	v_mov_b32_e32 v7, 0
	s_and_saveexec_b64 s[36:37], s[34:35]
.LBB223_683:
	v_lshrrev_b32_e32 v4, 8, v4
	s_movk_i32 s34, 0x80
	v_and_or_b32 v7, v4, s34, v5
.LBB223_684:
	s_or_b64 exec, exec, s[36:37]
.LBB223_685:
	s_or_b64 exec, exec, s[30:31]
	global_store_byte v[0:1], v7, off
.LBB223_686:
	s_mov_b64 s[30:31], -1
.LBB223_687:
	s_mov_b64 s[34:35], 0
.LBB223_688:
	s_and_b64 vcc, exec, s[34:35]
	s_cbranch_vccz .LBB223_729
; %bb.689:
	s_cmp_gt_i32 s39, 22
	s_mov_b64 s[34:35], -1
	s_cbranch_scc0 .LBB223_721
; %bb.690:
	s_cmp_lt_i32 s39, 24
	s_mov_b64 s[30:31], -1
	s_cbranch_scc1 .LBB223_710
; %bb.691:
	s_cmp_gt_i32 s39, 24
	s_cbranch_scc0 .LBB223_699
; %bb.692:
	v_lshlrev_b32_e32 v6, 16, v3
	v_and_b32_e32 v5, 0x7fffffff, v6
	s_mov_b32 s30, 0x47800000
	v_cmp_gt_u32_e32 vcc, s30, v5
	v_mov_b32_e32 v7, 0x80
	s_and_saveexec_b64 s[30:31], vcc
	s_cbranch_execz .LBB223_698
; %bb.693:
	s_mov_b32 s34, 0x37ffffff
	v_and_b32_e32 v4, 0xffff, v3
	v_cmp_lt_u32_e32 vcc, s34, v5
	s_mov_b64 s[34:35], 0
                                        ; implicit-def: $vgpr5
	s_and_saveexec_b64 s[36:37], vcc
	s_xor_b64 s[36:37], exec, s[36:37]
	s_cbranch_execz .LBB223_790
; %bb.694:
	v_bfe_u32 v5, v4, 5, 1
	s_mov_b32 s41, 0x88fffff
	v_add3_u32 v5, v6, v5, s41
	s_mov_b64 s[34:35], exec
	v_lshrrev_b32_e32 v5, 21, v5
                                        ; implicit-def: $vgpr6
	s_andn2_saveexec_b64 s[36:37], s[36:37]
	s_cbranch_execnz .LBB223_791
.LBB223_695:
	s_or_b64 exec, exec, s[36:37]
	v_mov_b32_e32 v7, 0
	s_and_saveexec_b64 s[36:37], s[34:35]
.LBB223_696:
	v_lshrrev_b32_e32 v4, 8, v4
	s_movk_i32 s34, 0x80
	v_and_or_b32 v7, v4, s34, v5
.LBB223_697:
	s_or_b64 exec, exec, s[36:37]
.LBB223_698:
	s_or_b64 exec, exec, s[30:31]
	s_mov_b64 s[30:31], 0
	global_store_byte v[0:1], v7, off
.LBB223_699:
	s_and_b64 vcc, exec, s[30:31]
	s_cbranch_vccz .LBB223_709
; %bb.700:
	v_lshlrev_b32_e32 v6, 16, v3
	v_and_b32_e32 v7, 0x7fffffff, v6
	s_mov_b32 s30, 0x43f00000
	v_and_b32_e32 v4, 0xffff, v3
	v_cmp_gt_u32_e32 vcc, s30, v7
                                        ; implicit-def: $vgpr5
	s_and_saveexec_b64 s[30:31], vcc
	s_xor_b64 s[30:31], exec, s[30:31]
	s_cbranch_execz .LBB223_706
; %bb.701:
	s_mov_b32 s34, 0x3c7fffff
	v_cmp_lt_u32_e32 vcc, s34, v7
                                        ; implicit-def: $vgpr5
	s_and_saveexec_b64 s[34:35], vcc
	s_xor_b64 s[34:35], exec, s[34:35]
; %bb.702:
	v_bfe_u32 v5, v4, 4, 1
	s_mov_b32 s36, 0x407ffff
	v_add3_u32 v5, v6, v5, s36
	v_lshrrev_b32_e32 v6, 20, v5
	v_and_b32_e32 v5, 0xff00000, v5
	s_mov_b32 s36, 0x7f00000
	v_mov_b32_e32 v7, 0x7e
	v_cmp_ne_u32_e32 vcc, s36, v5
	v_cndmask_b32_e32 v5, v7, v6, vcc
                                        ; implicit-def: $vgpr6
; %bb.703:
	s_andn2_saveexec_b64 s[34:35], s[34:35]
; %bb.704:
	s_mov_b32 s36, 0x46800000
	v_add_f32_e64 v5, |v6|, s36
; %bb.705:
	s_or_b64 exec, exec, s[34:35]
                                        ; implicit-def: $vgpr7
.LBB223_706:
	s_andn2_saveexec_b64 s[30:31], s[30:31]
; %bb.707:
	s_mov_b32 s34, 0x7f800000
	v_mov_b32_e32 v5, 0x7e
	v_mov_b32_e32 v6, 0x7f
	v_cmp_lt_u32_e32 vcc, s34, v7
	v_cndmask_b32_e32 v5, v5, v6, vcc
; %bb.708:
	s_or_b64 exec, exec, s[30:31]
	v_lshrrev_b32_e32 v4, 8, v4
	s_movk_i32 s30, 0x80
	v_and_or_b32 v4, v4, s30, v5
	global_store_byte v[0:1], v4, off
.LBB223_709:
	s_mov_b64 s[30:31], 0
.LBB223_710:
	s_andn2_b64 vcc, exec, s[30:31]
	s_cbranch_vccnz .LBB223_720
; %bb.711:
	v_lshlrev_b32_e32 v6, 16, v3
	v_and_b32_e32 v7, 0x7fffffff, v6
	s_mov_b32 s30, 0x47800000
	v_and_b32_e32 v4, 0xffff, v3
	v_cmp_gt_u32_e32 vcc, s30, v7
                                        ; implicit-def: $vgpr5
	s_and_saveexec_b64 s[30:31], vcc
	s_xor_b64 s[30:31], exec, s[30:31]
	s_cbranch_execz .LBB223_717
; %bb.712:
	s_mov_b32 s34, 0x387fffff
	v_cmp_lt_u32_e32 vcc, s34, v7
                                        ; implicit-def: $vgpr5
	s_and_saveexec_b64 s[34:35], vcc
	s_xor_b64 s[34:35], exec, s[34:35]
; %bb.713:
	v_bfe_u32 v5, v4, 5, 1
	s_mov_b32 s36, 0x80fffff
	v_add3_u32 v5, v6, v5, s36
	v_lshrrev_b32_e32 v5, 21, v5
                                        ; implicit-def: $vgpr6
; %bb.714:
	s_andn2_saveexec_b64 s[34:35], s[34:35]
; %bb.715:
	s_mov_b32 s36, 0x43000000
	v_add_f32_e64 v5, |v6|, s36
; %bb.716:
	s_or_b64 exec, exec, s[34:35]
                                        ; implicit-def: $vgpr7
.LBB223_717:
	s_andn2_saveexec_b64 s[30:31], s[30:31]
; %bb.718:
	s_mov_b32 s34, 0x7f800000
	v_mov_b32_e32 v5, 0x7c
	v_mov_b32_e32 v6, 0x7f
	v_cmp_lt_u32_e32 vcc, s34, v7
	v_cndmask_b32_e32 v5, v5, v6, vcc
; %bb.719:
	s_or_b64 exec, exec, s[30:31]
	v_lshrrev_b32_e32 v4, 8, v4
	s_movk_i32 s30, 0x80
	v_and_or_b32 v4, v4, s30, v5
	global_store_byte v[0:1], v4, off
.LBB223_720:
	s_mov_b64 s[34:35], 0
	s_mov_b64 s[30:31], -1
.LBB223_721:
	s_andn2_b64 vcc, exec, s[34:35]
	s_cbranch_vccnz .LBB223_729
; %bb.722:
	s_cmp_gt_i32 s39, 14
	s_mov_b64 s[34:35], -1
	s_cbranch_scc0 .LBB223_726
; %bb.723:
	s_cmp_eq_u32 s39, 15
	s_mov_b64 s[2:3], -1
	s_cbranch_scc0 .LBB223_725
; %bb.724:
	global_store_short v[0:1], v3, off
	s_mov_b64 s[30:31], -1
	s_mov_b64 s[2:3], 0
.LBB223_725:
	s_mov_b64 s[34:35], 0
.LBB223_726:
	s_and_b64 vcc, exec, s[34:35]
	s_cbranch_vccz .LBB223_729
; %bb.727:
	s_cmp_eq_u32 s39, 11
	s_mov_b64 s[2:3], -1
	s_cbranch_scc0 .LBB223_729
; %bb.728:
	v_and_b32_e32 v4, 0x7fff, v3
	v_cmp_ne_u16_e32 vcc, 0, v4
	v_cndmask_b32_e64 v4, 0, 1, vcc
	s_mov_b64 s[30:31], -1
	s_mov_b64 s[2:3], 0
	global_store_byte v[0:1], v4, off
.LBB223_729:
	s_mov_b64 s[34:35], 0
.LBB223_730:
	s_and_b64 vcc, exec, s[34:35]
	s_cbranch_vccz .LBB223_769
; %bb.731:
	s_and_b32 s34, 0xffff, s38
	s_cmp_lt_i32 s34, 5
	s_mov_b64 s[30:31], -1
	s_cbranch_scc1 .LBB223_752
; %bb.732:
	s_cmp_lt_i32 s34, 8
	s_cbranch_scc1 .LBB223_742
; %bb.733:
	s_cmp_lt_i32 s34, 9
	s_cbranch_scc1 .LBB223_739
; %bb.734:
	s_cmp_gt_i32 s34, 9
	s_cbranch_scc0 .LBB223_736
; %bb.735:
	v_lshlrev_b32_e32 v4, 16, v3
	v_cvt_f64_f32_e32 v[4:5], v4
	v_mov_b32_e32 v6, 0
	v_mov_b32_e32 v7, v6
	s_mov_b64 s[30:31], 0
	global_store_dwordx4 v[0:1], v[4:7], off
.LBB223_736:
	s_andn2_b64 vcc, exec, s[30:31]
	s_cbranch_vccnz .LBB223_738
; %bb.737:
	v_lshlrev_b32_e32 v4, 16, v3
	v_mov_b32_e32 v5, 0
	global_store_dwordx2 v[0:1], v[4:5], off
.LBB223_738:
	s_mov_b64 s[30:31], 0
.LBB223_739:
	s_andn2_b64 vcc, exec, s[30:31]
	s_cbranch_vccnz .LBB223_741
; %bb.740:
	v_lshlrev_b32_e32 v4, 16, v3
	v_cvt_f16_f32_e32 v4, v4
	global_store_dword v[0:1], v4, off
.LBB223_741:
	s_mov_b64 s[30:31], 0
.LBB223_742:
	s_andn2_b64 vcc, exec, s[30:31]
	s_cbranch_vccnz .LBB223_751
; %bb.743:
	s_cmp_lt_i32 s34, 6
	s_mov_b64 s[30:31], -1
	s_cbranch_scc1 .LBB223_749
; %bb.744:
	s_cmp_gt_i32 s34, 6
	s_cbranch_scc0 .LBB223_746
; %bb.745:
	v_lshlrev_b32_e32 v4, 16, v3
	v_cvt_f64_f32_e32 v[4:5], v4
	s_mov_b64 s[30:31], 0
	global_store_dwordx2 v[0:1], v[4:5], off
.LBB223_746:
	s_andn2_b64 vcc, exec, s[30:31]
	s_cbranch_vccnz .LBB223_748
; %bb.747:
	v_lshlrev_b32_e32 v4, 16, v3
	global_store_dword v[0:1], v4, off
.LBB223_748:
	s_mov_b64 s[30:31], 0
.LBB223_749:
	s_andn2_b64 vcc, exec, s[30:31]
	s_cbranch_vccnz .LBB223_751
; %bb.750:
	v_lshlrev_b32_e32 v4, 16, v3
	v_cvt_f16_f32_e32 v4, v4
	global_store_short v[0:1], v4, off
.LBB223_751:
	s_mov_b64 s[30:31], 0
.LBB223_752:
	s_andn2_b64 vcc, exec, s[30:31]
	s_cbranch_vccnz .LBB223_768
; %bb.753:
	s_cmp_lt_i32 s34, 2
	s_mov_b64 s[30:31], -1
	s_cbranch_scc1 .LBB223_763
; %bb.754:
	s_cmp_lt_i32 s34, 3
	s_cbranch_scc1 .LBB223_760
; %bb.755:
	s_cmp_gt_i32 s34, 3
	s_cbranch_scc0 .LBB223_757
; %bb.756:
	v_lshlrev_b32_e32 v4, 16, v3
	v_trunc_f32_e32 v4, v4
	s_mov_b32 s30, 0x2f800000
	v_mul_f32_e64 v5, |v4|, s30
	v_floor_f32_e32 v5, v5
	s_mov_b32 s30, 0xcf800000
	v_cvt_u32_f32_e32 v6, v5
	v_fma_f32 v5, v5, s30, |v4|
	v_cvt_u32_f32_e32 v5, v5
	v_ashrrev_i32_e32 v7, 31, v4
	v_xor_b32_e32 v6, v6, v7
	s_mov_b64 s[30:31], 0
	v_xor_b32_e32 v4, v5, v7
	v_sub_co_u32_e32 v4, vcc, v4, v7
	v_subb_co_u32_e32 v5, vcc, v6, v7, vcc
	global_store_dwordx2 v[0:1], v[4:5], off
.LBB223_757:
	s_andn2_b64 vcc, exec, s[30:31]
	s_cbranch_vccnz .LBB223_759
; %bb.758:
	v_lshlrev_b32_e32 v4, 16, v3
	v_cvt_i32_f32_e32 v4, v4
	global_store_dword v[0:1], v4, off
.LBB223_759:
	s_mov_b64 s[30:31], 0
.LBB223_760:
	s_andn2_b64 vcc, exec, s[30:31]
	s_cbranch_vccnz .LBB223_762
; %bb.761:
	v_lshlrev_b32_e32 v4, 16, v3
	v_cvt_i32_f32_e32 v4, v4
	global_store_short v[0:1], v4, off
.LBB223_762:
	s_mov_b64 s[30:31], 0
.LBB223_763:
	s_andn2_b64 vcc, exec, s[30:31]
	s_cbranch_vccnz .LBB223_768
; %bb.764:
	s_mov_b64 s[30:31], -1
	s_cmp_gt_i32 s34, 0
	v_lshlrev_b32_e32 v3, 16, v3
	s_cbranch_scc0 .LBB223_766
; %bb.765:
	v_cvt_i32_f32_e32 v4, v3
	s_mov_b64 s[30:31], 0
	global_store_byte v[0:1], v4, off
.LBB223_766:
	s_andn2_b64 vcc, exec, s[30:31]
	s_cbranch_vccnz .LBB223_768
; %bb.767:
	v_trunc_f32_e32 v3, v3
	s_mov_b32 s30, 0x2f800000
	v_mul_f32_e64 v4, |v3|, s30
	v_floor_f32_e32 v4, v4
	s_mov_b32 s30, 0xcf800000
	v_fma_f32 v4, v4, s30, |v3|
	v_cvt_u32_f32_e32 v4, v4
	v_ashrrev_i32_e32 v3, 31, v3
	v_xor_b32_e32 v4, v4, v3
	v_sub_u32_e32 v3, v4, v3
	global_store_byte v[0:1], v3, off
.LBB223_768:
	s_mov_b64 s[30:31], -1
.LBB223_769:
	s_andn2_b64 vcc, exec, s[30:31]
	s_cbranch_vccnz .LBB223_771
; %bb.770:
	v_add_u32_e32 v2, 0x80, v2
	s_mov_b64 s[34:35], -1
	s_branch .LBB223_773
.LBB223_771:
	s_mov_b64 s[34:35], 0
.LBB223_772:
                                        ; implicit-def: $vgpr2
.LBB223_773:
	s_andn2_b64 s[30:31], s[22:23], exec
	s_and_b64 s[2:3], s[2:3], exec
	s_or_b64 s[30:31], s[30:31], s[2:3]
	s_andn2_b64 s[2:3], s[20:21], exec
	s_and_b64 s[28:29], s[28:29], exec
	s_or_b64 s[2:3], s[2:3], s[28:29]
	s_orn2_b64 s[36:37], s[34:35], exec
.LBB223_774:
	s_or_b64 exec, exec, s[26:27]
	s_mov_b64 s[28:29], 0
	s_mov_b64 s[34:35], 0
	;; [unrolled: 1-line block ×3, first 2 shown]
                                        ; implicit-def: $vgpr0_vgpr1
                                        ; implicit-def: $vgpr4
	s_and_saveexec_b64 s[26:27], s[36:37]
	s_cbranch_execz .LBB223_859
; %bb.775:
	v_cmp_gt_i32_e32 vcc, s40, v2
	s_mov_b64 s[36:37], 0
	s_mov_b64 s[40:41], s[2:3]
	;; [unrolled: 1-line block ×3, first 2 shown]
                                        ; implicit-def: $vgpr0_vgpr1
                                        ; implicit-def: $vgpr4
	s_and_saveexec_b64 s[28:29], vcc
	s_cbranch_execz .LBB223_858
; %bb.776:
	v_mul_lo_u32 v0, v2, s13
	v_mov_b32_e32 v1, s11
	s_and_b32 s48, 0xffff, s47
	s_cmp_lt_i32 s48, 11
	s_waitcnt vmcnt(0)
	v_ashrrev_i32_e32 v3, 31, v0
	v_add_co_u32_e32 v0, vcc, s10, v0
	v_addc_co_u32_e32 v1, vcc, v1, v3, vcc
	s_cbranch_scc1 .LBB223_783
; %bb.777:
	s_cmp_gt_i32 s48, 25
	s_cbranch_scc0 .LBB223_784
; %bb.778:
	s_cmp_gt_i32 s48, 28
	s_cbranch_scc0 .LBB223_785
	;; [unrolled: 3-line block ×4, first 2 shown]
; %bb.781:
	s_cmp_eq_u32 s48, 46
	s_mov_b64 s[40:41], 0
	s_cbranch_scc0 .LBB223_792
; %bb.782:
	global_load_dword v4, v[0:1], off
	s_mov_b64 s[38:39], -1
	s_branch .LBB223_794
.LBB223_783:
	s_mov_b64 s[40:41], -1
                                        ; implicit-def: $vgpr4
	s_mov_b64 s[34:35], s[2:3]
	s_branch .LBB223_857
.LBB223_784:
	s_mov_b64 s[40:41], -1
	s_mov_b64 s[34:35], s[2:3]
                                        ; implicit-def: $vgpr4
	s_branch .LBB223_823
.LBB223_785:
	s_mov_b64 s[40:41], -1
	s_mov_b64 s[34:35], s[2:3]
                                        ; implicit-def: $vgpr4
	s_branch .LBB223_804
.LBB223_786:
	s_mov_b64 s[40:41], -1
	s_mov_b64 s[34:35], s[2:3]
                                        ; implicit-def: $vgpr4
	s_branch .LBB223_799
.LBB223_787:
	s_andn2_saveexec_b64 s[36:37], s[36:37]
	s_cbranch_execz .LBB223_682
.LBB223_788:
	s_mov_b32 s41, 0x46000000
	v_add_f32_e64 v5, |v6|, s41
	v_and_b32_e32 v5, 0xff, v5
	v_cmp_ne_u32_e32 vcc, 0, v5
	s_andn2_b64 s[34:35], s[34:35], exec
	s_and_b64 s[42:43], vcc, exec
	s_or_b64 s[34:35], s[34:35], s[42:43]
	s_or_b64 exec, exec, s[36:37]
	v_mov_b32_e32 v7, 0
	s_and_saveexec_b64 s[36:37], s[34:35]
	s_cbranch_execnz .LBB223_683
	s_branch .LBB223_684
.LBB223_789:
	s_mov_b64 s[40:41], -1
	s_mov_b64 s[34:35], s[2:3]
	s_branch .LBB223_793
.LBB223_790:
	s_andn2_saveexec_b64 s[36:37], s[36:37]
	s_cbranch_execz .LBB223_695
.LBB223_791:
	s_mov_b32 s41, 0x42800000
	v_add_f32_e64 v5, |v6|, s41
	v_and_b32_e32 v5, 0xff, v5
	v_cmp_ne_u32_e32 vcc, 0, v5
	s_andn2_b64 s[34:35], s[34:35], exec
	s_and_b64 s[42:43], vcc, exec
	s_or_b64 s[34:35], s[34:35], s[42:43]
	s_or_b64 exec, exec, s[36:37]
	v_mov_b32_e32 v7, 0
	s_and_saveexec_b64 s[36:37], s[34:35]
	s_cbranch_execnz .LBB223_696
	s_branch .LBB223_697
.LBB223_792:
	s_mov_b64 s[34:35], -1
.LBB223_793:
                                        ; implicit-def: $vgpr4
.LBB223_794:
	s_and_b64 vcc, exec, s[40:41]
	s_cbranch_vccz .LBB223_798
; %bb.795:
	s_cmp_eq_u32 s48, 44
	s_cbranch_scc0 .LBB223_797
; %bb.796:
	global_load_ubyte v3, v[0:1], off
	s_movk_i32 s38, 0xff
	s_waitcnt vmcnt(1)
	v_mov_b32_e32 v4, 0x7f800001
	v_mov_b32_e32 v5, 0x400000
	;; [unrolled: 1-line block ×3, first 2 shown]
	s_mov_b64 s[34:35], 0
	s_waitcnt vmcnt(0)
	v_lshlrev_b32_e32 v7, 23, v3
	v_cmp_ne_u32_e32 vcc, s38, v3
	v_cndmask_b32_e32 v4, v4, v7, vcc
	v_cmp_ne_u32_e32 vcc, 0, v3
	v_cndmask_b32_e32 v3, v5, v4, vcc
	v_add_u32_e32 v4, 0x7fff, v3
	v_cmp_o_f32_e32 vcc, v3, v3
	v_cndmask_b32_sdwa v4, v6, v4, vcc dst_sel:DWORD dst_unused:UNUSED_PAD src0_sel:DWORD src1_sel:WORD_1
	s_mov_b64 s[38:39], -1
	s_branch .LBB223_798
.LBB223_797:
	s_mov_b64 s[34:35], -1
                                        ; implicit-def: $vgpr4
.LBB223_798:
	s_mov_b64 s[40:41], 0
.LBB223_799:
	s_and_b64 vcc, exec, s[40:41]
	s_cbranch_vccz .LBB223_803
; %bb.800:
	s_cmp_eq_u32 s48, 29
	s_cbranch_scc0 .LBB223_802
; %bb.801:
	global_load_dwordx2 v[3:4], v[0:1], off
	s_movk_i32 s38, 0x7fff
	s_mov_b64 s[34:35], 0
	s_mov_b64 s[40:41], 0
	s_waitcnt vmcnt(0)
	v_ffbh_u32_e32 v5, v4
	v_min_u32_e32 v5, 32, v5
	v_lshlrev_b64 v[3:4], v5, v[3:4]
	v_min_u32_e32 v3, 1, v3
	v_or_b32_e32 v3, v4, v3
	v_cvt_f32_u32_e32 v3, v3
	v_sub_u32_e32 v4, 32, v5
	v_ldexp_f32 v3, v3, v4
	v_bfe_u32 v4, v3, 16, 1
	v_add3_u32 v3, v3, v4, s38
	v_lshrrev_b32_e32 v4, 16, v3
	s_mov_b64 s[38:39], -1
	s_branch .LBB223_804
.LBB223_802:
	s_mov_b64 s[34:35], -1
                                        ; implicit-def: $vgpr4
.LBB223_803:
	s_mov_b64 s[40:41], 0
.LBB223_804:
	s_and_b64 vcc, exec, s[40:41]
	s_cbranch_vccz .LBB223_822
; %bb.805:
	s_cmp_lt_i32 s48, 27
	s_cbranch_scc1 .LBB223_808
; %bb.806:
	s_cmp_gt_i32 s48, 27
	s_cbranch_scc0 .LBB223_809
; %bb.807:
	global_load_dword v3, v[0:1], off
	s_movk_i32 s38, 0x7fff
	s_waitcnt vmcnt(0)
	v_cvt_f32_u32_e32 v3, v3
	v_bfe_u32 v4, v3, 16, 1
	v_add3_u32 v3, v3, v4, s38
	v_lshrrev_b32_e32 v4, 16, v3
	s_mov_b64 s[38:39], 0
	s_branch .LBB223_810
.LBB223_808:
	s_mov_b64 s[38:39], -1
                                        ; implicit-def: $vgpr4
	s_branch .LBB223_813
.LBB223_809:
	s_mov_b64 s[38:39], -1
                                        ; implicit-def: $vgpr4
.LBB223_810:
	s_andn2_b64 vcc, exec, s[38:39]
	s_cbranch_vccnz .LBB223_812
; %bb.811:
	global_load_ushort v3, v[0:1], off
	s_movk_i32 s38, 0x7fff
	s_waitcnt vmcnt(0)
	v_cvt_f32_u32_e32 v3, v3
	v_bfe_u32 v4, v3, 16, 1
	v_add3_u32 v3, v3, v4, s38
	v_lshrrev_b32_e32 v4, 16, v3
.LBB223_812:
	s_mov_b64 s[38:39], 0
.LBB223_813:
	s_andn2_b64 vcc, exec, s[38:39]
	s_cbranch_vccnz .LBB223_821
; %bb.814:
	global_load_ubyte v3, v[0:1], off
	s_movk_i32 s38, 0x7f
	s_waitcnt vmcnt(0)
	v_cmp_lt_i16_e32 vcc, s38, v3
	s_mov_b64 s[38:39], 0
	s_and_saveexec_b64 s[40:41], vcc
	s_xor_b64 s[40:41], exec, s[40:41]
	s_cbranch_execz .LBB223_835
; %bb.815:
	s_movk_i32 s38, 0x80
	v_cmp_eq_u16_e32 vcc, s38, v3
	s_mov_b64 s[38:39], -1
	s_and_saveexec_b64 s[42:43], vcc
; %bb.816:
	s_xor_b64 s[38:39], exec, -1
; %bb.817:
	s_or_b64 exec, exec, s[42:43]
	s_and_b64 s[38:39], s[38:39], exec
	s_or_saveexec_b64 s[40:41], s[40:41]
	v_mov_b32_e32 v4, 0x7f800001
	s_xor_b64 exec, exec, s[40:41]
	s_cbranch_execnz .LBB223_836
.LBB223_818:
	s_or_b64 exec, exec, s[40:41]
	s_and_saveexec_b64 s[40:41], s[38:39]
	s_cbranch_execz .LBB223_820
.LBB223_819:
	v_lshlrev_b32_e32 v4, 24, v3
	v_and_b32_e32 v3, 0xffff, v3
	v_and_b32_e32 v5, 7, v3
	v_ffbh_u32_e32 v7, v5
	v_min_u32_e32 v7, 32, v7
	v_subrev_u32_e32 v8, 28, v7
	v_bfe_u32 v6, v3, 3, 4
	v_lshlrev_b32_e32 v3, v8, v3
	v_sub_u32_e32 v7, 29, v7
	v_and_b32_e32 v3, 7, v3
	v_cmp_eq_u32_e32 vcc, 0, v6
	v_cndmask_b32_e32 v6, v6, v7, vcc
	v_cndmask_b32_e32 v3, v5, v3, vcc
	v_mov_b32_e32 v5, 0x3b800000
	v_lshlrev_b32_e32 v3, 20, v3
	v_and_b32_e32 v4, 0x80000000, v4
	v_lshl_add_u32 v5, v6, 23, v5
	v_or3_b32 v4, v4, v5, v3
.LBB223_820:
	s_or_b64 exec, exec, s[40:41]
	v_bfe_u32 v3, v4, 16, 1
	s_movk_i32 s38, 0x7fff
	v_add3_u32 v3, v4, v3, s38
	v_cmp_o_f32_e32 vcc, v4, v4
	v_mov_b32_e32 v4, 0x7fc0
	v_cndmask_b32_sdwa v4, v4, v3, vcc dst_sel:DWORD dst_unused:UNUSED_PAD src0_sel:DWORD src1_sel:WORD_1
.LBB223_821:
	s_mov_b64 s[38:39], -1
.LBB223_822:
	s_mov_b64 s[40:41], 0
.LBB223_823:
	s_and_b64 vcc, exec, s[40:41]
	s_cbranch_vccz .LBB223_856
; %bb.824:
	s_cmp_gt_i32 s48, 22
	s_cbranch_scc0 .LBB223_834
; %bb.825:
	s_cmp_lt_i32 s48, 24
	s_cbranch_scc1 .LBB223_837
; %bb.826:
	s_cmp_gt_i32 s48, 24
	s_cbranch_scc0 .LBB223_838
; %bb.827:
	global_load_ubyte v3, v[0:1], off
	s_movk_i32 s36, 0x7f
	s_waitcnt vmcnt(0)
	v_cmp_lt_i16_e32 vcc, s36, v3
	s_mov_b64 s[36:37], 0
	s_and_saveexec_b64 s[38:39], vcc
	s_xor_b64 s[38:39], exec, s[38:39]
	s_cbranch_execz .LBB223_850
; %bb.828:
	s_movk_i32 s36, 0x80
	v_cmp_eq_u16_e32 vcc, s36, v3
	s_mov_b64 s[36:37], -1
	s_and_saveexec_b64 s[40:41], vcc
; %bb.829:
	s_xor_b64 s[36:37], exec, -1
; %bb.830:
	s_or_b64 exec, exec, s[40:41]
	s_and_b64 s[36:37], s[36:37], exec
	s_or_saveexec_b64 s[38:39], s[38:39]
	v_mov_b32_e32 v4, 0x7f800001
	s_xor_b64 exec, exec, s[38:39]
	s_cbranch_execnz .LBB223_851
.LBB223_831:
	s_or_b64 exec, exec, s[38:39]
	s_and_saveexec_b64 s[38:39], s[36:37]
	s_cbranch_execz .LBB223_833
.LBB223_832:
	v_lshlrev_b32_e32 v4, 24, v3
	v_and_b32_e32 v3, 0xffff, v3
	v_and_b32_e32 v5, 3, v3
	v_ffbh_u32_e32 v7, v5
	v_min_u32_e32 v7, 32, v7
	v_subrev_u32_e32 v8, 29, v7
	v_bfe_u32 v6, v3, 2, 5
	v_lshlrev_b32_e32 v3, v8, v3
	v_sub_u32_e32 v7, 30, v7
	v_and_b32_e32 v3, 3, v3
	v_cmp_eq_u32_e32 vcc, 0, v6
	v_cndmask_b32_e32 v6, v6, v7, vcc
	v_cndmask_b32_e32 v3, v5, v3, vcc
	v_mov_b32_e32 v5, 0x37800000
	v_lshlrev_b32_e32 v3, 21, v3
	v_and_b32_e32 v4, 0x80000000, v4
	v_lshl_add_u32 v5, v6, 23, v5
	v_or3_b32 v4, v4, v5, v3
.LBB223_833:
	s_or_b64 exec, exec, s[38:39]
	v_bfe_u32 v3, v4, 16, 1
	s_movk_i32 s36, 0x7fff
	v_add3_u32 v3, v4, v3, s36
	v_cmp_o_f32_e32 vcc, v4, v4
	v_mov_b32_e32 v4, 0x7fc0
	v_cndmask_b32_sdwa v4, v4, v3, vcc dst_sel:DWORD dst_unused:UNUSED_PAD src0_sel:DWORD src1_sel:WORD_1
	s_mov_b64 s[36:37], 0
	s_branch .LBB223_839
.LBB223_834:
	s_mov_b64 s[36:37], -1
                                        ; implicit-def: $vgpr4
	s_branch .LBB223_845
.LBB223_835:
	s_or_saveexec_b64 s[40:41], s[40:41]
	v_mov_b32_e32 v4, 0x7f800001
	s_xor_b64 exec, exec, s[40:41]
	s_cbranch_execz .LBB223_818
.LBB223_836:
	v_cmp_ne_u16_e32 vcc, 0, v3
	s_andn2_b64 s[38:39], s[38:39], exec
	s_and_b64 s[42:43], vcc, exec
	v_mov_b32_e32 v4, 0
	s_or_b64 s[38:39], s[38:39], s[42:43]
	s_or_b64 exec, exec, s[40:41]
	s_and_saveexec_b64 s[40:41], s[38:39]
	s_cbranch_execnz .LBB223_819
	s_branch .LBB223_820
.LBB223_837:
	s_mov_b64 s[36:37], -1
                                        ; implicit-def: $vgpr4
	s_branch .LBB223_842
.LBB223_838:
	s_mov_b64 s[36:37], -1
                                        ; implicit-def: $vgpr4
.LBB223_839:
	s_and_b64 vcc, exec, s[36:37]
	s_cbranch_vccz .LBB223_841
; %bb.840:
	global_load_ubyte v3, v[0:1], off
	s_mov_b32 s36, 0x7f800000
	s_brev_b32 s37, 1
	s_movk_i32 s38, 0x7fff
	s_waitcnt vmcnt(0)
	v_lshlrev_b32_e32 v3, 24, v3
	v_and_b32_e32 v4, 0x7f000000, v3
	v_ffbh_u32_e32 v5, v4
	v_min_u32_e32 v5, 32, v5
	v_sub_u32_e64 v5, v5, 4 clamp
	v_lshlrev_b32_e32 v7, v5, v4
	v_lshlrev_b32_e32 v5, 23, v5
	v_lshrrev_b32_e32 v7, 4, v7
	v_add_u32_e32 v6, 0x1000000, v4
	v_sub_u32_e32 v5, v7, v5
	v_ashrrev_i32_e32 v6, 8, v6
	v_add_u32_e32 v5, 0x3c000000, v5
	v_and_or_b32 v5, v6, s36, v5
	v_cmp_ne_u32_e32 vcc, 0, v4
	v_cndmask_b32_e32 v4, 0, v5, vcc
	v_and_or_b32 v3, v3, s37, v4
	v_bfe_u32 v4, v4, 16, 1
	v_add3_u32 v4, v3, v4, s38
	v_cmp_o_f32_e32 vcc, v3, v3
	v_mov_b32_e32 v3, 0x7fc0
	v_cndmask_b32_sdwa v4, v3, v4, vcc dst_sel:DWORD dst_unused:UNUSED_PAD src0_sel:DWORD src1_sel:WORD_1
.LBB223_841:
	s_mov_b64 s[36:37], 0
.LBB223_842:
	s_andn2_b64 vcc, exec, s[36:37]
	s_cbranch_vccnz .LBB223_844
; %bb.843:
	global_load_ubyte v3, v[0:1], off
	s_movk_i32 s36, 0x7f00
	s_brev_b32 s37, 16
	s_brev_b32 s38, 1
	s_movk_i32 s39, 0x7fff
	s_waitcnt vmcnt(0)
	v_lshlrev_b16_e32 v4, 8, v3
	v_lshlrev_b32_e32 v3, 25, v3
	v_lshrrev_b32_e32 v5, 4, v3
	v_and_or_b32 v6, v4, s36, 0.5
	v_or_b32_e32 v5, 0x70000000, v5
	v_add_f32_e32 v6, -0.5, v6
	v_mul_f32_e32 v5, 0x7800000, v5
	v_cmp_gt_u32_e32 vcc, s37, v3
	v_bfe_i32 v4, v4, 0, 16
	v_cndmask_b32_e32 v3, v5, v6, vcc
	v_and_or_b32 v4, v4, s38, v3
	v_bfe_u32 v3, v3, 16, 1
	v_add3_u32 v3, v4, v3, s39
	v_cmp_o_f32_e32 vcc, v4, v4
	v_mov_b32_e32 v4, 0x7fc0
	v_cndmask_b32_sdwa v4, v4, v3, vcc dst_sel:DWORD dst_unused:UNUSED_PAD src0_sel:DWORD src1_sel:WORD_1
.LBB223_844:
	s_mov_b64 s[36:37], 0
	s_mov_b64 s[38:39], -1
.LBB223_845:
	s_andn2_b64 vcc, exec, s[36:37]
	s_mov_b64 s[36:37], 0
	s_cbranch_vccnz .LBB223_856
; %bb.846:
	s_cmp_gt_i32 s48, 14
	s_cbranch_scc0 .LBB223_849
; %bb.847:
	s_cmp_eq_u32 s48, 15
	s_cbranch_scc0 .LBB223_852
; %bb.848:
	global_load_ushort v4, v[0:1], off
	s_mov_b64 s[34:35], 0
	s_mov_b64 s[38:39], -1
	s_branch .LBB223_853
.LBB223_849:
	s_mov_b64 s[40:41], -1
                                        ; implicit-def: $vgpr4
	s_branch .LBB223_854
.LBB223_850:
	s_or_saveexec_b64 s[38:39], s[38:39]
	v_mov_b32_e32 v4, 0x7f800001
	s_xor_b64 exec, exec, s[38:39]
	s_cbranch_execz .LBB223_831
.LBB223_851:
	v_cmp_ne_u16_e32 vcc, 0, v3
	s_andn2_b64 s[36:37], s[36:37], exec
	s_and_b64 s[40:41], vcc, exec
	v_mov_b32_e32 v4, 0
	s_or_b64 s[36:37], s[36:37], s[40:41]
	s_or_b64 exec, exec, s[38:39]
	s_and_saveexec_b64 s[38:39], s[36:37]
	s_cbranch_execnz .LBB223_832
	s_branch .LBB223_833
.LBB223_852:
	s_mov_b64 s[34:35], -1
                                        ; implicit-def: $vgpr4
.LBB223_853:
	s_mov_b64 s[40:41], 0
.LBB223_854:
	s_and_b64 vcc, exec, s[40:41]
	s_cbranch_vccz .LBB223_856
; %bb.855:
	s_cmp_lg_u32 s48, 11
	s_cselect_b64 s[40:41], -1, 0
	s_andn2_b64 s[34:35], s[34:35], exec
	s_and_b64 s[40:41], s[40:41], exec
	s_mov_b64 s[36:37], -1
	s_or_b64 s[34:35], s[34:35], s[40:41]
.LBB223_856:
	s_mov_b64 s[40:41], 0
.LBB223_857:
	s_and_b64 s[42:43], s[40:41], exec
	s_andn2_b64 s[40:41], s[2:3], exec
	s_and_b64 s[34:35], s[34:35], exec
	s_and_b64 s[38:39], s[38:39], exec
	s_and_b64 s[36:37], s[36:37], exec
	s_or_b64 s[40:41], s[40:41], s[34:35]
.LBB223_858:
	s_or_b64 exec, exec, s[28:29]
	s_and_b64 s[28:29], s[36:37], exec
	s_andn2_b64 s[2:3], s[2:3], exec
	s_and_b64 s[36:37], s[40:41], exec
	s_and_b64 s[38:39], s[38:39], exec
	;; [unrolled: 1-line block ×3, first 2 shown]
	s_or_b64 s[2:3], s[2:3], s[36:37]
.LBB223_859:
	s_or_b64 exec, exec, s[26:27]
	s_andn2_b64 s[22:23], s[22:23], exec
	s_and_b64 s[26:27], s[30:31], exec
	s_andn2_b64 s[20:21], s[20:21], exec
	s_and_b64 s[2:3], s[2:3], exec
	s_or_b64 s[22:23], s[22:23], s[26:27]
	s_and_b64 s[30:31], s[38:39], exec
	s_and_b64 s[26:27], s[34:35], exec
	;; [unrolled: 1-line block ×3, first 2 shown]
	s_or_b64 s[20:21], s[20:21], s[2:3]
.LBB223_860:
	s_or_b64 exec, exec, s[24:25]
	s_andn2_b64 s[2:3], s[14:15], exec
	s_and_b64 s[14:15], s[22:23], exec
	s_or_b64 s[14:15], s[2:3], s[14:15]
	s_andn2_b64 s[2:3], s[16:17], exec
	s_and_b64 s[16:17], s[20:21], exec
	s_and_b64 s[24:25], s[30:31], exec
	;; [unrolled: 1-line block ×4, first 2 shown]
	s_or_b64 s[16:17], s[2:3], s[16:17]
	s_or_b64 exec, exec, s[18:19]
	s_mov_b64 s[2:3], 0
	s_and_saveexec_b64 s[18:19], s[16:17]
	s_cbranch_execz .LBB223_262
.LBB223_861:
	s_mov_b64 s[2:3], exec
	s_andn2_b64 s[22:23], s[22:23], exec
	s_trap 2
	s_or_b64 exec, exec, s[18:19]
	s_and_saveexec_b64 s[16:17], s[22:23]
	s_xor_b64 s[16:17], exec, s[16:17]
	s_cbranch_execnz .LBB223_263
.LBB223_862:
	s_or_b64 exec, exec, s[16:17]
	s_and_saveexec_b64 s[16:17], s[26:27]
	s_cbranch_execz .LBB223_908
.LBB223_863:
	s_sext_i32_i16 s18, s47
	s_cmp_lt_i32 s18, 5
	s_cbranch_scc1 .LBB223_868
; %bb.864:
	s_cmp_lt_i32 s18, 8
	s_cbranch_scc1 .LBB223_869
; %bb.865:
	;; [unrolled: 3-line block ×3, first 2 shown]
	s_cmp_gt_i32 s18, 9
	s_cbranch_scc0 .LBB223_871
; %bb.867:
	global_load_dwordx2 v[3:4], v[0:1], off
	s_movk_i32 s18, 0x7fff
	s_waitcnt vmcnt(0)
	v_cvt_f32_f64_e32 v3, v[3:4]
	v_mov_b32_e32 v4, 0x7fc0
	v_bfe_u32 v5, v3, 16, 1
	v_cmp_o_f32_e32 vcc, v3, v3
	v_add3_u32 v3, v3, v5, s18
	v_cndmask_b32_sdwa v4, v4, v3, vcc dst_sel:DWORD dst_unused:UNUSED_PAD src0_sel:DWORD src1_sel:WORD_1
	s_mov_b64 s[18:19], 0
	s_branch .LBB223_872
.LBB223_868:
                                        ; implicit-def: $vgpr4
	s_branch .LBB223_889
.LBB223_869:
                                        ; implicit-def: $vgpr4
	s_branch .LBB223_878
.LBB223_870:
	s_mov_b64 s[18:19], -1
                                        ; implicit-def: $vgpr4
	s_branch .LBB223_875
.LBB223_871:
	s_mov_b64 s[18:19], -1
                                        ; implicit-def: $vgpr4
.LBB223_872:
	s_andn2_b64 vcc, exec, s[18:19]
	s_cbranch_vccnz .LBB223_874
; %bb.873:
	global_load_dword v3, v[0:1], off
	s_movk_i32 s18, 0x7fff
	s_waitcnt vmcnt(1)
	v_mov_b32_e32 v4, 0x7fc0
	s_waitcnt vmcnt(0)
	v_bfe_u32 v5, v3, 16, 1
	v_cmp_o_f32_e32 vcc, v3, v3
	v_add3_u32 v3, v3, v5, s18
	v_cndmask_b32_sdwa v4, v4, v3, vcc dst_sel:DWORD dst_unused:UNUSED_PAD src0_sel:DWORD src1_sel:WORD_1
.LBB223_874:
	s_mov_b64 s[18:19], 0
.LBB223_875:
	s_andn2_b64 vcc, exec, s[18:19]
	s_cbranch_vccnz .LBB223_877
; %bb.876:
	global_load_dword v3, v[0:1], off
	s_movk_i32 s18, 0x7fff
	v_mov_b32_e32 v5, 0x7fc0
	s_waitcnt vmcnt(0)
	v_cvt_f32_f16_e32 v4, v3
	v_cmp_o_f16_e32 vcc, v3, v3
	v_bfe_u32 v3, v4, 16, 1
	v_add3_u32 v3, v4, v3, s18
	v_cndmask_b32_sdwa v4, v5, v3, vcc dst_sel:DWORD dst_unused:UNUSED_PAD src0_sel:DWORD src1_sel:WORD_1
.LBB223_877:
	s_cbranch_execnz .LBB223_888
.LBB223_878:
	s_sext_i32_i16 s18, s47
	s_cmp_lt_i32 s18, 6
	s_cbranch_scc1 .LBB223_881
; %bb.879:
	s_cmp_gt_i32 s18, 6
	s_cbranch_scc0 .LBB223_882
; %bb.880:
	global_load_dwordx2 v[3:4], v[0:1], off
	s_movk_i32 s18, 0x7fff
	s_waitcnt vmcnt(0)
	v_cvt_f32_f64_e32 v3, v[3:4]
	v_mov_b32_e32 v4, 0x7fc0
	v_bfe_u32 v5, v3, 16, 1
	v_cmp_o_f32_e32 vcc, v3, v3
	v_add3_u32 v3, v3, v5, s18
	v_cndmask_b32_sdwa v4, v4, v3, vcc dst_sel:DWORD dst_unused:UNUSED_PAD src0_sel:DWORD src1_sel:WORD_1
	s_mov_b64 s[18:19], 0
	s_branch .LBB223_883
.LBB223_881:
	s_mov_b64 s[18:19], -1
                                        ; implicit-def: $vgpr4
	s_branch .LBB223_886
.LBB223_882:
	s_mov_b64 s[18:19], -1
                                        ; implicit-def: $vgpr4
.LBB223_883:
	s_andn2_b64 vcc, exec, s[18:19]
	s_cbranch_vccnz .LBB223_885
; %bb.884:
	global_load_dword v3, v[0:1], off
	s_movk_i32 s18, 0x7fff
	s_waitcnt vmcnt(1)
	v_mov_b32_e32 v4, 0x7fc0
	s_waitcnt vmcnt(0)
	v_bfe_u32 v5, v3, 16, 1
	v_cmp_o_f32_e32 vcc, v3, v3
	v_add3_u32 v3, v3, v5, s18
	v_cndmask_b32_sdwa v4, v4, v3, vcc dst_sel:DWORD dst_unused:UNUSED_PAD src0_sel:DWORD src1_sel:WORD_1
.LBB223_885:
	s_mov_b64 s[18:19], 0
.LBB223_886:
	s_andn2_b64 vcc, exec, s[18:19]
	s_cbranch_vccnz .LBB223_888
; %bb.887:
	global_load_ushort v3, v[0:1], off
	s_movk_i32 s18, 0x7fff
	v_mov_b32_e32 v5, 0x7fc0
	s_waitcnt vmcnt(0)
	v_cvt_f32_f16_e32 v4, v3
	v_cmp_o_f16_e32 vcc, v3, v3
	v_bfe_u32 v3, v4, 16, 1
	v_add3_u32 v3, v4, v3, s18
	v_cndmask_b32_sdwa v4, v5, v3, vcc dst_sel:DWORD dst_unused:UNUSED_PAD src0_sel:DWORD src1_sel:WORD_1
.LBB223_888:
	s_cbranch_execnz .LBB223_907
.LBB223_889:
	s_sext_i32_i16 s18, s47
	s_cmp_lt_i32 s18, 2
	s_cbranch_scc1 .LBB223_893
; %bb.890:
	s_cmp_lt_i32 s18, 3
	s_cbranch_scc1 .LBB223_894
; %bb.891:
	s_cmp_gt_i32 s18, 3
	s_cbranch_scc0 .LBB223_895
; %bb.892:
	global_load_dwordx2 v[3:4], v[0:1], off
	s_movk_i32 s18, 0x7fff
	s_waitcnt vmcnt(0)
	v_xor_b32_e32 v6, v3, v4
	v_ffbh_i32_e32 v5, v4
	v_ashrrev_i32_e32 v6, 31, v6
	v_add_u32_e32 v5, -1, v5
	v_add_u32_e32 v6, 32, v6
	v_min_u32_e32 v5, v5, v6
	v_lshlrev_b64 v[3:4], v5, v[3:4]
	v_min_u32_e32 v3, 1, v3
	v_or_b32_e32 v3, v4, v3
	v_cvt_f32_i32_e32 v3, v3
	v_sub_u32_e32 v4, 32, v5
	v_ldexp_f32 v3, v3, v4
	v_bfe_u32 v4, v3, 16, 1
	v_add3_u32 v3, v3, v4, s18
	v_lshrrev_b32_e32 v4, 16, v3
	s_mov_b64 s[18:19], 0
	s_branch .LBB223_896
.LBB223_893:
                                        ; implicit-def: $vgpr4
	s_branch .LBB223_902
.LBB223_894:
	s_mov_b64 s[18:19], -1
                                        ; implicit-def: $vgpr4
	s_branch .LBB223_899
.LBB223_895:
	s_mov_b64 s[18:19], -1
                                        ; implicit-def: $vgpr4
.LBB223_896:
	s_andn2_b64 vcc, exec, s[18:19]
	s_cbranch_vccnz .LBB223_898
; %bb.897:
	global_load_dword v3, v[0:1], off
	s_movk_i32 s18, 0x7fff
	s_waitcnt vmcnt(0)
	v_cvt_f32_i32_e32 v3, v3
	v_bfe_u32 v4, v3, 16, 1
	v_add3_u32 v3, v3, v4, s18
	v_lshrrev_b32_e32 v4, 16, v3
.LBB223_898:
	s_mov_b64 s[18:19], 0
.LBB223_899:
	s_andn2_b64 vcc, exec, s[18:19]
	s_cbranch_vccnz .LBB223_901
; %bb.900:
	global_load_sshort v3, v[0:1], off
	s_movk_i32 s18, 0x7fff
	s_waitcnt vmcnt(0)
	v_cvt_f32_i32_e32 v3, v3
	v_bfe_u32 v4, v3, 16, 1
	v_add3_u32 v3, v3, v4, s18
	v_lshrrev_b32_e32 v4, 16, v3
.LBB223_901:
	s_cbranch_execnz .LBB223_907
.LBB223_902:
	s_sext_i32_i16 s18, s47
	s_cmp_gt_i32 s18, 0
	s_cbranch_scc0 .LBB223_904
; %bb.903:
	global_load_sbyte v3, v[0:1], off
	s_movk_i32 s18, 0x7fff
	s_waitcnt vmcnt(0)
	v_cvt_f32_i32_e32 v3, v3
	v_bfe_u32 v4, v3, 16, 1
	v_add3_u32 v3, v3, v4, s18
	v_lshrrev_b32_e32 v4, 16, v3
	s_mov_b64 s[18:19], 0
	s_branch .LBB223_905
.LBB223_904:
	s_mov_b64 s[18:19], -1
                                        ; implicit-def: $vgpr4
.LBB223_905:
	s_andn2_b64 vcc, exec, s[18:19]
	s_cbranch_vccnz .LBB223_907
; %bb.906:
	global_load_ubyte v0, v[0:1], off
	s_movk_i32 s18, 0x7fff
	s_waitcnt vmcnt(0)
	v_cvt_f32_ubyte0_e32 v0, v0
	v_bfe_u32 v1, v0, 16, 1
	v_add3_u32 v0, v0, v1, s18
	v_lshrrev_b32_e32 v4, 16, v0
.LBB223_907:
	s_or_b64 s[24:25], s[24:25], exec
.LBB223_908:
	s_or_b64 exec, exec, s[16:17]
	s_mov_b64 s[20:21], 0
	s_mov_b64 s[18:19], 0
                                        ; implicit-def: $sgpr26
                                        ; implicit-def: $vgpr0_vgpr1
                                        ; implicit-def: $vgpr3
	s_and_saveexec_b64 s[16:17], s[24:25]
	s_cbranch_execz .LBB223_926
; %bb.909:
	v_mul_lo_u32 v0, v2, s12
	v_mov_b32_e32 v1, s33
	v_mov_b32_e32 v2, s9
	s_waitcnt vmcnt(0)
	v_cndmask_b32_e64 v3, v4, v1, s[0:1]
	v_ashrrev_i32_e32 v1, 31, v0
	s_and_b32 s26, s44, 0xff
	v_add_co_u32_e32 v0, vcc, s8, v0
	s_cmp_lt_i32 s26, 11
	v_addc_co_u32_e32 v1, vcc, v2, v1, vcc
	s_cbranch_scc1 .LBB223_929
; %bb.910:
	s_and_b32 s27, 0xffff, s26
	s_mov_b64 s[20:21], -1
	s_cmp_gt_i32 s27, 25
	s_mov_b64 s[0:1], s[14:15]
	s_cbranch_scc0 .LBB223_947
; %bb.911:
	s_mov_b64 s[18:19], -1
	s_cmp_gt_i32 s27, 28
	s_mov_b64 s[0:1], s[14:15]
	s_cbranch_scc0 .LBB223_931
; %bb.912:
	s_cmp_gt_i32 s27, 43
	s_mov_b64 s[0:1], s[14:15]
	s_cbranch_scc0 .LBB223_923
; %bb.913:
	;; [unrolled: 4-line block ×3, first 2 shown]
	s_cmp_eq_u32 s27, 46
	s_mov_b64 s[0:1], -1
	s_cbranch_scc0 .LBB223_916
; %bb.915:
	v_and_b32_e32 v2, 0xffff, v3
	global_store_dword v[0:1], v2, off
	s_mov_b64 s[0:1], 0
.LBB223_916:
	s_mov_b64 s[18:19], 0
.LBB223_917:
	s_and_b64 vcc, exec, s[18:19]
	s_cbranch_vccz .LBB223_922
; %bb.918:
	s_cmp_eq_u32 s27, 44
	s_mov_b64 s[0:1], -1
	s_cbranch_scc0 .LBB223_922
; %bb.919:
	v_and_b32_e32 v4, 0xffff, v3
	v_bfe_u32 v2, v4, 7, 8
	s_movk_i32 s0, 0xff
	v_cmp_ne_u32_e32 vcc, s0, v2
	v_mov_b32_e32 v5, 0xff
	s_and_saveexec_b64 s[18:19], vcc
	s_cbranch_execz .LBB223_921
; %bb.920:
	v_lshlrev_b32_e32 v6, 16, v4
	s_mov_b32 s0, 0x3f0000
	v_lshrrev_b32_e32 v5, 7, v4
	v_and_b32_e32 v4, 64, v4
	v_and_or_b32 v2, v6, s0, v2
	v_cmp_ne_u32_e32 vcc, 0, v4
	v_cmp_ne_u32_e64 s[0:1], 0, v2
	s_and_b64 s[0:1], vcc, s[0:1]
	v_cndmask_b32_e64 v2, 0, 1, s[0:1]
	v_add_u32_e32 v5, v5, v2
.LBB223_921:
	s_or_b64 exec, exec, s[18:19]
	s_mov_b64 s[0:1], 0
	global_store_byte v[0:1], v5, off
.LBB223_922:
	s_mov_b64 s[18:19], 0
.LBB223_923:
	s_and_b64 vcc, exec, s[18:19]
	s_cbranch_vccz .LBB223_930
; %bb.924:
	s_cmp_eq_u32 s27, 29
	s_mov_b64 s[0:1], -1
	s_cbranch_scc0 .LBB223_930
; %bb.925:
	v_lshlrev_b32_e32 v2, 16, v3
	v_trunc_f32_e32 v2, v2
	v_mul_f32_e32 v4, 0x2f800000, v2
	v_floor_f32_e32 v4, v4
	v_fmac_f32_e32 v2, 0xcf800000, v4
	v_cvt_u32_f32_e32 v5, v4
	v_cvt_u32_f32_e32 v4, v2
	s_mov_b64 s[0:1], 0
	s_mov_b64 s[18:19], 0
	global_store_dwordx2 v[0:1], v[4:5], off
	s_branch .LBB223_931
.LBB223_926:
	s_or_b64 exec, exec, s[16:17]
	s_and_saveexec_b64 s[0:1], s[14:15]
	s_cbranch_execnz .LBB223_989
.LBB223_927:
	s_or_b64 exec, exec, s[0:1]
	s_and_saveexec_b64 s[0:1], s[20:21]
	s_xor_b64 s[0:1], exec, s[0:1]
	s_cbranch_execz .LBB223_990
.LBB223_928:
	s_waitcnt vmcnt(0)
	v_and_b32_e32 v2, 0x7fff, v3
	v_cmp_ne_u16_e32 vcc, 0, v2
	v_cndmask_b32_e64 v2, 0, 1, vcc
	global_store_byte v[0:1], v2, off
	s_or_b64 exec, exec, s[0:1]
	s_and_saveexec_b64 s[0:1], s[18:19]
	s_xor_b64 s[0:1], exec, s[0:1]
	s_cbranch_execz .LBB223_1028
	s_branch .LBB223_991
.LBB223_929:
	s_mov_b64 s[18:19], -1
	s_mov_b64 s[0:1], s[14:15]
	s_branch .LBB223_988
.LBB223_930:
	s_mov_b64 s[18:19], 0
.LBB223_931:
	s_and_b64 vcc, exec, s[18:19]
	s_cbranch_vccz .LBB223_946
; %bb.932:
	s_cmp_lt_i32 s27, 27
	s_mov_b64 s[18:19], -1
	s_cbranch_scc1 .LBB223_938
; %bb.933:
	s_cmp_gt_i32 s27, 27
	s_cbranch_scc0 .LBB223_935
; %bb.934:
	v_lshlrev_b32_e32 v2, 16, v3
	v_cvt_u32_f32_e32 v2, v2
	s_mov_b64 s[18:19], 0
	global_store_dword v[0:1], v2, off
.LBB223_935:
	s_andn2_b64 vcc, exec, s[18:19]
	s_cbranch_vccnz .LBB223_937
; %bb.936:
	v_lshlrev_b32_e32 v2, 16, v3
	v_cvt_u32_f32_e32 v2, v2
	global_store_short v[0:1], v2, off
.LBB223_937:
	s_mov_b64 s[18:19], 0
.LBB223_938:
	s_andn2_b64 vcc, exec, s[18:19]
	s_cbranch_vccnz .LBB223_946
; %bb.939:
	v_lshlrev_b32_e32 v5, 16, v3
	v_and_b32_e32 v4, 0x7fffffff, v5
	s_mov_b32 s18, 0x43800000
	v_cmp_gt_u32_e32 vcc, s18, v4
	v_mov_b32_e32 v6, 0x80
	s_and_saveexec_b64 s[18:19], vcc
	s_cbranch_execz .LBB223_945
; %bb.940:
	s_mov_b32 s20, 0x3bffffff
	v_and_b32_e32 v2, 0xffff, v3
	v_cmp_lt_u32_e32 vcc, s20, v4
	s_mov_b64 s[20:21], 0
                                        ; implicit-def: $vgpr4
	s_and_saveexec_b64 s[22:23], vcc
	s_xor_b64 s[22:23], exec, s[22:23]
	s_cbranch_execz .LBB223_1043
; %bb.941:
	v_bfe_u32 v4, v2, 4, 1
	s_mov_b32 s24, 0x487ffff
	v_add3_u32 v4, v5, v4, s24
	s_mov_b64 s[20:21], exec
	v_lshrrev_b32_e32 v4, 20, v4
                                        ; implicit-def: $vgpr5
	s_andn2_saveexec_b64 s[22:23], s[22:23]
	s_cbranch_execnz .LBB223_1044
.LBB223_942:
	s_or_b64 exec, exec, s[22:23]
	v_mov_b32_e32 v6, 0
	s_and_saveexec_b64 s[22:23], s[20:21]
.LBB223_943:
	v_lshrrev_b32_e32 v2, 8, v2
	s_movk_i32 s20, 0x80
	v_and_or_b32 v6, v2, s20, v4
.LBB223_944:
	s_or_b64 exec, exec, s[22:23]
.LBB223_945:
	s_or_b64 exec, exec, s[18:19]
	global_store_byte v[0:1], v6, off
.LBB223_946:
	s_mov_b64 s[20:21], 0
.LBB223_947:
	s_mov_b64 s[18:19], 0
	s_and_b64 vcc, exec, s[20:21]
	s_cbranch_vccz .LBB223_987
; %bb.948:
	s_cmp_gt_i32 s27, 22
	s_mov_b64 s[20:21], -1
	s_cbranch_scc0 .LBB223_980
; %bb.949:
	s_cmp_lt_i32 s27, 24
	s_cbranch_scc1 .LBB223_969
; %bb.950:
	s_cmp_gt_i32 s27, 24
	s_cbranch_scc0 .LBB223_958
; %bb.951:
	v_lshlrev_b32_e32 v5, 16, v3
	v_and_b32_e32 v4, 0x7fffffff, v5
	s_mov_b32 s20, 0x47800000
	v_cmp_gt_u32_e32 vcc, s20, v4
	v_mov_b32_e32 v6, 0x80
	s_and_saveexec_b64 s[20:21], vcc
	s_cbranch_execz .LBB223_957
; %bb.952:
	s_mov_b32 s22, 0x37ffffff
	v_and_b32_e32 v2, 0xffff, v3
	v_cmp_lt_u32_e32 vcc, s22, v4
	s_mov_b64 s[22:23], 0
                                        ; implicit-def: $vgpr4
	s_and_saveexec_b64 s[24:25], vcc
	s_xor_b64 s[24:25], exec, s[24:25]
	s_cbranch_execz .LBB223_1169
; %bb.953:
	v_bfe_u32 v4, v2, 5, 1
	s_mov_b32 s28, 0x88fffff
	v_add3_u32 v4, v5, v4, s28
	s_mov_b64 s[22:23], exec
	v_lshrrev_b32_e32 v4, 21, v4
                                        ; implicit-def: $vgpr5
	s_andn2_saveexec_b64 s[24:25], s[24:25]
	s_cbranch_execnz .LBB223_1170
.LBB223_954:
	s_or_b64 exec, exec, s[24:25]
	v_mov_b32_e32 v6, 0
	s_and_saveexec_b64 s[24:25], s[22:23]
.LBB223_955:
	v_lshrrev_b32_e32 v2, 8, v2
	s_movk_i32 s22, 0x80
	v_and_or_b32 v6, v2, s22, v4
.LBB223_956:
	s_or_b64 exec, exec, s[24:25]
.LBB223_957:
	s_or_b64 exec, exec, s[20:21]
	s_mov_b64 s[20:21], 0
	global_store_byte v[0:1], v6, off
.LBB223_958:
	s_and_b64 vcc, exec, s[20:21]
	s_cbranch_vccz .LBB223_968
; %bb.959:
	v_lshlrev_b32_e32 v5, 16, v3
	v_and_b32_e32 v6, 0x7fffffff, v5
	s_mov_b32 s20, 0x43f00000
	v_and_b32_e32 v2, 0xffff, v3
	v_cmp_gt_u32_e32 vcc, s20, v6
                                        ; implicit-def: $vgpr4
	s_and_saveexec_b64 s[20:21], vcc
	s_xor_b64 s[20:21], exec, s[20:21]
	s_cbranch_execz .LBB223_965
; %bb.960:
	s_mov_b32 s22, 0x3c7fffff
	v_cmp_lt_u32_e32 vcc, s22, v6
                                        ; implicit-def: $vgpr4
	s_and_saveexec_b64 s[22:23], vcc
	s_xor_b64 s[22:23], exec, s[22:23]
; %bb.961:
	v_bfe_u32 v4, v2, 4, 1
	s_mov_b32 s24, 0x407ffff
	v_add3_u32 v4, v5, v4, s24
	v_lshrrev_b32_e32 v5, 20, v4
	v_and_b32_e32 v4, 0xff00000, v4
	s_mov_b32 s24, 0x7f00000
	v_mov_b32_e32 v6, 0x7e
	v_cmp_ne_u32_e32 vcc, s24, v4
	v_cndmask_b32_e32 v4, v6, v5, vcc
                                        ; implicit-def: $vgpr5
; %bb.962:
	s_andn2_saveexec_b64 s[22:23], s[22:23]
; %bb.963:
	s_mov_b32 s24, 0x46800000
	v_add_f32_e64 v4, |v5|, s24
; %bb.964:
	s_or_b64 exec, exec, s[22:23]
                                        ; implicit-def: $vgpr6
.LBB223_965:
	s_andn2_saveexec_b64 s[20:21], s[20:21]
; %bb.966:
	s_mov_b32 s22, 0x7f800000
	v_mov_b32_e32 v4, 0x7e
	v_mov_b32_e32 v5, 0x7f
	v_cmp_lt_u32_e32 vcc, s22, v6
	v_cndmask_b32_e32 v4, v4, v5, vcc
; %bb.967:
	s_or_b64 exec, exec, s[20:21]
	v_lshrrev_b32_e32 v2, 8, v2
	s_movk_i32 s20, 0x80
	v_and_or_b32 v2, v2, s20, v4
	global_store_byte v[0:1], v2, off
.LBB223_968:
	s_mov_b64 s[20:21], 0
.LBB223_969:
	s_andn2_b64 vcc, exec, s[20:21]
	s_cbranch_vccnz .LBB223_979
; %bb.970:
	v_lshlrev_b32_e32 v5, 16, v3
	v_and_b32_e32 v6, 0x7fffffff, v5
	s_mov_b32 s20, 0x47800000
	v_and_b32_e32 v2, 0xffff, v3
	v_cmp_gt_u32_e32 vcc, s20, v6
                                        ; implicit-def: $vgpr4
	s_and_saveexec_b64 s[20:21], vcc
	s_xor_b64 s[20:21], exec, s[20:21]
	s_cbranch_execz .LBB223_976
; %bb.971:
	s_mov_b32 s22, 0x387fffff
	v_cmp_lt_u32_e32 vcc, s22, v6
                                        ; implicit-def: $vgpr4
	s_and_saveexec_b64 s[22:23], vcc
	s_xor_b64 s[22:23], exec, s[22:23]
; %bb.972:
	v_bfe_u32 v4, v2, 5, 1
	s_mov_b32 s24, 0x80fffff
	v_add3_u32 v4, v5, v4, s24
	v_lshrrev_b32_e32 v4, 21, v4
                                        ; implicit-def: $vgpr5
; %bb.973:
	s_andn2_saveexec_b64 s[22:23], s[22:23]
; %bb.974:
	s_mov_b32 s24, 0x43000000
	v_add_f32_e64 v4, |v5|, s24
; %bb.975:
	s_or_b64 exec, exec, s[22:23]
                                        ; implicit-def: $vgpr6
.LBB223_976:
	s_andn2_saveexec_b64 s[20:21], s[20:21]
; %bb.977:
	s_mov_b32 s22, 0x7f800000
	v_mov_b32_e32 v4, 0x7c
	v_mov_b32_e32 v5, 0x7f
	v_cmp_lt_u32_e32 vcc, s22, v6
	v_cndmask_b32_e32 v4, v4, v5, vcc
; %bb.978:
	s_or_b64 exec, exec, s[20:21]
	v_lshrrev_b32_e32 v2, 8, v2
	s_movk_i32 s20, 0x80
	v_and_or_b32 v2, v2, s20, v4
	global_store_byte v[0:1], v2, off
.LBB223_979:
	s_mov_b64 s[20:21], 0
.LBB223_980:
	s_andn2_b64 vcc, exec, s[20:21]
	s_mov_b64 s[20:21], 0
	s_cbranch_vccnz .LBB223_988
; %bb.981:
	s_cmp_gt_i32 s27, 14
	s_mov_b64 s[22:23], -1
	s_cbranch_scc0 .LBB223_985
; %bb.982:
	s_cmp_eq_u32 s27, 15
	s_mov_b64 s[0:1], -1
	s_cbranch_scc0 .LBB223_984
; %bb.983:
	global_store_short v[0:1], v3, off
	s_mov_b64 s[0:1], 0
.LBB223_984:
	s_mov_b64 s[22:23], 0
.LBB223_985:
	s_and_b64 vcc, exec, s[22:23]
	s_cbranch_vccz .LBB223_988
; %bb.986:
	s_cmp_lg_u32 s27, 11
	s_cselect_b64 s[22:23], -1, 0
	s_andn2_b64 s[0:1], s[0:1], exec
	s_and_b64 s[22:23], s[22:23], exec
	s_mov_b64 s[20:21], -1
	s_or_b64 s[0:1], s[0:1], s[22:23]
	s_branch .LBB223_988
.LBB223_987:
	s_mov_b64 s[20:21], 0
.LBB223_988:
	s_andn2_b64 s[14:15], s[14:15], exec
	s_and_b64 s[0:1], s[0:1], exec
	s_and_b64 s[18:19], s[18:19], exec
	;; [unrolled: 1-line block ×3, first 2 shown]
	s_or_b64 s[14:15], s[14:15], s[0:1]
	s_or_b64 exec, exec, s[16:17]
	s_and_saveexec_b64 s[0:1], s[14:15]
	s_cbranch_execz .LBB223_927
.LBB223_989:
	s_or_b64 s[2:3], s[2:3], exec
	s_andn2_b64 s[20:21], s[20:21], exec
	s_trap 2
	s_or_b64 exec, exec, s[0:1]
	s_and_saveexec_b64 s[0:1], s[20:21]
	s_xor_b64 s[0:1], exec, s[0:1]
	s_cbranch_execnz .LBB223_928
.LBB223_990:
	s_or_b64 exec, exec, s[0:1]
	s_and_saveexec_b64 s[0:1], s[18:19]
	s_xor_b64 s[0:1], exec, s[0:1]
	s_cbranch_execz .LBB223_1028
.LBB223_991:
	s_sext_i32_i16 s16, s26
	s_cmp_lt_i32 s16, 5
	s_mov_b64 s[14:15], -1
	s_cbranch_scc1 .LBB223_1012
; %bb.992:
	s_cmp_lt_i32 s16, 8
	s_cbranch_scc1 .LBB223_1002
; %bb.993:
	s_cmp_lt_i32 s16, 9
	s_cbranch_scc1 .LBB223_999
; %bb.994:
	s_cmp_gt_i32 s16, 9
	s_cbranch_scc0 .LBB223_996
; %bb.995:
	s_waitcnt vmcnt(0)
	v_lshlrev_b32_e32 v2, 16, v3
	v_cvt_f64_f32_e32 v[4:5], v2
	v_mov_b32_e32 v6, 0
	v_mov_b32_e32 v7, v6
	s_mov_b64 s[14:15], 0
	global_store_dwordx4 v[0:1], v[4:7], off
.LBB223_996:
	s_andn2_b64 vcc, exec, s[14:15]
	s_cbranch_vccnz .LBB223_998
; %bb.997:
	s_waitcnt vmcnt(0)
	v_lshlrev_b32_e32 v4, 16, v3
	v_mov_b32_e32 v5, 0
	global_store_dwordx2 v[0:1], v[4:5], off
.LBB223_998:
	s_mov_b64 s[14:15], 0
.LBB223_999:
	s_andn2_b64 vcc, exec, s[14:15]
	s_cbranch_vccnz .LBB223_1001
; %bb.1000:
	s_waitcnt vmcnt(0)
	v_lshlrev_b32_e32 v2, 16, v3
	v_cvt_f16_f32_e32 v2, v2
	global_store_dword v[0:1], v2, off
.LBB223_1001:
	s_mov_b64 s[14:15], 0
.LBB223_1002:
	s_andn2_b64 vcc, exec, s[14:15]
	s_cbranch_vccnz .LBB223_1011
; %bb.1003:
	s_sext_i32_i16 s16, s26
	s_cmp_lt_i32 s16, 6
	s_mov_b64 s[14:15], -1
	s_cbranch_scc1 .LBB223_1009
; %bb.1004:
	s_cmp_gt_i32 s16, 6
	s_cbranch_scc0 .LBB223_1006
; %bb.1005:
	s_waitcnt vmcnt(0)
	v_lshlrev_b32_e32 v2, 16, v3
	v_cvt_f64_f32_e32 v[4:5], v2
	s_mov_b64 s[14:15], 0
	global_store_dwordx2 v[0:1], v[4:5], off
.LBB223_1006:
	s_andn2_b64 vcc, exec, s[14:15]
	s_cbranch_vccnz .LBB223_1008
; %bb.1007:
	s_waitcnt vmcnt(0)
	v_lshlrev_b32_e32 v2, 16, v3
	global_store_dword v[0:1], v2, off
.LBB223_1008:
	s_mov_b64 s[14:15], 0
.LBB223_1009:
	s_andn2_b64 vcc, exec, s[14:15]
	s_cbranch_vccnz .LBB223_1011
; %bb.1010:
	s_waitcnt vmcnt(0)
	v_lshlrev_b32_e32 v2, 16, v3
	v_cvt_f16_f32_e32 v2, v2
	global_store_short v[0:1], v2, off
.LBB223_1011:
	s_mov_b64 s[14:15], 0
.LBB223_1012:
	s_andn2_b64 vcc, exec, s[14:15]
	s_cbranch_vccnz .LBB223_1028
; %bb.1013:
	s_sext_i32_i16 s16, s26
	s_cmp_lt_i32 s16, 2
	s_mov_b64 s[14:15], -1
	s_cbranch_scc1 .LBB223_1023
; %bb.1014:
	s_cmp_lt_i32 s16, 3
	s_cbranch_scc1 .LBB223_1020
; %bb.1015:
	s_cmp_gt_i32 s16, 3
	s_cbranch_scc0 .LBB223_1017
; %bb.1016:
	s_waitcnt vmcnt(0)
	v_lshlrev_b32_e32 v2, 16, v3
	v_trunc_f32_e32 v2, v2
	s_mov_b32 s14, 0x2f800000
	v_mul_f32_e64 v4, |v2|, s14
	v_floor_f32_e32 v4, v4
	s_mov_b32 s14, 0xcf800000
	v_cvt_u32_f32_e32 v5, v4
	v_fma_f32 v4, v4, s14, |v2|
	v_cvt_u32_f32_e32 v4, v4
	v_ashrrev_i32_e32 v2, 31, v2
	v_xor_b32_e32 v5, v5, v2
	s_mov_b64 s[14:15], 0
	v_xor_b32_e32 v4, v4, v2
	v_sub_co_u32_e32 v4, vcc, v4, v2
	v_subb_co_u32_e32 v5, vcc, v5, v2, vcc
	global_store_dwordx2 v[0:1], v[4:5], off
.LBB223_1017:
	s_andn2_b64 vcc, exec, s[14:15]
	s_cbranch_vccnz .LBB223_1019
; %bb.1018:
	s_waitcnt vmcnt(0)
	v_lshlrev_b32_e32 v2, 16, v3
	v_cvt_i32_f32_e32 v2, v2
	global_store_dword v[0:1], v2, off
.LBB223_1019:
	s_mov_b64 s[14:15], 0
.LBB223_1020:
	s_andn2_b64 vcc, exec, s[14:15]
	s_cbranch_vccnz .LBB223_1022
; %bb.1021:
	s_waitcnt vmcnt(0)
	v_lshlrev_b32_e32 v2, 16, v3
	v_cvt_i32_f32_e32 v2, v2
	global_store_short v[0:1], v2, off
.LBB223_1022:
	s_mov_b64 s[14:15], 0
.LBB223_1023:
	s_andn2_b64 vcc, exec, s[14:15]
	s_cbranch_vccnz .LBB223_1028
; %bb.1024:
	s_sext_i32_i16 s16, s26
	s_mov_b64 s[14:15], -1
	s_cmp_gt_i32 s16, 0
	s_waitcnt vmcnt(0)
	v_lshlrev_b32_e32 v2, 16, v3
	s_cbranch_scc0 .LBB223_1026
; %bb.1025:
	v_cvt_i32_f32_e32 v3, v2
	s_mov_b64 s[14:15], 0
	global_store_byte v[0:1], v3, off
.LBB223_1026:
	s_andn2_b64 vcc, exec, s[14:15]
	s_cbranch_vccnz .LBB223_1028
; %bb.1027:
	v_trunc_f32_e32 v2, v2
	s_mov_b32 s14, 0x2f800000
	v_mul_f32_e64 v3, |v2|, s14
	v_floor_f32_e32 v3, v3
	s_mov_b32 s14, 0xcf800000
	v_fma_f32 v3, v3, s14, |v2|
	v_cvt_u32_f32_e32 v3, v3
	v_ashrrev_i32_e32 v2, 31, v2
	v_xor_b32_e32 v3, v3, v2
	v_sub_u32_e32 v2, v3, v2
	global_store_byte v[0:1], v2, off
.LBB223_1028:
	s_or_b64 exec, exec, s[0:1]
	s_and_b64 s[14:15], s[2:3], exec
                                        ; implicit-def: $vgpr2
.LBB223_1029:
	s_or_saveexec_b64 s[6:7], s[6:7]
	s_mov_b64 s[0:1], 0
                                        ; implicit-def: $sgpr22
                                        ; implicit-def: $vgpr0_vgpr1
                                        ; implicit-def: $vgpr3
	s_xor_b64 exec, exec, s[6:7]
	s_cbranch_execz .LBB223_1978
; %bb.1030:
	s_waitcnt vmcnt(0)
	v_mul_lo_u32 v4, s13, v2
	v_mov_b32_e32 v1, s11
	s_and_b32 s22, 0xffff, s47
	s_cmp_lt_i32 s22, 11
	v_ashrrev_i32_e32 v3, 31, v4
	v_add_co_u32_e32 v0, vcc, s10, v4
	v_addc_co_u32_e32 v1, vcc, v1, v3, vcc
	s_cbranch_scc1 .LBB223_1037
; %bb.1031:
	s_cmp_gt_i32 s22, 25
	s_mov_b64 s[2:3], 0
	s_cbranch_scc0 .LBB223_1039
; %bb.1032:
	s_cmp_gt_i32 s22, 28
	s_cbranch_scc0 .LBB223_1040
; %bb.1033:
	s_cmp_gt_i32 s22, 43
	;; [unrolled: 3-line block ×3, first 2 shown]
	s_cbranch_scc0 .LBB223_1042
; %bb.1035:
	s_cmp_eq_u32 s22, 46
	s_mov_b64 s[16:17], 0
	s_cbranch_scc0 .LBB223_1045
; %bb.1036:
	global_load_dword v3, v[0:1], off
	s_mov_b64 s[4:5], -1
	s_branch .LBB223_1047
.LBB223_1037:
                                        ; implicit-def: $vgpr3
	s_mov_b64 s[16:17], s[14:15]
	s_cbranch_execnz .LBB223_1110
.LBB223_1038:
	s_andn2_b64 vcc, exec, s[4:5]
	s_cbranch_vccz .LBB223_1155
	s_branch .LBB223_1976
.LBB223_1039:
                                        ; implicit-def: $vgpr3
	s_cbranch_execnz .LBB223_1075
	s_branch .LBB223_1106
.LBB223_1040:
	s_mov_b64 s[16:17], -1
                                        ; implicit-def: $vgpr3
	s_branch .LBB223_1056
.LBB223_1041:
                                        ; implicit-def: $vgpr3
	s_cbranch_execnz .LBB223_1052
	s_branch .LBB223_1055
.LBB223_1042:
	s_mov_b64 s[16:17], -1
	s_branch .LBB223_1046
.LBB223_1043:
	s_andn2_saveexec_b64 s[22:23], s[22:23]
	s_cbranch_execz .LBB223_942
.LBB223_1044:
	s_mov_b32 s24, 0x46000000
	v_add_f32_e64 v4, |v5|, s24
	v_and_b32_e32 v4, 0xff, v4
	v_cmp_ne_u32_e32 vcc, 0, v4
	s_andn2_b64 s[20:21], s[20:21], exec
	s_and_b64 s[24:25], vcc, exec
	s_or_b64 s[20:21], s[20:21], s[24:25]
	s_or_b64 exec, exec, s[22:23]
	v_mov_b32_e32 v6, 0
	s_and_saveexec_b64 s[22:23], s[20:21]
	s_cbranch_execnz .LBB223_943
	s_branch .LBB223_944
.LBB223_1045:
	s_mov_b64 s[0:1], -1
.LBB223_1046:
                                        ; implicit-def: $vgpr3
.LBB223_1047:
	s_and_b64 vcc, exec, s[16:17]
	s_cbranch_vccz .LBB223_1050
; %bb.1048:
	s_cmp_eq_u32 s22, 44
	s_cbranch_scc0 .LBB223_1051
; %bb.1049:
	global_load_ubyte v3, v[0:1], off
	s_movk_i32 s4, 0xff
	v_mov_b32_e32 v5, 0x7f800001
	v_mov_b32_e32 v6, 0x400000
	;; [unrolled: 1-line block ×3, first 2 shown]
	s_mov_b64 s[0:1], 0
	s_waitcnt vmcnt(0)
	v_lshlrev_b32_e32 v8, 23, v3
	v_cmp_ne_u32_e32 vcc, s4, v3
	v_cndmask_b32_e32 v5, v5, v8, vcc
	v_cmp_ne_u32_e32 vcc, 0, v3
	v_cndmask_b32_e32 v3, v6, v5, vcc
	v_add_u32_e32 v5, 0x7fff, v3
	v_cmp_o_f32_e32 vcc, v3, v3
	v_cndmask_b32_sdwa v3, v7, v5, vcc dst_sel:DWORD dst_unused:UNUSED_PAD src0_sel:DWORD src1_sel:WORD_1
	s_mov_b64 s[4:5], -1
.LBB223_1050:
	s_branch .LBB223_1055
.LBB223_1051:
	s_mov_b64 s[0:1], -1
                                        ; implicit-def: $vgpr3
	s_branch .LBB223_1055
.LBB223_1052:
	s_cmp_eq_u32 s22, 29
	s_cbranch_scc0 .LBB223_1054
; %bb.1053:
	global_load_dwordx2 v[5:6], v[0:1], off
	s_movk_i32 s4, 0x7fff
	s_mov_b64 s[0:1], 0
	s_mov_b64 s[16:17], 0
	s_waitcnt vmcnt(0)
	v_ffbh_u32_e32 v3, v6
	v_min_u32_e32 v3, 32, v3
	v_lshlrev_b64 v[5:6], v3, v[5:6]
	v_sub_u32_e32 v3, 32, v3
	v_min_u32_e32 v5, 1, v5
	v_or_b32_e32 v5, v6, v5
	v_cvt_f32_u32_e32 v5, v5
	v_ldexp_f32 v3, v5, v3
	v_bfe_u32 v5, v3, 16, 1
	v_add3_u32 v3, v3, v5, s4
	v_lshrrev_b32_e32 v3, 16, v3
	s_mov_b64 s[4:5], -1
	s_branch .LBB223_1056
.LBB223_1054:
	s_mov_b64 s[0:1], -1
                                        ; implicit-def: $vgpr3
.LBB223_1055:
	s_mov_b64 s[16:17], 0
.LBB223_1056:
	s_and_b64 vcc, exec, s[16:17]
	s_cbranch_vccz .LBB223_1074
; %bb.1057:
	s_cmp_lt_i32 s22, 27
	s_cbranch_scc1 .LBB223_1060
; %bb.1058:
	s_cmp_gt_i32 s22, 27
	s_cbranch_scc0 .LBB223_1061
; %bb.1059:
	global_load_dword v3, v[0:1], off
	s_movk_i32 s4, 0x7fff
	s_waitcnt vmcnt(0)
	v_cvt_f32_u32_e32 v3, v3
	v_bfe_u32 v5, v3, 16, 1
	v_add3_u32 v3, v3, v5, s4
	v_lshrrev_b32_e32 v3, 16, v3
	s_mov_b64 s[4:5], 0
	s_branch .LBB223_1062
.LBB223_1060:
	s_mov_b64 s[4:5], -1
                                        ; implicit-def: $vgpr3
	s_branch .LBB223_1065
.LBB223_1061:
	s_mov_b64 s[4:5], -1
                                        ; implicit-def: $vgpr3
.LBB223_1062:
	s_andn2_b64 vcc, exec, s[4:5]
	s_cbranch_vccnz .LBB223_1064
; %bb.1063:
	global_load_ushort v3, v[0:1], off
	s_movk_i32 s4, 0x7fff
	s_waitcnt vmcnt(0)
	v_cvt_f32_u32_e32 v3, v3
	v_bfe_u32 v5, v3, 16, 1
	v_add3_u32 v3, v3, v5, s4
	v_lshrrev_b32_e32 v3, 16, v3
.LBB223_1064:
	s_mov_b64 s[4:5], 0
.LBB223_1065:
	s_andn2_b64 vcc, exec, s[4:5]
	s_cbranch_vccnz .LBB223_1073
; %bb.1066:
	global_load_ubyte v3, v[0:1], off
	s_movk_i32 s4, 0x7f
	s_waitcnt vmcnt(0)
	v_cmp_lt_i16_e32 vcc, s4, v3
	s_mov_b64 s[4:5], 0
	s_and_saveexec_b64 s[16:17], vcc
	s_xor_b64 s[16:17], exec, s[16:17]
	s_cbranch_execz .LBB223_1086
; %bb.1067:
	s_movk_i32 s4, 0x80
	v_cmp_eq_u16_e32 vcc, s4, v3
	s_mov_b64 s[4:5], -1
	s_and_saveexec_b64 s[18:19], vcc
; %bb.1068:
	s_xor_b64 s[4:5], exec, -1
; %bb.1069:
	s_or_b64 exec, exec, s[18:19]
	s_and_b64 s[4:5], s[4:5], exec
	s_or_saveexec_b64 s[16:17], s[16:17]
	v_mov_b32_e32 v5, 0x7f800001
	s_xor_b64 exec, exec, s[16:17]
	s_cbranch_execnz .LBB223_1087
.LBB223_1070:
	s_or_b64 exec, exec, s[16:17]
	s_and_saveexec_b64 s[16:17], s[4:5]
	s_cbranch_execz .LBB223_1072
.LBB223_1071:
	v_lshlrev_b32_e32 v5, 24, v3
	v_and_b32_e32 v3, 0xffff, v3
	v_and_b32_e32 v6, 7, v3
	v_ffbh_u32_e32 v8, v6
	v_min_u32_e32 v8, 32, v8
	v_subrev_u32_e32 v9, 28, v8
	v_bfe_u32 v7, v3, 3, 4
	v_lshlrev_b32_e32 v3, v9, v3
	v_sub_u32_e32 v8, 29, v8
	v_and_b32_e32 v3, 7, v3
	v_cmp_eq_u32_e32 vcc, 0, v7
	v_cndmask_b32_e32 v7, v7, v8, vcc
	v_cndmask_b32_e32 v3, v6, v3, vcc
	v_mov_b32_e32 v6, 0x3b800000
	v_lshlrev_b32_e32 v3, 20, v3
	v_and_b32_e32 v5, 0x80000000, v5
	v_lshl_add_u32 v6, v7, 23, v6
	v_or3_b32 v5, v5, v6, v3
.LBB223_1072:
	s_or_b64 exec, exec, s[16:17]
	v_bfe_u32 v3, v5, 16, 1
	s_movk_i32 s4, 0x7fff
	v_add3_u32 v3, v5, v3, s4
	v_cmp_o_f32_e32 vcc, v5, v5
	v_mov_b32_e32 v5, 0x7fc0
	v_cndmask_b32_sdwa v3, v5, v3, vcc dst_sel:DWORD dst_unused:UNUSED_PAD src0_sel:DWORD src1_sel:WORD_1
.LBB223_1073:
	s_mov_b64 s[4:5], -1
.LBB223_1074:
	s_branch .LBB223_1106
.LBB223_1075:
	s_cmp_gt_i32 s22, 22
	s_cbranch_scc0 .LBB223_1085
; %bb.1076:
	s_cmp_lt_i32 s22, 24
	s_cbranch_scc1 .LBB223_1088
; %bb.1077:
	s_cmp_gt_i32 s22, 24
	s_cbranch_scc0 .LBB223_1089
; %bb.1078:
	global_load_ubyte v3, v[0:1], off
	s_movk_i32 s2, 0x7f
	s_waitcnt vmcnt(0)
	v_cmp_lt_i16_e32 vcc, s2, v3
	s_mov_b64 s[2:3], 0
	s_and_saveexec_b64 s[4:5], vcc
	s_xor_b64 s[4:5], exec, s[4:5]
	s_cbranch_execz .LBB223_1100
; %bb.1079:
	s_movk_i32 s2, 0x80
	v_cmp_eq_u16_e32 vcc, s2, v3
	s_mov_b64 s[2:3], -1
	s_and_saveexec_b64 s[16:17], vcc
; %bb.1080:
	s_xor_b64 s[2:3], exec, -1
; %bb.1081:
	s_or_b64 exec, exec, s[16:17]
	s_and_b64 s[2:3], s[2:3], exec
	s_or_saveexec_b64 s[4:5], s[4:5]
	v_mov_b32_e32 v5, 0x7f800001
	s_xor_b64 exec, exec, s[4:5]
	s_cbranch_execnz .LBB223_1101
.LBB223_1082:
	s_or_b64 exec, exec, s[4:5]
	s_and_saveexec_b64 s[4:5], s[2:3]
	s_cbranch_execz .LBB223_1084
.LBB223_1083:
	v_lshlrev_b32_e32 v5, 24, v3
	v_and_b32_e32 v3, 0xffff, v3
	v_and_b32_e32 v6, 3, v3
	v_ffbh_u32_e32 v8, v6
	v_min_u32_e32 v8, 32, v8
	v_subrev_u32_e32 v9, 29, v8
	v_bfe_u32 v7, v3, 2, 5
	v_lshlrev_b32_e32 v3, v9, v3
	v_sub_u32_e32 v8, 30, v8
	v_and_b32_e32 v3, 3, v3
	v_cmp_eq_u32_e32 vcc, 0, v7
	v_cndmask_b32_e32 v7, v7, v8, vcc
	v_cndmask_b32_e32 v3, v6, v3, vcc
	v_mov_b32_e32 v6, 0x37800000
	v_lshlrev_b32_e32 v3, 21, v3
	v_and_b32_e32 v5, 0x80000000, v5
	v_lshl_add_u32 v6, v7, 23, v6
	v_or3_b32 v5, v5, v6, v3
.LBB223_1084:
	s_or_b64 exec, exec, s[4:5]
	v_bfe_u32 v3, v5, 16, 1
	s_movk_i32 s2, 0x7fff
	v_add3_u32 v3, v5, v3, s2
	v_cmp_o_f32_e32 vcc, v5, v5
	v_mov_b32_e32 v5, 0x7fc0
	v_cndmask_b32_sdwa v3, v5, v3, vcc dst_sel:DWORD dst_unused:UNUSED_PAD src0_sel:DWORD src1_sel:WORD_1
	s_mov_b64 s[2:3], 0
	s_branch .LBB223_1090
.LBB223_1085:
                                        ; implicit-def: $vgpr3
	s_mov_b64 s[2:3], 0
	s_branch .LBB223_1096
.LBB223_1086:
	s_or_saveexec_b64 s[16:17], s[16:17]
	v_mov_b32_e32 v5, 0x7f800001
	s_xor_b64 exec, exec, s[16:17]
	s_cbranch_execz .LBB223_1070
.LBB223_1087:
	v_cmp_ne_u16_e32 vcc, 0, v3
	s_andn2_b64 s[4:5], s[4:5], exec
	s_and_b64 s[18:19], vcc, exec
	v_mov_b32_e32 v5, 0
	s_or_b64 s[4:5], s[4:5], s[18:19]
	s_or_b64 exec, exec, s[16:17]
	s_and_saveexec_b64 s[16:17], s[4:5]
	s_cbranch_execnz .LBB223_1071
	s_branch .LBB223_1072
.LBB223_1088:
	s_mov_b64 s[2:3], -1
                                        ; implicit-def: $vgpr3
	s_branch .LBB223_1093
.LBB223_1089:
	s_mov_b64 s[2:3], -1
                                        ; implicit-def: $vgpr3
.LBB223_1090:
	s_and_b64 vcc, exec, s[2:3]
	s_cbranch_vccz .LBB223_1092
; %bb.1091:
	global_load_ubyte v3, v[0:1], off
	s_mov_b32 s2, 0x7f800000
	s_brev_b32 s3, 1
	s_movk_i32 s4, 0x7fff
	s_waitcnt vmcnt(0)
	v_lshlrev_b32_e32 v3, 24, v3
	v_and_b32_e32 v5, 0x7f000000, v3
	v_ffbh_u32_e32 v6, v5
	v_min_u32_e32 v6, 32, v6
	v_sub_u32_e64 v6, v6, 4 clamp
	v_lshlrev_b32_e32 v8, v6, v5
	v_lshlrev_b32_e32 v6, 23, v6
	v_lshrrev_b32_e32 v8, 4, v8
	v_add_u32_e32 v7, 0x1000000, v5
	v_sub_u32_e32 v6, v8, v6
	v_ashrrev_i32_e32 v7, 8, v7
	v_add_u32_e32 v6, 0x3c000000, v6
	v_and_or_b32 v6, v7, s2, v6
	v_cmp_ne_u32_e32 vcc, 0, v5
	v_cndmask_b32_e32 v5, 0, v6, vcc
	v_and_or_b32 v3, v3, s3, v5
	v_bfe_u32 v5, v5, 16, 1
	v_add3_u32 v5, v3, v5, s4
	v_cmp_o_f32_e32 vcc, v3, v3
	v_mov_b32_e32 v3, 0x7fc0
	v_cndmask_b32_sdwa v3, v3, v5, vcc dst_sel:DWORD dst_unused:UNUSED_PAD src0_sel:DWORD src1_sel:WORD_1
.LBB223_1092:
	s_mov_b64 s[2:3], 0
.LBB223_1093:
	s_andn2_b64 vcc, exec, s[2:3]
	s_cbranch_vccnz .LBB223_1095
; %bb.1094:
	global_load_ubyte v3, v[0:1], off
	s_movk_i32 s2, 0x7f00
	s_brev_b32 s3, 16
	s_brev_b32 s4, 1
	s_movk_i32 s5, 0x7fff
	s_waitcnt vmcnt(0)
	v_lshlrev_b16_e32 v5, 8, v3
	v_lshlrev_b32_e32 v3, 25, v3
	v_lshrrev_b32_e32 v6, 4, v3
	v_and_or_b32 v7, v5, s2, 0.5
	v_or_b32_e32 v6, 0x70000000, v6
	v_add_f32_e32 v7, -0.5, v7
	v_mul_f32_e32 v6, 0x7800000, v6
	v_cmp_gt_u32_e32 vcc, s3, v3
	v_bfe_i32 v5, v5, 0, 16
	v_cndmask_b32_e32 v3, v6, v7, vcc
	v_and_or_b32 v5, v5, s4, v3
	v_bfe_u32 v3, v3, 16, 1
	v_add3_u32 v3, v5, v3, s5
	v_cmp_o_f32_e32 vcc, v5, v5
	v_mov_b32_e32 v5, 0x7fc0
	v_cndmask_b32_sdwa v3, v5, v3, vcc dst_sel:DWORD dst_unused:UNUSED_PAD src0_sel:DWORD src1_sel:WORD_1
.LBB223_1095:
	s_mov_b64 s[4:5], -1
	s_mov_b64 s[2:3], 0
	s_cbranch_execnz .LBB223_1106
.LBB223_1096:
	s_cmp_gt_i32 s22, 14
	s_cbranch_scc0 .LBB223_1099
; %bb.1097:
	s_cmp_eq_u32 s22, 15
	s_cbranch_scc0 .LBB223_1102
; %bb.1098:
	global_load_ushort v3, v[0:1], off
	s_mov_b64 s[0:1], 0
	s_mov_b64 s[4:5], -1
	s_branch .LBB223_1103
.LBB223_1099:
	s_mov_b64 s[16:17], -1
                                        ; implicit-def: $vgpr3
	s_branch .LBB223_1104
.LBB223_1100:
	s_or_saveexec_b64 s[4:5], s[4:5]
	v_mov_b32_e32 v5, 0x7f800001
	s_xor_b64 exec, exec, s[4:5]
	s_cbranch_execz .LBB223_1082
.LBB223_1101:
	v_cmp_ne_u16_e32 vcc, 0, v3
	s_andn2_b64 s[2:3], s[2:3], exec
	s_and_b64 s[16:17], vcc, exec
	v_mov_b32_e32 v5, 0
	s_or_b64 s[2:3], s[2:3], s[16:17]
	s_or_b64 exec, exec, s[4:5]
	s_and_saveexec_b64 s[4:5], s[2:3]
	s_cbranch_execnz .LBB223_1083
	s_branch .LBB223_1084
.LBB223_1102:
	s_mov_b64 s[0:1], -1
                                        ; implicit-def: $vgpr3
.LBB223_1103:
	s_mov_b64 s[16:17], 0
.LBB223_1104:
	s_and_b64 vcc, exec, s[16:17]
	s_cbranch_vccz .LBB223_1106
; %bb.1105:
	s_cmp_lg_u32 s22, 11
	s_mov_b64 s[2:3], -1
	s_cselect_b64 s[0:1], -1, 0
.LBB223_1106:
	s_and_b64 vcc, exec, s[0:1]
	s_mov_b64 s[16:17], s[14:15]
	s_cbranch_vccnz .LBB223_1167
; %bb.1107:
	s_andn2_b64 vcc, exec, s[2:3]
	s_cbranch_vccnz .LBB223_1109
.LBB223_1108:
	global_load_ubyte v3, v[0:1], off
	s_mov_b64 s[4:5], -1
	s_waitcnt vmcnt(0)
	v_cmp_ne_u16_e32 vcc, 0, v3
	v_cndmask_b32_e64 v3, 0, 1.0, vcc
	v_lshrrev_b32_e32 v3, 16, v3
.LBB223_1109:
	s_branch .LBB223_1038
.LBB223_1110:
	s_cmp_lt_i32 s22, 5
	s_cbranch_scc1 .LBB223_1115
; %bb.1111:
	s_cmp_lt_i32 s22, 8
	s_cbranch_scc1 .LBB223_1116
; %bb.1112:
	;; [unrolled: 3-line block ×3, first 2 shown]
	s_cmp_gt_i32 s22, 9
	s_cbranch_scc0 .LBB223_1118
; %bb.1114:
	global_load_dwordx2 v[5:6], v[0:1], off
	s_movk_i32 s0, 0x7fff
	s_waitcnt vmcnt(0)
	v_cvt_f32_f64_e32 v3, v[5:6]
	v_mov_b32_e32 v5, 0x7fc0
	v_bfe_u32 v6, v3, 16, 1
	v_cmp_o_f32_e32 vcc, v3, v3
	v_add3_u32 v3, v3, v6, s0
	v_cndmask_b32_sdwa v3, v5, v3, vcc dst_sel:DWORD dst_unused:UNUSED_PAD src0_sel:DWORD src1_sel:WORD_1
	s_mov_b64 s[0:1], 0
	s_branch .LBB223_1119
.LBB223_1115:
                                        ; implicit-def: $vgpr3
	s_branch .LBB223_1136
.LBB223_1116:
                                        ; implicit-def: $vgpr3
	s_branch .LBB223_1125
.LBB223_1117:
	s_mov_b64 s[0:1], -1
                                        ; implicit-def: $vgpr3
	s_branch .LBB223_1122
.LBB223_1118:
	s_mov_b64 s[0:1], -1
                                        ; implicit-def: $vgpr3
.LBB223_1119:
	s_andn2_b64 vcc, exec, s[0:1]
	s_cbranch_vccnz .LBB223_1121
; %bb.1120:
	global_load_dword v3, v[0:1], off
	s_movk_i32 s0, 0x7fff
	v_mov_b32_e32 v5, 0x7fc0
	s_waitcnt vmcnt(0)
	v_bfe_u32 v6, v3, 16, 1
	v_cmp_o_f32_e32 vcc, v3, v3
	v_add3_u32 v3, v3, v6, s0
	v_cndmask_b32_sdwa v3, v5, v3, vcc dst_sel:DWORD dst_unused:UNUSED_PAD src0_sel:DWORD src1_sel:WORD_1
.LBB223_1121:
	s_mov_b64 s[0:1], 0
.LBB223_1122:
	s_andn2_b64 vcc, exec, s[0:1]
	s_cbranch_vccnz .LBB223_1124
; %bb.1123:
	global_load_dword v3, v[0:1], off
	s_movk_i32 s0, 0x7fff
	v_mov_b32_e32 v6, 0x7fc0
	s_waitcnt vmcnt(0)
	v_cvt_f32_f16_e32 v5, v3
	v_cmp_o_f16_e32 vcc, v3, v3
	v_bfe_u32 v3, v5, 16, 1
	v_add3_u32 v3, v5, v3, s0
	v_cndmask_b32_sdwa v3, v6, v3, vcc dst_sel:DWORD dst_unused:UNUSED_PAD src0_sel:DWORD src1_sel:WORD_1
.LBB223_1124:
	s_cbranch_execnz .LBB223_1135
.LBB223_1125:
	s_cmp_lt_i32 s22, 6
	s_cbranch_scc1 .LBB223_1128
; %bb.1126:
	s_cmp_gt_i32 s22, 6
	s_cbranch_scc0 .LBB223_1129
; %bb.1127:
	global_load_dwordx2 v[5:6], v[0:1], off
	s_movk_i32 s0, 0x7fff
	s_waitcnt vmcnt(0)
	v_cvt_f32_f64_e32 v3, v[5:6]
	v_mov_b32_e32 v5, 0x7fc0
	v_bfe_u32 v6, v3, 16, 1
	v_cmp_o_f32_e32 vcc, v3, v3
	v_add3_u32 v3, v3, v6, s0
	v_cndmask_b32_sdwa v3, v5, v3, vcc dst_sel:DWORD dst_unused:UNUSED_PAD src0_sel:DWORD src1_sel:WORD_1
	s_mov_b64 s[0:1], 0
	s_branch .LBB223_1130
.LBB223_1128:
	s_mov_b64 s[0:1], -1
                                        ; implicit-def: $vgpr3
	s_branch .LBB223_1133
.LBB223_1129:
	s_mov_b64 s[0:1], -1
                                        ; implicit-def: $vgpr3
.LBB223_1130:
	s_andn2_b64 vcc, exec, s[0:1]
	s_cbranch_vccnz .LBB223_1132
; %bb.1131:
	global_load_dword v3, v[0:1], off
	s_movk_i32 s0, 0x7fff
	v_mov_b32_e32 v5, 0x7fc0
	s_waitcnt vmcnt(0)
	v_bfe_u32 v6, v3, 16, 1
	v_cmp_o_f32_e32 vcc, v3, v3
	v_add3_u32 v3, v3, v6, s0
	v_cndmask_b32_sdwa v3, v5, v3, vcc dst_sel:DWORD dst_unused:UNUSED_PAD src0_sel:DWORD src1_sel:WORD_1
.LBB223_1132:
	s_mov_b64 s[0:1], 0
.LBB223_1133:
	s_andn2_b64 vcc, exec, s[0:1]
	s_cbranch_vccnz .LBB223_1135
; %bb.1134:
	global_load_ushort v3, v[0:1], off
	s_movk_i32 s0, 0x7fff
	v_mov_b32_e32 v6, 0x7fc0
	s_waitcnt vmcnt(0)
	v_cvt_f32_f16_e32 v5, v3
	v_cmp_o_f16_e32 vcc, v3, v3
	v_bfe_u32 v3, v5, 16, 1
	v_add3_u32 v3, v5, v3, s0
	v_cndmask_b32_sdwa v3, v6, v3, vcc dst_sel:DWORD dst_unused:UNUSED_PAD src0_sel:DWORD src1_sel:WORD_1
.LBB223_1135:
	s_cbranch_execnz .LBB223_1154
.LBB223_1136:
	s_cmp_lt_i32 s22, 2
	s_cbranch_scc1 .LBB223_1140
; %bb.1137:
	s_cmp_lt_i32 s22, 3
	s_cbranch_scc1 .LBB223_1141
; %bb.1138:
	s_cmp_gt_i32 s22, 3
	s_cbranch_scc0 .LBB223_1142
; %bb.1139:
	global_load_dwordx2 v[5:6], v[0:1], off
	s_movk_i32 s0, 0x7fff
	s_waitcnt vmcnt(0)
	v_xor_b32_e32 v7, v5, v6
	v_ffbh_i32_e32 v3, v6
	v_ashrrev_i32_e32 v7, 31, v7
	v_add_u32_e32 v3, -1, v3
	v_add_u32_e32 v7, 32, v7
	v_min_u32_e32 v3, v3, v7
	v_lshlrev_b64 v[5:6], v3, v[5:6]
	v_sub_u32_e32 v3, 32, v3
	v_min_u32_e32 v5, 1, v5
	v_or_b32_e32 v5, v6, v5
	v_cvt_f32_i32_e32 v5, v5
	v_ldexp_f32 v3, v5, v3
	v_bfe_u32 v5, v3, 16, 1
	v_add3_u32 v3, v3, v5, s0
	v_lshrrev_b32_e32 v3, 16, v3
	s_mov_b64 s[0:1], 0
	s_branch .LBB223_1143
.LBB223_1140:
                                        ; implicit-def: $vgpr3
	s_branch .LBB223_1149
.LBB223_1141:
	s_mov_b64 s[0:1], -1
                                        ; implicit-def: $vgpr3
	s_branch .LBB223_1146
.LBB223_1142:
	s_mov_b64 s[0:1], -1
                                        ; implicit-def: $vgpr3
.LBB223_1143:
	s_andn2_b64 vcc, exec, s[0:1]
	s_cbranch_vccnz .LBB223_1145
; %bb.1144:
	global_load_dword v3, v[0:1], off
	s_movk_i32 s0, 0x7fff
	s_waitcnt vmcnt(0)
	v_cvt_f32_i32_e32 v3, v3
	v_bfe_u32 v5, v3, 16, 1
	v_add3_u32 v3, v3, v5, s0
	v_lshrrev_b32_e32 v3, 16, v3
.LBB223_1145:
	s_mov_b64 s[0:1], 0
.LBB223_1146:
	s_andn2_b64 vcc, exec, s[0:1]
	s_cbranch_vccnz .LBB223_1148
; %bb.1147:
	global_load_sshort v3, v[0:1], off
	s_movk_i32 s0, 0x7fff
	s_waitcnt vmcnt(0)
	v_cvt_f32_i32_e32 v3, v3
	v_bfe_u32 v5, v3, 16, 1
	v_add3_u32 v3, v3, v5, s0
	v_lshrrev_b32_e32 v3, 16, v3
.LBB223_1148:
	s_cbranch_execnz .LBB223_1154
.LBB223_1149:
	s_cmp_gt_i32 s22, 0
	s_cbranch_scc0 .LBB223_1151
; %bb.1150:
	global_load_sbyte v3, v[0:1], off
	s_movk_i32 s0, 0x7fff
	s_waitcnt vmcnt(0)
	v_cvt_f32_i32_e32 v3, v3
	v_bfe_u32 v5, v3, 16, 1
	v_add3_u32 v3, v3, v5, s0
	v_lshrrev_b32_e32 v3, 16, v3
	s_mov_b64 s[0:1], 0
	s_branch .LBB223_1152
.LBB223_1151:
	s_mov_b64 s[0:1], -1
                                        ; implicit-def: $vgpr3
.LBB223_1152:
	s_andn2_b64 vcc, exec, s[0:1]
	s_cbranch_vccnz .LBB223_1154
; %bb.1153:
	global_load_ubyte v0, v[0:1], off
	s_movk_i32 s0, 0x7fff
	s_waitcnt vmcnt(0)
	v_cvt_f32_ubyte0_e32 v0, v0
	v_bfe_u32 v1, v0, 16, 1
	v_add3_u32 v0, v0, v1, s0
	v_lshrrev_b32_e32 v3, 16, v0
.LBB223_1154:
.LBB223_1155:
	s_lshl_b32 s13, s13, 7
	v_add_u32_e32 v5, s13, v4
	v_ashrrev_i32_e32 v1, 31, v5
	v_mov_b32_e32 v4, s11
	v_add_co_u32_e32 v0, vcc, s10, v5
	s_cmp_lt_i32 s22, 11
	v_addc_co_u32_e32 v1, vcc, v4, v1, vcc
	s_cbranch_scc1 .LBB223_1162
; %bb.1156:
	s_cmp_gt_i32 s22, 25
	s_mov_b64 s[2:3], 0
	s_cbranch_scc0 .LBB223_1164
; %bb.1157:
	s_cmp_gt_i32 s22, 28
	s_cbranch_scc0 .LBB223_1165
; %bb.1158:
	s_cmp_gt_i32 s22, 43
	;; [unrolled: 3-line block ×3, first 2 shown]
	s_cbranch_scc0 .LBB223_1168
; %bb.1160:
	s_cmp_eq_u32 s22, 46
	s_mov_b64 s[18:19], 0
	s_cbranch_scc0 .LBB223_1171
; %bb.1161:
	global_load_dword v4, v[0:1], off
	s_mov_b64 s[0:1], 0
	s_mov_b64 s[4:5], -1
	s_branch .LBB223_1172
.LBB223_1162:
	s_mov_b64 s[4:5], 0
                                        ; implicit-def: $vgpr4
	s_cbranch_execnz .LBB223_1237
.LBB223_1163:
	s_andn2_b64 vcc, exec, s[4:5]
	s_cbranch_vccnz .LBB223_1976
	s_branch .LBB223_1284
.LBB223_1164:
	s_mov_b64 s[4:5], 0
	s_mov_b64 s[0:1], 0
                                        ; implicit-def: $vgpr4
	s_cbranch_execnz .LBB223_1201
	s_branch .LBB223_1233
.LBB223_1165:
	s_mov_b64 s[18:19], -1
	s_mov_b64 s[4:5], 0
	s_mov_b64 s[0:1], 0
                                        ; implicit-def: $vgpr4
	s_branch .LBB223_1182
.LBB223_1166:
	s_mov_b64 s[18:19], -1
	s_mov_b64 s[4:5], 0
	s_mov_b64 s[0:1], 0
                                        ; implicit-def: $vgpr4
	s_branch .LBB223_1177
.LBB223_1167:
	s_or_b64 s[16:17], s[14:15], exec
	s_trap 2
	s_cbranch_execz .LBB223_1108
	s_branch .LBB223_1109
.LBB223_1168:
	s_mov_b64 s[18:19], -1
	s_mov_b64 s[4:5], 0
	s_mov_b64 s[0:1], 0
                                        ; implicit-def: $vgpr4
	s_branch .LBB223_1172
.LBB223_1169:
	s_andn2_saveexec_b64 s[24:25], s[24:25]
	s_cbranch_execz .LBB223_954
.LBB223_1170:
	s_mov_b32 s28, 0x42800000
	v_add_f32_e64 v4, |v5|, s28
	v_and_b32_e32 v4, 0xff, v4
	v_cmp_ne_u32_e32 vcc, 0, v4
	s_andn2_b64 s[22:23], s[22:23], exec
	s_and_b64 s[28:29], vcc, exec
	s_or_b64 s[22:23], s[22:23], s[28:29]
	s_or_b64 exec, exec, s[24:25]
	v_mov_b32_e32 v6, 0
	s_and_saveexec_b64 s[24:25], s[22:23]
	s_cbranch_execnz .LBB223_955
	s_branch .LBB223_956
.LBB223_1171:
	s_mov_b64 s[0:1], -1
                                        ; implicit-def: $vgpr4
	s_mov_b64 s[4:5], 0
.LBB223_1172:
	s_and_b64 vcc, exec, s[18:19]
	s_cbranch_vccz .LBB223_1176
; %bb.1173:
	s_cmp_eq_u32 s22, 44
	s_cbranch_scc0 .LBB223_1175
; %bb.1174:
	global_load_ubyte v4, v[0:1], off
	s_movk_i32 s4, 0xff
	v_mov_b32_e32 v6, 0x7f800001
	v_mov_b32_e32 v7, 0x400000
	;; [unrolled: 1-line block ×3, first 2 shown]
	s_mov_b64 s[0:1], 0
	s_waitcnt vmcnt(0)
	v_lshlrev_b32_e32 v9, 23, v4
	v_cmp_ne_u32_e32 vcc, s4, v4
	v_cndmask_b32_e32 v6, v6, v9, vcc
	v_cmp_ne_u32_e32 vcc, 0, v4
	v_cndmask_b32_e32 v4, v7, v6, vcc
	v_add_u32_e32 v6, 0x7fff, v4
	v_cmp_o_f32_e32 vcc, v4, v4
	v_cndmask_b32_sdwa v4, v8, v6, vcc dst_sel:DWORD dst_unused:UNUSED_PAD src0_sel:DWORD src1_sel:WORD_1
	s_mov_b64 s[4:5], -1
	s_branch .LBB223_1176
.LBB223_1175:
	s_mov_b64 s[0:1], -1
                                        ; implicit-def: $vgpr4
.LBB223_1176:
	s_mov_b64 s[18:19], 0
.LBB223_1177:
	s_and_b64 vcc, exec, s[18:19]
	s_cbranch_vccz .LBB223_1181
; %bb.1178:
	s_cmp_eq_u32 s22, 29
	s_cbranch_scc0 .LBB223_1180
; %bb.1179:
	global_load_dwordx2 v[6:7], v[0:1], off
	s_movk_i32 s4, 0x7fff
	s_mov_b64 s[0:1], 0
	s_mov_b64 s[18:19], 0
	s_waitcnt vmcnt(0)
	v_ffbh_u32_e32 v4, v7
	v_min_u32_e32 v4, 32, v4
	v_lshlrev_b64 v[6:7], v4, v[6:7]
	v_sub_u32_e32 v4, 32, v4
	v_min_u32_e32 v6, 1, v6
	v_or_b32_e32 v6, v7, v6
	v_cvt_f32_u32_e32 v6, v6
	v_ldexp_f32 v4, v6, v4
	v_bfe_u32 v6, v4, 16, 1
	v_add3_u32 v4, v4, v6, s4
	v_lshrrev_b32_e32 v4, 16, v4
	s_mov_b64 s[4:5], -1
	s_branch .LBB223_1182
.LBB223_1180:
	s_mov_b64 s[0:1], -1
                                        ; implicit-def: $vgpr4
.LBB223_1181:
	s_mov_b64 s[18:19], 0
.LBB223_1182:
	s_and_b64 vcc, exec, s[18:19]
	s_cbranch_vccz .LBB223_1200
; %bb.1183:
	s_cmp_lt_i32 s22, 27
	s_cbranch_scc1 .LBB223_1186
; %bb.1184:
	s_cmp_gt_i32 s22, 27
	s_cbranch_scc0 .LBB223_1187
; %bb.1185:
	global_load_dword v4, v[0:1], off
	s_movk_i32 s4, 0x7fff
	s_waitcnt vmcnt(0)
	v_cvt_f32_u32_e32 v4, v4
	v_bfe_u32 v6, v4, 16, 1
	v_add3_u32 v4, v4, v6, s4
	v_lshrrev_b32_e32 v4, 16, v4
	s_mov_b64 s[4:5], 0
	s_branch .LBB223_1188
.LBB223_1186:
	s_mov_b64 s[4:5], -1
                                        ; implicit-def: $vgpr4
	s_branch .LBB223_1191
.LBB223_1187:
	s_mov_b64 s[4:5], -1
                                        ; implicit-def: $vgpr4
.LBB223_1188:
	s_andn2_b64 vcc, exec, s[4:5]
	s_cbranch_vccnz .LBB223_1190
; %bb.1189:
	global_load_ushort v4, v[0:1], off
	s_movk_i32 s4, 0x7fff
	s_waitcnt vmcnt(0)
	v_cvt_f32_u32_e32 v4, v4
	v_bfe_u32 v6, v4, 16, 1
	v_add3_u32 v4, v4, v6, s4
	v_lshrrev_b32_e32 v4, 16, v4
.LBB223_1190:
	s_mov_b64 s[4:5], 0
.LBB223_1191:
	s_andn2_b64 vcc, exec, s[4:5]
	s_cbranch_vccnz .LBB223_1199
; %bb.1192:
	global_load_ubyte v4, v[0:1], off
	s_movk_i32 s4, 0x7f
	s_waitcnt vmcnt(0)
	v_cmp_lt_i16_e32 vcc, s4, v4
	s_mov_b64 s[4:5], 0
	s_and_saveexec_b64 s[18:19], vcc
	s_xor_b64 s[18:19], exec, s[18:19]
	s_cbranch_execz .LBB223_1212
; %bb.1193:
	s_movk_i32 s4, 0x80
	v_cmp_eq_u16_e32 vcc, s4, v4
	s_mov_b64 s[4:5], -1
	s_and_saveexec_b64 s[20:21], vcc
; %bb.1194:
	s_xor_b64 s[4:5], exec, -1
; %bb.1195:
	s_or_b64 exec, exec, s[20:21]
	s_and_b64 s[4:5], s[4:5], exec
	s_or_saveexec_b64 s[18:19], s[18:19]
	v_mov_b32_e32 v6, 0x7f800001
	s_xor_b64 exec, exec, s[18:19]
	s_cbranch_execnz .LBB223_1213
.LBB223_1196:
	s_or_b64 exec, exec, s[18:19]
	s_and_saveexec_b64 s[18:19], s[4:5]
	s_cbranch_execz .LBB223_1198
.LBB223_1197:
	v_lshlrev_b32_e32 v6, 24, v4
	v_and_b32_e32 v4, 0xffff, v4
	v_and_b32_e32 v7, 7, v4
	v_ffbh_u32_e32 v9, v7
	v_min_u32_e32 v9, 32, v9
	v_subrev_u32_e32 v10, 28, v9
	v_bfe_u32 v8, v4, 3, 4
	v_lshlrev_b32_e32 v4, v10, v4
	v_sub_u32_e32 v9, 29, v9
	v_and_b32_e32 v4, 7, v4
	v_cmp_eq_u32_e32 vcc, 0, v8
	v_cndmask_b32_e32 v8, v8, v9, vcc
	v_cndmask_b32_e32 v4, v7, v4, vcc
	v_mov_b32_e32 v7, 0x3b800000
	v_lshlrev_b32_e32 v4, 20, v4
	v_and_b32_e32 v6, 0x80000000, v6
	v_lshl_add_u32 v7, v8, 23, v7
	v_or3_b32 v6, v6, v7, v4
.LBB223_1198:
	s_or_b64 exec, exec, s[18:19]
	v_bfe_u32 v4, v6, 16, 1
	s_movk_i32 s4, 0x7fff
	v_add3_u32 v4, v6, v4, s4
	v_cmp_o_f32_e32 vcc, v6, v6
	v_mov_b32_e32 v6, 0x7fc0
	v_cndmask_b32_sdwa v4, v6, v4, vcc dst_sel:DWORD dst_unused:UNUSED_PAD src0_sel:DWORD src1_sel:WORD_1
.LBB223_1199:
	s_mov_b64 s[4:5], -1
.LBB223_1200:
	s_branch .LBB223_1233
.LBB223_1201:
	s_cmp_gt_i32 s22, 22
	s_cbranch_scc0 .LBB223_1211
; %bb.1202:
	s_cmp_lt_i32 s22, 24
	s_cbranch_scc1 .LBB223_1214
; %bb.1203:
	s_cmp_gt_i32 s22, 24
	s_cbranch_scc0 .LBB223_1215
; %bb.1204:
	global_load_ubyte v4, v[0:1], off
	s_movk_i32 s2, 0x7f
	s_waitcnt vmcnt(0)
	v_cmp_lt_i16_e32 vcc, s2, v4
	s_mov_b64 s[2:3], 0
	s_and_saveexec_b64 s[4:5], vcc
	s_xor_b64 s[4:5], exec, s[4:5]
	s_cbranch_execz .LBB223_1227
; %bb.1205:
	s_movk_i32 s2, 0x80
	v_cmp_eq_u16_e32 vcc, s2, v4
	s_mov_b64 s[2:3], -1
	s_and_saveexec_b64 s[18:19], vcc
; %bb.1206:
	s_xor_b64 s[2:3], exec, -1
; %bb.1207:
	s_or_b64 exec, exec, s[18:19]
	s_and_b64 s[2:3], s[2:3], exec
	s_or_saveexec_b64 s[4:5], s[4:5]
	v_mov_b32_e32 v6, 0x7f800001
	s_xor_b64 exec, exec, s[4:5]
	s_cbranch_execnz .LBB223_1228
.LBB223_1208:
	s_or_b64 exec, exec, s[4:5]
	s_and_saveexec_b64 s[4:5], s[2:3]
	s_cbranch_execz .LBB223_1210
.LBB223_1209:
	v_lshlrev_b32_e32 v6, 24, v4
	v_and_b32_e32 v4, 0xffff, v4
	v_and_b32_e32 v7, 3, v4
	v_ffbh_u32_e32 v9, v7
	v_min_u32_e32 v9, 32, v9
	v_subrev_u32_e32 v10, 29, v9
	v_bfe_u32 v8, v4, 2, 5
	v_lshlrev_b32_e32 v4, v10, v4
	v_sub_u32_e32 v9, 30, v9
	v_and_b32_e32 v4, 3, v4
	v_cmp_eq_u32_e32 vcc, 0, v8
	v_cndmask_b32_e32 v8, v8, v9, vcc
	v_cndmask_b32_e32 v4, v7, v4, vcc
	v_mov_b32_e32 v7, 0x37800000
	v_lshlrev_b32_e32 v4, 21, v4
	v_and_b32_e32 v6, 0x80000000, v6
	v_lshl_add_u32 v7, v8, 23, v7
	v_or3_b32 v6, v6, v7, v4
.LBB223_1210:
	s_or_b64 exec, exec, s[4:5]
	v_bfe_u32 v4, v6, 16, 1
	s_movk_i32 s2, 0x7fff
	v_add3_u32 v4, v6, v4, s2
	v_cmp_o_f32_e32 vcc, v6, v6
	v_mov_b32_e32 v6, 0x7fc0
	v_cndmask_b32_sdwa v4, v6, v4, vcc dst_sel:DWORD dst_unused:UNUSED_PAD src0_sel:DWORD src1_sel:WORD_1
	s_mov_b64 s[2:3], 0
	s_branch .LBB223_1216
.LBB223_1211:
	s_mov_b64 s[2:3], -1
                                        ; implicit-def: $vgpr4
	s_branch .LBB223_1222
.LBB223_1212:
	s_or_saveexec_b64 s[18:19], s[18:19]
	v_mov_b32_e32 v6, 0x7f800001
	s_xor_b64 exec, exec, s[18:19]
	s_cbranch_execz .LBB223_1196
.LBB223_1213:
	v_cmp_ne_u16_e32 vcc, 0, v4
	s_andn2_b64 s[4:5], s[4:5], exec
	s_and_b64 s[20:21], vcc, exec
	v_mov_b32_e32 v6, 0
	s_or_b64 s[4:5], s[4:5], s[20:21]
	s_or_b64 exec, exec, s[18:19]
	s_and_saveexec_b64 s[18:19], s[4:5]
	s_cbranch_execnz .LBB223_1197
	s_branch .LBB223_1198
.LBB223_1214:
	s_mov_b64 s[2:3], -1
                                        ; implicit-def: $vgpr4
	s_branch .LBB223_1219
.LBB223_1215:
	s_mov_b64 s[2:3], -1
                                        ; implicit-def: $vgpr4
.LBB223_1216:
	s_and_b64 vcc, exec, s[2:3]
	s_cbranch_vccz .LBB223_1218
; %bb.1217:
	global_load_ubyte v4, v[0:1], off
	s_mov_b32 s2, 0x7f800000
	s_brev_b32 s3, 1
	s_movk_i32 s4, 0x7fff
	s_waitcnt vmcnt(0)
	v_lshlrev_b32_e32 v4, 24, v4
	v_and_b32_e32 v6, 0x7f000000, v4
	v_ffbh_u32_e32 v7, v6
	v_min_u32_e32 v7, 32, v7
	v_sub_u32_e64 v7, v7, 4 clamp
	v_lshlrev_b32_e32 v9, v7, v6
	v_lshlrev_b32_e32 v7, 23, v7
	v_lshrrev_b32_e32 v9, 4, v9
	v_add_u32_e32 v8, 0x1000000, v6
	v_sub_u32_e32 v7, v9, v7
	v_ashrrev_i32_e32 v8, 8, v8
	v_add_u32_e32 v7, 0x3c000000, v7
	v_and_or_b32 v7, v8, s2, v7
	v_cmp_ne_u32_e32 vcc, 0, v6
	v_cndmask_b32_e32 v6, 0, v7, vcc
	v_and_or_b32 v4, v4, s3, v6
	v_bfe_u32 v6, v6, 16, 1
	v_add3_u32 v6, v4, v6, s4
	v_cmp_o_f32_e32 vcc, v4, v4
	v_mov_b32_e32 v4, 0x7fc0
	v_cndmask_b32_sdwa v4, v4, v6, vcc dst_sel:DWORD dst_unused:UNUSED_PAD src0_sel:DWORD src1_sel:WORD_1
.LBB223_1218:
	s_mov_b64 s[2:3], 0
.LBB223_1219:
	s_andn2_b64 vcc, exec, s[2:3]
	s_cbranch_vccnz .LBB223_1221
; %bb.1220:
	global_load_ubyte v4, v[0:1], off
	s_movk_i32 s2, 0x7f00
	s_brev_b32 s3, 16
	s_brev_b32 s4, 1
	s_movk_i32 s5, 0x7fff
	s_waitcnt vmcnt(0)
	v_lshlrev_b16_e32 v6, 8, v4
	v_lshlrev_b32_e32 v4, 25, v4
	v_lshrrev_b32_e32 v7, 4, v4
	v_and_or_b32 v8, v6, s2, 0.5
	v_or_b32_e32 v7, 0x70000000, v7
	v_add_f32_e32 v8, -0.5, v8
	v_mul_f32_e32 v7, 0x7800000, v7
	v_cmp_gt_u32_e32 vcc, s3, v4
	v_bfe_i32 v6, v6, 0, 16
	v_cndmask_b32_e32 v4, v7, v8, vcc
	v_and_or_b32 v6, v6, s4, v4
	v_bfe_u32 v4, v4, 16, 1
	v_add3_u32 v4, v6, v4, s5
	v_cmp_o_f32_e32 vcc, v6, v6
	v_mov_b32_e32 v6, 0x7fc0
	v_cndmask_b32_sdwa v4, v6, v4, vcc dst_sel:DWORD dst_unused:UNUSED_PAD src0_sel:DWORD src1_sel:WORD_1
.LBB223_1221:
	s_mov_b64 s[2:3], 0
	s_mov_b64 s[4:5], -1
.LBB223_1222:
	s_andn2_b64 vcc, exec, s[2:3]
	s_mov_b64 s[2:3], 0
	s_cbranch_vccnz .LBB223_1233
; %bb.1223:
	s_cmp_gt_i32 s22, 14
	s_cbranch_scc0 .LBB223_1226
; %bb.1224:
	s_cmp_eq_u32 s22, 15
	s_cbranch_scc0 .LBB223_1229
; %bb.1225:
	global_load_ushort v4, v[0:1], off
	s_mov_b64 s[0:1], 0
	s_mov_b64 s[4:5], -1
	s_branch .LBB223_1230
.LBB223_1226:
	s_mov_b64 s[18:19], -1
                                        ; implicit-def: $vgpr4
	s_branch .LBB223_1231
.LBB223_1227:
	s_or_saveexec_b64 s[4:5], s[4:5]
	v_mov_b32_e32 v6, 0x7f800001
	s_xor_b64 exec, exec, s[4:5]
	s_cbranch_execz .LBB223_1208
.LBB223_1228:
	v_cmp_ne_u16_e32 vcc, 0, v4
	s_andn2_b64 s[2:3], s[2:3], exec
	s_and_b64 s[18:19], vcc, exec
	v_mov_b32_e32 v6, 0
	s_or_b64 s[2:3], s[2:3], s[18:19]
	s_or_b64 exec, exec, s[4:5]
	s_and_saveexec_b64 s[4:5], s[2:3]
	s_cbranch_execnz .LBB223_1209
	s_branch .LBB223_1210
.LBB223_1229:
	s_mov_b64 s[0:1], -1
                                        ; implicit-def: $vgpr4
.LBB223_1230:
	s_mov_b64 s[18:19], 0
.LBB223_1231:
	s_and_b64 vcc, exec, s[18:19]
	s_cbranch_vccz .LBB223_1233
; %bb.1232:
	s_cmp_lg_u32 s22, 11
	s_mov_b64 s[2:3], -1
	s_cselect_b64 s[0:1], -1, 0
.LBB223_1233:
	s_and_b64 vcc, exec, s[0:1]
	s_cbranch_vccnz .LBB223_1296
; %bb.1234:
	s_andn2_b64 vcc, exec, s[2:3]
	s_cbranch_vccnz .LBB223_1236
.LBB223_1235:
	global_load_ubyte v4, v[0:1], off
	s_mov_b64 s[4:5], -1
	s_waitcnt vmcnt(0)
	v_cmp_ne_u16_e32 vcc, 0, v4
	v_cndmask_b32_e64 v4, 0, 1.0, vcc
	v_lshrrev_b32_e32 v4, 16, v4
.LBB223_1236:
	s_branch .LBB223_1163
.LBB223_1237:
	s_cmp_lt_i32 s22, 5
	s_cbranch_scc1 .LBB223_1242
; %bb.1238:
	s_cmp_lt_i32 s22, 8
	s_cbranch_scc1 .LBB223_1243
; %bb.1239:
	s_cmp_lt_i32 s22, 9
	s_cbranch_scc1 .LBB223_1244
; %bb.1240:
	s_cmp_gt_i32 s22, 9
	s_cbranch_scc0 .LBB223_1245
; %bb.1241:
	global_load_dwordx2 v[6:7], v[0:1], off
	s_movk_i32 s0, 0x7fff
	s_waitcnt vmcnt(0)
	v_cvt_f32_f64_e32 v4, v[6:7]
	v_mov_b32_e32 v6, 0x7fc0
	v_bfe_u32 v7, v4, 16, 1
	v_cmp_o_f32_e32 vcc, v4, v4
	v_add3_u32 v4, v4, v7, s0
	v_cndmask_b32_sdwa v4, v6, v4, vcc dst_sel:DWORD dst_unused:UNUSED_PAD src0_sel:DWORD src1_sel:WORD_1
	s_mov_b64 s[0:1], 0
	s_branch .LBB223_1246
.LBB223_1242:
                                        ; implicit-def: $vgpr4
	s_branch .LBB223_1264
.LBB223_1243:
	s_mov_b64 s[0:1], -1
                                        ; implicit-def: $vgpr4
	s_branch .LBB223_1252
.LBB223_1244:
	s_mov_b64 s[0:1], -1
                                        ; implicit-def: $vgpr4
	s_branch .LBB223_1249
.LBB223_1245:
	s_mov_b64 s[0:1], -1
                                        ; implicit-def: $vgpr4
.LBB223_1246:
	s_andn2_b64 vcc, exec, s[0:1]
	s_cbranch_vccnz .LBB223_1248
; %bb.1247:
	global_load_dword v4, v[0:1], off
	s_movk_i32 s0, 0x7fff
	v_mov_b32_e32 v6, 0x7fc0
	s_waitcnt vmcnt(0)
	v_bfe_u32 v7, v4, 16, 1
	v_cmp_o_f32_e32 vcc, v4, v4
	v_add3_u32 v4, v4, v7, s0
	v_cndmask_b32_sdwa v4, v6, v4, vcc dst_sel:DWORD dst_unused:UNUSED_PAD src0_sel:DWORD src1_sel:WORD_1
.LBB223_1248:
	s_mov_b64 s[0:1], 0
.LBB223_1249:
	s_andn2_b64 vcc, exec, s[0:1]
	s_cbranch_vccnz .LBB223_1251
; %bb.1250:
	global_load_dword v4, v[0:1], off
	s_movk_i32 s0, 0x7fff
	v_mov_b32_e32 v7, 0x7fc0
	s_waitcnt vmcnt(0)
	v_cvt_f32_f16_e32 v6, v4
	v_cmp_o_f16_e32 vcc, v4, v4
	v_bfe_u32 v4, v6, 16, 1
	v_add3_u32 v4, v6, v4, s0
	v_cndmask_b32_sdwa v4, v7, v4, vcc dst_sel:DWORD dst_unused:UNUSED_PAD src0_sel:DWORD src1_sel:WORD_1
.LBB223_1251:
	s_mov_b64 s[0:1], 0
.LBB223_1252:
	s_andn2_b64 vcc, exec, s[0:1]
	s_cbranch_vccnz .LBB223_1263
; %bb.1253:
	s_cmp_lt_i32 s22, 6
	s_cbranch_scc1 .LBB223_1256
; %bb.1254:
	s_cmp_gt_i32 s22, 6
	s_cbranch_scc0 .LBB223_1257
; %bb.1255:
	global_load_dwordx2 v[6:7], v[0:1], off
	s_movk_i32 s0, 0x7fff
	s_waitcnt vmcnt(0)
	v_cvt_f32_f64_e32 v4, v[6:7]
	v_mov_b32_e32 v6, 0x7fc0
	v_bfe_u32 v7, v4, 16, 1
	v_cmp_o_f32_e32 vcc, v4, v4
	v_add3_u32 v4, v4, v7, s0
	v_cndmask_b32_sdwa v4, v6, v4, vcc dst_sel:DWORD dst_unused:UNUSED_PAD src0_sel:DWORD src1_sel:WORD_1
	s_mov_b64 s[0:1], 0
	s_branch .LBB223_1258
.LBB223_1256:
	s_mov_b64 s[0:1], -1
                                        ; implicit-def: $vgpr4
	s_branch .LBB223_1261
.LBB223_1257:
	s_mov_b64 s[0:1], -1
                                        ; implicit-def: $vgpr4
.LBB223_1258:
	s_andn2_b64 vcc, exec, s[0:1]
	s_cbranch_vccnz .LBB223_1260
; %bb.1259:
	global_load_dword v4, v[0:1], off
	s_movk_i32 s0, 0x7fff
	v_mov_b32_e32 v6, 0x7fc0
	s_waitcnt vmcnt(0)
	v_bfe_u32 v7, v4, 16, 1
	v_cmp_o_f32_e32 vcc, v4, v4
	v_add3_u32 v4, v4, v7, s0
	v_cndmask_b32_sdwa v4, v6, v4, vcc dst_sel:DWORD dst_unused:UNUSED_PAD src0_sel:DWORD src1_sel:WORD_1
.LBB223_1260:
	s_mov_b64 s[0:1], 0
.LBB223_1261:
	s_andn2_b64 vcc, exec, s[0:1]
	s_cbranch_vccnz .LBB223_1263
; %bb.1262:
	global_load_ushort v4, v[0:1], off
	s_movk_i32 s0, 0x7fff
	v_mov_b32_e32 v7, 0x7fc0
	s_waitcnt vmcnt(0)
	v_cvt_f32_f16_e32 v6, v4
	v_cmp_o_f16_e32 vcc, v4, v4
	v_bfe_u32 v4, v6, 16, 1
	v_add3_u32 v4, v6, v4, s0
	v_cndmask_b32_sdwa v4, v7, v4, vcc dst_sel:DWORD dst_unused:UNUSED_PAD src0_sel:DWORD src1_sel:WORD_1
.LBB223_1263:
	s_cbranch_execnz .LBB223_1283
.LBB223_1264:
	s_cmp_lt_i32 s22, 2
	s_cbranch_scc1 .LBB223_1268
; %bb.1265:
	s_cmp_lt_i32 s22, 3
	s_cbranch_scc1 .LBB223_1269
; %bb.1266:
	s_cmp_gt_i32 s22, 3
	s_cbranch_scc0 .LBB223_1270
; %bb.1267:
	global_load_dwordx2 v[6:7], v[0:1], off
	s_movk_i32 s0, 0x7fff
	s_waitcnt vmcnt(0)
	v_xor_b32_e32 v8, v6, v7
	v_ffbh_i32_e32 v4, v7
	v_ashrrev_i32_e32 v8, 31, v8
	v_add_u32_e32 v4, -1, v4
	v_add_u32_e32 v8, 32, v8
	v_min_u32_e32 v4, v4, v8
	v_lshlrev_b64 v[6:7], v4, v[6:7]
	v_sub_u32_e32 v4, 32, v4
	v_min_u32_e32 v6, 1, v6
	v_or_b32_e32 v6, v7, v6
	v_cvt_f32_i32_e32 v6, v6
	v_ldexp_f32 v4, v6, v4
	v_bfe_u32 v6, v4, 16, 1
	v_add3_u32 v4, v4, v6, s0
	v_lshrrev_b32_e32 v4, 16, v4
	s_mov_b64 s[0:1], 0
	s_branch .LBB223_1271
.LBB223_1268:
	s_mov_b64 s[0:1], -1
                                        ; implicit-def: $vgpr4
	s_branch .LBB223_1277
.LBB223_1269:
	s_mov_b64 s[0:1], -1
                                        ; implicit-def: $vgpr4
	s_branch .LBB223_1274
.LBB223_1270:
	s_mov_b64 s[0:1], -1
                                        ; implicit-def: $vgpr4
.LBB223_1271:
	s_andn2_b64 vcc, exec, s[0:1]
	s_cbranch_vccnz .LBB223_1273
; %bb.1272:
	global_load_dword v4, v[0:1], off
	s_movk_i32 s0, 0x7fff
	s_waitcnt vmcnt(0)
	v_cvt_f32_i32_e32 v4, v4
	v_bfe_u32 v6, v4, 16, 1
	v_add3_u32 v4, v4, v6, s0
	v_lshrrev_b32_e32 v4, 16, v4
.LBB223_1273:
	s_mov_b64 s[0:1], 0
.LBB223_1274:
	s_andn2_b64 vcc, exec, s[0:1]
	s_cbranch_vccnz .LBB223_1276
; %bb.1275:
	global_load_sshort v4, v[0:1], off
	s_movk_i32 s0, 0x7fff
	s_waitcnt vmcnt(0)
	v_cvt_f32_i32_e32 v4, v4
	v_bfe_u32 v6, v4, 16, 1
	v_add3_u32 v4, v4, v6, s0
	v_lshrrev_b32_e32 v4, 16, v4
.LBB223_1276:
	s_mov_b64 s[0:1], 0
.LBB223_1277:
	s_andn2_b64 vcc, exec, s[0:1]
	s_cbranch_vccnz .LBB223_1283
; %bb.1278:
	s_cmp_gt_i32 s22, 0
	s_cbranch_scc0 .LBB223_1280
; %bb.1279:
	global_load_sbyte v4, v[0:1], off
	s_movk_i32 s0, 0x7fff
	s_waitcnt vmcnt(0)
	v_cvt_f32_i32_e32 v4, v4
	v_bfe_u32 v6, v4, 16, 1
	v_add3_u32 v4, v4, v6, s0
	v_lshrrev_b32_e32 v4, 16, v4
	s_mov_b64 s[0:1], 0
	s_branch .LBB223_1281
.LBB223_1280:
	s_mov_b64 s[0:1], -1
                                        ; implicit-def: $vgpr4
.LBB223_1281:
	s_andn2_b64 vcc, exec, s[0:1]
	s_cbranch_vccnz .LBB223_1283
; %bb.1282:
	global_load_ubyte v0, v[0:1], off
	s_movk_i32 s0, 0x7fff
	s_waitcnt vmcnt(0)
	v_cvt_f32_ubyte0_e32 v0, v0
	v_bfe_u32 v1, v0, 16, 1
	v_add3_u32 v0, v0, v1, s0
	v_lshrrev_b32_e32 v4, 16, v0
.LBB223_1283:
.LBB223_1284:
	v_add_u32_e32 v6, s13, v5
	v_ashrrev_i32_e32 v1, 31, v6
	v_mov_b32_e32 v5, s11
	v_add_co_u32_e32 v0, vcc, s10, v6
	s_cmp_lt_i32 s22, 11
	v_addc_co_u32_e32 v1, vcc, v5, v1, vcc
	s_cbranch_scc1 .LBB223_1291
; %bb.1285:
	s_cmp_gt_i32 s22, 25
	s_mov_b64 s[2:3], 0
	s_cbranch_scc0 .LBB223_1293
; %bb.1286:
	s_cmp_gt_i32 s22, 28
	s_cbranch_scc0 .LBB223_1294
; %bb.1287:
	s_cmp_gt_i32 s22, 43
	;; [unrolled: 3-line block ×3, first 2 shown]
	s_cbranch_scc0 .LBB223_1297
; %bb.1289:
	s_cmp_eq_u32 s22, 46
	s_mov_b64 s[18:19], 0
	s_cbranch_scc0 .LBB223_1298
; %bb.1290:
	global_load_dword v5, v[0:1], off
	s_mov_b64 s[0:1], 0
	s_mov_b64 s[4:5], -1
	s_branch .LBB223_1299
.LBB223_1291:
	s_mov_b64 s[4:5], 0
                                        ; implicit-def: $vgpr5
	s_cbranch_execnz .LBB223_1365
.LBB223_1292:
	s_andn2_b64 vcc, exec, s[4:5]
	s_cbranch_vccnz .LBB223_1976
	s_branch .LBB223_1413
.LBB223_1293:
	s_mov_b64 s[18:19], -1
	s_mov_b64 s[4:5], 0
	s_mov_b64 s[0:1], 0
                                        ; implicit-def: $vgpr5
	s_branch .LBB223_1328
.LBB223_1294:
	s_mov_b64 s[18:19], -1
	s_mov_b64 s[4:5], 0
	s_mov_b64 s[0:1], 0
                                        ; implicit-def: $vgpr5
	s_branch .LBB223_1309
.LBB223_1295:
	s_mov_b64 s[18:19], -1
	s_mov_b64 s[4:5], 0
	s_mov_b64 s[0:1], 0
                                        ; implicit-def: $vgpr5
	s_branch .LBB223_1304
.LBB223_1296:
	s_trap 2
	s_or_b64 s[16:17], s[16:17], exec
	s_cbranch_execz .LBB223_1235
	s_branch .LBB223_1236
.LBB223_1297:
	s_mov_b64 s[18:19], -1
	s_mov_b64 s[4:5], 0
	s_mov_b64 s[0:1], 0
                                        ; implicit-def: $vgpr5
	s_branch .LBB223_1299
.LBB223_1298:
	s_mov_b64 s[0:1], -1
                                        ; implicit-def: $vgpr5
	s_mov_b64 s[4:5], 0
.LBB223_1299:
	s_and_b64 vcc, exec, s[18:19]
	s_cbranch_vccz .LBB223_1303
; %bb.1300:
	s_cmp_eq_u32 s22, 44
	s_cbranch_scc0 .LBB223_1302
; %bb.1301:
	global_load_ubyte v5, v[0:1], off
	s_movk_i32 s4, 0xff
	v_mov_b32_e32 v7, 0x7f800001
	v_mov_b32_e32 v8, 0x400000
	;; [unrolled: 1-line block ×3, first 2 shown]
	s_mov_b64 s[0:1], 0
	s_waitcnt vmcnt(0)
	v_lshlrev_b32_e32 v10, 23, v5
	v_cmp_ne_u32_e32 vcc, s4, v5
	v_cndmask_b32_e32 v7, v7, v10, vcc
	v_cmp_ne_u32_e32 vcc, 0, v5
	v_cndmask_b32_e32 v5, v8, v7, vcc
	v_add_u32_e32 v7, 0x7fff, v5
	v_cmp_o_f32_e32 vcc, v5, v5
	v_cndmask_b32_sdwa v5, v9, v7, vcc dst_sel:DWORD dst_unused:UNUSED_PAD src0_sel:DWORD src1_sel:WORD_1
	s_mov_b64 s[4:5], -1
	s_branch .LBB223_1303
.LBB223_1302:
	s_mov_b64 s[0:1], -1
                                        ; implicit-def: $vgpr5
.LBB223_1303:
	s_mov_b64 s[18:19], 0
.LBB223_1304:
	s_and_b64 vcc, exec, s[18:19]
	s_cbranch_vccz .LBB223_1308
; %bb.1305:
	s_cmp_eq_u32 s22, 29
	s_cbranch_scc0 .LBB223_1307
; %bb.1306:
	global_load_dwordx2 v[7:8], v[0:1], off
	s_movk_i32 s4, 0x7fff
	s_mov_b64 s[0:1], 0
	s_mov_b64 s[18:19], 0
	s_waitcnt vmcnt(0)
	v_ffbh_u32_e32 v5, v8
	v_min_u32_e32 v5, 32, v5
	v_lshlrev_b64 v[7:8], v5, v[7:8]
	v_sub_u32_e32 v5, 32, v5
	v_min_u32_e32 v7, 1, v7
	v_or_b32_e32 v7, v8, v7
	v_cvt_f32_u32_e32 v7, v7
	v_ldexp_f32 v5, v7, v5
	v_bfe_u32 v7, v5, 16, 1
	v_add3_u32 v5, v5, v7, s4
	v_lshrrev_b32_e32 v5, 16, v5
	s_mov_b64 s[4:5], -1
	s_branch .LBB223_1309
.LBB223_1307:
	s_mov_b64 s[0:1], -1
                                        ; implicit-def: $vgpr5
.LBB223_1308:
	s_mov_b64 s[18:19], 0
.LBB223_1309:
	s_and_b64 vcc, exec, s[18:19]
	s_cbranch_vccz .LBB223_1327
; %bb.1310:
	s_cmp_lt_i32 s22, 27
	s_cbranch_scc1 .LBB223_1313
; %bb.1311:
	s_cmp_gt_i32 s22, 27
	s_cbranch_scc0 .LBB223_1314
; %bb.1312:
	global_load_dword v5, v[0:1], off
	s_movk_i32 s4, 0x7fff
	s_waitcnt vmcnt(0)
	v_cvt_f32_u32_e32 v5, v5
	v_bfe_u32 v7, v5, 16, 1
	v_add3_u32 v5, v5, v7, s4
	v_lshrrev_b32_e32 v5, 16, v5
	s_mov_b64 s[4:5], 0
	s_branch .LBB223_1315
.LBB223_1313:
	s_mov_b64 s[4:5], -1
                                        ; implicit-def: $vgpr5
	s_branch .LBB223_1318
.LBB223_1314:
	s_mov_b64 s[4:5], -1
                                        ; implicit-def: $vgpr5
.LBB223_1315:
	s_andn2_b64 vcc, exec, s[4:5]
	s_cbranch_vccnz .LBB223_1317
; %bb.1316:
	global_load_ushort v5, v[0:1], off
	s_movk_i32 s4, 0x7fff
	s_waitcnt vmcnt(0)
	v_cvt_f32_u32_e32 v5, v5
	v_bfe_u32 v7, v5, 16, 1
	v_add3_u32 v5, v5, v7, s4
	v_lshrrev_b32_e32 v5, 16, v5
.LBB223_1317:
	s_mov_b64 s[4:5], 0
.LBB223_1318:
	s_andn2_b64 vcc, exec, s[4:5]
	s_cbranch_vccnz .LBB223_1326
; %bb.1319:
	global_load_ubyte v5, v[0:1], off
	s_movk_i32 s4, 0x7f
	s_waitcnt vmcnt(0)
	v_cmp_lt_i16_e32 vcc, s4, v5
	s_mov_b64 s[4:5], 0
	s_and_saveexec_b64 s[18:19], vcc
	s_xor_b64 s[18:19], exec, s[18:19]
	s_cbranch_execz .LBB223_1340
; %bb.1320:
	s_movk_i32 s4, 0x80
	v_cmp_eq_u16_e32 vcc, s4, v5
	s_mov_b64 s[4:5], -1
	s_and_saveexec_b64 s[20:21], vcc
; %bb.1321:
	s_xor_b64 s[4:5], exec, -1
; %bb.1322:
	s_or_b64 exec, exec, s[20:21]
	s_and_b64 s[4:5], s[4:5], exec
	s_or_saveexec_b64 s[18:19], s[18:19]
	v_mov_b32_e32 v7, 0x7f800001
	s_xor_b64 exec, exec, s[18:19]
	s_cbranch_execnz .LBB223_1341
.LBB223_1323:
	s_or_b64 exec, exec, s[18:19]
	s_and_saveexec_b64 s[18:19], s[4:5]
	s_cbranch_execz .LBB223_1325
.LBB223_1324:
	v_lshlrev_b32_e32 v7, 24, v5
	v_and_b32_e32 v5, 0xffff, v5
	v_and_b32_e32 v8, 7, v5
	v_ffbh_u32_e32 v10, v8
	v_min_u32_e32 v10, 32, v10
	v_subrev_u32_e32 v11, 28, v10
	v_bfe_u32 v9, v5, 3, 4
	v_lshlrev_b32_e32 v5, v11, v5
	v_sub_u32_e32 v10, 29, v10
	v_and_b32_e32 v5, 7, v5
	v_cmp_eq_u32_e32 vcc, 0, v9
	v_cndmask_b32_e32 v9, v9, v10, vcc
	v_cndmask_b32_e32 v5, v8, v5, vcc
	v_mov_b32_e32 v8, 0x3b800000
	v_lshlrev_b32_e32 v5, 20, v5
	v_and_b32_e32 v7, 0x80000000, v7
	v_lshl_add_u32 v8, v9, 23, v8
	v_or3_b32 v7, v7, v8, v5
.LBB223_1325:
	s_or_b64 exec, exec, s[18:19]
	v_bfe_u32 v5, v7, 16, 1
	s_movk_i32 s4, 0x7fff
	v_add3_u32 v5, v7, v5, s4
	v_cmp_o_f32_e32 vcc, v7, v7
	v_mov_b32_e32 v7, 0x7fc0
	v_cndmask_b32_sdwa v5, v7, v5, vcc dst_sel:DWORD dst_unused:UNUSED_PAD src0_sel:DWORD src1_sel:WORD_1
.LBB223_1326:
	s_mov_b64 s[4:5], -1
.LBB223_1327:
	s_mov_b64 s[18:19], 0
.LBB223_1328:
	s_and_b64 vcc, exec, s[18:19]
	s_cbranch_vccz .LBB223_1361
; %bb.1329:
	s_cmp_gt_i32 s22, 22
	s_cbranch_scc0 .LBB223_1339
; %bb.1330:
	s_cmp_lt_i32 s22, 24
	s_cbranch_scc1 .LBB223_1342
; %bb.1331:
	s_cmp_gt_i32 s22, 24
	s_cbranch_scc0 .LBB223_1343
; %bb.1332:
	global_load_ubyte v5, v[0:1], off
	s_movk_i32 s2, 0x7f
	s_waitcnt vmcnt(0)
	v_cmp_lt_i16_e32 vcc, s2, v5
	s_mov_b64 s[2:3], 0
	s_and_saveexec_b64 s[4:5], vcc
	s_xor_b64 s[4:5], exec, s[4:5]
	s_cbranch_execz .LBB223_1355
; %bb.1333:
	s_movk_i32 s2, 0x80
	v_cmp_eq_u16_e32 vcc, s2, v5
	s_mov_b64 s[2:3], -1
	s_and_saveexec_b64 s[18:19], vcc
; %bb.1334:
	s_xor_b64 s[2:3], exec, -1
; %bb.1335:
	s_or_b64 exec, exec, s[18:19]
	s_and_b64 s[2:3], s[2:3], exec
	s_or_saveexec_b64 s[4:5], s[4:5]
	v_mov_b32_e32 v7, 0x7f800001
	s_xor_b64 exec, exec, s[4:5]
	s_cbranch_execnz .LBB223_1356
.LBB223_1336:
	s_or_b64 exec, exec, s[4:5]
	s_and_saveexec_b64 s[4:5], s[2:3]
	s_cbranch_execz .LBB223_1338
.LBB223_1337:
	v_lshlrev_b32_e32 v7, 24, v5
	v_and_b32_e32 v5, 0xffff, v5
	v_and_b32_e32 v8, 3, v5
	v_ffbh_u32_e32 v10, v8
	v_min_u32_e32 v10, 32, v10
	v_subrev_u32_e32 v11, 29, v10
	v_bfe_u32 v9, v5, 2, 5
	v_lshlrev_b32_e32 v5, v11, v5
	v_sub_u32_e32 v10, 30, v10
	v_and_b32_e32 v5, 3, v5
	v_cmp_eq_u32_e32 vcc, 0, v9
	v_cndmask_b32_e32 v9, v9, v10, vcc
	v_cndmask_b32_e32 v5, v8, v5, vcc
	v_mov_b32_e32 v8, 0x37800000
	v_lshlrev_b32_e32 v5, 21, v5
	v_and_b32_e32 v7, 0x80000000, v7
	v_lshl_add_u32 v8, v9, 23, v8
	v_or3_b32 v7, v7, v8, v5
.LBB223_1338:
	s_or_b64 exec, exec, s[4:5]
	v_bfe_u32 v5, v7, 16, 1
	s_movk_i32 s2, 0x7fff
	v_add3_u32 v5, v7, v5, s2
	v_cmp_o_f32_e32 vcc, v7, v7
	v_mov_b32_e32 v7, 0x7fc0
	v_cndmask_b32_sdwa v5, v7, v5, vcc dst_sel:DWORD dst_unused:UNUSED_PAD src0_sel:DWORD src1_sel:WORD_1
	s_mov_b64 s[2:3], 0
	s_branch .LBB223_1344
.LBB223_1339:
	s_mov_b64 s[2:3], -1
                                        ; implicit-def: $vgpr5
	s_branch .LBB223_1350
.LBB223_1340:
	s_or_saveexec_b64 s[18:19], s[18:19]
	v_mov_b32_e32 v7, 0x7f800001
	s_xor_b64 exec, exec, s[18:19]
	s_cbranch_execz .LBB223_1323
.LBB223_1341:
	v_cmp_ne_u16_e32 vcc, 0, v5
	s_andn2_b64 s[4:5], s[4:5], exec
	s_and_b64 s[20:21], vcc, exec
	v_mov_b32_e32 v7, 0
	s_or_b64 s[4:5], s[4:5], s[20:21]
	s_or_b64 exec, exec, s[18:19]
	s_and_saveexec_b64 s[18:19], s[4:5]
	s_cbranch_execnz .LBB223_1324
	s_branch .LBB223_1325
.LBB223_1342:
	s_mov_b64 s[2:3], -1
                                        ; implicit-def: $vgpr5
	s_branch .LBB223_1347
.LBB223_1343:
	s_mov_b64 s[2:3], -1
                                        ; implicit-def: $vgpr5
.LBB223_1344:
	s_and_b64 vcc, exec, s[2:3]
	s_cbranch_vccz .LBB223_1346
; %bb.1345:
	global_load_ubyte v5, v[0:1], off
	s_mov_b32 s2, 0x7f800000
	s_brev_b32 s3, 1
	s_movk_i32 s4, 0x7fff
	s_waitcnt vmcnt(0)
	v_lshlrev_b32_e32 v5, 24, v5
	v_and_b32_e32 v7, 0x7f000000, v5
	v_ffbh_u32_e32 v8, v7
	v_min_u32_e32 v8, 32, v8
	v_sub_u32_e64 v8, v8, 4 clamp
	v_lshlrev_b32_e32 v10, v8, v7
	v_lshlrev_b32_e32 v8, 23, v8
	v_lshrrev_b32_e32 v10, 4, v10
	v_add_u32_e32 v9, 0x1000000, v7
	v_sub_u32_e32 v8, v10, v8
	v_ashrrev_i32_e32 v9, 8, v9
	v_add_u32_e32 v8, 0x3c000000, v8
	v_and_or_b32 v8, v9, s2, v8
	v_cmp_ne_u32_e32 vcc, 0, v7
	v_cndmask_b32_e32 v7, 0, v8, vcc
	v_and_or_b32 v5, v5, s3, v7
	v_bfe_u32 v7, v7, 16, 1
	v_add3_u32 v7, v5, v7, s4
	v_cmp_o_f32_e32 vcc, v5, v5
	v_mov_b32_e32 v5, 0x7fc0
	v_cndmask_b32_sdwa v5, v5, v7, vcc dst_sel:DWORD dst_unused:UNUSED_PAD src0_sel:DWORD src1_sel:WORD_1
.LBB223_1346:
	s_mov_b64 s[2:3], 0
.LBB223_1347:
	s_andn2_b64 vcc, exec, s[2:3]
	s_cbranch_vccnz .LBB223_1349
; %bb.1348:
	global_load_ubyte v5, v[0:1], off
	s_movk_i32 s2, 0x7f00
	s_brev_b32 s3, 16
	s_brev_b32 s4, 1
	s_movk_i32 s5, 0x7fff
	s_waitcnt vmcnt(0)
	v_lshlrev_b16_e32 v7, 8, v5
	v_lshlrev_b32_e32 v5, 25, v5
	v_lshrrev_b32_e32 v8, 4, v5
	v_and_or_b32 v9, v7, s2, 0.5
	v_or_b32_e32 v8, 0x70000000, v8
	v_add_f32_e32 v9, -0.5, v9
	v_mul_f32_e32 v8, 0x7800000, v8
	v_cmp_gt_u32_e32 vcc, s3, v5
	v_bfe_i32 v7, v7, 0, 16
	v_cndmask_b32_e32 v5, v8, v9, vcc
	v_and_or_b32 v7, v7, s4, v5
	v_bfe_u32 v5, v5, 16, 1
	v_add3_u32 v5, v7, v5, s5
	v_cmp_o_f32_e32 vcc, v7, v7
	v_mov_b32_e32 v7, 0x7fc0
	v_cndmask_b32_sdwa v5, v7, v5, vcc dst_sel:DWORD dst_unused:UNUSED_PAD src0_sel:DWORD src1_sel:WORD_1
.LBB223_1349:
	s_mov_b64 s[2:3], 0
	s_mov_b64 s[4:5], -1
.LBB223_1350:
	s_andn2_b64 vcc, exec, s[2:3]
	s_mov_b64 s[2:3], 0
	s_cbranch_vccnz .LBB223_1361
; %bb.1351:
	s_cmp_gt_i32 s22, 14
	s_cbranch_scc0 .LBB223_1354
; %bb.1352:
	s_cmp_eq_u32 s22, 15
	s_cbranch_scc0 .LBB223_1357
; %bb.1353:
	global_load_ushort v5, v[0:1], off
	s_mov_b64 s[0:1], 0
	s_mov_b64 s[4:5], -1
	s_branch .LBB223_1358
.LBB223_1354:
	s_mov_b64 s[18:19], -1
                                        ; implicit-def: $vgpr5
	s_branch .LBB223_1359
.LBB223_1355:
	s_or_saveexec_b64 s[4:5], s[4:5]
	v_mov_b32_e32 v7, 0x7f800001
	s_xor_b64 exec, exec, s[4:5]
	s_cbranch_execz .LBB223_1336
.LBB223_1356:
	v_cmp_ne_u16_e32 vcc, 0, v5
	s_andn2_b64 s[2:3], s[2:3], exec
	s_and_b64 s[18:19], vcc, exec
	v_mov_b32_e32 v7, 0
	s_or_b64 s[2:3], s[2:3], s[18:19]
	s_or_b64 exec, exec, s[4:5]
	s_and_saveexec_b64 s[4:5], s[2:3]
	s_cbranch_execnz .LBB223_1337
	s_branch .LBB223_1338
.LBB223_1357:
	s_mov_b64 s[0:1], -1
                                        ; implicit-def: $vgpr5
.LBB223_1358:
	s_mov_b64 s[18:19], 0
.LBB223_1359:
	s_and_b64 vcc, exec, s[18:19]
	s_cbranch_vccz .LBB223_1361
; %bb.1360:
	s_cmp_lg_u32 s22, 11
	s_mov_b64 s[2:3], -1
	s_cselect_b64 s[0:1], -1, 0
.LBB223_1361:
	s_and_b64 vcc, exec, s[0:1]
	s_cbranch_vccnz .LBB223_1424
; %bb.1362:
	s_andn2_b64 vcc, exec, s[2:3]
	s_cbranch_vccnz .LBB223_1364
.LBB223_1363:
	global_load_ubyte v5, v[0:1], off
	s_mov_b64 s[4:5], -1
	s_waitcnt vmcnt(0)
	v_cmp_ne_u16_e32 vcc, 0, v5
	v_cndmask_b32_e64 v5, 0, 1.0, vcc
	v_lshrrev_b32_e32 v5, 16, v5
.LBB223_1364:
	s_branch .LBB223_1292
.LBB223_1365:
	s_cmp_lt_i32 s22, 5
	s_cbranch_scc1 .LBB223_1370
; %bb.1366:
	s_cmp_lt_i32 s22, 8
	s_cbranch_scc1 .LBB223_1371
; %bb.1367:
	;; [unrolled: 3-line block ×3, first 2 shown]
	s_cmp_gt_i32 s22, 9
	s_cbranch_scc0 .LBB223_1373
; %bb.1369:
	global_load_dwordx2 v[7:8], v[0:1], off
	s_movk_i32 s0, 0x7fff
	s_waitcnt vmcnt(0)
	v_cvt_f32_f64_e32 v5, v[7:8]
	v_mov_b32_e32 v7, 0x7fc0
	v_bfe_u32 v8, v5, 16, 1
	v_cmp_o_f32_e32 vcc, v5, v5
	v_add3_u32 v5, v5, v8, s0
	v_cndmask_b32_sdwa v5, v7, v5, vcc dst_sel:DWORD dst_unused:UNUSED_PAD src0_sel:DWORD src1_sel:WORD_1
	s_mov_b64 s[0:1], 0
	s_branch .LBB223_1374
.LBB223_1370:
	s_mov_b64 s[0:1], -1
                                        ; implicit-def: $vgpr5
	s_branch .LBB223_1392
.LBB223_1371:
	s_mov_b64 s[0:1], -1
                                        ; implicit-def: $vgpr5
	s_branch .LBB223_1380
.LBB223_1372:
	s_mov_b64 s[0:1], -1
                                        ; implicit-def: $vgpr5
	s_branch .LBB223_1377
.LBB223_1373:
	s_mov_b64 s[0:1], -1
                                        ; implicit-def: $vgpr5
.LBB223_1374:
	s_andn2_b64 vcc, exec, s[0:1]
	s_cbranch_vccnz .LBB223_1376
; %bb.1375:
	global_load_dword v5, v[0:1], off
	s_movk_i32 s0, 0x7fff
	v_mov_b32_e32 v7, 0x7fc0
	s_waitcnt vmcnt(0)
	v_bfe_u32 v8, v5, 16, 1
	v_cmp_o_f32_e32 vcc, v5, v5
	v_add3_u32 v5, v5, v8, s0
	v_cndmask_b32_sdwa v5, v7, v5, vcc dst_sel:DWORD dst_unused:UNUSED_PAD src0_sel:DWORD src1_sel:WORD_1
.LBB223_1376:
	s_mov_b64 s[0:1], 0
.LBB223_1377:
	s_andn2_b64 vcc, exec, s[0:1]
	s_cbranch_vccnz .LBB223_1379
; %bb.1378:
	global_load_dword v5, v[0:1], off
	s_movk_i32 s0, 0x7fff
	v_mov_b32_e32 v8, 0x7fc0
	s_waitcnt vmcnt(0)
	v_cvt_f32_f16_e32 v7, v5
	v_cmp_o_f16_e32 vcc, v5, v5
	v_bfe_u32 v5, v7, 16, 1
	v_add3_u32 v5, v7, v5, s0
	v_cndmask_b32_sdwa v5, v8, v5, vcc dst_sel:DWORD dst_unused:UNUSED_PAD src0_sel:DWORD src1_sel:WORD_1
.LBB223_1379:
	s_mov_b64 s[0:1], 0
.LBB223_1380:
	s_andn2_b64 vcc, exec, s[0:1]
	s_cbranch_vccnz .LBB223_1391
; %bb.1381:
	s_cmp_lt_i32 s22, 6
	s_cbranch_scc1 .LBB223_1384
; %bb.1382:
	s_cmp_gt_i32 s22, 6
	s_cbranch_scc0 .LBB223_1385
; %bb.1383:
	global_load_dwordx2 v[7:8], v[0:1], off
	s_movk_i32 s0, 0x7fff
	s_waitcnt vmcnt(0)
	v_cvt_f32_f64_e32 v5, v[7:8]
	v_mov_b32_e32 v7, 0x7fc0
	v_bfe_u32 v8, v5, 16, 1
	v_cmp_o_f32_e32 vcc, v5, v5
	v_add3_u32 v5, v5, v8, s0
	v_cndmask_b32_sdwa v5, v7, v5, vcc dst_sel:DWORD dst_unused:UNUSED_PAD src0_sel:DWORD src1_sel:WORD_1
	s_mov_b64 s[0:1], 0
	s_branch .LBB223_1386
.LBB223_1384:
	s_mov_b64 s[0:1], -1
                                        ; implicit-def: $vgpr5
	s_branch .LBB223_1389
.LBB223_1385:
	s_mov_b64 s[0:1], -1
                                        ; implicit-def: $vgpr5
.LBB223_1386:
	s_andn2_b64 vcc, exec, s[0:1]
	s_cbranch_vccnz .LBB223_1388
; %bb.1387:
	global_load_dword v5, v[0:1], off
	s_movk_i32 s0, 0x7fff
	v_mov_b32_e32 v7, 0x7fc0
	s_waitcnt vmcnt(0)
	v_bfe_u32 v8, v5, 16, 1
	v_cmp_o_f32_e32 vcc, v5, v5
	v_add3_u32 v5, v5, v8, s0
	v_cndmask_b32_sdwa v5, v7, v5, vcc dst_sel:DWORD dst_unused:UNUSED_PAD src0_sel:DWORD src1_sel:WORD_1
.LBB223_1388:
	s_mov_b64 s[0:1], 0
.LBB223_1389:
	s_andn2_b64 vcc, exec, s[0:1]
	s_cbranch_vccnz .LBB223_1391
; %bb.1390:
	global_load_ushort v5, v[0:1], off
	s_movk_i32 s0, 0x7fff
	v_mov_b32_e32 v8, 0x7fc0
	s_waitcnt vmcnt(0)
	v_cvt_f32_f16_e32 v7, v5
	v_cmp_o_f16_e32 vcc, v5, v5
	v_bfe_u32 v5, v7, 16, 1
	v_add3_u32 v5, v7, v5, s0
	v_cndmask_b32_sdwa v5, v8, v5, vcc dst_sel:DWORD dst_unused:UNUSED_PAD src0_sel:DWORD src1_sel:WORD_1
.LBB223_1391:
	s_mov_b64 s[0:1], 0
.LBB223_1392:
	s_andn2_b64 vcc, exec, s[0:1]
	s_cbranch_vccnz .LBB223_1412
; %bb.1393:
	s_cmp_lt_i32 s22, 2
	s_cbranch_scc1 .LBB223_1397
; %bb.1394:
	s_cmp_lt_i32 s22, 3
	s_cbranch_scc1 .LBB223_1398
; %bb.1395:
	s_cmp_gt_i32 s22, 3
	s_cbranch_scc0 .LBB223_1399
; %bb.1396:
	global_load_dwordx2 v[7:8], v[0:1], off
	s_movk_i32 s0, 0x7fff
	s_waitcnt vmcnt(0)
	v_xor_b32_e32 v9, v7, v8
	v_ffbh_i32_e32 v5, v8
	v_ashrrev_i32_e32 v9, 31, v9
	v_add_u32_e32 v5, -1, v5
	v_add_u32_e32 v9, 32, v9
	v_min_u32_e32 v5, v5, v9
	v_lshlrev_b64 v[7:8], v5, v[7:8]
	v_sub_u32_e32 v5, 32, v5
	v_min_u32_e32 v7, 1, v7
	v_or_b32_e32 v7, v8, v7
	v_cvt_f32_i32_e32 v7, v7
	v_ldexp_f32 v5, v7, v5
	v_bfe_u32 v7, v5, 16, 1
	v_add3_u32 v5, v5, v7, s0
	v_lshrrev_b32_e32 v5, 16, v5
	s_mov_b64 s[0:1], 0
	s_branch .LBB223_1400
.LBB223_1397:
	s_mov_b64 s[0:1], -1
                                        ; implicit-def: $vgpr5
	s_branch .LBB223_1406
.LBB223_1398:
	s_mov_b64 s[0:1], -1
                                        ; implicit-def: $vgpr5
	s_branch .LBB223_1403
.LBB223_1399:
	s_mov_b64 s[0:1], -1
                                        ; implicit-def: $vgpr5
.LBB223_1400:
	s_andn2_b64 vcc, exec, s[0:1]
	s_cbranch_vccnz .LBB223_1402
; %bb.1401:
	global_load_dword v5, v[0:1], off
	s_movk_i32 s0, 0x7fff
	s_waitcnt vmcnt(0)
	v_cvt_f32_i32_e32 v5, v5
	v_bfe_u32 v7, v5, 16, 1
	v_add3_u32 v5, v5, v7, s0
	v_lshrrev_b32_e32 v5, 16, v5
.LBB223_1402:
	s_mov_b64 s[0:1], 0
.LBB223_1403:
	s_andn2_b64 vcc, exec, s[0:1]
	s_cbranch_vccnz .LBB223_1405
; %bb.1404:
	global_load_sshort v5, v[0:1], off
	s_movk_i32 s0, 0x7fff
	s_waitcnt vmcnt(0)
	v_cvt_f32_i32_e32 v5, v5
	v_bfe_u32 v7, v5, 16, 1
	v_add3_u32 v5, v5, v7, s0
	v_lshrrev_b32_e32 v5, 16, v5
.LBB223_1405:
	s_mov_b64 s[0:1], 0
.LBB223_1406:
	s_andn2_b64 vcc, exec, s[0:1]
	s_cbranch_vccnz .LBB223_1412
; %bb.1407:
	s_cmp_gt_i32 s22, 0
	s_cbranch_scc0 .LBB223_1409
; %bb.1408:
	global_load_sbyte v5, v[0:1], off
	s_movk_i32 s0, 0x7fff
	s_waitcnt vmcnt(0)
	v_cvt_f32_i32_e32 v5, v5
	v_bfe_u32 v7, v5, 16, 1
	v_add3_u32 v5, v5, v7, s0
	v_lshrrev_b32_e32 v5, 16, v5
	s_mov_b64 s[0:1], 0
	s_branch .LBB223_1410
.LBB223_1409:
	s_mov_b64 s[0:1], -1
                                        ; implicit-def: $vgpr5
.LBB223_1410:
	s_andn2_b64 vcc, exec, s[0:1]
	s_cbranch_vccnz .LBB223_1412
; %bb.1411:
	global_load_ubyte v0, v[0:1], off
	s_movk_i32 s0, 0x7fff
	s_waitcnt vmcnt(0)
	v_cvt_f32_ubyte0_e32 v0, v0
	v_bfe_u32 v1, v0, 16, 1
	v_add3_u32 v0, v0, v1, s0
	v_lshrrev_b32_e32 v5, 16, v0
.LBB223_1412:
.LBB223_1413:
	v_add_u32_e32 v0, s13, v6
	v_ashrrev_i32_e32 v1, 31, v0
	v_mov_b32_e32 v6, s11
	v_add_co_u32_e32 v0, vcc, s10, v0
	s_cmp_lt_i32 s22, 11
	v_addc_co_u32_e32 v1, vcc, v6, v1, vcc
	s_cbranch_scc1 .LBB223_1420
; %bb.1414:
	s_cmp_gt_i32 s22, 25
	s_mov_b64 s[2:3], 0
	s_cbranch_scc0 .LBB223_1421
; %bb.1415:
	s_cmp_gt_i32 s22, 28
	s_cbranch_scc0 .LBB223_1422
; %bb.1416:
	s_cmp_gt_i32 s22, 43
	;; [unrolled: 3-line block ×3, first 2 shown]
	s_cbranch_scc0 .LBB223_1425
; %bb.1418:
	s_cmp_eq_u32 s22, 46
	s_mov_b64 s[10:11], 0
	s_cbranch_scc0 .LBB223_1426
; %bb.1419:
	global_load_dword v6, v[0:1], off
	s_mov_b64 s[0:1], 0
	s_mov_b64 s[4:5], -1
	s_branch .LBB223_1427
.LBB223_1420:
	s_mov_b64 s[0:1], -1
	s_mov_b64 s[4:5], 0
                                        ; implicit-def: $vgpr6
	s_branch .LBB223_1493
.LBB223_1421:
	s_mov_b64 s[10:11], -1
	s_mov_b64 s[4:5], 0
	s_mov_b64 s[0:1], 0
                                        ; implicit-def: $vgpr6
	s_branch .LBB223_1456
.LBB223_1422:
	s_mov_b64 s[10:11], -1
	s_mov_b64 s[4:5], 0
	s_mov_b64 s[0:1], 0
                                        ; implicit-def: $vgpr6
	s_branch .LBB223_1437
.LBB223_1423:
	s_mov_b64 s[10:11], -1
	s_mov_b64 s[4:5], 0
	s_mov_b64 s[0:1], 0
                                        ; implicit-def: $vgpr6
	s_branch .LBB223_1432
.LBB223_1424:
	s_trap 2
	s_or_b64 s[16:17], s[16:17], exec
	s_cbranch_execz .LBB223_1363
	s_branch .LBB223_1364
.LBB223_1425:
	s_mov_b64 s[10:11], -1
	s_mov_b64 s[4:5], 0
	s_mov_b64 s[0:1], 0
                                        ; implicit-def: $vgpr6
	s_branch .LBB223_1427
.LBB223_1426:
	s_mov_b64 s[0:1], -1
                                        ; implicit-def: $vgpr6
	s_mov_b64 s[4:5], 0
.LBB223_1427:
	s_and_b64 vcc, exec, s[10:11]
	s_cbranch_vccz .LBB223_1431
; %bb.1428:
	s_cmp_eq_u32 s22, 44
	s_cbranch_scc0 .LBB223_1430
; %bb.1429:
	global_load_ubyte v6, v[0:1], off
	s_movk_i32 s4, 0xff
	v_mov_b32_e32 v7, 0x7f800001
	v_mov_b32_e32 v8, 0x400000
	;; [unrolled: 1-line block ×3, first 2 shown]
	s_mov_b64 s[0:1], 0
	s_waitcnt vmcnt(0)
	v_lshlrev_b32_e32 v10, 23, v6
	v_cmp_ne_u32_e32 vcc, s4, v6
	v_cndmask_b32_e32 v7, v7, v10, vcc
	v_cmp_ne_u32_e32 vcc, 0, v6
	v_cndmask_b32_e32 v6, v8, v7, vcc
	v_add_u32_e32 v7, 0x7fff, v6
	v_cmp_o_f32_e32 vcc, v6, v6
	v_cndmask_b32_sdwa v6, v9, v7, vcc dst_sel:DWORD dst_unused:UNUSED_PAD src0_sel:DWORD src1_sel:WORD_1
	s_mov_b64 s[4:5], -1
	s_branch .LBB223_1431
.LBB223_1430:
	s_mov_b64 s[0:1], -1
                                        ; implicit-def: $vgpr6
.LBB223_1431:
	s_mov_b64 s[10:11], 0
.LBB223_1432:
	s_and_b64 vcc, exec, s[10:11]
	s_cbranch_vccz .LBB223_1436
; %bb.1433:
	s_cmp_eq_u32 s22, 29
	s_cbranch_scc0 .LBB223_1435
; %bb.1434:
	global_load_dwordx2 v[6:7], v[0:1], off
	s_movk_i32 s4, 0x7fff
	s_mov_b64 s[0:1], 0
	s_mov_b64 s[10:11], 0
	s_waitcnt vmcnt(0)
	v_ffbh_u32_e32 v8, v7
	v_min_u32_e32 v8, 32, v8
	v_lshlrev_b64 v[6:7], v8, v[6:7]
	v_min_u32_e32 v6, 1, v6
	v_or_b32_e32 v6, v7, v6
	v_cvt_f32_u32_e32 v6, v6
	v_sub_u32_e32 v7, 32, v8
	v_ldexp_f32 v6, v6, v7
	v_bfe_u32 v7, v6, 16, 1
	v_add3_u32 v6, v6, v7, s4
	v_lshrrev_b32_e32 v6, 16, v6
	s_mov_b64 s[4:5], -1
	s_branch .LBB223_1437
.LBB223_1435:
	s_mov_b64 s[0:1], -1
                                        ; implicit-def: $vgpr6
.LBB223_1436:
	s_mov_b64 s[10:11], 0
.LBB223_1437:
	s_and_b64 vcc, exec, s[10:11]
	s_cbranch_vccz .LBB223_1455
; %bb.1438:
	s_cmp_lt_i32 s22, 27
	s_cbranch_scc1 .LBB223_1441
; %bb.1439:
	s_cmp_gt_i32 s22, 27
	s_cbranch_scc0 .LBB223_1442
; %bb.1440:
	global_load_dword v6, v[0:1], off
	s_movk_i32 s4, 0x7fff
	s_waitcnt vmcnt(0)
	v_cvt_f32_u32_e32 v6, v6
	v_bfe_u32 v7, v6, 16, 1
	v_add3_u32 v6, v6, v7, s4
	v_lshrrev_b32_e32 v6, 16, v6
	s_mov_b64 s[4:5], 0
	s_branch .LBB223_1443
.LBB223_1441:
	s_mov_b64 s[4:5], -1
                                        ; implicit-def: $vgpr6
	s_branch .LBB223_1446
.LBB223_1442:
	s_mov_b64 s[4:5], -1
                                        ; implicit-def: $vgpr6
.LBB223_1443:
	s_andn2_b64 vcc, exec, s[4:5]
	s_cbranch_vccnz .LBB223_1445
; %bb.1444:
	global_load_ushort v6, v[0:1], off
	s_movk_i32 s4, 0x7fff
	s_waitcnt vmcnt(0)
	v_cvt_f32_u32_e32 v6, v6
	v_bfe_u32 v7, v6, 16, 1
	v_add3_u32 v6, v6, v7, s4
	v_lshrrev_b32_e32 v6, 16, v6
.LBB223_1445:
	s_mov_b64 s[4:5], 0
.LBB223_1446:
	s_andn2_b64 vcc, exec, s[4:5]
	s_cbranch_vccnz .LBB223_1454
; %bb.1447:
	global_load_ubyte v6, v[0:1], off
	s_movk_i32 s4, 0x7f
	s_waitcnt vmcnt(0)
	v_cmp_lt_i16_e32 vcc, s4, v6
	s_mov_b64 s[4:5], 0
	s_and_saveexec_b64 s[10:11], vcc
	s_xor_b64 s[10:11], exec, s[10:11]
	s_cbranch_execz .LBB223_1468
; %bb.1448:
	s_movk_i32 s4, 0x80
	v_cmp_eq_u16_e32 vcc, s4, v6
	s_mov_b64 s[4:5], -1
	s_and_saveexec_b64 s[18:19], vcc
; %bb.1449:
	s_xor_b64 s[4:5], exec, -1
; %bb.1450:
	s_or_b64 exec, exec, s[18:19]
	s_and_b64 s[4:5], s[4:5], exec
	s_or_saveexec_b64 s[10:11], s[10:11]
	v_mov_b32_e32 v7, 0x7f800001
	s_xor_b64 exec, exec, s[10:11]
	s_cbranch_execnz .LBB223_1469
.LBB223_1451:
	s_or_b64 exec, exec, s[10:11]
	s_and_saveexec_b64 s[10:11], s[4:5]
	s_cbranch_execz .LBB223_1453
.LBB223_1452:
	v_lshlrev_b32_e32 v7, 24, v6
	v_and_b32_e32 v6, 0xffff, v6
	v_and_b32_e32 v8, 7, v6
	v_ffbh_u32_e32 v10, v8
	v_min_u32_e32 v10, 32, v10
	v_subrev_u32_e32 v11, 28, v10
	v_bfe_u32 v9, v6, 3, 4
	v_lshlrev_b32_e32 v6, v11, v6
	v_sub_u32_e32 v10, 29, v10
	v_and_b32_e32 v6, 7, v6
	v_cmp_eq_u32_e32 vcc, 0, v9
	v_cndmask_b32_e32 v9, v9, v10, vcc
	v_cndmask_b32_e32 v6, v8, v6, vcc
	v_mov_b32_e32 v8, 0x3b800000
	v_lshlrev_b32_e32 v6, 20, v6
	v_and_b32_e32 v7, 0x80000000, v7
	v_lshl_add_u32 v8, v9, 23, v8
	v_or3_b32 v7, v7, v8, v6
.LBB223_1453:
	s_or_b64 exec, exec, s[10:11]
	v_bfe_u32 v6, v7, 16, 1
	s_movk_i32 s4, 0x7fff
	v_add3_u32 v6, v7, v6, s4
	v_cmp_o_f32_e32 vcc, v7, v7
	v_mov_b32_e32 v7, 0x7fc0
	v_cndmask_b32_sdwa v6, v7, v6, vcc dst_sel:DWORD dst_unused:UNUSED_PAD src0_sel:DWORD src1_sel:WORD_1
.LBB223_1454:
	s_mov_b64 s[4:5], -1
.LBB223_1455:
	s_mov_b64 s[10:11], 0
.LBB223_1456:
	s_and_b64 vcc, exec, s[10:11]
	s_cbranch_vccz .LBB223_1489
; %bb.1457:
	s_cmp_gt_i32 s22, 22
	s_cbranch_scc0 .LBB223_1467
; %bb.1458:
	s_cmp_lt_i32 s22, 24
	s_cbranch_scc1 .LBB223_1470
; %bb.1459:
	s_cmp_gt_i32 s22, 24
	s_cbranch_scc0 .LBB223_1471
; %bb.1460:
	global_load_ubyte v6, v[0:1], off
	s_movk_i32 s2, 0x7f
	s_waitcnt vmcnt(0)
	v_cmp_lt_i16_e32 vcc, s2, v6
	s_mov_b64 s[2:3], 0
	s_and_saveexec_b64 s[4:5], vcc
	s_xor_b64 s[4:5], exec, s[4:5]
	s_cbranch_execz .LBB223_1483
; %bb.1461:
	s_movk_i32 s2, 0x80
	v_cmp_eq_u16_e32 vcc, s2, v6
	s_mov_b64 s[2:3], -1
	s_and_saveexec_b64 s[10:11], vcc
; %bb.1462:
	s_xor_b64 s[2:3], exec, -1
; %bb.1463:
	s_or_b64 exec, exec, s[10:11]
	s_and_b64 s[2:3], s[2:3], exec
	s_or_saveexec_b64 s[4:5], s[4:5]
	v_mov_b32_e32 v7, 0x7f800001
	s_xor_b64 exec, exec, s[4:5]
	s_cbranch_execnz .LBB223_1484
.LBB223_1464:
	s_or_b64 exec, exec, s[4:5]
	s_and_saveexec_b64 s[4:5], s[2:3]
	s_cbranch_execz .LBB223_1466
.LBB223_1465:
	v_lshlrev_b32_e32 v7, 24, v6
	v_and_b32_e32 v6, 0xffff, v6
	v_and_b32_e32 v8, 3, v6
	v_ffbh_u32_e32 v10, v8
	v_min_u32_e32 v10, 32, v10
	v_subrev_u32_e32 v11, 29, v10
	v_bfe_u32 v9, v6, 2, 5
	v_lshlrev_b32_e32 v6, v11, v6
	v_sub_u32_e32 v10, 30, v10
	v_and_b32_e32 v6, 3, v6
	v_cmp_eq_u32_e32 vcc, 0, v9
	v_cndmask_b32_e32 v9, v9, v10, vcc
	v_cndmask_b32_e32 v6, v8, v6, vcc
	v_mov_b32_e32 v8, 0x37800000
	v_lshlrev_b32_e32 v6, 21, v6
	v_and_b32_e32 v7, 0x80000000, v7
	v_lshl_add_u32 v8, v9, 23, v8
	v_or3_b32 v7, v7, v8, v6
.LBB223_1466:
	s_or_b64 exec, exec, s[4:5]
	v_bfe_u32 v6, v7, 16, 1
	s_movk_i32 s2, 0x7fff
	v_add3_u32 v6, v7, v6, s2
	v_cmp_o_f32_e32 vcc, v7, v7
	v_mov_b32_e32 v7, 0x7fc0
	v_cndmask_b32_sdwa v6, v7, v6, vcc dst_sel:DWORD dst_unused:UNUSED_PAD src0_sel:DWORD src1_sel:WORD_1
	s_mov_b64 s[2:3], 0
	s_branch .LBB223_1472
.LBB223_1467:
	s_mov_b64 s[2:3], -1
                                        ; implicit-def: $vgpr6
	s_branch .LBB223_1478
.LBB223_1468:
	s_or_saveexec_b64 s[10:11], s[10:11]
	v_mov_b32_e32 v7, 0x7f800001
	s_xor_b64 exec, exec, s[10:11]
	s_cbranch_execz .LBB223_1451
.LBB223_1469:
	v_cmp_ne_u16_e32 vcc, 0, v6
	s_andn2_b64 s[4:5], s[4:5], exec
	s_and_b64 s[18:19], vcc, exec
	v_mov_b32_e32 v7, 0
	s_or_b64 s[4:5], s[4:5], s[18:19]
	s_or_b64 exec, exec, s[10:11]
	s_and_saveexec_b64 s[10:11], s[4:5]
	s_cbranch_execnz .LBB223_1452
	s_branch .LBB223_1453
.LBB223_1470:
	s_mov_b64 s[2:3], -1
                                        ; implicit-def: $vgpr6
	s_branch .LBB223_1475
.LBB223_1471:
	s_mov_b64 s[2:3], -1
                                        ; implicit-def: $vgpr6
.LBB223_1472:
	s_and_b64 vcc, exec, s[2:3]
	s_cbranch_vccz .LBB223_1474
; %bb.1473:
	global_load_ubyte v6, v[0:1], off
	s_mov_b32 s2, 0x7f800000
	s_brev_b32 s3, 1
	s_movk_i32 s4, 0x7fff
	s_waitcnt vmcnt(0)
	v_lshlrev_b32_e32 v6, 24, v6
	v_and_b32_e32 v7, 0x7f000000, v6
	v_ffbh_u32_e32 v8, v7
	v_min_u32_e32 v8, 32, v8
	v_sub_u32_e64 v8, v8, 4 clamp
	v_lshlrev_b32_e32 v10, v8, v7
	v_lshlrev_b32_e32 v8, 23, v8
	v_lshrrev_b32_e32 v10, 4, v10
	v_add_u32_e32 v9, 0x1000000, v7
	v_sub_u32_e32 v8, v10, v8
	v_ashrrev_i32_e32 v9, 8, v9
	v_add_u32_e32 v8, 0x3c000000, v8
	v_and_or_b32 v8, v9, s2, v8
	v_cmp_ne_u32_e32 vcc, 0, v7
	v_cndmask_b32_e32 v7, 0, v8, vcc
	v_and_or_b32 v6, v6, s3, v7
	v_bfe_u32 v7, v7, 16, 1
	v_add3_u32 v7, v6, v7, s4
	v_cmp_o_f32_e32 vcc, v6, v6
	v_mov_b32_e32 v6, 0x7fc0
	v_cndmask_b32_sdwa v6, v6, v7, vcc dst_sel:DWORD dst_unused:UNUSED_PAD src0_sel:DWORD src1_sel:WORD_1
.LBB223_1474:
	s_mov_b64 s[2:3], 0
.LBB223_1475:
	s_andn2_b64 vcc, exec, s[2:3]
	s_cbranch_vccnz .LBB223_1477
; %bb.1476:
	global_load_ubyte v6, v[0:1], off
	s_movk_i32 s2, 0x7f00
	s_brev_b32 s3, 16
	s_brev_b32 s4, 1
	s_movk_i32 s5, 0x7fff
	s_waitcnt vmcnt(0)
	v_lshlrev_b16_e32 v7, 8, v6
	v_lshlrev_b32_e32 v6, 25, v6
	v_lshrrev_b32_e32 v8, 4, v6
	v_and_or_b32 v9, v7, s2, 0.5
	v_or_b32_e32 v8, 0x70000000, v8
	v_add_f32_e32 v9, -0.5, v9
	v_mul_f32_e32 v8, 0x7800000, v8
	v_cmp_gt_u32_e32 vcc, s3, v6
	v_bfe_i32 v7, v7, 0, 16
	v_cndmask_b32_e32 v6, v8, v9, vcc
	v_and_or_b32 v7, v7, s4, v6
	v_bfe_u32 v6, v6, 16, 1
	v_add3_u32 v6, v7, v6, s5
	v_cmp_o_f32_e32 vcc, v7, v7
	v_mov_b32_e32 v7, 0x7fc0
	v_cndmask_b32_sdwa v6, v7, v6, vcc dst_sel:DWORD dst_unused:UNUSED_PAD src0_sel:DWORD src1_sel:WORD_1
.LBB223_1477:
	s_mov_b64 s[2:3], 0
	s_mov_b64 s[4:5], -1
.LBB223_1478:
	s_andn2_b64 vcc, exec, s[2:3]
	s_mov_b64 s[2:3], 0
	s_cbranch_vccnz .LBB223_1489
; %bb.1479:
	s_cmp_gt_i32 s22, 14
	s_cbranch_scc0 .LBB223_1482
; %bb.1480:
	s_cmp_eq_u32 s22, 15
	s_cbranch_scc0 .LBB223_1485
; %bb.1481:
	global_load_ushort v6, v[0:1], off
	s_mov_b64 s[0:1], 0
	s_mov_b64 s[4:5], -1
	s_branch .LBB223_1486
.LBB223_1482:
	s_mov_b64 s[10:11], -1
                                        ; implicit-def: $vgpr6
	s_branch .LBB223_1487
.LBB223_1483:
	s_or_saveexec_b64 s[4:5], s[4:5]
	v_mov_b32_e32 v7, 0x7f800001
	s_xor_b64 exec, exec, s[4:5]
	s_cbranch_execz .LBB223_1464
.LBB223_1484:
	v_cmp_ne_u16_e32 vcc, 0, v6
	s_andn2_b64 s[2:3], s[2:3], exec
	s_and_b64 s[10:11], vcc, exec
	v_mov_b32_e32 v7, 0
	s_or_b64 s[2:3], s[2:3], s[10:11]
	s_or_b64 exec, exec, s[4:5]
	s_and_saveexec_b64 s[4:5], s[2:3]
	s_cbranch_execnz .LBB223_1465
	s_branch .LBB223_1466
.LBB223_1485:
	s_mov_b64 s[0:1], -1
                                        ; implicit-def: $vgpr6
.LBB223_1486:
	s_mov_b64 s[10:11], 0
.LBB223_1487:
	s_and_b64 vcc, exec, s[10:11]
	s_cbranch_vccz .LBB223_1489
; %bb.1488:
	s_cmp_lg_u32 s22, 11
	s_mov_b64 s[2:3], -1
	s_cselect_b64 s[0:1], -1, 0
.LBB223_1489:
	s_and_b64 vcc, exec, s[0:1]
	s_cbranch_vccnz .LBB223_2022
; %bb.1490:
	s_andn2_b64 vcc, exec, s[2:3]
	s_cbranch_vccnz .LBB223_1492
.LBB223_1491:
	global_load_ubyte v6, v[0:1], off
	s_mov_b64 s[4:5], -1
	s_waitcnt vmcnt(0)
	v_cmp_ne_u16_e32 vcc, 0, v6
	v_cndmask_b32_e64 v6, 0, 1.0, vcc
	v_lshrrev_b32_e32 v6, 16, v6
.LBB223_1492:
	s_mov_b64 s[0:1], 0
.LBB223_1493:
	s_and_b64 vcc, exec, s[0:1]
	s_cbranch_vccz .LBB223_1542
; %bb.1494:
	s_cmp_lt_i32 s22, 5
	s_cbranch_scc1 .LBB223_1499
; %bb.1495:
	s_cmp_lt_i32 s22, 8
	s_cbranch_scc1 .LBB223_1500
	;; [unrolled: 3-line block ×3, first 2 shown]
; %bb.1497:
	s_cmp_gt_i32 s22, 9
	s_cbranch_scc0 .LBB223_1502
; %bb.1498:
	global_load_dwordx2 v[6:7], v[0:1], off
	s_movk_i32 s0, 0x7fff
	s_waitcnt vmcnt(0)
	v_cvt_f32_f64_e32 v6, v[6:7]
	v_mov_b32_e32 v7, 0x7fc0
	v_bfe_u32 v8, v6, 16, 1
	v_cmp_o_f32_e32 vcc, v6, v6
	v_add3_u32 v6, v6, v8, s0
	v_cndmask_b32_sdwa v6, v7, v6, vcc dst_sel:DWORD dst_unused:UNUSED_PAD src0_sel:DWORD src1_sel:WORD_1
	s_mov_b64 s[0:1], 0
	s_branch .LBB223_1503
.LBB223_1499:
	s_mov_b64 s[0:1], -1
                                        ; implicit-def: $vgpr6
	s_branch .LBB223_1521
.LBB223_1500:
	s_mov_b64 s[0:1], -1
                                        ; implicit-def: $vgpr6
	s_branch .LBB223_1509
.LBB223_1501:
	s_mov_b64 s[0:1], -1
                                        ; implicit-def: $vgpr6
	s_branch .LBB223_1506
.LBB223_1502:
	s_mov_b64 s[0:1], -1
                                        ; implicit-def: $vgpr6
.LBB223_1503:
	s_andn2_b64 vcc, exec, s[0:1]
	s_cbranch_vccnz .LBB223_1505
; %bb.1504:
	global_load_dword v6, v[0:1], off
	s_movk_i32 s0, 0x7fff
	v_mov_b32_e32 v7, 0x7fc0
	s_waitcnt vmcnt(0)
	v_bfe_u32 v8, v6, 16, 1
	v_cmp_o_f32_e32 vcc, v6, v6
	v_add3_u32 v6, v6, v8, s0
	v_cndmask_b32_sdwa v6, v7, v6, vcc dst_sel:DWORD dst_unused:UNUSED_PAD src0_sel:DWORD src1_sel:WORD_1
.LBB223_1505:
	s_mov_b64 s[0:1], 0
.LBB223_1506:
	s_andn2_b64 vcc, exec, s[0:1]
	s_cbranch_vccnz .LBB223_1508
; %bb.1507:
	global_load_dword v6, v[0:1], off
	s_movk_i32 s0, 0x7fff
	v_mov_b32_e32 v8, 0x7fc0
	s_waitcnt vmcnt(0)
	v_cvt_f32_f16_e32 v7, v6
	v_cmp_o_f16_e32 vcc, v6, v6
	v_bfe_u32 v6, v7, 16, 1
	v_add3_u32 v6, v7, v6, s0
	v_cndmask_b32_sdwa v6, v8, v6, vcc dst_sel:DWORD dst_unused:UNUSED_PAD src0_sel:DWORD src1_sel:WORD_1
.LBB223_1508:
	s_mov_b64 s[0:1], 0
.LBB223_1509:
	s_andn2_b64 vcc, exec, s[0:1]
	s_cbranch_vccnz .LBB223_1520
; %bb.1510:
	s_cmp_lt_i32 s22, 6
	s_cbranch_scc1 .LBB223_1513
; %bb.1511:
	s_cmp_gt_i32 s22, 6
	s_cbranch_scc0 .LBB223_1514
; %bb.1512:
	global_load_dwordx2 v[6:7], v[0:1], off
	s_movk_i32 s0, 0x7fff
	s_waitcnt vmcnt(0)
	v_cvt_f32_f64_e32 v6, v[6:7]
	v_mov_b32_e32 v7, 0x7fc0
	v_bfe_u32 v8, v6, 16, 1
	v_cmp_o_f32_e32 vcc, v6, v6
	v_add3_u32 v6, v6, v8, s0
	v_cndmask_b32_sdwa v6, v7, v6, vcc dst_sel:DWORD dst_unused:UNUSED_PAD src0_sel:DWORD src1_sel:WORD_1
	s_mov_b64 s[0:1], 0
	s_branch .LBB223_1515
.LBB223_1513:
	s_mov_b64 s[0:1], -1
                                        ; implicit-def: $vgpr6
	s_branch .LBB223_1518
.LBB223_1514:
	s_mov_b64 s[0:1], -1
                                        ; implicit-def: $vgpr6
.LBB223_1515:
	s_andn2_b64 vcc, exec, s[0:1]
	s_cbranch_vccnz .LBB223_1517
; %bb.1516:
	global_load_dword v6, v[0:1], off
	s_movk_i32 s0, 0x7fff
	v_mov_b32_e32 v7, 0x7fc0
	s_waitcnt vmcnt(0)
	v_bfe_u32 v8, v6, 16, 1
	v_cmp_o_f32_e32 vcc, v6, v6
	v_add3_u32 v6, v6, v8, s0
	v_cndmask_b32_sdwa v6, v7, v6, vcc dst_sel:DWORD dst_unused:UNUSED_PAD src0_sel:DWORD src1_sel:WORD_1
.LBB223_1517:
	s_mov_b64 s[0:1], 0
.LBB223_1518:
	s_andn2_b64 vcc, exec, s[0:1]
	s_cbranch_vccnz .LBB223_1520
; %bb.1519:
	global_load_ushort v6, v[0:1], off
	s_movk_i32 s0, 0x7fff
	v_mov_b32_e32 v8, 0x7fc0
	s_waitcnt vmcnt(0)
	v_cvt_f32_f16_e32 v7, v6
	v_cmp_o_f16_e32 vcc, v6, v6
	v_bfe_u32 v6, v7, 16, 1
	v_add3_u32 v6, v7, v6, s0
	v_cndmask_b32_sdwa v6, v8, v6, vcc dst_sel:DWORD dst_unused:UNUSED_PAD src0_sel:DWORD src1_sel:WORD_1
.LBB223_1520:
	s_mov_b64 s[0:1], 0
.LBB223_1521:
	s_andn2_b64 vcc, exec, s[0:1]
	s_cbranch_vccnz .LBB223_1541
; %bb.1522:
	s_cmp_lt_i32 s22, 2
	s_cbranch_scc1 .LBB223_1526
; %bb.1523:
	s_cmp_lt_i32 s22, 3
	s_cbranch_scc1 .LBB223_1527
; %bb.1524:
	s_cmp_gt_i32 s22, 3
	s_cbranch_scc0 .LBB223_1528
; %bb.1525:
	global_load_dwordx2 v[6:7], v[0:1], off
	s_movk_i32 s0, 0x7fff
	s_waitcnt vmcnt(0)
	v_xor_b32_e32 v9, v6, v7
	v_ffbh_i32_e32 v8, v7
	v_ashrrev_i32_e32 v9, 31, v9
	v_add_u32_e32 v8, -1, v8
	v_add_u32_e32 v9, 32, v9
	v_min_u32_e32 v8, v8, v9
	v_lshlrev_b64 v[6:7], v8, v[6:7]
	v_min_u32_e32 v6, 1, v6
	v_or_b32_e32 v6, v7, v6
	v_cvt_f32_i32_e32 v6, v6
	v_sub_u32_e32 v7, 32, v8
	v_ldexp_f32 v6, v6, v7
	v_bfe_u32 v7, v6, 16, 1
	v_add3_u32 v6, v6, v7, s0
	v_lshrrev_b32_e32 v6, 16, v6
	s_mov_b64 s[0:1], 0
	s_branch .LBB223_1529
.LBB223_1526:
	s_mov_b64 s[0:1], -1
                                        ; implicit-def: $vgpr6
	s_branch .LBB223_1535
.LBB223_1527:
	s_mov_b64 s[0:1], -1
                                        ; implicit-def: $vgpr6
	s_branch .LBB223_1532
.LBB223_1528:
	s_mov_b64 s[0:1], -1
                                        ; implicit-def: $vgpr6
.LBB223_1529:
	s_andn2_b64 vcc, exec, s[0:1]
	s_cbranch_vccnz .LBB223_1531
; %bb.1530:
	global_load_dword v6, v[0:1], off
	s_movk_i32 s0, 0x7fff
	s_waitcnt vmcnt(0)
	v_cvt_f32_i32_e32 v6, v6
	v_bfe_u32 v7, v6, 16, 1
	v_add3_u32 v6, v6, v7, s0
	v_lshrrev_b32_e32 v6, 16, v6
.LBB223_1531:
	s_mov_b64 s[0:1], 0
.LBB223_1532:
	s_andn2_b64 vcc, exec, s[0:1]
	s_cbranch_vccnz .LBB223_1534
; %bb.1533:
	global_load_sshort v6, v[0:1], off
	s_movk_i32 s0, 0x7fff
	s_waitcnt vmcnt(0)
	v_cvt_f32_i32_e32 v6, v6
	v_bfe_u32 v7, v6, 16, 1
	v_add3_u32 v6, v6, v7, s0
	v_lshrrev_b32_e32 v6, 16, v6
.LBB223_1534:
	s_mov_b64 s[0:1], 0
.LBB223_1535:
	s_andn2_b64 vcc, exec, s[0:1]
	s_cbranch_vccnz .LBB223_1541
; %bb.1536:
	s_cmp_gt_i32 s22, 0
	s_cbranch_scc0 .LBB223_1538
; %bb.1537:
	global_load_sbyte v6, v[0:1], off
	s_movk_i32 s0, 0x7fff
	s_waitcnt vmcnt(0)
	v_cvt_f32_i32_e32 v6, v6
	v_bfe_u32 v7, v6, 16, 1
	v_add3_u32 v6, v6, v7, s0
	v_lshrrev_b32_e32 v6, 16, v6
	s_mov_b64 s[0:1], 0
	s_branch .LBB223_1539
.LBB223_1538:
	s_mov_b64 s[0:1], -1
                                        ; implicit-def: $vgpr6
.LBB223_1539:
	s_andn2_b64 vcc, exec, s[0:1]
	s_cbranch_vccnz .LBB223_1541
; %bb.1540:
	global_load_ubyte v0, v[0:1], off
	s_movk_i32 s0, 0x7fff
	s_waitcnt vmcnt(0)
	v_cvt_f32_ubyte0_e32 v0, v0
	v_bfe_u32 v1, v0, 16, 1
	v_add3_u32 v0, v0, v1, s0
	v_lshrrev_b32_e32 v6, 16, v0
.LBB223_1541:
	s_mov_b64 s[4:5], -1
.LBB223_1542:
	s_andn2_b64 vcc, exec, s[4:5]
	s_cbranch_vccnz .LBB223_1976
; %bb.1543:
	v_mul_lo_u32 v2, s12, v2
	s_lshl_b32 s1, s45, 16
	s_lshl_b32 s0, s46, 16
	v_mov_b32_e32 v0, s1
	v_mov_b32_e32 v1, s33
	v_cmp_le_f32_e64 s[0:1], s0, v0
	s_waitcnt vmcnt(0)
	v_cndmask_b32_e64 v3, v3, v1, s[0:1]
	v_ashrrev_i32_e32 v1, 31, v2
	v_mov_b32_e32 v7, s9
	s_and_b32 s22, s44, 0xff
	v_add_co_u32_e32 v0, vcc, s8, v2
	s_cmp_lt_i32 s22, 11
	v_addc_co_u32_e32 v1, vcc, v7, v1, vcc
	s_cbranch_scc1 .LBB223_1621
; %bb.1544:
	s_and_b32 s13, 0xffff, s22
	s_mov_b64 s[18:19], -1
	s_mov_b64 s[4:5], 0
	s_cmp_gt_i32 s13, 25
	s_mov_b64 s[10:11], 0
	s_mov_b64 s[2:3], 0
	s_cbranch_scc0 .LBB223_1577
; %bb.1545:
	s_cmp_gt_i32 s13, 28
	s_cbranch_scc0 .LBB223_1560
; %bb.1546:
	s_cmp_gt_i32 s13, 43
	;; [unrolled: 3-line block ×3, first 2 shown]
	s_cbranch_scc0 .LBB223_1550
; %bb.1548:
	s_mov_b64 s[2:3], -1
	s_mov_b64 s[18:19], 0
	s_cmp_eq_u32 s13, 46
	s_cbranch_scc0 .LBB223_1550
; %bb.1549:
	v_and_b32_e32 v7, 0xffff, v3
	global_store_dword v[0:1], v7, off
	s_mov_b64 s[2:3], 0
	s_mov_b64 s[10:11], -1
.LBB223_1550:
	s_and_b64 vcc, exec, s[18:19]
	s_cbranch_vccz .LBB223_1555
; %bb.1551:
	s_cmp_eq_u32 s13, 44
	s_mov_b64 s[2:3], -1
	s_cbranch_scc0 .LBB223_1555
; %bb.1552:
	v_and_b32_e32 v8, 0xffff, v3
	v_bfe_u32 v7, v8, 7, 8
	s_movk_i32 s2, 0xff
	v_cmp_ne_u32_e32 vcc, s2, v7
	v_mov_b32_e32 v9, 0xff
	s_and_saveexec_b64 s[10:11], vcc
	s_cbranch_execz .LBB223_1554
; %bb.1553:
	v_lshlrev_b32_e32 v10, 16, v8
	s_mov_b32 s2, 0x3f0000
	v_lshrrev_b32_e32 v9, 7, v8
	v_and_b32_e32 v8, 64, v8
	v_and_or_b32 v7, v10, s2, v7
	v_cmp_ne_u32_e32 vcc, 0, v8
	v_cmp_ne_u32_e64 s[2:3], 0, v7
	s_and_b64 s[2:3], vcc, s[2:3]
	v_cndmask_b32_e64 v7, 0, 1, s[2:3]
	v_add_u32_e32 v9, v9, v7
.LBB223_1554:
	s_or_b64 exec, exec, s[10:11]
	s_mov_b64 s[2:3], 0
	s_mov_b64 s[10:11], -1
	global_store_byte v[0:1], v9, off
.LBB223_1555:
	s_mov_b64 s[18:19], 0
.LBB223_1556:
	s_and_b64 vcc, exec, s[18:19]
	s_cbranch_vccz .LBB223_1559
; %bb.1557:
	s_cmp_eq_u32 s13, 29
	s_mov_b64 s[2:3], -1
	s_cbranch_scc0 .LBB223_1559
; %bb.1558:
	v_lshlrev_b32_e32 v7, 16, v3
	v_trunc_f32_e32 v7, v7
	v_mul_f32_e32 v8, 0x2f800000, v7
	v_floor_f32_e32 v9, v8
	v_fmac_f32_e32 v7, 0xcf800000, v9
	v_cvt_u32_f32_e32 v8, v9
	v_cvt_u32_f32_e32 v7, v7
	s_mov_b64 s[2:3], 0
	s_mov_b64 s[10:11], -1
	global_store_dwordx2 v[0:1], v[7:8], off
.LBB223_1559:
	s_mov_b64 s[18:19], 0
.LBB223_1560:
	s_and_b64 vcc, exec, s[18:19]
	s_cbranch_vccz .LBB223_1576
; %bb.1561:
	s_cmp_lt_i32 s13, 27
	s_mov_b64 s[10:11], -1
	s_cbranch_scc1 .LBB223_1567
; %bb.1562:
	s_cmp_gt_i32 s13, 27
	s_cbranch_scc0 .LBB223_1564
; %bb.1563:
	v_lshlrev_b32_e32 v7, 16, v3
	v_cvt_u32_f32_e32 v7, v7
	s_mov_b64 s[10:11], 0
	global_store_dword v[0:1], v7, off
.LBB223_1564:
	s_andn2_b64 vcc, exec, s[10:11]
	s_cbranch_vccnz .LBB223_1566
; %bb.1565:
	v_lshlrev_b32_e32 v7, 16, v3
	v_cvt_u32_f32_e32 v7, v7
	global_store_short v[0:1], v7, off
.LBB223_1566:
	s_mov_b64 s[10:11], 0
.LBB223_1567:
	s_andn2_b64 vcc, exec, s[10:11]
	s_cbranch_vccnz .LBB223_1575
; %bb.1568:
	v_lshlrev_b32_e32 v9, 16, v3
	v_and_b32_e32 v8, 0x7fffffff, v9
	s_mov_b32 s10, 0x43800000
	v_cmp_gt_u32_e32 vcc, s10, v8
	v_mov_b32_e32 v10, 0x80
	s_and_saveexec_b64 s[10:11], vcc
	s_cbranch_execz .LBB223_1574
; %bb.1569:
	s_mov_b32 s18, 0x3bffffff
	v_and_b32_e32 v7, 0xffff, v3
	v_cmp_lt_u32_e32 vcc, s18, v8
	s_mov_b64 s[18:19], 0
                                        ; implicit-def: $vgpr8
	s_and_saveexec_b64 s[20:21], vcc
	s_xor_b64 s[20:21], exec, s[20:21]
	s_cbranch_execz .LBB223_2023
; %bb.1570:
	v_bfe_u32 v8, v7, 4, 1
	s_mov_b32 s23, 0x487ffff
	v_add3_u32 v8, v9, v8, s23
	s_mov_b64 s[18:19], exec
	v_lshrrev_b32_e32 v8, 20, v8
                                        ; implicit-def: $vgpr9
	s_andn2_saveexec_b64 s[20:21], s[20:21]
	s_cbranch_execnz .LBB223_2024
.LBB223_1571:
	s_or_b64 exec, exec, s[20:21]
	v_mov_b32_e32 v10, 0
	s_and_saveexec_b64 s[20:21], s[18:19]
.LBB223_1572:
	v_lshrrev_b32_e32 v7, 8, v7
	s_movk_i32 s18, 0x80
	v_and_or_b32 v10, v7, s18, v8
.LBB223_1573:
	s_or_b64 exec, exec, s[20:21]
.LBB223_1574:
	s_or_b64 exec, exec, s[10:11]
	global_store_byte v[0:1], v10, off
.LBB223_1575:
	s_mov_b64 s[10:11], -1
.LBB223_1576:
	s_mov_b64 s[18:19], 0
.LBB223_1577:
	s_and_b64 vcc, exec, s[18:19]
	s_cbranch_vccz .LBB223_1617
; %bb.1578:
	s_cmp_gt_i32 s13, 22
	s_mov_b64 s[4:5], -1
	s_cbranch_scc0 .LBB223_1610
; %bb.1579:
	s_cmp_lt_i32 s13, 24
	s_cbranch_scc1 .LBB223_1599
; %bb.1580:
	s_cmp_gt_i32 s13, 24
	s_cbranch_scc0 .LBB223_1588
; %bb.1581:
	v_lshlrev_b32_e32 v9, 16, v3
	v_and_b32_e32 v8, 0x7fffffff, v9
	s_mov_b32 s4, 0x47800000
	v_cmp_gt_u32_e32 vcc, s4, v8
	v_mov_b32_e32 v10, 0x80
	s_and_saveexec_b64 s[4:5], vcc
	s_cbranch_execz .LBB223_1587
; %bb.1582:
	s_mov_b32 s10, 0x37ffffff
	v_and_b32_e32 v7, 0xffff, v3
	v_cmp_lt_u32_e32 vcc, s10, v8
	s_mov_b64 s[10:11], 0
                                        ; implicit-def: $vgpr8
	s_and_saveexec_b64 s[18:19], vcc
	s_xor_b64 s[18:19], exec, s[18:19]
	s_cbranch_execz .LBB223_2026
; %bb.1583:
	v_bfe_u32 v8, v7, 5, 1
	s_mov_b32 s20, 0x88fffff
	v_add3_u32 v8, v9, v8, s20
	s_mov_b64 s[10:11], exec
	v_lshrrev_b32_e32 v8, 21, v8
                                        ; implicit-def: $vgpr9
	s_andn2_saveexec_b64 s[18:19], s[18:19]
	s_cbranch_execnz .LBB223_2027
.LBB223_1584:
	s_or_b64 exec, exec, s[18:19]
	v_mov_b32_e32 v10, 0
	s_and_saveexec_b64 s[18:19], s[10:11]
.LBB223_1585:
	v_lshrrev_b32_e32 v7, 8, v7
	s_movk_i32 s10, 0x80
	v_and_or_b32 v10, v7, s10, v8
.LBB223_1586:
	s_or_b64 exec, exec, s[18:19]
.LBB223_1587:
	s_or_b64 exec, exec, s[4:5]
	s_mov_b64 s[4:5], 0
	global_store_byte v[0:1], v10, off
.LBB223_1588:
	s_and_b64 vcc, exec, s[4:5]
	s_cbranch_vccz .LBB223_1598
; %bb.1589:
	v_lshlrev_b32_e32 v9, 16, v3
	v_and_b32_e32 v10, 0x7fffffff, v9
	s_mov_b32 s4, 0x43f00000
	v_and_b32_e32 v7, 0xffff, v3
	v_cmp_gt_u32_e32 vcc, s4, v10
                                        ; implicit-def: $vgpr8
	s_and_saveexec_b64 s[4:5], vcc
	s_xor_b64 s[4:5], exec, s[4:5]
	s_cbranch_execz .LBB223_1595
; %bb.1590:
	s_mov_b32 s10, 0x3c7fffff
	v_cmp_lt_u32_e32 vcc, s10, v10
                                        ; implicit-def: $vgpr8
	s_and_saveexec_b64 s[10:11], vcc
	s_xor_b64 s[10:11], exec, s[10:11]
; %bb.1591:
	v_bfe_u32 v8, v7, 4, 1
	s_mov_b32 s18, 0x407ffff
	v_add3_u32 v8, v9, v8, s18
	v_lshrrev_b32_e32 v9, 20, v8
	v_and_b32_e32 v8, 0xff00000, v8
	s_mov_b32 s18, 0x7f00000
	v_mov_b32_e32 v10, 0x7e
	v_cmp_ne_u32_e32 vcc, s18, v8
	v_cndmask_b32_e32 v8, v10, v9, vcc
                                        ; implicit-def: $vgpr9
; %bb.1592:
	s_andn2_saveexec_b64 s[10:11], s[10:11]
; %bb.1593:
	s_mov_b32 s18, 0x46800000
	v_add_f32_e64 v8, |v9|, s18
; %bb.1594:
	s_or_b64 exec, exec, s[10:11]
                                        ; implicit-def: $vgpr10
.LBB223_1595:
	s_andn2_saveexec_b64 s[4:5], s[4:5]
; %bb.1596:
	s_mov_b32 s10, 0x7f800000
	v_mov_b32_e32 v8, 0x7e
	v_mov_b32_e32 v9, 0x7f
	v_cmp_lt_u32_e32 vcc, s10, v10
	v_cndmask_b32_e32 v8, v8, v9, vcc
; %bb.1597:
	s_or_b64 exec, exec, s[4:5]
	v_lshrrev_b32_e32 v7, 8, v7
	s_movk_i32 s4, 0x80
	v_and_or_b32 v7, v7, s4, v8
	global_store_byte v[0:1], v7, off
.LBB223_1598:
	s_mov_b64 s[4:5], 0
.LBB223_1599:
	s_andn2_b64 vcc, exec, s[4:5]
	s_cbranch_vccnz .LBB223_1609
; %bb.1600:
	v_lshlrev_b32_e32 v9, 16, v3
	v_and_b32_e32 v10, 0x7fffffff, v9
	s_mov_b32 s4, 0x47800000
	v_and_b32_e32 v7, 0xffff, v3
	v_cmp_gt_u32_e32 vcc, s4, v10
                                        ; implicit-def: $vgpr8
	s_and_saveexec_b64 s[4:5], vcc
	s_xor_b64 s[4:5], exec, s[4:5]
	s_cbranch_execz .LBB223_1606
; %bb.1601:
	s_mov_b32 s10, 0x387fffff
	v_cmp_lt_u32_e32 vcc, s10, v10
                                        ; implicit-def: $vgpr8
	s_and_saveexec_b64 s[10:11], vcc
	s_xor_b64 s[10:11], exec, s[10:11]
; %bb.1602:
	v_bfe_u32 v8, v7, 5, 1
	s_mov_b32 s18, 0x80fffff
	v_add3_u32 v8, v9, v8, s18
	v_lshrrev_b32_e32 v8, 21, v8
                                        ; implicit-def: $vgpr9
; %bb.1603:
	s_andn2_saveexec_b64 s[10:11], s[10:11]
; %bb.1604:
	s_mov_b32 s18, 0x43000000
	v_add_f32_e64 v8, |v9|, s18
; %bb.1605:
	s_or_b64 exec, exec, s[10:11]
                                        ; implicit-def: $vgpr10
.LBB223_1606:
	s_andn2_saveexec_b64 s[4:5], s[4:5]
; %bb.1607:
	s_mov_b32 s10, 0x7f800000
	v_mov_b32_e32 v8, 0x7c
	v_mov_b32_e32 v9, 0x7f
	v_cmp_lt_u32_e32 vcc, s10, v10
	v_cndmask_b32_e32 v8, v8, v9, vcc
; %bb.1608:
	s_or_b64 exec, exec, s[4:5]
	v_lshrrev_b32_e32 v7, 8, v7
	s_movk_i32 s4, 0x80
	v_and_or_b32 v7, v7, s4, v8
	global_store_byte v[0:1], v7, off
.LBB223_1609:
	s_mov_b64 s[4:5], 0
	s_mov_b64 s[10:11], -1
.LBB223_1610:
	s_andn2_b64 vcc, exec, s[4:5]
	s_mov_b64 s[4:5], 0
	s_cbranch_vccnz .LBB223_1617
; %bb.1611:
	s_cmp_gt_i32 s13, 14
	s_mov_b64 s[18:19], -1
	s_cbranch_scc0 .LBB223_1615
; %bb.1612:
	s_cmp_eq_u32 s13, 15
	s_mov_b64 s[2:3], -1
	s_cbranch_scc0 .LBB223_1614
; %bb.1613:
	global_store_short v[0:1], v3, off
	s_mov_b64 s[2:3], 0
	s_mov_b64 s[10:11], -1
.LBB223_1614:
	s_mov_b64 s[18:19], 0
.LBB223_1615:
	s_and_b64 vcc, exec, s[18:19]
	s_cbranch_vccz .LBB223_1617
; %bb.1616:
	s_cmp_lg_u32 s13, 11
	s_mov_b64 s[4:5], -1
	s_cselect_b64 s[2:3], -1, 0
.LBB223_1617:
	s_and_b64 vcc, exec, s[2:3]
	s_cbranch_vccnz .LBB223_2025
; %bb.1618:
	s_andn2_b64 vcc, exec, s[4:5]
	s_cbranch_vccnz .LBB223_1620
.LBB223_1619:
	v_and_b32_e32 v7, 0x7fff, v3
	v_cmp_ne_u16_e32 vcc, 0, v7
	v_cndmask_b32_e64 v7, 0, 1, vcc
	s_mov_b64 s[10:11], -1
	global_store_byte v[0:1], v7, off
.LBB223_1620:
	s_mov_b64 s[2:3], 0
	s_branch .LBB223_1622
.LBB223_1621:
	s_mov_b64 s[2:3], -1
	s_mov_b64 s[10:11], 0
.LBB223_1622:
	s_and_b64 vcc, exec, s[2:3]
	s_cbranch_vccz .LBB223_1661
; %bb.1623:
	s_and_b32 s4, 0xffff, s22
	s_cmp_lt_i32 s4, 5
	s_mov_b64 s[2:3], -1
	s_cbranch_scc1 .LBB223_1644
; %bb.1624:
	s_cmp_lt_i32 s4, 8
	s_cbranch_scc1 .LBB223_1634
; %bb.1625:
	s_cmp_lt_i32 s4, 9
	s_cbranch_scc1 .LBB223_1631
; %bb.1626:
	s_cmp_gt_i32 s4, 9
	s_cbranch_scc0 .LBB223_1628
; %bb.1627:
	v_lshlrev_b32_e32 v7, 16, v3
	v_cvt_f64_f32_e32 v[7:8], v7
	v_mov_b32_e32 v9, 0
	v_mov_b32_e32 v10, v9
	s_mov_b64 s[2:3], 0
	global_store_dwordx4 v[0:1], v[7:10], off
.LBB223_1628:
	s_andn2_b64 vcc, exec, s[2:3]
	s_cbranch_vccnz .LBB223_1630
; %bb.1629:
	v_lshlrev_b32_e32 v7, 16, v3
	v_mov_b32_e32 v8, 0
	global_store_dwordx2 v[0:1], v[7:8], off
.LBB223_1630:
	s_mov_b64 s[2:3], 0
.LBB223_1631:
	s_andn2_b64 vcc, exec, s[2:3]
	s_cbranch_vccnz .LBB223_1633
; %bb.1632:
	v_lshlrev_b32_e32 v7, 16, v3
	v_cvt_f16_f32_e32 v7, v7
	global_store_dword v[0:1], v7, off
.LBB223_1633:
	s_mov_b64 s[2:3], 0
.LBB223_1634:
	s_andn2_b64 vcc, exec, s[2:3]
	s_cbranch_vccnz .LBB223_1643
; %bb.1635:
	s_cmp_lt_i32 s4, 6
	s_mov_b64 s[2:3], -1
	s_cbranch_scc1 .LBB223_1641
; %bb.1636:
	s_cmp_gt_i32 s4, 6
	s_cbranch_scc0 .LBB223_1638
; %bb.1637:
	v_lshlrev_b32_e32 v7, 16, v3
	v_cvt_f64_f32_e32 v[7:8], v7
	s_mov_b64 s[2:3], 0
	global_store_dwordx2 v[0:1], v[7:8], off
.LBB223_1638:
	s_andn2_b64 vcc, exec, s[2:3]
	s_cbranch_vccnz .LBB223_1640
; %bb.1639:
	v_lshlrev_b32_e32 v7, 16, v3
	global_store_dword v[0:1], v7, off
.LBB223_1640:
	s_mov_b64 s[2:3], 0
.LBB223_1641:
	s_andn2_b64 vcc, exec, s[2:3]
	s_cbranch_vccnz .LBB223_1643
; %bb.1642:
	v_lshlrev_b32_e32 v7, 16, v3
	v_cvt_f16_f32_e32 v7, v7
	global_store_short v[0:1], v7, off
.LBB223_1643:
	s_mov_b64 s[2:3], 0
.LBB223_1644:
	s_andn2_b64 vcc, exec, s[2:3]
	s_cbranch_vccnz .LBB223_1660
; %bb.1645:
	s_cmp_lt_i32 s4, 2
	s_mov_b64 s[2:3], -1
	s_cbranch_scc1 .LBB223_1655
; %bb.1646:
	s_cmp_lt_i32 s4, 3
	s_cbranch_scc1 .LBB223_1652
; %bb.1647:
	s_cmp_gt_i32 s4, 3
	s_cbranch_scc0 .LBB223_1649
; %bb.1648:
	v_lshlrev_b32_e32 v7, 16, v3
	v_trunc_f32_e32 v7, v7
	s_mov_b32 s2, 0x2f800000
	v_mul_f32_e64 v8, |v7|, s2
	v_floor_f32_e32 v8, v8
	s_mov_b32 s2, 0xcf800000
	v_cvt_u32_f32_e32 v9, v8
	v_fma_f32 v8, v8, s2, |v7|
	v_cvt_u32_f32_e32 v8, v8
	v_ashrrev_i32_e32 v10, 31, v7
	v_xor_b32_e32 v9, v9, v10
	s_mov_b64 s[2:3], 0
	v_xor_b32_e32 v7, v8, v10
	v_sub_co_u32_e32 v7, vcc, v7, v10
	v_subb_co_u32_e32 v8, vcc, v9, v10, vcc
	global_store_dwordx2 v[0:1], v[7:8], off
.LBB223_1649:
	s_andn2_b64 vcc, exec, s[2:3]
	s_cbranch_vccnz .LBB223_1651
; %bb.1650:
	v_lshlrev_b32_e32 v7, 16, v3
	v_cvt_i32_f32_e32 v7, v7
	global_store_dword v[0:1], v7, off
.LBB223_1651:
	s_mov_b64 s[2:3], 0
.LBB223_1652:
	s_andn2_b64 vcc, exec, s[2:3]
	s_cbranch_vccnz .LBB223_1654
; %bb.1653:
	v_lshlrev_b32_e32 v7, 16, v3
	v_cvt_i32_f32_e32 v7, v7
	global_store_short v[0:1], v7, off
.LBB223_1654:
	s_mov_b64 s[2:3], 0
.LBB223_1655:
	s_andn2_b64 vcc, exec, s[2:3]
	s_cbranch_vccnz .LBB223_1660
; %bb.1656:
	s_mov_b64 s[2:3], -1
	s_cmp_gt_i32 s4, 0
	v_lshlrev_b32_e32 v3, 16, v3
	s_cbranch_scc0 .LBB223_1658
; %bb.1657:
	v_cvt_i32_f32_e32 v7, v3
	s_mov_b64 s[2:3], 0
	global_store_byte v[0:1], v7, off
.LBB223_1658:
	s_andn2_b64 vcc, exec, s[2:3]
	s_cbranch_vccnz .LBB223_1660
; %bb.1659:
	v_trunc_f32_e32 v3, v3
	s_mov_b32 s2, 0x2f800000
	v_mul_f32_e64 v7, |v3|, s2
	v_floor_f32_e32 v7, v7
	s_mov_b32 s2, 0xcf800000
	v_fma_f32 v7, v7, s2, |v3|
	v_cvt_u32_f32_e32 v7, v7
	v_ashrrev_i32_e32 v3, 31, v3
	v_xor_b32_e32 v7, v7, v3
	v_sub_u32_e32 v3, v7, v3
	global_store_byte v[0:1], v3, off
.LBB223_1660:
	s_mov_b64 s[10:11], -1
.LBB223_1661:
	s_andn2_b64 vcc, exec, s[10:11]
	s_cbranch_vccnz .LBB223_1976
; %bb.1662:
	s_lshl_b32 s20, s12, 7
	v_mov_b32_e32 v0, s33
	v_add_u32_e32 v2, s20, v2
	v_cndmask_b32_e64 v3, v4, v0, s[0:1]
	v_ashrrev_i32_e32 v1, 31, v2
	v_mov_b32_e32 v4, s9
	v_add_co_u32_e32 v0, vcc, s8, v2
	s_cmp_lt_i32 s22, 11
	v_addc_co_u32_e32 v1, vcc, v4, v1, vcc
	s_cbranch_scc1 .LBB223_1740
; %bb.1663:
	s_and_b32 s21, 0xffff, s22
	s_mov_b64 s[12:13], -1
	s_mov_b64 s[4:5], 0
	s_cmp_gt_i32 s21, 25
	s_mov_b64 s[10:11], 0
	s_mov_b64 s[2:3], 0
	s_cbranch_scc0 .LBB223_1696
; %bb.1664:
	s_cmp_gt_i32 s21, 28
	s_cbranch_scc0 .LBB223_1679
; %bb.1665:
	s_cmp_gt_i32 s21, 43
	;; [unrolled: 3-line block ×3, first 2 shown]
	s_cbranch_scc0 .LBB223_1669
; %bb.1667:
	s_mov_b64 s[2:3], -1
	s_mov_b64 s[12:13], 0
	s_cmp_eq_u32 s21, 46
	s_cbranch_scc0 .LBB223_1669
; %bb.1668:
	v_and_b32_e32 v4, 0xffff, v3
	global_store_dword v[0:1], v4, off
	s_mov_b64 s[2:3], 0
	s_mov_b64 s[10:11], -1
.LBB223_1669:
	s_and_b64 vcc, exec, s[12:13]
	s_cbranch_vccz .LBB223_1674
; %bb.1670:
	s_cmp_eq_u32 s21, 44
	s_mov_b64 s[2:3], -1
	s_cbranch_scc0 .LBB223_1674
; %bb.1671:
	v_and_b32_e32 v7, 0xffff, v3
	v_bfe_u32 v4, v7, 7, 8
	s_movk_i32 s2, 0xff
	v_cmp_ne_u32_e32 vcc, s2, v4
	v_mov_b32_e32 v8, 0xff
	s_and_saveexec_b64 s[10:11], vcc
	s_cbranch_execz .LBB223_1673
; %bb.1672:
	v_lshlrev_b32_e32 v9, 16, v7
	s_mov_b32 s2, 0x3f0000
	v_lshrrev_b32_e32 v8, 7, v7
	v_and_b32_e32 v7, 64, v7
	v_and_or_b32 v4, v9, s2, v4
	v_cmp_ne_u32_e32 vcc, 0, v7
	v_cmp_ne_u32_e64 s[2:3], 0, v4
	s_and_b64 s[2:3], vcc, s[2:3]
	v_cndmask_b32_e64 v4, 0, 1, s[2:3]
	v_add_u32_e32 v8, v8, v4
.LBB223_1673:
	s_or_b64 exec, exec, s[10:11]
	s_mov_b64 s[2:3], 0
	s_mov_b64 s[10:11], -1
	global_store_byte v[0:1], v8, off
.LBB223_1674:
	s_mov_b64 s[12:13], 0
.LBB223_1675:
	s_and_b64 vcc, exec, s[12:13]
	s_cbranch_vccz .LBB223_1678
; %bb.1676:
	s_cmp_eq_u32 s21, 29
	s_mov_b64 s[2:3], -1
	s_cbranch_scc0 .LBB223_1678
; %bb.1677:
	v_lshlrev_b32_e32 v4, 16, v3
	v_trunc_f32_e32 v4, v4
	v_mul_f32_e32 v7, 0x2f800000, v4
	v_floor_f32_e32 v7, v7
	v_fmac_f32_e32 v4, 0xcf800000, v7
	v_cvt_u32_f32_e32 v8, v7
	v_cvt_u32_f32_e32 v7, v4
	s_mov_b64 s[2:3], 0
	s_mov_b64 s[10:11], -1
	global_store_dwordx2 v[0:1], v[7:8], off
.LBB223_1678:
	s_mov_b64 s[12:13], 0
.LBB223_1679:
	s_and_b64 vcc, exec, s[12:13]
	s_cbranch_vccz .LBB223_1695
; %bb.1680:
	s_cmp_lt_i32 s21, 27
	s_mov_b64 s[10:11], -1
	s_cbranch_scc1 .LBB223_1686
; %bb.1681:
	s_cmp_gt_i32 s21, 27
	s_cbranch_scc0 .LBB223_1683
; %bb.1682:
	v_lshlrev_b32_e32 v4, 16, v3
	v_cvt_u32_f32_e32 v4, v4
	s_mov_b64 s[10:11], 0
	global_store_dword v[0:1], v4, off
.LBB223_1683:
	s_andn2_b64 vcc, exec, s[10:11]
	s_cbranch_vccnz .LBB223_1685
; %bb.1684:
	v_lshlrev_b32_e32 v4, 16, v3
	v_cvt_u32_f32_e32 v4, v4
	global_store_short v[0:1], v4, off
.LBB223_1685:
	s_mov_b64 s[10:11], 0
.LBB223_1686:
	s_andn2_b64 vcc, exec, s[10:11]
	s_cbranch_vccnz .LBB223_1694
; %bb.1687:
	v_lshlrev_b32_e32 v8, 16, v3
	v_and_b32_e32 v7, 0x7fffffff, v8
	s_mov_b32 s10, 0x43800000
	v_cmp_gt_u32_e32 vcc, s10, v7
	v_mov_b32_e32 v9, 0x80
	s_and_saveexec_b64 s[10:11], vcc
	s_cbranch_execz .LBB223_1693
; %bb.1688:
	s_mov_b32 s12, 0x3bffffff
	v_and_b32_e32 v4, 0xffff, v3
	v_cmp_lt_u32_e32 vcc, s12, v7
	s_mov_b64 s[12:13], 0
                                        ; implicit-def: $vgpr7
	s_and_saveexec_b64 s[18:19], vcc
	s_xor_b64 s[18:19], exec, s[18:19]
	s_cbranch_execz .LBB223_2028
; %bb.1689:
	v_bfe_u32 v7, v4, 4, 1
	s_mov_b32 s23, 0x487ffff
	v_add3_u32 v7, v8, v7, s23
	s_mov_b64 s[12:13], exec
	v_lshrrev_b32_e32 v7, 20, v7
                                        ; implicit-def: $vgpr8
	s_andn2_saveexec_b64 s[18:19], s[18:19]
	s_cbranch_execnz .LBB223_2029
.LBB223_1690:
	s_or_b64 exec, exec, s[18:19]
	v_mov_b32_e32 v9, 0
	s_and_saveexec_b64 s[18:19], s[12:13]
.LBB223_1691:
	v_lshrrev_b32_e32 v4, 8, v4
	s_movk_i32 s12, 0x80
	v_and_or_b32 v9, v4, s12, v7
.LBB223_1692:
	s_or_b64 exec, exec, s[18:19]
.LBB223_1693:
	s_or_b64 exec, exec, s[10:11]
	global_store_byte v[0:1], v9, off
.LBB223_1694:
	s_mov_b64 s[10:11], -1
.LBB223_1695:
	s_mov_b64 s[12:13], 0
.LBB223_1696:
	s_and_b64 vcc, exec, s[12:13]
	s_cbranch_vccz .LBB223_1736
; %bb.1697:
	s_cmp_gt_i32 s21, 22
	s_mov_b64 s[4:5], -1
	s_cbranch_scc0 .LBB223_1729
; %bb.1698:
	s_cmp_lt_i32 s21, 24
	s_cbranch_scc1 .LBB223_1718
; %bb.1699:
	s_cmp_gt_i32 s21, 24
	s_cbranch_scc0 .LBB223_1707
; %bb.1700:
	v_lshlrev_b32_e32 v8, 16, v3
	v_and_b32_e32 v7, 0x7fffffff, v8
	s_mov_b32 s4, 0x47800000
	v_cmp_gt_u32_e32 vcc, s4, v7
	v_mov_b32_e32 v9, 0x80
	s_and_saveexec_b64 s[4:5], vcc
	s_cbranch_execz .LBB223_1706
; %bb.1701:
	s_mov_b32 s10, 0x37ffffff
	v_and_b32_e32 v4, 0xffff, v3
	v_cmp_lt_u32_e32 vcc, s10, v7
	s_mov_b64 s[10:11], 0
                                        ; implicit-def: $vgpr7
	s_and_saveexec_b64 s[12:13], vcc
	s_xor_b64 s[12:13], exec, s[12:13]
	s_cbranch_execz .LBB223_2031
; %bb.1702:
	v_bfe_u32 v7, v4, 5, 1
	s_mov_b32 s18, 0x88fffff
	v_add3_u32 v7, v8, v7, s18
	s_mov_b64 s[10:11], exec
	v_lshrrev_b32_e32 v7, 21, v7
                                        ; implicit-def: $vgpr8
	s_andn2_saveexec_b64 s[12:13], s[12:13]
	s_cbranch_execnz .LBB223_2032
.LBB223_1703:
	s_or_b64 exec, exec, s[12:13]
	v_mov_b32_e32 v9, 0
	s_and_saveexec_b64 s[12:13], s[10:11]
.LBB223_1704:
	v_lshrrev_b32_e32 v4, 8, v4
	s_movk_i32 s10, 0x80
	v_and_or_b32 v9, v4, s10, v7
.LBB223_1705:
	s_or_b64 exec, exec, s[12:13]
.LBB223_1706:
	s_or_b64 exec, exec, s[4:5]
	s_mov_b64 s[4:5], 0
	global_store_byte v[0:1], v9, off
.LBB223_1707:
	s_and_b64 vcc, exec, s[4:5]
	s_cbranch_vccz .LBB223_1717
; %bb.1708:
	v_lshlrev_b32_e32 v8, 16, v3
	v_and_b32_e32 v9, 0x7fffffff, v8
	s_mov_b32 s4, 0x43f00000
	v_and_b32_e32 v4, 0xffff, v3
	v_cmp_gt_u32_e32 vcc, s4, v9
                                        ; implicit-def: $vgpr7
	s_and_saveexec_b64 s[4:5], vcc
	s_xor_b64 s[4:5], exec, s[4:5]
	s_cbranch_execz .LBB223_1714
; %bb.1709:
	s_mov_b32 s10, 0x3c7fffff
	v_cmp_lt_u32_e32 vcc, s10, v9
                                        ; implicit-def: $vgpr7
	s_and_saveexec_b64 s[10:11], vcc
	s_xor_b64 s[10:11], exec, s[10:11]
; %bb.1710:
	v_bfe_u32 v7, v4, 4, 1
	s_mov_b32 s12, 0x407ffff
	v_add3_u32 v7, v8, v7, s12
	v_lshrrev_b32_e32 v8, 20, v7
	v_and_b32_e32 v7, 0xff00000, v7
	s_mov_b32 s12, 0x7f00000
	v_mov_b32_e32 v9, 0x7e
	v_cmp_ne_u32_e32 vcc, s12, v7
	v_cndmask_b32_e32 v7, v9, v8, vcc
                                        ; implicit-def: $vgpr8
; %bb.1711:
	s_andn2_saveexec_b64 s[10:11], s[10:11]
; %bb.1712:
	s_mov_b32 s12, 0x46800000
	v_add_f32_e64 v7, |v8|, s12
; %bb.1713:
	s_or_b64 exec, exec, s[10:11]
                                        ; implicit-def: $vgpr9
.LBB223_1714:
	s_andn2_saveexec_b64 s[4:5], s[4:5]
; %bb.1715:
	s_mov_b32 s10, 0x7f800000
	v_mov_b32_e32 v7, 0x7e
	v_mov_b32_e32 v8, 0x7f
	v_cmp_lt_u32_e32 vcc, s10, v9
	v_cndmask_b32_e32 v7, v7, v8, vcc
; %bb.1716:
	s_or_b64 exec, exec, s[4:5]
	v_lshrrev_b32_e32 v4, 8, v4
	s_movk_i32 s4, 0x80
	v_and_or_b32 v4, v4, s4, v7
	global_store_byte v[0:1], v4, off
.LBB223_1717:
	s_mov_b64 s[4:5], 0
.LBB223_1718:
	s_andn2_b64 vcc, exec, s[4:5]
	s_cbranch_vccnz .LBB223_1728
; %bb.1719:
	v_lshlrev_b32_e32 v8, 16, v3
	v_and_b32_e32 v9, 0x7fffffff, v8
	s_mov_b32 s4, 0x47800000
	v_and_b32_e32 v4, 0xffff, v3
	v_cmp_gt_u32_e32 vcc, s4, v9
                                        ; implicit-def: $vgpr7
	s_and_saveexec_b64 s[4:5], vcc
	s_xor_b64 s[4:5], exec, s[4:5]
	s_cbranch_execz .LBB223_1725
; %bb.1720:
	s_mov_b32 s10, 0x387fffff
	v_cmp_lt_u32_e32 vcc, s10, v9
                                        ; implicit-def: $vgpr7
	s_and_saveexec_b64 s[10:11], vcc
	s_xor_b64 s[10:11], exec, s[10:11]
; %bb.1721:
	v_bfe_u32 v7, v4, 5, 1
	s_mov_b32 s12, 0x80fffff
	v_add3_u32 v7, v8, v7, s12
	v_lshrrev_b32_e32 v7, 21, v7
                                        ; implicit-def: $vgpr8
; %bb.1722:
	s_andn2_saveexec_b64 s[10:11], s[10:11]
; %bb.1723:
	s_mov_b32 s12, 0x43000000
	v_add_f32_e64 v7, |v8|, s12
; %bb.1724:
	s_or_b64 exec, exec, s[10:11]
                                        ; implicit-def: $vgpr9
.LBB223_1725:
	s_andn2_saveexec_b64 s[4:5], s[4:5]
; %bb.1726:
	s_mov_b32 s10, 0x7f800000
	v_mov_b32_e32 v7, 0x7c
	v_mov_b32_e32 v8, 0x7f
	v_cmp_lt_u32_e32 vcc, s10, v9
	v_cndmask_b32_e32 v7, v7, v8, vcc
; %bb.1727:
	s_or_b64 exec, exec, s[4:5]
	v_lshrrev_b32_e32 v4, 8, v4
	s_movk_i32 s4, 0x80
	v_and_or_b32 v4, v4, s4, v7
	global_store_byte v[0:1], v4, off
.LBB223_1728:
	s_mov_b64 s[4:5], 0
	s_mov_b64 s[10:11], -1
.LBB223_1729:
	s_andn2_b64 vcc, exec, s[4:5]
	s_mov_b64 s[4:5], 0
	s_cbranch_vccnz .LBB223_1736
; %bb.1730:
	s_cmp_gt_i32 s21, 14
	s_mov_b64 s[12:13], -1
	s_cbranch_scc0 .LBB223_1734
; %bb.1731:
	s_cmp_eq_u32 s21, 15
	s_mov_b64 s[2:3], -1
	s_cbranch_scc0 .LBB223_1733
; %bb.1732:
	global_store_short v[0:1], v3, off
	s_mov_b64 s[2:3], 0
	s_mov_b64 s[10:11], -1
.LBB223_1733:
	s_mov_b64 s[12:13], 0
.LBB223_1734:
	s_and_b64 vcc, exec, s[12:13]
	s_cbranch_vccz .LBB223_1736
; %bb.1735:
	s_cmp_lg_u32 s21, 11
	s_mov_b64 s[4:5], -1
	s_cselect_b64 s[2:3], -1, 0
.LBB223_1736:
	s_and_b64 vcc, exec, s[2:3]
	s_cbranch_vccnz .LBB223_2030
; %bb.1737:
	s_andn2_b64 vcc, exec, s[4:5]
	s_cbranch_vccnz .LBB223_1739
.LBB223_1738:
	v_and_b32_e32 v4, 0x7fff, v3
	v_cmp_ne_u16_e32 vcc, 0, v4
	v_cndmask_b32_e64 v4, 0, 1, vcc
	s_mov_b64 s[10:11], -1
	global_store_byte v[0:1], v4, off
.LBB223_1739:
	s_mov_b64 s[2:3], 0
	s_branch .LBB223_1741
.LBB223_1740:
	s_mov_b64 s[2:3], -1
	s_mov_b64 s[10:11], 0
.LBB223_1741:
	s_and_b64 vcc, exec, s[2:3]
	s_cbranch_vccz .LBB223_1780
; %bb.1742:
	s_and_b32 s4, 0xffff, s22
	s_cmp_lt_i32 s4, 5
	s_mov_b64 s[2:3], -1
	s_cbranch_scc1 .LBB223_1763
; %bb.1743:
	s_cmp_lt_i32 s4, 8
	s_cbranch_scc1 .LBB223_1753
; %bb.1744:
	s_cmp_lt_i32 s4, 9
	s_cbranch_scc1 .LBB223_1750
; %bb.1745:
	s_cmp_gt_i32 s4, 9
	s_cbranch_scc0 .LBB223_1747
; %bb.1746:
	v_lshlrev_b32_e32 v4, 16, v3
	v_cvt_f64_f32_e32 v[7:8], v4
	v_mov_b32_e32 v9, 0
	v_mov_b32_e32 v10, v9
	s_mov_b64 s[2:3], 0
	global_store_dwordx4 v[0:1], v[7:10], off
.LBB223_1747:
	s_andn2_b64 vcc, exec, s[2:3]
	s_cbranch_vccnz .LBB223_1749
; %bb.1748:
	v_lshlrev_b32_e32 v7, 16, v3
	v_mov_b32_e32 v8, 0
	global_store_dwordx2 v[0:1], v[7:8], off
.LBB223_1749:
	s_mov_b64 s[2:3], 0
.LBB223_1750:
	s_andn2_b64 vcc, exec, s[2:3]
	s_cbranch_vccnz .LBB223_1752
; %bb.1751:
	v_lshlrev_b32_e32 v4, 16, v3
	v_cvt_f16_f32_e32 v4, v4
	global_store_dword v[0:1], v4, off
.LBB223_1752:
	s_mov_b64 s[2:3], 0
.LBB223_1753:
	s_andn2_b64 vcc, exec, s[2:3]
	s_cbranch_vccnz .LBB223_1762
; %bb.1754:
	s_cmp_lt_i32 s4, 6
	s_mov_b64 s[2:3], -1
	s_cbranch_scc1 .LBB223_1760
; %bb.1755:
	s_cmp_gt_i32 s4, 6
	s_cbranch_scc0 .LBB223_1757
; %bb.1756:
	v_lshlrev_b32_e32 v4, 16, v3
	v_cvt_f64_f32_e32 v[7:8], v4
	s_mov_b64 s[2:3], 0
	global_store_dwordx2 v[0:1], v[7:8], off
.LBB223_1757:
	s_andn2_b64 vcc, exec, s[2:3]
	s_cbranch_vccnz .LBB223_1759
; %bb.1758:
	v_lshlrev_b32_e32 v4, 16, v3
	global_store_dword v[0:1], v4, off
.LBB223_1759:
	s_mov_b64 s[2:3], 0
.LBB223_1760:
	s_andn2_b64 vcc, exec, s[2:3]
	s_cbranch_vccnz .LBB223_1762
; %bb.1761:
	v_lshlrev_b32_e32 v4, 16, v3
	v_cvt_f16_f32_e32 v4, v4
	global_store_short v[0:1], v4, off
.LBB223_1762:
	s_mov_b64 s[2:3], 0
.LBB223_1763:
	s_andn2_b64 vcc, exec, s[2:3]
	s_cbranch_vccnz .LBB223_1779
; %bb.1764:
	s_cmp_lt_i32 s4, 2
	s_mov_b64 s[2:3], -1
	s_cbranch_scc1 .LBB223_1774
; %bb.1765:
	s_cmp_lt_i32 s4, 3
	s_cbranch_scc1 .LBB223_1771
; %bb.1766:
	s_cmp_gt_i32 s4, 3
	s_cbranch_scc0 .LBB223_1768
; %bb.1767:
	v_lshlrev_b32_e32 v4, 16, v3
	v_trunc_f32_e32 v4, v4
	s_mov_b32 s2, 0x2f800000
	v_mul_f32_e64 v7, |v4|, s2
	v_floor_f32_e32 v7, v7
	s_mov_b32 s2, 0xcf800000
	v_cvt_u32_f32_e32 v8, v7
	v_fma_f32 v7, v7, s2, |v4|
	v_cvt_u32_f32_e32 v7, v7
	v_ashrrev_i32_e32 v4, 31, v4
	v_xor_b32_e32 v8, v8, v4
	s_mov_b64 s[2:3], 0
	v_xor_b32_e32 v7, v7, v4
	v_sub_co_u32_e32 v7, vcc, v7, v4
	v_subb_co_u32_e32 v8, vcc, v8, v4, vcc
	global_store_dwordx2 v[0:1], v[7:8], off
.LBB223_1768:
	s_andn2_b64 vcc, exec, s[2:3]
	s_cbranch_vccnz .LBB223_1770
; %bb.1769:
	v_lshlrev_b32_e32 v4, 16, v3
	v_cvt_i32_f32_e32 v4, v4
	global_store_dword v[0:1], v4, off
.LBB223_1770:
	s_mov_b64 s[2:3], 0
.LBB223_1771:
	s_andn2_b64 vcc, exec, s[2:3]
	s_cbranch_vccnz .LBB223_1773
; %bb.1772:
	v_lshlrev_b32_e32 v4, 16, v3
	v_cvt_i32_f32_e32 v4, v4
	global_store_short v[0:1], v4, off
.LBB223_1773:
	s_mov_b64 s[2:3], 0
.LBB223_1774:
	s_andn2_b64 vcc, exec, s[2:3]
	s_cbranch_vccnz .LBB223_1779
; %bb.1775:
	s_mov_b64 s[2:3], -1
	s_cmp_gt_i32 s4, 0
	v_lshlrev_b32_e32 v3, 16, v3
	s_cbranch_scc0 .LBB223_1777
; %bb.1776:
	v_cvt_i32_f32_e32 v4, v3
	s_mov_b64 s[2:3], 0
	global_store_byte v[0:1], v4, off
.LBB223_1777:
	s_andn2_b64 vcc, exec, s[2:3]
	s_cbranch_vccnz .LBB223_1779
; %bb.1778:
	v_trunc_f32_e32 v3, v3
	s_mov_b32 s2, 0x2f800000
	v_mul_f32_e64 v4, |v3|, s2
	v_floor_f32_e32 v4, v4
	s_mov_b32 s2, 0xcf800000
	v_fma_f32 v4, v4, s2, |v3|
	v_cvt_u32_f32_e32 v4, v4
	v_ashrrev_i32_e32 v3, 31, v3
	v_xor_b32_e32 v4, v4, v3
	v_sub_u32_e32 v3, v4, v3
	global_store_byte v[0:1], v3, off
.LBB223_1779:
	s_mov_b64 s[10:11], -1
.LBB223_1780:
	s_andn2_b64 vcc, exec, s[10:11]
	s_cbranch_vccnz .LBB223_1976
; %bb.1781:
	v_mov_b32_e32 v0, s33
	v_add_u32_e32 v2, s20, v2
	v_cndmask_b32_e64 v3, v5, v0, s[0:1]
	v_ashrrev_i32_e32 v1, 31, v2
	v_mov_b32_e32 v4, s9
	v_add_co_u32_e32 v0, vcc, s8, v2
	s_cmp_lt_i32 s22, 11
	v_addc_co_u32_e32 v1, vcc, v4, v1, vcc
	s_cbranch_scc1 .LBB223_1859
; %bb.1782:
	s_and_b32 s21, 0xffff, s22
	s_mov_b64 s[12:13], -1
	s_mov_b64 s[4:5], 0
	s_cmp_gt_i32 s21, 25
	s_mov_b64 s[10:11], 0
	s_mov_b64 s[2:3], 0
	s_cbranch_scc0 .LBB223_1815
; %bb.1783:
	s_cmp_gt_i32 s21, 28
	s_cbranch_scc0 .LBB223_1798
; %bb.1784:
	s_cmp_gt_i32 s21, 43
	;; [unrolled: 3-line block ×3, first 2 shown]
	s_cbranch_scc0 .LBB223_1788
; %bb.1786:
	s_mov_b64 s[2:3], -1
	s_mov_b64 s[12:13], 0
	s_cmp_eq_u32 s21, 46
	s_cbranch_scc0 .LBB223_1788
; %bb.1787:
	v_and_b32_e32 v4, 0xffff, v3
	global_store_dword v[0:1], v4, off
	s_mov_b64 s[2:3], 0
	s_mov_b64 s[10:11], -1
.LBB223_1788:
	s_and_b64 vcc, exec, s[12:13]
	s_cbranch_vccz .LBB223_1793
; %bb.1789:
	s_cmp_eq_u32 s21, 44
	s_mov_b64 s[2:3], -1
	s_cbranch_scc0 .LBB223_1793
; %bb.1790:
	v_and_b32_e32 v5, 0xffff, v3
	v_bfe_u32 v4, v5, 7, 8
	s_movk_i32 s2, 0xff
	v_cmp_ne_u32_e32 vcc, s2, v4
	v_mov_b32_e32 v7, 0xff
	s_and_saveexec_b64 s[10:11], vcc
	s_cbranch_execz .LBB223_1792
; %bb.1791:
	v_lshlrev_b32_e32 v8, 16, v5
	s_mov_b32 s2, 0x3f0000
	v_lshrrev_b32_e32 v7, 7, v5
	v_and_b32_e32 v5, 64, v5
	v_and_or_b32 v4, v8, s2, v4
	v_cmp_ne_u32_e32 vcc, 0, v5
	v_cmp_ne_u32_e64 s[2:3], 0, v4
	s_and_b64 s[2:3], vcc, s[2:3]
	v_cndmask_b32_e64 v4, 0, 1, s[2:3]
	v_add_u32_e32 v7, v7, v4
.LBB223_1792:
	s_or_b64 exec, exec, s[10:11]
	s_mov_b64 s[2:3], 0
	s_mov_b64 s[10:11], -1
	global_store_byte v[0:1], v7, off
.LBB223_1793:
	s_mov_b64 s[12:13], 0
.LBB223_1794:
	s_and_b64 vcc, exec, s[12:13]
	s_cbranch_vccz .LBB223_1797
; %bb.1795:
	s_cmp_eq_u32 s21, 29
	s_mov_b64 s[2:3], -1
	s_cbranch_scc0 .LBB223_1797
; %bb.1796:
	v_lshlrev_b32_e32 v4, 16, v3
	v_trunc_f32_e32 v4, v4
	v_mul_f32_e32 v5, 0x2f800000, v4
	v_floor_f32_e32 v7, v5
	v_fmac_f32_e32 v4, 0xcf800000, v7
	v_cvt_u32_f32_e32 v5, v7
	v_cvt_u32_f32_e32 v4, v4
	s_mov_b64 s[2:3], 0
	s_mov_b64 s[10:11], -1
	global_store_dwordx2 v[0:1], v[4:5], off
.LBB223_1797:
	s_mov_b64 s[12:13], 0
.LBB223_1798:
	s_and_b64 vcc, exec, s[12:13]
	s_cbranch_vccz .LBB223_1814
; %bb.1799:
	s_cmp_lt_i32 s21, 27
	s_mov_b64 s[10:11], -1
	s_cbranch_scc1 .LBB223_1805
; %bb.1800:
	s_cmp_gt_i32 s21, 27
	s_cbranch_scc0 .LBB223_1802
; %bb.1801:
	v_lshlrev_b32_e32 v4, 16, v3
	v_cvt_u32_f32_e32 v4, v4
	s_mov_b64 s[10:11], 0
	global_store_dword v[0:1], v4, off
.LBB223_1802:
	s_andn2_b64 vcc, exec, s[10:11]
	s_cbranch_vccnz .LBB223_1804
; %bb.1803:
	v_lshlrev_b32_e32 v4, 16, v3
	v_cvt_u32_f32_e32 v4, v4
	global_store_short v[0:1], v4, off
.LBB223_1804:
	s_mov_b64 s[10:11], 0
.LBB223_1805:
	s_andn2_b64 vcc, exec, s[10:11]
	s_cbranch_vccnz .LBB223_1813
; %bb.1806:
	v_lshlrev_b32_e32 v7, 16, v3
	v_and_b32_e32 v5, 0x7fffffff, v7
	s_mov_b32 s10, 0x43800000
	v_cmp_gt_u32_e32 vcc, s10, v5
	v_mov_b32_e32 v8, 0x80
	s_and_saveexec_b64 s[10:11], vcc
	s_cbranch_execz .LBB223_1812
; %bb.1807:
	s_mov_b32 s12, 0x3bffffff
	v_and_b32_e32 v4, 0xffff, v3
	v_cmp_lt_u32_e32 vcc, s12, v5
	s_mov_b64 s[12:13], 0
                                        ; implicit-def: $vgpr5
	s_and_saveexec_b64 s[18:19], vcc
	s_xor_b64 s[18:19], exec, s[18:19]
	s_cbranch_execz .LBB223_2033
; %bb.1808:
	v_bfe_u32 v5, v4, 4, 1
	s_mov_b32 s23, 0x487ffff
	v_add3_u32 v5, v7, v5, s23
	s_mov_b64 s[12:13], exec
	v_lshrrev_b32_e32 v5, 20, v5
                                        ; implicit-def: $vgpr7
	s_andn2_saveexec_b64 s[18:19], s[18:19]
	s_cbranch_execnz .LBB223_2034
.LBB223_1809:
	s_or_b64 exec, exec, s[18:19]
	v_mov_b32_e32 v8, 0
	s_and_saveexec_b64 s[18:19], s[12:13]
.LBB223_1810:
	v_lshrrev_b32_e32 v4, 8, v4
	s_movk_i32 s12, 0x80
	v_and_or_b32 v8, v4, s12, v5
.LBB223_1811:
	s_or_b64 exec, exec, s[18:19]
.LBB223_1812:
	s_or_b64 exec, exec, s[10:11]
	global_store_byte v[0:1], v8, off
.LBB223_1813:
	s_mov_b64 s[10:11], -1
.LBB223_1814:
	s_mov_b64 s[12:13], 0
.LBB223_1815:
	s_and_b64 vcc, exec, s[12:13]
	s_cbranch_vccz .LBB223_1855
; %bb.1816:
	s_cmp_gt_i32 s21, 22
	s_mov_b64 s[4:5], -1
	s_cbranch_scc0 .LBB223_1848
; %bb.1817:
	s_cmp_lt_i32 s21, 24
	s_cbranch_scc1 .LBB223_1837
; %bb.1818:
	s_cmp_gt_i32 s21, 24
	s_cbranch_scc0 .LBB223_1826
; %bb.1819:
	v_lshlrev_b32_e32 v7, 16, v3
	v_and_b32_e32 v5, 0x7fffffff, v7
	s_mov_b32 s4, 0x47800000
	v_cmp_gt_u32_e32 vcc, s4, v5
	v_mov_b32_e32 v8, 0x80
	s_and_saveexec_b64 s[4:5], vcc
	s_cbranch_execz .LBB223_1825
; %bb.1820:
	s_mov_b32 s10, 0x37ffffff
	v_and_b32_e32 v4, 0xffff, v3
	v_cmp_lt_u32_e32 vcc, s10, v5
	s_mov_b64 s[10:11], 0
                                        ; implicit-def: $vgpr5
	s_and_saveexec_b64 s[12:13], vcc
	s_xor_b64 s[12:13], exec, s[12:13]
	s_cbranch_execz .LBB223_2036
; %bb.1821:
	v_bfe_u32 v5, v4, 5, 1
	s_mov_b32 s18, 0x88fffff
	v_add3_u32 v5, v7, v5, s18
	s_mov_b64 s[10:11], exec
	v_lshrrev_b32_e32 v5, 21, v5
                                        ; implicit-def: $vgpr7
	s_andn2_saveexec_b64 s[12:13], s[12:13]
	s_cbranch_execnz .LBB223_2037
.LBB223_1822:
	s_or_b64 exec, exec, s[12:13]
	v_mov_b32_e32 v8, 0
	s_and_saveexec_b64 s[12:13], s[10:11]
.LBB223_1823:
	v_lshrrev_b32_e32 v4, 8, v4
	s_movk_i32 s10, 0x80
	v_and_or_b32 v8, v4, s10, v5
.LBB223_1824:
	s_or_b64 exec, exec, s[12:13]
.LBB223_1825:
	s_or_b64 exec, exec, s[4:5]
	s_mov_b64 s[4:5], 0
	global_store_byte v[0:1], v8, off
.LBB223_1826:
	s_and_b64 vcc, exec, s[4:5]
	s_cbranch_vccz .LBB223_1836
; %bb.1827:
	v_lshlrev_b32_e32 v7, 16, v3
	v_and_b32_e32 v8, 0x7fffffff, v7
	s_mov_b32 s4, 0x43f00000
	v_and_b32_e32 v4, 0xffff, v3
	v_cmp_gt_u32_e32 vcc, s4, v8
                                        ; implicit-def: $vgpr5
	s_and_saveexec_b64 s[4:5], vcc
	s_xor_b64 s[4:5], exec, s[4:5]
	s_cbranch_execz .LBB223_1833
; %bb.1828:
	s_mov_b32 s10, 0x3c7fffff
	v_cmp_lt_u32_e32 vcc, s10, v8
                                        ; implicit-def: $vgpr5
	s_and_saveexec_b64 s[10:11], vcc
	s_xor_b64 s[10:11], exec, s[10:11]
; %bb.1829:
	v_bfe_u32 v5, v4, 4, 1
	s_mov_b32 s12, 0x407ffff
	v_add3_u32 v5, v7, v5, s12
	v_lshrrev_b32_e32 v7, 20, v5
	v_and_b32_e32 v5, 0xff00000, v5
	s_mov_b32 s12, 0x7f00000
	v_mov_b32_e32 v8, 0x7e
	v_cmp_ne_u32_e32 vcc, s12, v5
	v_cndmask_b32_e32 v5, v8, v7, vcc
                                        ; implicit-def: $vgpr7
; %bb.1830:
	s_andn2_saveexec_b64 s[10:11], s[10:11]
; %bb.1831:
	s_mov_b32 s12, 0x46800000
	v_add_f32_e64 v5, |v7|, s12
; %bb.1832:
	s_or_b64 exec, exec, s[10:11]
                                        ; implicit-def: $vgpr8
.LBB223_1833:
	s_andn2_saveexec_b64 s[4:5], s[4:5]
; %bb.1834:
	s_mov_b32 s10, 0x7f800000
	v_mov_b32_e32 v5, 0x7e
	v_mov_b32_e32 v7, 0x7f
	v_cmp_lt_u32_e32 vcc, s10, v8
	v_cndmask_b32_e32 v5, v5, v7, vcc
; %bb.1835:
	s_or_b64 exec, exec, s[4:5]
	v_lshrrev_b32_e32 v4, 8, v4
	s_movk_i32 s4, 0x80
	v_and_or_b32 v4, v4, s4, v5
	global_store_byte v[0:1], v4, off
.LBB223_1836:
	s_mov_b64 s[4:5], 0
.LBB223_1837:
	s_andn2_b64 vcc, exec, s[4:5]
	s_cbranch_vccnz .LBB223_1847
; %bb.1838:
	v_lshlrev_b32_e32 v7, 16, v3
	v_and_b32_e32 v8, 0x7fffffff, v7
	s_mov_b32 s4, 0x47800000
	v_and_b32_e32 v4, 0xffff, v3
	v_cmp_gt_u32_e32 vcc, s4, v8
                                        ; implicit-def: $vgpr5
	s_and_saveexec_b64 s[4:5], vcc
	s_xor_b64 s[4:5], exec, s[4:5]
	s_cbranch_execz .LBB223_1844
; %bb.1839:
	s_mov_b32 s10, 0x387fffff
	v_cmp_lt_u32_e32 vcc, s10, v8
                                        ; implicit-def: $vgpr5
	s_and_saveexec_b64 s[10:11], vcc
	s_xor_b64 s[10:11], exec, s[10:11]
; %bb.1840:
	v_bfe_u32 v5, v4, 5, 1
	s_mov_b32 s12, 0x80fffff
	v_add3_u32 v5, v7, v5, s12
	v_lshrrev_b32_e32 v5, 21, v5
                                        ; implicit-def: $vgpr7
; %bb.1841:
	s_andn2_saveexec_b64 s[10:11], s[10:11]
; %bb.1842:
	s_mov_b32 s12, 0x43000000
	v_add_f32_e64 v5, |v7|, s12
; %bb.1843:
	s_or_b64 exec, exec, s[10:11]
                                        ; implicit-def: $vgpr8
.LBB223_1844:
	s_andn2_saveexec_b64 s[4:5], s[4:5]
; %bb.1845:
	s_mov_b32 s10, 0x7f800000
	v_mov_b32_e32 v5, 0x7c
	v_mov_b32_e32 v7, 0x7f
	v_cmp_lt_u32_e32 vcc, s10, v8
	v_cndmask_b32_e32 v5, v5, v7, vcc
; %bb.1846:
	s_or_b64 exec, exec, s[4:5]
	v_lshrrev_b32_e32 v4, 8, v4
	s_movk_i32 s4, 0x80
	v_and_or_b32 v4, v4, s4, v5
	global_store_byte v[0:1], v4, off
.LBB223_1847:
	s_mov_b64 s[4:5], 0
	s_mov_b64 s[10:11], -1
.LBB223_1848:
	s_andn2_b64 vcc, exec, s[4:5]
	s_mov_b64 s[4:5], 0
	s_cbranch_vccnz .LBB223_1855
; %bb.1849:
	s_cmp_gt_i32 s21, 14
	s_mov_b64 s[12:13], -1
	s_cbranch_scc0 .LBB223_1853
; %bb.1850:
	s_cmp_eq_u32 s21, 15
	s_mov_b64 s[2:3], -1
	s_cbranch_scc0 .LBB223_1852
; %bb.1851:
	global_store_short v[0:1], v3, off
	s_mov_b64 s[2:3], 0
	s_mov_b64 s[10:11], -1
.LBB223_1852:
	s_mov_b64 s[12:13], 0
.LBB223_1853:
	s_and_b64 vcc, exec, s[12:13]
	s_cbranch_vccz .LBB223_1855
; %bb.1854:
	s_cmp_lg_u32 s21, 11
	s_mov_b64 s[4:5], -1
	s_cselect_b64 s[2:3], -1, 0
.LBB223_1855:
	s_and_b64 vcc, exec, s[2:3]
	s_cbranch_vccnz .LBB223_2035
; %bb.1856:
	s_andn2_b64 vcc, exec, s[4:5]
	s_cbranch_vccnz .LBB223_1858
.LBB223_1857:
	v_and_b32_e32 v4, 0x7fff, v3
	v_cmp_ne_u16_e32 vcc, 0, v4
	v_cndmask_b32_e64 v4, 0, 1, vcc
	s_mov_b64 s[10:11], -1
	global_store_byte v[0:1], v4, off
.LBB223_1858:
	s_mov_b64 s[2:3], 0
	s_branch .LBB223_1860
.LBB223_1859:
	s_mov_b64 s[2:3], -1
	s_mov_b64 s[10:11], 0
.LBB223_1860:
	s_and_b64 vcc, exec, s[2:3]
	s_cbranch_vccz .LBB223_1899
; %bb.1861:
	s_and_b32 s4, 0xffff, s22
	s_cmp_lt_i32 s4, 5
	s_mov_b64 s[2:3], -1
	s_cbranch_scc1 .LBB223_1882
; %bb.1862:
	s_cmp_lt_i32 s4, 8
	s_cbranch_scc1 .LBB223_1872
; %bb.1863:
	s_cmp_lt_i32 s4, 9
	s_cbranch_scc1 .LBB223_1869
; %bb.1864:
	s_cmp_gt_i32 s4, 9
	s_cbranch_scc0 .LBB223_1866
; %bb.1865:
	v_lshlrev_b32_e32 v4, 16, v3
	v_cvt_f64_f32_e32 v[7:8], v4
	v_mov_b32_e32 v9, 0
	v_mov_b32_e32 v10, v9
	s_mov_b64 s[2:3], 0
	global_store_dwordx4 v[0:1], v[7:10], off
.LBB223_1866:
	s_andn2_b64 vcc, exec, s[2:3]
	s_cbranch_vccnz .LBB223_1868
; %bb.1867:
	v_lshlrev_b32_e32 v4, 16, v3
	v_mov_b32_e32 v5, 0
	global_store_dwordx2 v[0:1], v[4:5], off
.LBB223_1868:
	s_mov_b64 s[2:3], 0
.LBB223_1869:
	s_andn2_b64 vcc, exec, s[2:3]
	s_cbranch_vccnz .LBB223_1871
; %bb.1870:
	v_lshlrev_b32_e32 v4, 16, v3
	v_cvt_f16_f32_e32 v4, v4
	global_store_dword v[0:1], v4, off
.LBB223_1871:
	s_mov_b64 s[2:3], 0
.LBB223_1872:
	s_andn2_b64 vcc, exec, s[2:3]
	s_cbranch_vccnz .LBB223_1881
; %bb.1873:
	s_cmp_lt_i32 s4, 6
	s_mov_b64 s[2:3], -1
	s_cbranch_scc1 .LBB223_1879
; %bb.1874:
	s_cmp_gt_i32 s4, 6
	s_cbranch_scc0 .LBB223_1876
; %bb.1875:
	v_lshlrev_b32_e32 v4, 16, v3
	v_cvt_f64_f32_e32 v[4:5], v4
	s_mov_b64 s[2:3], 0
	global_store_dwordx2 v[0:1], v[4:5], off
.LBB223_1876:
	s_andn2_b64 vcc, exec, s[2:3]
	s_cbranch_vccnz .LBB223_1878
; %bb.1877:
	v_lshlrev_b32_e32 v4, 16, v3
	global_store_dword v[0:1], v4, off
.LBB223_1878:
	s_mov_b64 s[2:3], 0
.LBB223_1879:
	s_andn2_b64 vcc, exec, s[2:3]
	s_cbranch_vccnz .LBB223_1881
; %bb.1880:
	v_lshlrev_b32_e32 v4, 16, v3
	v_cvt_f16_f32_e32 v4, v4
	global_store_short v[0:1], v4, off
.LBB223_1881:
	s_mov_b64 s[2:3], 0
.LBB223_1882:
	s_andn2_b64 vcc, exec, s[2:3]
	s_cbranch_vccnz .LBB223_1898
; %bb.1883:
	s_cmp_lt_i32 s4, 2
	s_mov_b64 s[2:3], -1
	s_cbranch_scc1 .LBB223_1893
; %bb.1884:
	s_cmp_lt_i32 s4, 3
	s_cbranch_scc1 .LBB223_1890
; %bb.1885:
	s_cmp_gt_i32 s4, 3
	s_cbranch_scc0 .LBB223_1887
; %bb.1886:
	v_lshlrev_b32_e32 v4, 16, v3
	v_trunc_f32_e32 v4, v4
	s_mov_b32 s2, 0x2f800000
	v_mul_f32_e64 v5, |v4|, s2
	v_floor_f32_e32 v5, v5
	s_mov_b32 s2, 0xcf800000
	v_cvt_u32_f32_e32 v7, v5
	v_fma_f32 v5, v5, s2, |v4|
	v_cvt_u32_f32_e32 v5, v5
	v_ashrrev_i32_e32 v8, 31, v4
	v_xor_b32_e32 v7, v7, v8
	s_mov_b64 s[2:3], 0
	v_xor_b32_e32 v4, v5, v8
	v_sub_co_u32_e32 v4, vcc, v4, v8
	v_subb_co_u32_e32 v5, vcc, v7, v8, vcc
	global_store_dwordx2 v[0:1], v[4:5], off
.LBB223_1887:
	s_andn2_b64 vcc, exec, s[2:3]
	s_cbranch_vccnz .LBB223_1889
; %bb.1888:
	v_lshlrev_b32_e32 v4, 16, v3
	v_cvt_i32_f32_e32 v4, v4
	global_store_dword v[0:1], v4, off
.LBB223_1889:
	s_mov_b64 s[2:3], 0
.LBB223_1890:
	s_andn2_b64 vcc, exec, s[2:3]
	s_cbranch_vccnz .LBB223_1892
; %bb.1891:
	v_lshlrev_b32_e32 v4, 16, v3
	v_cvt_i32_f32_e32 v4, v4
	global_store_short v[0:1], v4, off
.LBB223_1892:
	s_mov_b64 s[2:3], 0
.LBB223_1893:
	s_andn2_b64 vcc, exec, s[2:3]
	s_cbranch_vccnz .LBB223_1898
; %bb.1894:
	s_mov_b64 s[2:3], -1
	s_cmp_gt_i32 s4, 0
	v_lshlrev_b32_e32 v3, 16, v3
	s_cbranch_scc0 .LBB223_1896
; %bb.1895:
	v_cvt_i32_f32_e32 v4, v3
	s_mov_b64 s[2:3], 0
	global_store_byte v[0:1], v4, off
.LBB223_1896:
	s_andn2_b64 vcc, exec, s[2:3]
	s_cbranch_vccnz .LBB223_1898
; %bb.1897:
	v_trunc_f32_e32 v3, v3
	s_mov_b32 s2, 0x2f800000
	v_mul_f32_e64 v4, |v3|, s2
	v_floor_f32_e32 v4, v4
	s_mov_b32 s2, 0xcf800000
	v_fma_f32 v4, v4, s2, |v3|
	v_cvt_u32_f32_e32 v4, v4
	v_ashrrev_i32_e32 v3, 31, v3
	v_xor_b32_e32 v4, v4, v3
	v_sub_u32_e32 v3, v4, v3
	global_store_byte v[0:1], v3, off
.LBB223_1898:
	s_mov_b64 s[10:11], -1
.LBB223_1899:
	s_andn2_b64 vcc, exec, s[10:11]
	s_cbranch_vccnz .LBB223_1976
; %bb.1900:
	v_mov_b32_e32 v0, s33
	v_cndmask_b32_e64 v3, v6, v0, s[0:1]
	v_add_u32_e32 v0, s20, v2
	v_ashrrev_i32_e32 v1, 31, v0
	v_mov_b32_e32 v2, s9
	v_add_co_u32_e32 v0, vcc, s8, v0
	s_cmp_lt_i32 s22, 11
	v_addc_co_u32_e32 v1, vcc, v2, v1, vcc
	s_cbranch_scc1 .LBB223_2021
; %bb.1901:
	s_and_b32 s12, 0xffff, s22
	s_mov_b64 s[4:5], -1
	s_mov_b64 s[2:3], 0
	s_cmp_gt_i32 s12, 25
	s_mov_b64 s[0:1], 0
	s_cbranch_scc0 .LBB223_1934
; %bb.1902:
	s_cmp_gt_i32 s12, 28
	s_cbranch_scc0 .LBB223_1918
; %bb.1903:
	s_cmp_gt_i32 s12, 43
	;; [unrolled: 3-line block ×3, first 2 shown]
	s_cbranch_scc0 .LBB223_1908
; %bb.1905:
	s_cmp_eq_u32 s12, 46
	s_mov_b64 s[0:1], -1
	s_cbranch_scc0 .LBB223_1907
; %bb.1906:
	v_and_b32_e32 v2, 0xffff, v3
	global_store_dword v[0:1], v2, off
	s_mov_b64 s[0:1], 0
.LBB223_1907:
	s_mov_b64 s[4:5], 0
.LBB223_1908:
	s_and_b64 vcc, exec, s[4:5]
	s_cbranch_vccz .LBB223_1913
; %bb.1909:
	s_cmp_eq_u32 s12, 44
	s_mov_b64 s[0:1], -1
	s_cbranch_scc0 .LBB223_1913
; %bb.1910:
	v_and_b32_e32 v4, 0xffff, v3
	v_bfe_u32 v2, v4, 7, 8
	s_movk_i32 s0, 0xff
	v_cmp_ne_u32_e32 vcc, s0, v2
	v_mov_b32_e32 v5, 0xff
	s_and_saveexec_b64 s[4:5], vcc
	s_cbranch_execz .LBB223_1912
; %bb.1911:
	v_lshlrev_b32_e32 v6, 16, v4
	s_mov_b32 s0, 0x3f0000
	v_lshrrev_b32_e32 v5, 7, v4
	v_and_b32_e32 v4, 64, v4
	v_and_or_b32 v2, v6, s0, v2
	v_cmp_ne_u32_e32 vcc, 0, v4
	v_cmp_ne_u32_e64 s[0:1], 0, v2
	s_and_b64 s[0:1], vcc, s[0:1]
	v_cndmask_b32_e64 v2, 0, 1, s[0:1]
	v_add_u32_e32 v5, v5, v2
.LBB223_1912:
	s_or_b64 exec, exec, s[4:5]
	s_mov_b64 s[0:1], 0
	global_store_byte v[0:1], v5, off
.LBB223_1913:
	s_mov_b64 s[4:5], 0
.LBB223_1914:
	s_and_b64 vcc, exec, s[4:5]
	s_cbranch_vccz .LBB223_1917
; %bb.1915:
	s_cmp_eq_u32 s12, 29
	s_mov_b64 s[0:1], -1
	s_cbranch_scc0 .LBB223_1917
; %bb.1916:
	v_lshlrev_b32_e32 v2, 16, v3
	v_trunc_f32_e32 v2, v2
	v_mul_f32_e32 v4, 0x2f800000, v2
	v_floor_f32_e32 v4, v4
	v_fmac_f32_e32 v2, 0xcf800000, v4
	v_cvt_u32_f32_e32 v5, v4
	v_cvt_u32_f32_e32 v4, v2
	s_mov_b64 s[0:1], 0
	global_store_dwordx2 v[0:1], v[4:5], off
.LBB223_1917:
	s_mov_b64 s[4:5], 0
.LBB223_1918:
	s_and_b64 vcc, exec, s[4:5]
	s_cbranch_vccz .LBB223_1933
; %bb.1919:
	s_cmp_lt_i32 s12, 27
	s_mov_b64 s[4:5], -1
	s_cbranch_scc1 .LBB223_1925
; %bb.1920:
	s_cmp_gt_i32 s12, 27
	s_cbranch_scc0 .LBB223_1922
; %bb.1921:
	v_lshlrev_b32_e32 v2, 16, v3
	v_cvt_u32_f32_e32 v2, v2
	s_mov_b64 s[4:5], 0
	global_store_dword v[0:1], v2, off
.LBB223_1922:
	s_andn2_b64 vcc, exec, s[4:5]
	s_cbranch_vccnz .LBB223_1924
; %bb.1923:
	v_lshlrev_b32_e32 v2, 16, v3
	v_cvt_u32_f32_e32 v2, v2
	global_store_short v[0:1], v2, off
.LBB223_1924:
	s_mov_b64 s[4:5], 0
.LBB223_1925:
	s_andn2_b64 vcc, exec, s[4:5]
	s_cbranch_vccnz .LBB223_1933
; %bb.1926:
	v_lshlrev_b32_e32 v5, 16, v3
	v_and_b32_e32 v4, 0x7fffffff, v5
	s_mov_b32 s4, 0x43800000
	v_cmp_gt_u32_e32 vcc, s4, v4
	v_mov_b32_e32 v6, 0x80
	s_and_saveexec_b64 s[4:5], vcc
	s_cbranch_execz .LBB223_1932
; %bb.1927:
	s_mov_b32 s8, 0x3bffffff
	v_and_b32_e32 v2, 0xffff, v3
	v_cmp_lt_u32_e32 vcc, s8, v4
	s_mov_b64 s[8:9], 0
                                        ; implicit-def: $vgpr4
	s_and_saveexec_b64 s[10:11], vcc
	s_xor_b64 s[10:11], exec, s[10:11]
	s_cbranch_execz .LBB223_2038
; %bb.1928:
	v_bfe_u32 v4, v2, 4, 1
	s_mov_b32 s13, 0x487ffff
	v_add3_u32 v4, v5, v4, s13
	s_mov_b64 s[8:9], exec
	v_lshrrev_b32_e32 v4, 20, v4
                                        ; implicit-def: $vgpr5
	s_andn2_saveexec_b64 s[10:11], s[10:11]
	s_cbranch_execnz .LBB223_2039
.LBB223_1929:
	s_or_b64 exec, exec, s[10:11]
	v_mov_b32_e32 v6, 0
	s_and_saveexec_b64 s[10:11], s[8:9]
.LBB223_1930:
	v_lshrrev_b32_e32 v2, 8, v2
	s_movk_i32 s8, 0x80
	v_and_or_b32 v6, v2, s8, v4
.LBB223_1931:
	s_or_b64 exec, exec, s[10:11]
.LBB223_1932:
	s_or_b64 exec, exec, s[4:5]
	global_store_byte v[0:1], v6, off
.LBB223_1933:
	s_mov_b64 s[4:5], 0
.LBB223_1934:
	s_and_b64 vcc, exec, s[4:5]
	s_cbranch_vccz .LBB223_1974
; %bb.1935:
	s_cmp_gt_i32 s12, 22
	s_mov_b64 s[2:3], -1
	s_cbranch_scc0 .LBB223_1967
; %bb.1936:
	s_cmp_lt_i32 s12, 24
	s_cbranch_scc1 .LBB223_1956
; %bb.1937:
	s_cmp_gt_i32 s12, 24
	s_cbranch_scc0 .LBB223_1945
; %bb.1938:
	v_lshlrev_b32_e32 v5, 16, v3
	v_and_b32_e32 v4, 0x7fffffff, v5
	s_mov_b32 s2, 0x47800000
	v_cmp_gt_u32_e32 vcc, s2, v4
	v_mov_b32_e32 v6, 0x80
	s_and_saveexec_b64 s[2:3], vcc
	s_cbranch_execz .LBB223_1944
; %bb.1939:
	s_mov_b32 s4, 0x37ffffff
	v_and_b32_e32 v2, 0xffff, v3
	v_cmp_lt_u32_e32 vcc, s4, v4
	s_mov_b64 s[4:5], 0
                                        ; implicit-def: $vgpr4
	s_and_saveexec_b64 s[8:9], vcc
	s_xor_b64 s[8:9], exec, s[8:9]
	s_cbranch_execz .LBB223_2041
; %bb.1940:
	v_bfe_u32 v4, v2, 5, 1
	s_mov_b32 s10, 0x88fffff
	v_add3_u32 v4, v5, v4, s10
	s_mov_b64 s[4:5], exec
	v_lshrrev_b32_e32 v4, 21, v4
                                        ; implicit-def: $vgpr5
	s_andn2_saveexec_b64 s[8:9], s[8:9]
	s_cbranch_execnz .LBB223_2042
.LBB223_1941:
	s_or_b64 exec, exec, s[8:9]
	v_mov_b32_e32 v6, 0
	s_and_saveexec_b64 s[8:9], s[4:5]
.LBB223_1942:
	v_lshrrev_b32_e32 v2, 8, v2
	s_movk_i32 s4, 0x80
	v_and_or_b32 v6, v2, s4, v4
.LBB223_1943:
	s_or_b64 exec, exec, s[8:9]
.LBB223_1944:
	s_or_b64 exec, exec, s[2:3]
	s_mov_b64 s[2:3], 0
	global_store_byte v[0:1], v6, off
.LBB223_1945:
	s_and_b64 vcc, exec, s[2:3]
	s_cbranch_vccz .LBB223_1955
; %bb.1946:
	v_lshlrev_b32_e32 v5, 16, v3
	v_and_b32_e32 v6, 0x7fffffff, v5
	s_mov_b32 s2, 0x43f00000
	v_and_b32_e32 v2, 0xffff, v3
	v_cmp_gt_u32_e32 vcc, s2, v6
                                        ; implicit-def: $vgpr4
	s_and_saveexec_b64 s[2:3], vcc
	s_xor_b64 s[2:3], exec, s[2:3]
	s_cbranch_execz .LBB223_1952
; %bb.1947:
	s_mov_b32 s4, 0x3c7fffff
	v_cmp_lt_u32_e32 vcc, s4, v6
                                        ; implicit-def: $vgpr4
	s_and_saveexec_b64 s[4:5], vcc
	s_xor_b64 s[4:5], exec, s[4:5]
; %bb.1948:
	v_bfe_u32 v4, v2, 4, 1
	s_mov_b32 s8, 0x407ffff
	v_add3_u32 v4, v5, v4, s8
	v_lshrrev_b32_e32 v5, 20, v4
	v_and_b32_e32 v4, 0xff00000, v4
	s_mov_b32 s8, 0x7f00000
	v_mov_b32_e32 v6, 0x7e
	v_cmp_ne_u32_e32 vcc, s8, v4
	v_cndmask_b32_e32 v4, v6, v5, vcc
                                        ; implicit-def: $vgpr5
; %bb.1949:
	s_andn2_saveexec_b64 s[4:5], s[4:5]
; %bb.1950:
	s_mov_b32 s8, 0x46800000
	v_add_f32_e64 v4, |v5|, s8
; %bb.1951:
	s_or_b64 exec, exec, s[4:5]
                                        ; implicit-def: $vgpr6
.LBB223_1952:
	s_andn2_saveexec_b64 s[2:3], s[2:3]
; %bb.1953:
	s_mov_b32 s4, 0x7f800000
	v_mov_b32_e32 v4, 0x7e
	v_mov_b32_e32 v5, 0x7f
	v_cmp_lt_u32_e32 vcc, s4, v6
	v_cndmask_b32_e32 v4, v4, v5, vcc
; %bb.1954:
	s_or_b64 exec, exec, s[2:3]
	v_lshrrev_b32_e32 v2, 8, v2
	s_movk_i32 s2, 0x80
	v_and_or_b32 v2, v2, s2, v4
	global_store_byte v[0:1], v2, off
.LBB223_1955:
	s_mov_b64 s[2:3], 0
.LBB223_1956:
	s_andn2_b64 vcc, exec, s[2:3]
	s_cbranch_vccnz .LBB223_1966
; %bb.1957:
	v_lshlrev_b32_e32 v5, 16, v3
	v_and_b32_e32 v6, 0x7fffffff, v5
	s_mov_b32 s2, 0x47800000
	v_and_b32_e32 v2, 0xffff, v3
	v_cmp_gt_u32_e32 vcc, s2, v6
                                        ; implicit-def: $vgpr4
	s_and_saveexec_b64 s[2:3], vcc
	s_xor_b64 s[2:3], exec, s[2:3]
	s_cbranch_execz .LBB223_1963
; %bb.1958:
	s_mov_b32 s4, 0x387fffff
	v_cmp_lt_u32_e32 vcc, s4, v6
                                        ; implicit-def: $vgpr4
	s_and_saveexec_b64 s[4:5], vcc
	s_xor_b64 s[4:5], exec, s[4:5]
; %bb.1959:
	v_bfe_u32 v4, v2, 5, 1
	s_mov_b32 s8, 0x80fffff
	v_add3_u32 v4, v5, v4, s8
	v_lshrrev_b32_e32 v4, 21, v4
                                        ; implicit-def: $vgpr5
; %bb.1960:
	s_andn2_saveexec_b64 s[4:5], s[4:5]
; %bb.1961:
	s_mov_b32 s8, 0x43000000
	v_add_f32_e64 v4, |v5|, s8
; %bb.1962:
	s_or_b64 exec, exec, s[4:5]
                                        ; implicit-def: $vgpr6
.LBB223_1963:
	s_andn2_saveexec_b64 s[2:3], s[2:3]
; %bb.1964:
	s_mov_b32 s4, 0x7f800000
	v_mov_b32_e32 v4, 0x7c
	v_mov_b32_e32 v5, 0x7f
	v_cmp_lt_u32_e32 vcc, s4, v6
	v_cndmask_b32_e32 v4, v4, v5, vcc
; %bb.1965:
	s_or_b64 exec, exec, s[2:3]
	v_lshrrev_b32_e32 v2, 8, v2
	s_movk_i32 s2, 0x80
	v_and_or_b32 v2, v2, s2, v4
	global_store_byte v[0:1], v2, off
.LBB223_1966:
	s_mov_b64 s[2:3], 0
.LBB223_1967:
	s_andn2_b64 vcc, exec, s[2:3]
	s_mov_b64 s[2:3], 0
	s_cbranch_vccnz .LBB223_1974
; %bb.1968:
	s_cmp_gt_i32 s12, 14
	s_mov_b64 s[4:5], -1
	s_cbranch_scc0 .LBB223_1972
; %bb.1969:
	s_cmp_eq_u32 s12, 15
	s_mov_b64 s[0:1], -1
	s_cbranch_scc0 .LBB223_1971
; %bb.1970:
	global_store_short v[0:1], v3, off
	s_mov_b64 s[0:1], 0
.LBB223_1971:
	s_mov_b64 s[4:5], 0
.LBB223_1972:
	s_and_b64 vcc, exec, s[4:5]
	s_cbranch_vccz .LBB223_1974
; %bb.1973:
	s_cmp_lg_u32 s12, 11
	s_mov_b64 s[2:3], -1
	s_cselect_b64 s[0:1], -1, 0
.LBB223_1974:
	s_and_b64 vcc, exec, s[0:1]
	s_cbranch_vccnz .LBB223_2040
.LBB223_1975:
	s_mov_b64 s[0:1], 0
	s_branch .LBB223_1977
.LBB223_1976:
	s_mov_b64 s[0:1], 0
	s_mov_b64 s[2:3], 0
                                        ; implicit-def: $sgpr22
                                        ; implicit-def: $vgpr0_vgpr1
                                        ; implicit-def: $vgpr3
.LBB223_1977:
	s_and_b64 s[4:5], s[2:3], exec
	s_andn2_b64 s[2:3], s[14:15], exec
	s_and_b64 s[8:9], s[16:17], exec
	s_and_b64 s[0:1], s[0:1], exec
	s_or_b64 s[14:15], s[2:3], s[8:9]
.LBB223_1978:
	s_or_b64 exec, exec, s[6:7]
	s_and_saveexec_b64 s[2:3], s[14:15]
	s_cbranch_execz .LBB223_1981
; %bb.1979:
	; divergent unreachable
	s_or_b64 exec, exec, s[2:3]
	s_and_saveexec_b64 s[2:3], s[4:5]
	s_xor_b64 s[2:3], exec, s[2:3]
	s_cbranch_execnz .LBB223_1982
.LBB223_1980:
	s_or_b64 exec, exec, s[2:3]
	s_and_saveexec_b64 s[2:3], s[0:1]
	s_cbranch_execnz .LBB223_1983
	s_branch .LBB223_2020
.LBB223_1981:
	s_or_b64 exec, exec, s[2:3]
	s_and_saveexec_b64 s[2:3], s[4:5]
	s_xor_b64 s[2:3], exec, s[2:3]
	s_cbranch_execz .LBB223_1980
.LBB223_1982:
	s_waitcnt vmcnt(0)
	v_and_b32_e32 v2, 0x7fff, v3
	v_cmp_ne_u16_e32 vcc, 0, v2
	v_cndmask_b32_e64 v2, 0, 1, vcc
	global_store_byte v[0:1], v2, off
	s_or_b64 exec, exec, s[2:3]
	s_and_saveexec_b64 s[2:3], s[0:1]
	s_cbranch_execz .LBB223_2020
.LBB223_1983:
	s_sext_i32_i16 s2, s22
	s_cmp_lt_i32 s2, 5
	s_mov_b64 s[0:1], -1
	s_cbranch_scc1 .LBB223_2004
; %bb.1984:
	s_cmp_lt_i32 s2, 8
	s_cbranch_scc1 .LBB223_1994
; %bb.1985:
	s_cmp_lt_i32 s2, 9
	s_cbranch_scc1 .LBB223_1991
; %bb.1986:
	s_cmp_gt_i32 s2, 9
	s_cbranch_scc0 .LBB223_1988
; %bb.1987:
	s_waitcnt vmcnt(0)
	v_lshlrev_b32_e32 v2, 16, v3
	v_cvt_f64_f32_e32 v[4:5], v2
	v_mov_b32_e32 v6, 0
	v_mov_b32_e32 v7, v6
	s_mov_b64 s[0:1], 0
	global_store_dwordx4 v[0:1], v[4:7], off
.LBB223_1988:
	s_andn2_b64 vcc, exec, s[0:1]
	s_cbranch_vccnz .LBB223_1990
; %bb.1989:
	s_waitcnt vmcnt(0)
	v_lshlrev_b32_e32 v4, 16, v3
	v_mov_b32_e32 v5, 0
	global_store_dwordx2 v[0:1], v[4:5], off
.LBB223_1990:
	s_mov_b64 s[0:1], 0
.LBB223_1991:
	s_andn2_b64 vcc, exec, s[0:1]
	s_cbranch_vccnz .LBB223_1993
; %bb.1992:
	s_waitcnt vmcnt(0)
	v_lshlrev_b32_e32 v2, 16, v3
	v_cvt_f16_f32_e32 v2, v2
	global_store_dword v[0:1], v2, off
.LBB223_1993:
	s_mov_b64 s[0:1], 0
.LBB223_1994:
	s_andn2_b64 vcc, exec, s[0:1]
	s_cbranch_vccnz .LBB223_2003
; %bb.1995:
	s_sext_i32_i16 s2, s22
	s_cmp_lt_i32 s2, 6
	s_mov_b64 s[0:1], -1
	s_cbranch_scc1 .LBB223_2001
; %bb.1996:
	s_cmp_gt_i32 s2, 6
	s_cbranch_scc0 .LBB223_1998
; %bb.1997:
	s_waitcnt vmcnt(0)
	v_lshlrev_b32_e32 v2, 16, v3
	v_cvt_f64_f32_e32 v[4:5], v2
	s_mov_b64 s[0:1], 0
	global_store_dwordx2 v[0:1], v[4:5], off
.LBB223_1998:
	s_andn2_b64 vcc, exec, s[0:1]
	s_cbranch_vccnz .LBB223_2000
; %bb.1999:
	s_waitcnt vmcnt(0)
	v_lshlrev_b32_e32 v2, 16, v3
	global_store_dword v[0:1], v2, off
.LBB223_2000:
	s_mov_b64 s[0:1], 0
.LBB223_2001:
	s_andn2_b64 vcc, exec, s[0:1]
	s_cbranch_vccnz .LBB223_2003
; %bb.2002:
	s_waitcnt vmcnt(0)
	v_lshlrev_b32_e32 v2, 16, v3
	v_cvt_f16_f32_e32 v2, v2
	global_store_short v[0:1], v2, off
.LBB223_2003:
	s_mov_b64 s[0:1], 0
.LBB223_2004:
	s_andn2_b64 vcc, exec, s[0:1]
	s_cbranch_vccnz .LBB223_2020
; %bb.2005:
	s_sext_i32_i16 s2, s22
	s_cmp_lt_i32 s2, 2
	s_mov_b64 s[0:1], -1
	s_cbranch_scc1 .LBB223_2015
; %bb.2006:
	s_cmp_lt_i32 s2, 3
	s_cbranch_scc1 .LBB223_2012
; %bb.2007:
	s_cmp_gt_i32 s2, 3
	s_cbranch_scc0 .LBB223_2009
; %bb.2008:
	s_waitcnt vmcnt(0)
	v_lshlrev_b32_e32 v2, 16, v3
	v_trunc_f32_e32 v2, v2
	s_mov_b32 s0, 0x2f800000
	v_mul_f32_e64 v4, |v2|, s0
	v_floor_f32_e32 v4, v4
	s_mov_b32 s0, 0xcf800000
	v_cvt_u32_f32_e32 v5, v4
	v_fma_f32 v4, v4, s0, |v2|
	v_cvt_u32_f32_e32 v4, v4
	v_ashrrev_i32_e32 v2, 31, v2
	v_xor_b32_e32 v5, v5, v2
	s_mov_b64 s[0:1], 0
	v_xor_b32_e32 v4, v4, v2
	v_sub_co_u32_e32 v4, vcc, v4, v2
	v_subb_co_u32_e32 v5, vcc, v5, v2, vcc
	global_store_dwordx2 v[0:1], v[4:5], off
.LBB223_2009:
	s_andn2_b64 vcc, exec, s[0:1]
	s_cbranch_vccnz .LBB223_2011
; %bb.2010:
	s_waitcnt vmcnt(0)
	v_lshlrev_b32_e32 v2, 16, v3
	v_cvt_i32_f32_e32 v2, v2
	global_store_dword v[0:1], v2, off
.LBB223_2011:
	s_mov_b64 s[0:1], 0
.LBB223_2012:
	s_andn2_b64 vcc, exec, s[0:1]
	s_cbranch_vccnz .LBB223_2014
; %bb.2013:
	s_waitcnt vmcnt(0)
	v_lshlrev_b32_e32 v2, 16, v3
	v_cvt_i32_f32_e32 v2, v2
	global_store_short v[0:1], v2, off
.LBB223_2014:
	s_mov_b64 s[0:1], 0
.LBB223_2015:
	s_andn2_b64 vcc, exec, s[0:1]
	s_cbranch_vccnz .LBB223_2020
; %bb.2016:
	s_sext_i32_i16 s2, s22
	s_mov_b64 s[0:1], -1
	s_cmp_gt_i32 s2, 0
	s_waitcnt vmcnt(0)
	v_lshlrev_b32_e32 v2, 16, v3
	s_cbranch_scc0 .LBB223_2018
; %bb.2017:
	v_cvt_i32_f32_e32 v3, v2
	s_mov_b64 s[0:1], 0
	global_store_byte v[0:1], v3, off
.LBB223_2018:
	s_andn2_b64 vcc, exec, s[0:1]
	s_cbranch_vccnz .LBB223_2020
; %bb.2019:
	v_trunc_f32_e32 v2, v2
	s_mov_b32 s0, 0x2f800000
	v_mul_f32_e64 v3, |v2|, s0
	v_floor_f32_e32 v3, v3
	s_mov_b32 s0, 0xcf800000
	v_fma_f32 v3, v3, s0, |v2|
	v_cvt_u32_f32_e32 v3, v3
	v_ashrrev_i32_e32 v2, 31, v2
	v_xor_b32_e32 v3, v3, v2
	v_sub_u32_e32 v2, v3, v2
	global_store_byte v[0:1], v2, off
	s_endpgm
.LBB223_2020:
	s_endpgm
.LBB223_2021:
	s_mov_b64 s[2:3], 0
	s_mov_b64 s[0:1], -1
	s_branch .LBB223_1977
.LBB223_2022:
	s_trap 2
	s_or_b64 s[16:17], s[16:17], exec
	s_cbranch_execz .LBB223_1491
	s_branch .LBB223_1492
.LBB223_2023:
	s_andn2_saveexec_b64 s[20:21], s[20:21]
	s_cbranch_execz .LBB223_1571
.LBB223_2024:
	s_mov_b32 s23, 0x46000000
	v_add_f32_e64 v8, |v9|, s23
	v_and_b32_e32 v8, 0xff, v8
	v_cmp_ne_u32_e32 vcc, 0, v8
	s_andn2_b64 s[18:19], s[18:19], exec
	s_and_b64 s[24:25], vcc, exec
	s_or_b64 s[18:19], s[18:19], s[24:25]
	s_or_b64 exec, exec, s[20:21]
	v_mov_b32_e32 v10, 0
	s_and_saveexec_b64 s[20:21], s[18:19]
	s_cbranch_execnz .LBB223_1572
	s_branch .LBB223_1573
.LBB223_2025:
	s_trap 2
	s_or_b64 s[16:17], s[16:17], exec
	s_cbranch_execz .LBB223_1619
	s_branch .LBB223_1620
.LBB223_2026:
	s_andn2_saveexec_b64 s[18:19], s[18:19]
	s_cbranch_execz .LBB223_1584
.LBB223_2027:
	s_mov_b32 s20, 0x42800000
	v_add_f32_e64 v8, |v9|, s20
	v_and_b32_e32 v8, 0xff, v8
	v_cmp_ne_u32_e32 vcc, 0, v8
	s_andn2_b64 s[10:11], s[10:11], exec
	s_and_b64 s[20:21], vcc, exec
	s_or_b64 s[10:11], s[10:11], s[20:21]
	s_or_b64 exec, exec, s[18:19]
	v_mov_b32_e32 v10, 0
	s_and_saveexec_b64 s[18:19], s[10:11]
	s_cbranch_execnz .LBB223_1585
	s_branch .LBB223_1586
.LBB223_2028:
	s_andn2_saveexec_b64 s[18:19], s[18:19]
	s_cbranch_execz .LBB223_1690
.LBB223_2029:
	s_mov_b32 s23, 0x46000000
	v_add_f32_e64 v7, |v8|, s23
	v_and_b32_e32 v7, 0xff, v7
	v_cmp_ne_u32_e32 vcc, 0, v7
	s_andn2_b64 s[12:13], s[12:13], exec
	s_and_b64 s[24:25], vcc, exec
	s_or_b64 s[12:13], s[12:13], s[24:25]
	s_or_b64 exec, exec, s[18:19]
	v_mov_b32_e32 v9, 0
	s_and_saveexec_b64 s[18:19], s[12:13]
	s_cbranch_execnz .LBB223_1691
	s_branch .LBB223_1692
.LBB223_2030:
	s_trap 2
	s_or_b64 s[16:17], s[16:17], exec
	s_cbranch_execz .LBB223_1738
	s_branch .LBB223_1739
.LBB223_2031:
	s_andn2_saveexec_b64 s[12:13], s[12:13]
	s_cbranch_execz .LBB223_1703
.LBB223_2032:
	s_mov_b32 s18, 0x42800000
	v_add_f32_e64 v7, |v8|, s18
	v_and_b32_e32 v7, 0xff, v7
	v_cmp_ne_u32_e32 vcc, 0, v7
	s_andn2_b64 s[10:11], s[10:11], exec
	s_and_b64 s[18:19], vcc, exec
	s_or_b64 s[10:11], s[10:11], s[18:19]
	s_or_b64 exec, exec, s[12:13]
	v_mov_b32_e32 v9, 0
	s_and_saveexec_b64 s[12:13], s[10:11]
	s_cbranch_execnz .LBB223_1704
	s_branch .LBB223_1705
.LBB223_2033:
	s_andn2_saveexec_b64 s[18:19], s[18:19]
	s_cbranch_execz .LBB223_1809
.LBB223_2034:
	s_mov_b32 s23, 0x46000000
	v_add_f32_e64 v5, |v7|, s23
	v_and_b32_e32 v5, 0xff, v5
	v_cmp_ne_u32_e32 vcc, 0, v5
	s_andn2_b64 s[12:13], s[12:13], exec
	s_and_b64 s[24:25], vcc, exec
	s_or_b64 s[12:13], s[12:13], s[24:25]
	s_or_b64 exec, exec, s[18:19]
	v_mov_b32_e32 v8, 0
	s_and_saveexec_b64 s[18:19], s[12:13]
	s_cbranch_execnz .LBB223_1810
	s_branch .LBB223_1811
.LBB223_2035:
	s_trap 2
	s_or_b64 s[16:17], s[16:17], exec
	s_cbranch_execz .LBB223_1857
	s_branch .LBB223_1858
.LBB223_2036:
	s_andn2_saveexec_b64 s[12:13], s[12:13]
	s_cbranch_execz .LBB223_1822
.LBB223_2037:
	s_mov_b32 s18, 0x42800000
	v_add_f32_e64 v5, |v7|, s18
	v_and_b32_e32 v5, 0xff, v5
	v_cmp_ne_u32_e32 vcc, 0, v5
	s_andn2_b64 s[10:11], s[10:11], exec
	s_and_b64 s[18:19], vcc, exec
	s_or_b64 s[10:11], s[10:11], s[18:19]
	s_or_b64 exec, exec, s[12:13]
	v_mov_b32_e32 v8, 0
	s_and_saveexec_b64 s[12:13], s[10:11]
	s_cbranch_execnz .LBB223_1823
	s_branch .LBB223_1824
.LBB223_2038:
	s_andn2_saveexec_b64 s[10:11], s[10:11]
	s_cbranch_execz .LBB223_1929
.LBB223_2039:
	s_mov_b32 s13, 0x46000000
	v_add_f32_e64 v4, |v5|, s13
	v_and_b32_e32 v4, 0xff, v4
	v_cmp_ne_u32_e32 vcc, 0, v4
	s_andn2_b64 s[8:9], s[8:9], exec
	s_and_b64 s[18:19], vcc, exec
	s_or_b64 s[8:9], s[8:9], s[18:19]
	s_or_b64 exec, exec, s[10:11]
	v_mov_b32_e32 v6, 0
	s_and_saveexec_b64 s[10:11], s[8:9]
	s_cbranch_execnz .LBB223_1930
	s_branch .LBB223_1931
.LBB223_2040:
	s_mov_b64 s[2:3], 0
	s_or_b64 s[16:17], s[16:17], exec
	s_trap 2
	s_branch .LBB223_1975
.LBB223_2041:
	s_andn2_saveexec_b64 s[8:9], s[8:9]
	s_cbranch_execz .LBB223_1941
.LBB223_2042:
	s_mov_b32 s10, 0x42800000
	v_add_f32_e64 v4, |v5|, s10
	v_and_b32_e32 v4, 0xff, v4
	v_cmp_ne_u32_e32 vcc, 0, v4
	s_andn2_b64 s[4:5], s[4:5], exec
	s_and_b64 s[10:11], vcc, exec
	s_or_b64 s[4:5], s[4:5], s[10:11]
	s_or_b64 exec, exec, s[8:9]
	v_mov_b32_e32 v6, 0
	s_and_saveexec_b64 s[8:9], s[4:5]
	s_cbranch_execnz .LBB223_1942
	s_branch .LBB223_1943
	.section	.rodata,"a",@progbits
	.p2align	6, 0x0
	.amdhsa_kernel _ZN2at6native32elementwise_kernel_manual_unrollILi128ELi4EZNS0_15gpu_kernel_implINS0_13AUnaryFunctorIN3c108BFloat16ES5_S5_ZNS0_12_GLOBAL__N_121threshold_kernel_implIS5_EEvRNS_18TensorIteratorBaseET_SA_EUlS5_S5_E_EEEEvS9_RKSA_EUlibE_EEviT1_
		.amdhsa_group_segment_fixed_size 0
		.amdhsa_private_segment_fixed_size 0
		.amdhsa_kernarg_size 40
		.amdhsa_user_sgpr_count 6
		.amdhsa_user_sgpr_private_segment_buffer 1
		.amdhsa_user_sgpr_dispatch_ptr 0
		.amdhsa_user_sgpr_queue_ptr 0
		.amdhsa_user_sgpr_kernarg_segment_ptr 1
		.amdhsa_user_sgpr_dispatch_id 0
		.amdhsa_user_sgpr_flat_scratch_init 0
		.amdhsa_user_sgpr_private_segment_size 0
		.amdhsa_uses_dynamic_stack 0
		.amdhsa_system_sgpr_private_segment_wavefront_offset 0
		.amdhsa_system_sgpr_workgroup_id_x 1
		.amdhsa_system_sgpr_workgroup_id_y 0
		.amdhsa_system_sgpr_workgroup_id_z 0
		.amdhsa_system_sgpr_workgroup_info 0
		.amdhsa_system_vgpr_workitem_id 0
		.amdhsa_next_free_vgpr 12
		.amdhsa_next_free_sgpr 49
		.amdhsa_reserve_vcc 1
		.amdhsa_reserve_flat_scratch 0
		.amdhsa_float_round_mode_32 0
		.amdhsa_float_round_mode_16_64 0
		.amdhsa_float_denorm_mode_32 3
		.amdhsa_float_denorm_mode_16_64 3
		.amdhsa_dx10_clamp 1
		.amdhsa_ieee_mode 1
		.amdhsa_fp16_overflow 0
		.amdhsa_exception_fp_ieee_invalid_op 0
		.amdhsa_exception_fp_denorm_src 0
		.amdhsa_exception_fp_ieee_div_zero 0
		.amdhsa_exception_fp_ieee_overflow 0
		.amdhsa_exception_fp_ieee_underflow 0
		.amdhsa_exception_fp_ieee_inexact 0
		.amdhsa_exception_int_div_zero 0
	.end_amdhsa_kernel
	.section	.text._ZN2at6native32elementwise_kernel_manual_unrollILi128ELi4EZNS0_15gpu_kernel_implINS0_13AUnaryFunctorIN3c108BFloat16ES5_S5_ZNS0_12_GLOBAL__N_121threshold_kernel_implIS5_EEvRNS_18TensorIteratorBaseET_SA_EUlS5_S5_E_EEEEvS9_RKSA_EUlibE_EEviT1_,"axG",@progbits,_ZN2at6native32elementwise_kernel_manual_unrollILi128ELi4EZNS0_15gpu_kernel_implINS0_13AUnaryFunctorIN3c108BFloat16ES5_S5_ZNS0_12_GLOBAL__N_121threshold_kernel_implIS5_EEvRNS_18TensorIteratorBaseET_SA_EUlS5_S5_E_EEEEvS9_RKSA_EUlibE_EEviT1_,comdat
.Lfunc_end223:
	.size	_ZN2at6native32elementwise_kernel_manual_unrollILi128ELi4EZNS0_15gpu_kernel_implINS0_13AUnaryFunctorIN3c108BFloat16ES5_S5_ZNS0_12_GLOBAL__N_121threshold_kernel_implIS5_EEvRNS_18TensorIteratorBaseET_SA_EUlS5_S5_E_EEEEvS9_RKSA_EUlibE_EEviT1_, .Lfunc_end223-_ZN2at6native32elementwise_kernel_manual_unrollILi128ELi4EZNS0_15gpu_kernel_implINS0_13AUnaryFunctorIN3c108BFloat16ES5_S5_ZNS0_12_GLOBAL__N_121threshold_kernel_implIS5_EEvRNS_18TensorIteratorBaseET_SA_EUlS5_S5_E_EEEEvS9_RKSA_EUlibE_EEviT1_
                                        ; -- End function
	.set _ZN2at6native32elementwise_kernel_manual_unrollILi128ELi4EZNS0_15gpu_kernel_implINS0_13AUnaryFunctorIN3c108BFloat16ES5_S5_ZNS0_12_GLOBAL__N_121threshold_kernel_implIS5_EEvRNS_18TensorIteratorBaseET_SA_EUlS5_S5_E_EEEEvS9_RKSA_EUlibE_EEviT1_.num_vgpr, 12
	.set _ZN2at6native32elementwise_kernel_manual_unrollILi128ELi4EZNS0_15gpu_kernel_implINS0_13AUnaryFunctorIN3c108BFloat16ES5_S5_ZNS0_12_GLOBAL__N_121threshold_kernel_implIS5_EEvRNS_18TensorIteratorBaseET_SA_EUlS5_S5_E_EEEEvS9_RKSA_EUlibE_EEviT1_.num_agpr, 0
	.set _ZN2at6native32elementwise_kernel_manual_unrollILi128ELi4EZNS0_15gpu_kernel_implINS0_13AUnaryFunctorIN3c108BFloat16ES5_S5_ZNS0_12_GLOBAL__N_121threshold_kernel_implIS5_EEvRNS_18TensorIteratorBaseET_SA_EUlS5_S5_E_EEEEvS9_RKSA_EUlibE_EEviT1_.numbered_sgpr, 49
	.set _ZN2at6native32elementwise_kernel_manual_unrollILi128ELi4EZNS0_15gpu_kernel_implINS0_13AUnaryFunctorIN3c108BFloat16ES5_S5_ZNS0_12_GLOBAL__N_121threshold_kernel_implIS5_EEvRNS_18TensorIteratorBaseET_SA_EUlS5_S5_E_EEEEvS9_RKSA_EUlibE_EEviT1_.num_named_barrier, 0
	.set _ZN2at6native32elementwise_kernel_manual_unrollILi128ELi4EZNS0_15gpu_kernel_implINS0_13AUnaryFunctorIN3c108BFloat16ES5_S5_ZNS0_12_GLOBAL__N_121threshold_kernel_implIS5_EEvRNS_18TensorIteratorBaseET_SA_EUlS5_S5_E_EEEEvS9_RKSA_EUlibE_EEviT1_.private_seg_size, 0
	.set _ZN2at6native32elementwise_kernel_manual_unrollILi128ELi4EZNS0_15gpu_kernel_implINS0_13AUnaryFunctorIN3c108BFloat16ES5_S5_ZNS0_12_GLOBAL__N_121threshold_kernel_implIS5_EEvRNS_18TensorIteratorBaseET_SA_EUlS5_S5_E_EEEEvS9_RKSA_EUlibE_EEviT1_.uses_vcc, 1
	.set _ZN2at6native32elementwise_kernel_manual_unrollILi128ELi4EZNS0_15gpu_kernel_implINS0_13AUnaryFunctorIN3c108BFloat16ES5_S5_ZNS0_12_GLOBAL__N_121threshold_kernel_implIS5_EEvRNS_18TensorIteratorBaseET_SA_EUlS5_S5_E_EEEEvS9_RKSA_EUlibE_EEviT1_.uses_flat_scratch, 0
	.set _ZN2at6native32elementwise_kernel_manual_unrollILi128ELi4EZNS0_15gpu_kernel_implINS0_13AUnaryFunctorIN3c108BFloat16ES5_S5_ZNS0_12_GLOBAL__N_121threshold_kernel_implIS5_EEvRNS_18TensorIteratorBaseET_SA_EUlS5_S5_E_EEEEvS9_RKSA_EUlibE_EEviT1_.has_dyn_sized_stack, 0
	.set _ZN2at6native32elementwise_kernel_manual_unrollILi128ELi4EZNS0_15gpu_kernel_implINS0_13AUnaryFunctorIN3c108BFloat16ES5_S5_ZNS0_12_GLOBAL__N_121threshold_kernel_implIS5_EEvRNS_18TensorIteratorBaseET_SA_EUlS5_S5_E_EEEEvS9_RKSA_EUlibE_EEviT1_.has_recursion, 0
	.set _ZN2at6native32elementwise_kernel_manual_unrollILi128ELi4EZNS0_15gpu_kernel_implINS0_13AUnaryFunctorIN3c108BFloat16ES5_S5_ZNS0_12_GLOBAL__N_121threshold_kernel_implIS5_EEvRNS_18TensorIteratorBaseET_SA_EUlS5_S5_E_EEEEvS9_RKSA_EUlibE_EEviT1_.has_indirect_call, 0
	.section	.AMDGPU.csdata,"",@progbits
; Kernel info:
; codeLenInByte = 37640
; TotalNumSgprs: 53
; NumVgprs: 12
; ScratchSize: 0
; MemoryBound: 0
; FloatMode: 240
; IeeeMode: 1
; LDSByteSize: 0 bytes/workgroup (compile time only)
; SGPRBlocks: 6
; VGPRBlocks: 2
; NumSGPRsForWavesPerEU: 53
; NumVGPRsForWavesPerEU: 12
; Occupancy: 10
; WaveLimiterHint : 0
; COMPUTE_PGM_RSRC2:SCRATCH_EN: 0
; COMPUTE_PGM_RSRC2:USER_SGPR: 6
; COMPUTE_PGM_RSRC2:TRAP_HANDLER: 0
; COMPUTE_PGM_RSRC2:TGID_X_EN: 1
; COMPUTE_PGM_RSRC2:TGID_Y_EN: 0
; COMPUTE_PGM_RSRC2:TGID_Z_EN: 0
; COMPUTE_PGM_RSRC2:TIDIG_COMP_CNT: 0
	.section	.text._ZN2at6native32elementwise_kernel_manual_unrollILi128ELi4EZNS0_15gpu_kernel_implINS0_13AUnaryFunctorIN3c108BFloat16ES5_S5_ZNS0_12_GLOBAL__N_121threshold_kernel_implIS5_EEvRNS_18TensorIteratorBaseET_SA_EUlS5_S5_E_EEEEvS9_RKSA_EUlibE0_EEviT1_,"axG",@progbits,_ZN2at6native32elementwise_kernel_manual_unrollILi128ELi4EZNS0_15gpu_kernel_implINS0_13AUnaryFunctorIN3c108BFloat16ES5_S5_ZNS0_12_GLOBAL__N_121threshold_kernel_implIS5_EEvRNS_18TensorIteratorBaseET_SA_EUlS5_S5_E_EEEEvS9_RKSA_EUlibE0_EEviT1_,comdat
	.globl	_ZN2at6native32elementwise_kernel_manual_unrollILi128ELi4EZNS0_15gpu_kernel_implINS0_13AUnaryFunctorIN3c108BFloat16ES5_S5_ZNS0_12_GLOBAL__N_121threshold_kernel_implIS5_EEvRNS_18TensorIteratorBaseET_SA_EUlS5_S5_E_EEEEvS9_RKSA_EUlibE0_EEviT1_ ; -- Begin function _ZN2at6native32elementwise_kernel_manual_unrollILi128ELi4EZNS0_15gpu_kernel_implINS0_13AUnaryFunctorIN3c108BFloat16ES5_S5_ZNS0_12_GLOBAL__N_121threshold_kernel_implIS5_EEvRNS_18TensorIteratorBaseET_SA_EUlS5_S5_E_EEEEvS9_RKSA_EUlibE0_EEviT1_
	.p2align	8
	.type	_ZN2at6native32elementwise_kernel_manual_unrollILi128ELi4EZNS0_15gpu_kernel_implINS0_13AUnaryFunctorIN3c108BFloat16ES5_S5_ZNS0_12_GLOBAL__N_121threshold_kernel_implIS5_EEvRNS_18TensorIteratorBaseET_SA_EUlS5_S5_E_EEEEvS9_RKSA_EUlibE0_EEviT1_,@function
_ZN2at6native32elementwise_kernel_manual_unrollILi128ELi4EZNS0_15gpu_kernel_implINS0_13AUnaryFunctorIN3c108BFloat16ES5_S5_ZNS0_12_GLOBAL__N_121threshold_kernel_implIS5_EEvRNS_18TensorIteratorBaseET_SA_EUlS5_S5_E_EEEEvS9_RKSA_EUlibE0_EEviT1_: ; @_ZN2at6native32elementwise_kernel_manual_unrollILi128ELi4EZNS0_15gpu_kernel_implINS0_13AUnaryFunctorIN3c108BFloat16ES5_S5_ZNS0_12_GLOBAL__N_121threshold_kernel_implIS5_EEvRNS_18TensorIteratorBaseET_SA_EUlS5_S5_E_EEEEvS9_RKSA_EUlibE0_EEviT1_
; %bb.0:
	s_load_dword s72, s[4:5], 0x0
	s_load_dword s33, s[4:5], 0x8
	s_add_u32 s34, s4, 8
	s_addc_u32 s35, s5, 0
	v_lshl_or_b32 v8, s6, 9, v0
	v_or_b32_e32 v15, 0x180, v8
	s_waitcnt lgkmcnt(0)
	s_add_i32 s74, s33, -1
	s_cmp_gt_u32 s74, 1
	v_cmp_le_i32_e32 vcc, s72, v15
	s_cselect_b64 s[44:45], -1, 0
	s_mov_b64 s[6:7], 0
	s_mov_b64 s[28:29], 0
	s_and_saveexec_b64 s[0:1], vcc
	s_xor_b64 s[46:47], exec, s[0:1]
	s_cbranch_execz .LBB224_1086
; %bb.1:
	s_load_dwordx4 s[28:31], s[34:35], 0x4
	s_load_dwordx2 s[48:49], s[34:35], 0x14
	s_load_dword s0, s[4:5], 0x164
	s_load_dwordx2 s[2:3], s[34:35], 0x158
	s_cmp_lg_u32 s33, 0
	s_cselect_b64 s[54:55], -1, 0
	s_add_u32 s52, s34, 0xc4
	s_addc_u32 s53, s35, 0
	s_min_u32 s78, s74, 15
	s_load_dwordx4 s[36:39], s[34:35], 0xc4
	s_load_dwordx4 s[24:27], s[34:35], 0x148
	s_cmp_gt_u32 s33, 1
	s_cselect_b64 s[50:51], -1, 0
	s_waitcnt lgkmcnt(0)
	s_lshr_b32 s77, s0, 24
	s_lshl_b32 s0, s2, 16
	s_lshl_b32 s1, s3, 16
	v_mov_b32_e32 v0, s0
	s_lshr_b32 s75, s2, 16
	v_cmp_le_f32_e64 s[0:1], s1, v0
	s_lshr_b32 s76, s3, 16
	v_cmp_gt_i32_e32 vcc, s72, v8
	s_mov_b64 s[2:3], -1
	s_mov_b64 s[64:65], 0
	s_mov_b64 s[58:59], 0
	;; [unrolled: 1-line block ×3, first 2 shown]
	s_and_saveexec_b64 s[60:61], vcc
	s_cbranch_execz .LBB224_266
; %bb.2:
	s_andn2_b64 vcc, exec, s[44:45]
	s_cbranch_vccnz .LBB224_7
; %bb.3:
	s_andn2_b64 vcc, exec, s[54:55]
	s_cbranch_vccnz .LBB224_8
; %bb.4:
	s_add_i32 s59, s78, 1
	s_cmp_eq_u32 s74, 2
	s_cbranch_scc1 .LBB224_9
; %bb.5:
	s_and_b32 s58, s59, 28
	v_mov_b32_e32 v2, 0
	s_mov_b32 s62, 0
	s_mov_b64 s[2:3], s[34:35]
	s_mov_b64 s[56:57], s[52:53]
	v_mov_b32_e32 v0, 0
	v_mov_b32_e32 v1, v8
.LBB224_6:                              ; =>This Inner Loop Header: Depth=1
	s_load_dwordx8 s[16:23], s[2:3], 0x4
	s_load_dwordx4 s[40:43], s[2:3], 0x24
	s_load_dwordx8 s[8:15], s[56:57], 0x0
	s_add_u32 s2, s2, 48
	s_addc_u32 s3, s3, 0
	s_waitcnt lgkmcnt(0)
	v_mul_hi_u32 v3, s17, v1
	s_add_i32 s62, s62, 4
	s_add_u32 s56, s56, 32
	s_addc_u32 s57, s57, 0
	v_add_u32_e32 v3, v1, v3
	v_lshrrev_b32_e32 v3, s18, v3
	v_mul_lo_u32 v4, v3, s16
	v_mul_hi_u32 v5, s20, v3
	s_cmp_lg_u32 s58, s62
	v_sub_u32_e32 v1, v1, v4
	v_add_u32_e32 v4, v3, v5
	v_mul_lo_u32 v5, v1, s8
	v_mul_lo_u32 v6, v1, s9
	v_lshrrev_b32_e32 v1, s21, v4
	v_mul_lo_u32 v4, v1, s19
	v_mul_hi_u32 v7, s23, v1
	v_sub_u32_e32 v3, v3, v4
	v_add_u32_e32 v4, v1, v7
	v_lshrrev_b32_e32 v4, s40, v4
	v_mul_hi_u32 v9, s42, v4
	v_mul_lo_u32 v10, v4, s22
	v_mul_lo_u32 v7, v3, s10
	v_mul_lo_u32 v3, v3, s11
	v_sub_u32_e32 v10, v1, v10
	v_add_u32_e32 v1, v4, v9
	v_lshrrev_b32_e32 v1, s43, v1
	v_mul_lo_u32 v9, v1, s41
	v_mul_lo_u32 v11, v10, s12
	v_mul_lo_u32 v10, v10, s13
	v_add3_u32 v0, v5, v0, v7
	v_sub_u32_e32 v4, v4, v9
	v_mul_lo_u32 v9, v4, s14
	v_mul_lo_u32 v4, v4, s15
	v_add3_u32 v2, v6, v2, v3
	v_add3_u32 v0, v11, v0, v9
	;; [unrolled: 1-line block ×3, first 2 shown]
	s_cbranch_scc1 .LBB224_6
	s_branch .LBB224_10
.LBB224_7:
                                        ; implicit-def: $vgpr0
                                        ; implicit-def: $vgpr2
	s_andn2_b64 vcc, exec, s[2:3]
	s_cbranch_vccz .LBB224_14
	s_branch .LBB224_16
.LBB224_8:
	v_mov_b32_e32 v0, 0
	v_mov_b32_e32 v2, 0
	s_branch .LBB224_13
.LBB224_9:
	s_mov_b32 s58, 0
	v_mov_b32_e32 v0, 0
	v_mov_b32_e32 v2, 0
	;; [unrolled: 1-line block ×3, first 2 shown]
.LBB224_10:
	s_and_b32 s10, s59, 3
	s_cmp_eq_u32 s10, 0
	s_cbranch_scc1 .LBB224_13
; %bb.11:
	s_lshl_b32 s2, s58, 3
	s_add_u32 s2, s34, s2
	s_addc_u32 s3, s35, 0
	s_add_u32 s2, s2, 0xc4
	s_addc_u32 s3, s3, 0
	s_mul_i32 s8, s58, 12
	s_add_u32 s8, s34, s8
	s_addc_u32 s9, s35, 0
.LBB224_12:                             ; =>This Inner Loop Header: Depth=1
	s_load_dwordx2 s[12:13], s[8:9], 0x4
	s_load_dword s11, s[8:9], 0xc
	s_load_dwordx2 s[14:15], s[2:3], 0x0
	s_add_u32 s8, s8, 12
	s_addc_u32 s9, s9, 0
	s_waitcnt lgkmcnt(0)
	v_mul_hi_u32 v3, s13, v1
	s_add_u32 s2, s2, 8
	s_addc_u32 s3, s3, 0
	s_add_i32 s10, s10, -1
	v_add_u32_e32 v3, v1, v3
	v_lshrrev_b32_e32 v4, s11, v3
	v_mul_lo_u32 v3, v4, s12
	s_cmp_lg_u32 s10, 0
	v_sub_u32_e32 v3, v1, v3
	v_mad_u64_u32 v[0:1], s[12:13], v3, s14, v[0:1]
	v_mad_u64_u32 v[2:3], s[12:13], v3, s15, v[2:3]
	v_mov_b32_e32 v1, v4
	s_cbranch_scc1 .LBB224_12
.LBB224_13:
	s_cbranch_execnz .LBB224_16
.LBB224_14:
	v_mul_hi_u32 v0, s29, v8
	s_andn2_b64 vcc, exec, s[50:51]
	v_add_u32_e32 v0, v8, v0
	v_lshrrev_b32_e32 v1, s30, v0
	v_mul_lo_u32 v0, v1, s28
	v_sub_u32_e32 v2, v8, v0
	v_mul_lo_u32 v0, v2, s36
	v_mul_lo_u32 v2, v2, s37
	s_cbranch_vccnz .LBB224_16
; %bb.15:
	v_mul_hi_u32 v3, s48, v1
	v_add_u32_e32 v3, v1, v3
	v_lshrrev_b32_e32 v3, s49, v3
	v_mul_lo_u32 v3, v3, s31
	v_sub_u32_e32 v3, v1, v3
	v_mad_u64_u32 v[0:1], s[2:3], v3, s38, v[0:1]
	v_mad_u64_u32 v[2:3], s[2:3], v3, s39, v[2:3]
.LBB224_16:
	v_mov_b32_e32 v3, s27
	s_and_b32 s14, 0xffff, s77
	v_add_co_u32_e32 v1, vcc, s26, v2
	s_cmp_lt_i32 s14, 11
	v_addc_co_u32_e32 v2, vcc, 0, v3, vcc
	s_cbranch_scc1 .LBB224_23
; %bb.17:
	s_cmp_gt_i32 s14, 25
	s_cbranch_scc0 .LBB224_32
; %bb.18:
	s_cmp_gt_i32 s14, 28
	s_cbranch_scc0 .LBB224_35
	;; [unrolled: 3-line block ×4, first 2 shown]
; %bb.21:
	s_cmp_eq_u32 s14, 46
	s_mov_b64 s[10:11], 0
	s_cbranch_scc0 .LBB224_41
; %bb.22:
	global_load_dword v3, v[1:2], off
	s_mov_b64 s[2:3], -1
	s_mov_b64 s[8:9], 0
	s_branch .LBB224_43
.LBB224_23:
	s_mov_b64 s[8:9], 0
                                        ; implicit-def: $vgpr3
	s_mov_b64 s[2:3], 0
	s_cbranch_execnz .LBB224_216
.LBB224_24:
	s_andn2_b64 vcc, exec, s[2:3]
	s_cbranch_vccnz .LBB224_263
.LBB224_25:
	v_mov_b32_e32 v1, s75
	s_waitcnt vmcnt(0)
	v_cndmask_b32_e64 v2, v3, v1, s[0:1]
	s_and_b32 s16, s76, 0xff
	v_mov_b32_e32 v1, s25
	v_add_co_u32_e32 v0, vcc, s24, v0
	s_cmp_lt_i32 s16, 11
	v_addc_co_u32_e32 v1, vcc, 0, v1, vcc
	s_cbranch_scc1 .LBB224_33
; %bb.26:
	s_and_b32 s17, 0xffff, s16
	s_cmp_gt_i32 s17, 25
	s_cbranch_scc0 .LBB224_36
; %bb.27:
	s_cmp_gt_i32 s17, 28
	s_cbranch_scc0 .LBB224_38
; %bb.28:
	;; [unrolled: 3-line block ×4, first 2 shown]
	s_mov_b64 s[12:13], 0
	s_mov_b64 s[2:3], -1
	s_cmp_eq_u32 s17, 46
	s_mov_b64 s[10:11], 0
	s_cbranch_scc0 .LBB224_47
; %bb.31:
	v_and_b32_e32 v3, 0xffff, v2
	global_store_dword v[0:1], v3, off
	s_mov_b64 s[10:11], -1
	s_mov_b64 s[2:3], 0
	s_branch .LBB224_47
.LBB224_32:
	s_mov_b64 s[8:9], 0
	s_mov_b64 s[2:3], 0
                                        ; implicit-def: $vgpr3
	s_cbranch_execnz .LBB224_181
	s_branch .LBB224_215
.LBB224_33:
	s_mov_b64 s[2:3], 0
	s_mov_b64 s[10:11], 0
	s_cbranch_execnz .LBB224_116
.LBB224_34:
	s_andn2_b64 vcc, exec, s[10:11]
	s_cbranch_vccnz .LBB224_264
	s_branch .LBB224_154
.LBB224_35:
	s_mov_b64 s[10:11], -1
	s_mov_b64 s[8:9], 0
	s_mov_b64 s[2:3], 0
                                        ; implicit-def: $vgpr3
	s_branch .LBB224_162
.LBB224_36:
	s_mov_b64 s[12:13], -1
	s_mov_b64 s[2:3], 0
	s_mov_b64 s[10:11], 0
	s_branch .LBB224_74
.LBB224_37:
	s_mov_b64 s[10:11], -1
	s_mov_b64 s[8:9], 0
	s_mov_b64 s[2:3], 0
                                        ; implicit-def: $vgpr3
	s_branch .LBB224_157
.LBB224_38:
	s_mov_b64 s[12:13], -1
	s_mov_b64 s[2:3], 0
	s_mov_b64 s[10:11], 0
	s_branch .LBB224_57
.LBB224_39:
	s_mov_b64 s[10:11], -1
	s_mov_b64 s[8:9], 0
	s_branch .LBB224_42
.LBB224_40:
	s_mov_b64 s[12:13], -1
	s_mov_b64 s[2:3], 0
	s_mov_b64 s[10:11], 0
	s_branch .LBB224_53
.LBB224_41:
	s_mov_b64 s[8:9], -1
.LBB224_42:
	s_mov_b64 s[2:3], 0
                                        ; implicit-def: $vgpr3
.LBB224_43:
	s_and_b64 vcc, exec, s[10:11]
	s_cbranch_vccz .LBB224_156
; %bb.44:
	s_cmp_eq_u32 s14, 44
	s_cbranch_scc0 .LBB224_155
; %bb.45:
	global_load_ubyte v3, v[1:2], off
	s_movk_i32 s8, 0xff
	v_mov_b32_e32 v4, 0x7f800001
	v_mov_b32_e32 v5, 0x400000
	;; [unrolled: 1-line block ×3, first 2 shown]
	s_mov_b64 s[2:3], -1
	s_waitcnt vmcnt(0)
	v_lshlrev_b32_e32 v7, 23, v3
	v_cmp_ne_u32_e32 vcc, s8, v3
	v_cndmask_b32_e32 v4, v4, v7, vcc
	v_cmp_ne_u32_e32 vcc, 0, v3
	v_cndmask_b32_e32 v3, v5, v4, vcc
	v_add_u32_e32 v4, 0x7fff, v3
	v_cmp_o_f32_e32 vcc, v3, v3
	v_cndmask_b32_sdwa v3, v6, v4, vcc dst_sel:DWORD dst_unused:UNUSED_PAD src0_sel:DWORD src1_sel:WORD_1
	s_mov_b64 s[8:9], 0
	s_branch .LBB224_156
.LBB224_46:
	s_mov_b64 s[12:13], -1
	s_mov_b64 s[2:3], 0
	s_mov_b64 s[10:11], 0
.LBB224_47:
	s_and_b64 vcc, exec, s[12:13]
	s_cbranch_vccz .LBB224_52
; %bb.48:
	s_cmp_eq_u32 s17, 44
	s_mov_b64 s[2:3], -1
	s_cbranch_scc0 .LBB224_52
; %bb.49:
	v_and_b32_e32 v4, 0xffff, v2
	v_bfe_u32 v3, v4, 7, 8
	s_movk_i32 s2, 0xff
	v_cmp_ne_u32_e32 vcc, s2, v3
	v_mov_b32_e32 v5, 0xff
	s_and_saveexec_b64 s[10:11], vcc
	s_cbranch_execz .LBB224_51
; %bb.50:
	v_lshlrev_b32_e32 v6, 16, v4
	s_mov_b32 s2, 0x3f0000
	v_lshrrev_b32_e32 v5, 7, v4
	v_and_b32_e32 v4, 64, v4
	v_and_or_b32 v3, v6, s2, v3
	v_cmp_ne_u32_e32 vcc, 0, v4
	v_cmp_ne_u32_e64 s[2:3], 0, v3
	s_and_b64 s[2:3], vcc, s[2:3]
	v_cndmask_b32_e64 v3, 0, 1, s[2:3]
	v_add_u32_e32 v5, v5, v3
.LBB224_51:
	s_or_b64 exec, exec, s[10:11]
	s_mov_b64 s[10:11], -1
	s_mov_b64 s[2:3], 0
	global_store_byte v[0:1], v5, off
.LBB224_52:
	s_mov_b64 s[12:13], 0
.LBB224_53:
	s_and_b64 vcc, exec, s[12:13]
	s_cbranch_vccz .LBB224_56
; %bb.54:
	s_cmp_eq_u32 s17, 29
	s_mov_b64 s[2:3], -1
	s_cbranch_scc0 .LBB224_56
; %bb.55:
	v_lshlrev_b32_e32 v3, 16, v2
	v_trunc_f32_e32 v3, v3
	v_mul_f32_e32 v4, 0x2f800000, v3
	v_floor_f32_e32 v5, v4
	v_fmac_f32_e32 v3, 0xcf800000, v5
	v_cvt_u32_f32_e32 v4, v5
	v_cvt_u32_f32_e32 v3, v3
	s_mov_b64 s[10:11], -1
	s_mov_b64 s[2:3], 0
	s_mov_b64 s[12:13], 0
	global_store_dwordx2 v[0:1], v[3:4], off
	s_branch .LBB224_57
.LBB224_56:
	s_mov_b64 s[12:13], 0
.LBB224_57:
	s_and_b64 vcc, exec, s[12:13]
	s_cbranch_vccz .LBB224_73
; %bb.58:
	s_cmp_lt_i32 s17, 27
	s_mov_b64 s[10:11], -1
	s_cbranch_scc1 .LBB224_64
; %bb.59:
	s_cmp_gt_i32 s17, 27
	s_cbranch_scc0 .LBB224_61
; %bb.60:
	v_lshlrev_b32_e32 v3, 16, v2
	v_cvt_u32_f32_e32 v3, v3
	s_mov_b64 s[10:11], 0
	global_store_dword v[0:1], v3, off
.LBB224_61:
	s_andn2_b64 vcc, exec, s[10:11]
	s_cbranch_vccnz .LBB224_63
; %bb.62:
	v_lshlrev_b32_e32 v3, 16, v2
	v_cvt_u32_f32_e32 v3, v3
	global_store_short v[0:1], v3, off
.LBB224_63:
	s_mov_b64 s[10:11], 0
.LBB224_64:
	s_andn2_b64 vcc, exec, s[10:11]
	s_cbranch_vccnz .LBB224_72
; %bb.65:
	v_lshlrev_b32_e32 v5, 16, v2
	v_and_b32_e32 v4, 0x7fffffff, v5
	s_mov_b32 s10, 0x43800000
	v_cmp_gt_u32_e32 vcc, s10, v4
	v_mov_b32_e32 v6, 0x80
	s_and_saveexec_b64 s[10:11], vcc
	s_cbranch_execz .LBB224_71
; %bb.66:
	s_mov_b32 s12, 0x3bffffff
	v_and_b32_e32 v3, 0xffff, v2
	v_cmp_lt_u32_e32 vcc, s12, v4
	s_mov_b64 s[12:13], 0
                                        ; implicit-def: $vgpr4
	s_and_saveexec_b64 s[14:15], vcc
	s_xor_b64 s[14:15], exec, s[14:15]
	s_cbranch_execz .LBB224_307
; %bb.67:
	v_bfe_u32 v4, v3, 4, 1
	s_mov_b32 s18, 0x487ffff
	v_add3_u32 v4, v5, v4, s18
	s_mov_b64 s[12:13], exec
	v_lshrrev_b32_e32 v4, 20, v4
                                        ; implicit-def: $vgpr5
	s_andn2_saveexec_b64 s[14:15], s[14:15]
	s_cbranch_execnz .LBB224_308
.LBB224_68:
	s_or_b64 exec, exec, s[14:15]
	v_mov_b32_e32 v6, 0
	s_and_saveexec_b64 s[14:15], s[12:13]
.LBB224_69:
	v_lshrrev_b32_e32 v3, 8, v3
	s_movk_i32 s12, 0x80
	v_and_or_b32 v6, v3, s12, v4
.LBB224_70:
	s_or_b64 exec, exec, s[14:15]
.LBB224_71:
	s_or_b64 exec, exec, s[10:11]
	global_store_byte v[0:1], v6, off
.LBB224_72:
	s_mov_b64 s[10:11], -1
.LBB224_73:
	s_mov_b64 s[12:13], 0
.LBB224_74:
	s_and_b64 vcc, exec, s[12:13]
	s_cbranch_vccz .LBB224_115
; %bb.75:
	s_cmp_gt_i32 s17, 22
	s_mov_b64 s[12:13], -1
	s_cbranch_scc0 .LBB224_107
; %bb.76:
	s_cmp_lt_i32 s17, 24
	s_mov_b64 s[10:11], -1
	s_cbranch_scc1 .LBB224_96
; %bb.77:
	s_cmp_gt_i32 s17, 24
	s_cbranch_scc0 .LBB224_85
; %bb.78:
	v_lshlrev_b32_e32 v5, 16, v2
	v_and_b32_e32 v4, 0x7fffffff, v5
	s_mov_b32 s10, 0x47800000
	v_cmp_gt_u32_e32 vcc, s10, v4
	v_mov_b32_e32 v6, 0x80
	s_and_saveexec_b64 s[10:11], vcc
	s_cbranch_execz .LBB224_84
; %bb.79:
	s_mov_b32 s12, 0x37ffffff
	v_and_b32_e32 v3, 0xffff, v2
	v_cmp_lt_u32_e32 vcc, s12, v4
	s_mov_b64 s[12:13], 0
                                        ; implicit-def: $vgpr4
	s_and_saveexec_b64 s[14:15], vcc
	s_xor_b64 s[14:15], exec, s[14:15]
	s_cbranch_execz .LBB224_311
; %bb.80:
	v_bfe_u32 v4, v3, 5, 1
	s_mov_b32 s18, 0x88fffff
	v_add3_u32 v4, v5, v4, s18
	s_mov_b64 s[12:13], exec
	v_lshrrev_b32_e32 v4, 21, v4
                                        ; implicit-def: $vgpr5
	s_andn2_saveexec_b64 s[14:15], s[14:15]
	s_cbranch_execnz .LBB224_312
.LBB224_81:
	s_or_b64 exec, exec, s[14:15]
	v_mov_b32_e32 v6, 0
	s_and_saveexec_b64 s[14:15], s[12:13]
.LBB224_82:
	v_lshrrev_b32_e32 v3, 8, v3
	s_movk_i32 s12, 0x80
	v_and_or_b32 v6, v3, s12, v4
.LBB224_83:
	s_or_b64 exec, exec, s[14:15]
.LBB224_84:
	s_or_b64 exec, exec, s[10:11]
	s_mov_b64 s[10:11], 0
	global_store_byte v[0:1], v6, off
.LBB224_85:
	s_and_b64 vcc, exec, s[10:11]
	s_cbranch_vccz .LBB224_95
; %bb.86:
	v_lshlrev_b32_e32 v5, 16, v2
	v_and_b32_e32 v6, 0x7fffffff, v5
	s_mov_b32 s10, 0x43f00000
	v_and_b32_e32 v3, 0xffff, v2
	v_cmp_gt_u32_e32 vcc, s10, v6
                                        ; implicit-def: $vgpr4
	s_and_saveexec_b64 s[10:11], vcc
	s_xor_b64 s[10:11], exec, s[10:11]
	s_cbranch_execz .LBB224_92
; %bb.87:
	s_mov_b32 s12, 0x3c7fffff
	v_cmp_lt_u32_e32 vcc, s12, v6
                                        ; implicit-def: $vgpr4
	s_and_saveexec_b64 s[12:13], vcc
	s_xor_b64 s[12:13], exec, s[12:13]
; %bb.88:
	v_bfe_u32 v4, v3, 4, 1
	s_mov_b32 s14, 0x407ffff
	v_add3_u32 v4, v5, v4, s14
	v_lshrrev_b32_e32 v5, 20, v4
	v_and_b32_e32 v4, 0xff00000, v4
	s_mov_b32 s14, 0x7f00000
	v_mov_b32_e32 v6, 0x7e
	v_cmp_ne_u32_e32 vcc, s14, v4
	v_cndmask_b32_e32 v4, v6, v5, vcc
                                        ; implicit-def: $vgpr5
; %bb.89:
	s_andn2_saveexec_b64 s[12:13], s[12:13]
; %bb.90:
	s_mov_b32 s14, 0x46800000
	v_add_f32_e64 v4, |v5|, s14
; %bb.91:
	s_or_b64 exec, exec, s[12:13]
                                        ; implicit-def: $vgpr6
.LBB224_92:
	s_andn2_saveexec_b64 s[10:11], s[10:11]
; %bb.93:
	s_mov_b32 s12, 0x7f800000
	v_mov_b32_e32 v4, 0x7e
	v_mov_b32_e32 v5, 0x7f
	v_cmp_lt_u32_e32 vcc, s12, v6
	v_cndmask_b32_e32 v4, v4, v5, vcc
; %bb.94:
	s_or_b64 exec, exec, s[10:11]
	v_lshrrev_b32_e32 v3, 8, v3
	s_movk_i32 s10, 0x80
	v_and_or_b32 v3, v3, s10, v4
	global_store_byte v[0:1], v3, off
.LBB224_95:
	s_mov_b64 s[10:11], 0
.LBB224_96:
	s_andn2_b64 vcc, exec, s[10:11]
	s_cbranch_vccnz .LBB224_106
; %bb.97:
	v_lshlrev_b32_e32 v5, 16, v2
	v_and_b32_e32 v6, 0x7fffffff, v5
	s_mov_b32 s10, 0x47800000
	v_and_b32_e32 v3, 0xffff, v2
	v_cmp_gt_u32_e32 vcc, s10, v6
                                        ; implicit-def: $vgpr4
	s_and_saveexec_b64 s[10:11], vcc
	s_xor_b64 s[10:11], exec, s[10:11]
	s_cbranch_execz .LBB224_103
; %bb.98:
	s_mov_b32 s12, 0x387fffff
	v_cmp_lt_u32_e32 vcc, s12, v6
                                        ; implicit-def: $vgpr4
	s_and_saveexec_b64 s[12:13], vcc
	s_xor_b64 s[12:13], exec, s[12:13]
; %bb.99:
	v_bfe_u32 v4, v3, 5, 1
	s_mov_b32 s14, 0x80fffff
	v_add3_u32 v4, v5, v4, s14
	v_lshrrev_b32_e32 v4, 21, v4
                                        ; implicit-def: $vgpr5
; %bb.100:
	s_andn2_saveexec_b64 s[12:13], s[12:13]
; %bb.101:
	s_mov_b32 s14, 0x43000000
	v_add_f32_e64 v4, |v5|, s14
; %bb.102:
	s_or_b64 exec, exec, s[12:13]
                                        ; implicit-def: $vgpr6
.LBB224_103:
	s_andn2_saveexec_b64 s[10:11], s[10:11]
; %bb.104:
	s_mov_b32 s12, 0x7f800000
	v_mov_b32_e32 v4, 0x7c
	v_mov_b32_e32 v5, 0x7f
	v_cmp_lt_u32_e32 vcc, s12, v6
	v_cndmask_b32_e32 v4, v4, v5, vcc
; %bb.105:
	s_or_b64 exec, exec, s[10:11]
	v_lshrrev_b32_e32 v3, 8, v3
	s_movk_i32 s10, 0x80
	v_and_or_b32 v3, v3, s10, v4
	global_store_byte v[0:1], v3, off
.LBB224_106:
	s_mov_b64 s[12:13], 0
	s_mov_b64 s[10:11], -1
.LBB224_107:
	s_andn2_b64 vcc, exec, s[12:13]
	s_cbranch_vccnz .LBB224_115
; %bb.108:
	s_cmp_gt_i32 s17, 14
	s_mov_b64 s[12:13], -1
	s_cbranch_scc0 .LBB224_112
; %bb.109:
	s_cmp_eq_u32 s17, 15
	s_mov_b64 s[2:3], -1
	s_cbranch_scc0 .LBB224_111
; %bb.110:
	global_store_short v[0:1], v2, off
	s_mov_b64 s[10:11], -1
	s_mov_b64 s[2:3], 0
.LBB224_111:
	s_mov_b64 s[12:13], 0
.LBB224_112:
	s_and_b64 vcc, exec, s[12:13]
	s_cbranch_vccz .LBB224_115
; %bb.113:
	s_cmp_eq_u32 s17, 11
	s_mov_b64 s[2:3], -1
	s_cbranch_scc0 .LBB224_115
; %bb.114:
	v_and_b32_e32 v3, 0x7fff, v2
	v_cmp_ne_u16_e32 vcc, 0, v3
	v_cndmask_b32_e64 v3, 0, 1, vcc
	s_mov_b64 s[10:11], -1
	s_mov_b64 s[2:3], 0
	global_store_byte v[0:1], v3, off
.LBB224_115:
	s_branch .LBB224_34
.LBB224_116:
	s_and_b32 s12, 0xffff, s16
	s_cmp_lt_i32 s12, 5
	s_mov_b64 s[10:11], -1
	s_cbranch_scc1 .LBB224_137
; %bb.117:
	s_cmp_lt_i32 s12, 8
	s_cbranch_scc1 .LBB224_127
; %bb.118:
	s_cmp_lt_i32 s12, 9
	s_cbranch_scc1 .LBB224_124
; %bb.119:
	s_cmp_gt_i32 s12, 9
	s_cbranch_scc0 .LBB224_121
; %bb.120:
	v_lshlrev_b32_e32 v3, 16, v2
	v_cvt_f64_f32_e32 v[3:4], v3
	v_mov_b32_e32 v5, 0
	v_mov_b32_e32 v6, v5
	s_mov_b64 s[10:11], 0
	global_store_dwordx4 v[0:1], v[3:6], off
.LBB224_121:
	s_andn2_b64 vcc, exec, s[10:11]
	s_cbranch_vccnz .LBB224_123
; %bb.122:
	v_lshlrev_b32_e32 v3, 16, v2
	v_mov_b32_e32 v4, 0
	global_store_dwordx2 v[0:1], v[3:4], off
.LBB224_123:
	s_mov_b64 s[10:11], 0
.LBB224_124:
	s_andn2_b64 vcc, exec, s[10:11]
	s_cbranch_vccnz .LBB224_126
; %bb.125:
	v_lshlrev_b32_e32 v3, 16, v2
	v_cvt_f16_f32_e32 v3, v3
	global_store_dword v[0:1], v3, off
.LBB224_126:
	s_mov_b64 s[10:11], 0
.LBB224_127:
	s_andn2_b64 vcc, exec, s[10:11]
	s_cbranch_vccnz .LBB224_136
; %bb.128:
	s_cmp_lt_i32 s12, 6
	s_mov_b64 s[10:11], -1
	s_cbranch_scc1 .LBB224_134
; %bb.129:
	s_cmp_gt_i32 s12, 6
	s_cbranch_scc0 .LBB224_131
; %bb.130:
	v_lshlrev_b32_e32 v3, 16, v2
	v_cvt_f64_f32_e32 v[3:4], v3
	s_mov_b64 s[10:11], 0
	global_store_dwordx2 v[0:1], v[3:4], off
.LBB224_131:
	s_andn2_b64 vcc, exec, s[10:11]
	s_cbranch_vccnz .LBB224_133
; %bb.132:
	v_lshlrev_b32_e32 v3, 16, v2
	global_store_dword v[0:1], v3, off
.LBB224_133:
	s_mov_b64 s[10:11], 0
.LBB224_134:
	s_andn2_b64 vcc, exec, s[10:11]
	s_cbranch_vccnz .LBB224_136
; %bb.135:
	v_lshlrev_b32_e32 v3, 16, v2
	v_cvt_f16_f32_e32 v3, v3
	global_store_short v[0:1], v3, off
.LBB224_136:
	s_mov_b64 s[10:11], 0
.LBB224_137:
	s_andn2_b64 vcc, exec, s[10:11]
	s_cbranch_vccnz .LBB224_153
; %bb.138:
	s_cmp_lt_i32 s12, 2
	s_mov_b64 s[10:11], -1
	s_cbranch_scc1 .LBB224_148
; %bb.139:
	s_cmp_lt_i32 s12, 3
	s_cbranch_scc1 .LBB224_145
; %bb.140:
	s_cmp_gt_i32 s12, 3
	s_cbranch_scc0 .LBB224_142
; %bb.141:
	v_lshlrev_b32_e32 v3, 16, v2
	v_trunc_f32_e32 v3, v3
	s_mov_b32 s10, 0x2f800000
	v_mul_f32_e64 v4, |v3|, s10
	v_floor_f32_e32 v4, v4
	s_mov_b32 s10, 0xcf800000
	v_cvt_u32_f32_e32 v5, v4
	v_fma_f32 v4, v4, s10, |v3|
	v_cvt_u32_f32_e32 v4, v4
	v_ashrrev_i32_e32 v6, 31, v3
	v_xor_b32_e32 v5, v5, v6
	s_mov_b64 s[10:11], 0
	v_xor_b32_e32 v3, v4, v6
	v_sub_co_u32_e32 v3, vcc, v3, v6
	v_subb_co_u32_e32 v4, vcc, v5, v6, vcc
	global_store_dwordx2 v[0:1], v[3:4], off
.LBB224_142:
	s_andn2_b64 vcc, exec, s[10:11]
	s_cbranch_vccnz .LBB224_144
; %bb.143:
	v_lshlrev_b32_e32 v3, 16, v2
	v_cvt_i32_f32_e32 v3, v3
	global_store_dword v[0:1], v3, off
.LBB224_144:
	s_mov_b64 s[10:11], 0
.LBB224_145:
	s_andn2_b64 vcc, exec, s[10:11]
	s_cbranch_vccnz .LBB224_147
; %bb.146:
	v_lshlrev_b32_e32 v3, 16, v2
	v_cvt_i32_f32_e32 v3, v3
	global_store_short v[0:1], v3, off
.LBB224_147:
	s_mov_b64 s[10:11], 0
.LBB224_148:
	s_andn2_b64 vcc, exec, s[10:11]
	s_cbranch_vccnz .LBB224_153
; %bb.149:
	s_cmp_gt_i32 s12, 0
	s_mov_b64 s[10:11], -1
	s_cbranch_scc0 .LBB224_151
; %bb.150:
	v_lshlrev_b32_e32 v3, 16, v2
	v_cvt_i32_f32_e32 v3, v3
	s_mov_b64 s[10:11], 0
	global_store_byte v[0:1], v3, off
.LBB224_151:
	s_andn2_b64 vcc, exec, s[10:11]
	s_cbranch_vccnz .LBB224_153
; %bb.152:
	v_lshlrev_b32_e32 v2, 16, v2
	v_trunc_f32_e32 v2, v2
	s_mov_b32 s10, 0x2f800000
	v_mul_f32_e64 v3, |v2|, s10
	v_floor_f32_e32 v3, v3
	s_mov_b32 s10, 0xcf800000
	v_fma_f32 v3, v3, s10, |v2|
	v_cvt_u32_f32_e32 v3, v3
	v_ashrrev_i32_e32 v2, 31, v2
	v_xor_b32_e32 v3, v3, v2
	v_sub_u32_e32 v2, v3, v2
	global_store_byte v[0:1], v2, off
.LBB224_153:
.LBB224_154:
	v_add_u32_e32 v8, 0x80, v8
	s_mov_b64 s[10:11], -1
	s_branch .LBB224_265
.LBB224_155:
	s_mov_b64 s[8:9], -1
                                        ; implicit-def: $vgpr3
.LBB224_156:
	s_mov_b64 s[10:11], 0
.LBB224_157:
	s_and_b64 vcc, exec, s[10:11]
	s_cbranch_vccz .LBB224_161
; %bb.158:
	s_cmp_eq_u32 s14, 29
	s_cbranch_scc0 .LBB224_160
; %bb.159:
	global_load_dwordx2 v[3:4], v[1:2], off
	s_movk_i32 s8, 0x7fff
	s_mov_b64 s[2:3], -1
	s_mov_b64 s[10:11], 0
	s_waitcnt vmcnt(0)
	v_ffbh_u32_e32 v5, v4
	v_min_u32_e32 v5, 32, v5
	v_lshlrev_b64 v[3:4], v5, v[3:4]
	v_min_u32_e32 v3, 1, v3
	v_or_b32_e32 v3, v4, v3
	v_cvt_f32_u32_e32 v3, v3
	v_sub_u32_e32 v4, 32, v5
	v_ldexp_f32 v3, v3, v4
	v_bfe_u32 v4, v3, 16, 1
	v_add3_u32 v3, v3, v4, s8
	v_lshrrev_b32_e32 v3, 16, v3
	s_mov_b64 s[8:9], 0
	s_branch .LBB224_162
.LBB224_160:
	s_mov_b64 s[8:9], -1
                                        ; implicit-def: $vgpr3
.LBB224_161:
	s_mov_b64 s[10:11], 0
.LBB224_162:
	s_and_b64 vcc, exec, s[10:11]
	s_cbranch_vccz .LBB224_180
; %bb.163:
	s_cmp_lt_i32 s14, 27
	s_cbranch_scc1 .LBB224_166
; %bb.164:
	s_cmp_gt_i32 s14, 27
	s_cbranch_scc0 .LBB224_167
; %bb.165:
	global_load_dword v3, v[1:2], off
	s_movk_i32 s2, 0x7fff
	s_waitcnt vmcnt(0)
	v_cvt_f32_u32_e32 v3, v3
	v_bfe_u32 v4, v3, 16, 1
	v_add3_u32 v3, v3, v4, s2
	v_lshrrev_b32_e32 v3, 16, v3
	s_mov_b64 s[2:3], 0
	s_branch .LBB224_168
.LBB224_166:
	s_mov_b64 s[2:3], -1
                                        ; implicit-def: $vgpr3
	s_branch .LBB224_171
.LBB224_167:
	s_mov_b64 s[2:3], -1
                                        ; implicit-def: $vgpr3
.LBB224_168:
	s_andn2_b64 vcc, exec, s[2:3]
	s_cbranch_vccnz .LBB224_170
; %bb.169:
	global_load_ushort v3, v[1:2], off
	s_movk_i32 s2, 0x7fff
	s_waitcnt vmcnt(0)
	v_cvt_f32_u32_e32 v3, v3
	v_bfe_u32 v4, v3, 16, 1
	v_add3_u32 v3, v3, v4, s2
	v_lshrrev_b32_e32 v3, 16, v3
.LBB224_170:
	s_mov_b64 s[2:3], 0
.LBB224_171:
	s_andn2_b64 vcc, exec, s[2:3]
	s_cbranch_vccnz .LBB224_179
; %bb.172:
	global_load_ubyte v3, v[1:2], off
	s_movk_i32 s2, 0x7f
	s_waitcnt vmcnt(0)
	v_cmp_lt_i16_e32 vcc, s2, v3
	s_mov_b64 s[2:3], 0
	s_and_saveexec_b64 s[10:11], vcc
	s_xor_b64 s[10:11], exec, s[10:11]
	s_cbranch_execz .LBB224_192
; %bb.173:
	s_movk_i32 s2, 0x80
	v_cmp_eq_u16_e32 vcc, s2, v3
	s_mov_b64 s[2:3], -1
	s_and_saveexec_b64 s[12:13], vcc
; %bb.174:
	s_xor_b64 s[2:3], exec, -1
; %bb.175:
	s_or_b64 exec, exec, s[12:13]
	s_and_b64 s[2:3], s[2:3], exec
	s_or_saveexec_b64 s[10:11], s[10:11]
	v_mov_b32_e32 v4, 0x7f800001
	s_xor_b64 exec, exec, s[10:11]
	s_cbranch_execnz .LBB224_193
.LBB224_176:
	s_or_b64 exec, exec, s[10:11]
	s_and_saveexec_b64 s[10:11], s[2:3]
	s_cbranch_execz .LBB224_178
.LBB224_177:
	v_lshlrev_b32_e32 v4, 24, v3
	v_and_b32_e32 v3, 0xffff, v3
	v_and_b32_e32 v5, 7, v3
	v_ffbh_u32_e32 v7, v5
	v_min_u32_e32 v7, 32, v7
	v_subrev_u32_e32 v9, 28, v7
	v_bfe_u32 v6, v3, 3, 4
	v_lshlrev_b32_e32 v3, v9, v3
	v_sub_u32_e32 v7, 29, v7
	v_and_b32_e32 v3, 7, v3
	v_cmp_eq_u32_e32 vcc, 0, v6
	v_cndmask_b32_e32 v6, v6, v7, vcc
	v_cndmask_b32_e32 v3, v5, v3, vcc
	v_mov_b32_e32 v5, 0x3b800000
	v_lshlrev_b32_e32 v3, 20, v3
	v_and_b32_e32 v4, 0x80000000, v4
	v_lshl_add_u32 v5, v6, 23, v5
	v_or3_b32 v4, v4, v5, v3
.LBB224_178:
	s_or_b64 exec, exec, s[10:11]
	v_bfe_u32 v3, v4, 16, 1
	s_movk_i32 s2, 0x7fff
	v_add3_u32 v3, v4, v3, s2
	v_cmp_o_f32_e32 vcc, v4, v4
	v_mov_b32_e32 v4, 0x7fc0
	v_cndmask_b32_sdwa v3, v4, v3, vcc dst_sel:DWORD dst_unused:UNUSED_PAD src0_sel:DWORD src1_sel:WORD_1
.LBB224_179:
	s_mov_b64 s[2:3], -1
.LBB224_180:
	s_branch .LBB224_215
.LBB224_181:
	s_cmp_gt_i32 s14, 22
	s_cbranch_scc0 .LBB224_191
; %bb.182:
	s_cmp_lt_i32 s14, 24
	s_cbranch_scc1 .LBB224_194
; %bb.183:
	s_cmp_gt_i32 s14, 24
	s_cbranch_scc0 .LBB224_195
; %bb.184:
	global_load_ubyte v3, v[1:2], off
	s_movk_i32 s2, 0x7f
	s_waitcnt vmcnt(0)
	v_cmp_lt_i16_e32 vcc, s2, v3
	s_mov_b64 s[2:3], 0
	s_and_saveexec_b64 s[10:11], vcc
	s_xor_b64 s[10:11], exec, s[10:11]
	s_cbranch_execz .LBB224_207
; %bb.185:
	s_movk_i32 s2, 0x80
	v_cmp_eq_u16_e32 vcc, s2, v3
	s_mov_b64 s[2:3], -1
	s_and_saveexec_b64 s[12:13], vcc
; %bb.186:
	s_xor_b64 s[2:3], exec, -1
; %bb.187:
	s_or_b64 exec, exec, s[12:13]
	s_and_b64 s[2:3], s[2:3], exec
	s_or_saveexec_b64 s[10:11], s[10:11]
	v_mov_b32_e32 v4, 0x7f800001
	s_xor_b64 exec, exec, s[10:11]
	s_cbranch_execnz .LBB224_208
.LBB224_188:
	s_or_b64 exec, exec, s[10:11]
	s_and_saveexec_b64 s[10:11], s[2:3]
	s_cbranch_execz .LBB224_190
.LBB224_189:
	v_lshlrev_b32_e32 v4, 24, v3
	v_and_b32_e32 v3, 0xffff, v3
	v_and_b32_e32 v5, 3, v3
	v_ffbh_u32_e32 v7, v5
	v_min_u32_e32 v7, 32, v7
	v_subrev_u32_e32 v9, 29, v7
	v_bfe_u32 v6, v3, 2, 5
	v_lshlrev_b32_e32 v3, v9, v3
	v_sub_u32_e32 v7, 30, v7
	v_and_b32_e32 v3, 3, v3
	v_cmp_eq_u32_e32 vcc, 0, v6
	v_cndmask_b32_e32 v6, v6, v7, vcc
	v_cndmask_b32_e32 v3, v5, v3, vcc
	v_mov_b32_e32 v5, 0x37800000
	v_lshlrev_b32_e32 v3, 21, v3
	v_and_b32_e32 v4, 0x80000000, v4
	v_lshl_add_u32 v5, v6, 23, v5
	v_or3_b32 v4, v4, v5, v3
.LBB224_190:
	s_or_b64 exec, exec, s[10:11]
	v_bfe_u32 v3, v4, 16, 1
	s_movk_i32 s2, 0x7fff
	v_add3_u32 v3, v4, v3, s2
	v_cmp_o_f32_e32 vcc, v4, v4
	v_mov_b32_e32 v4, 0x7fc0
	v_cndmask_b32_sdwa v3, v4, v3, vcc dst_sel:DWORD dst_unused:UNUSED_PAD src0_sel:DWORD src1_sel:WORD_1
	s_mov_b64 s[2:3], 0
	s_branch .LBB224_196
.LBB224_191:
	s_mov_b64 s[10:11], -1
                                        ; implicit-def: $vgpr3
	s_branch .LBB224_202
.LBB224_192:
	s_or_saveexec_b64 s[10:11], s[10:11]
	v_mov_b32_e32 v4, 0x7f800001
	s_xor_b64 exec, exec, s[10:11]
	s_cbranch_execz .LBB224_176
.LBB224_193:
	v_cmp_ne_u16_e32 vcc, 0, v3
	s_andn2_b64 s[2:3], s[2:3], exec
	s_and_b64 s[12:13], vcc, exec
	v_mov_b32_e32 v4, 0
	s_or_b64 s[2:3], s[2:3], s[12:13]
	s_or_b64 exec, exec, s[10:11]
	s_and_saveexec_b64 s[10:11], s[2:3]
	s_cbranch_execnz .LBB224_177
	s_branch .LBB224_178
.LBB224_194:
	s_mov_b64 s[2:3], -1
                                        ; implicit-def: $vgpr3
	s_branch .LBB224_199
.LBB224_195:
	s_mov_b64 s[2:3], -1
                                        ; implicit-def: $vgpr3
.LBB224_196:
	s_and_b64 vcc, exec, s[2:3]
	s_cbranch_vccz .LBB224_198
; %bb.197:
	global_load_ubyte v3, v[1:2], off
	s_mov_b32 s2, 0x7f800000
	s_brev_b32 s3, 1
	s_movk_i32 s10, 0x7fff
	s_waitcnt vmcnt(0)
	v_lshlrev_b32_e32 v3, 24, v3
	v_and_b32_e32 v4, 0x7f000000, v3
	v_ffbh_u32_e32 v5, v4
	v_min_u32_e32 v5, 32, v5
	v_sub_u32_e64 v5, v5, 4 clamp
	v_lshlrev_b32_e32 v7, v5, v4
	v_lshlrev_b32_e32 v5, 23, v5
	v_lshrrev_b32_e32 v7, 4, v7
	v_add_u32_e32 v6, 0x1000000, v4
	v_sub_u32_e32 v5, v7, v5
	v_ashrrev_i32_e32 v6, 8, v6
	v_add_u32_e32 v5, 0x3c000000, v5
	v_and_or_b32 v5, v6, s2, v5
	v_cmp_ne_u32_e32 vcc, 0, v4
	v_cndmask_b32_e32 v4, 0, v5, vcc
	v_and_or_b32 v3, v3, s3, v4
	v_bfe_u32 v4, v4, 16, 1
	v_add3_u32 v4, v3, v4, s10
	v_cmp_o_f32_e32 vcc, v3, v3
	v_mov_b32_e32 v3, 0x7fc0
	v_cndmask_b32_sdwa v3, v3, v4, vcc dst_sel:DWORD dst_unused:UNUSED_PAD src0_sel:DWORD src1_sel:WORD_1
.LBB224_198:
	s_mov_b64 s[2:3], 0
.LBB224_199:
	s_andn2_b64 vcc, exec, s[2:3]
	s_cbranch_vccnz .LBB224_201
; %bb.200:
	global_load_ubyte v3, v[1:2], off
	s_movk_i32 s2, 0x7f00
	s_brev_b32 s3, 16
	s_brev_b32 s10, 1
	s_movk_i32 s11, 0x7fff
	s_waitcnt vmcnt(0)
	v_lshlrev_b16_e32 v4, 8, v3
	v_lshlrev_b32_e32 v3, 25, v3
	v_lshrrev_b32_e32 v5, 4, v3
	v_and_or_b32 v6, v4, s2, 0.5
	v_or_b32_e32 v5, 0x70000000, v5
	v_add_f32_e32 v6, -0.5, v6
	v_mul_f32_e32 v5, 0x7800000, v5
	v_cmp_gt_u32_e32 vcc, s3, v3
	v_bfe_i32 v4, v4, 0, 16
	v_cndmask_b32_e32 v3, v5, v6, vcc
	v_and_or_b32 v4, v4, s10, v3
	v_bfe_u32 v3, v3, 16, 1
	v_add3_u32 v3, v4, v3, s11
	v_cmp_o_f32_e32 vcc, v4, v4
	v_mov_b32_e32 v4, 0x7fc0
	v_cndmask_b32_sdwa v3, v4, v3, vcc dst_sel:DWORD dst_unused:UNUSED_PAD src0_sel:DWORD src1_sel:WORD_1
.LBB224_201:
	s_mov_b64 s[10:11], 0
	s_mov_b64 s[2:3], -1
.LBB224_202:
	s_andn2_b64 vcc, exec, s[10:11]
	s_cbranch_vccnz .LBB224_215
; %bb.203:
	s_cmp_gt_i32 s14, 14
	s_cbranch_scc0 .LBB224_206
; %bb.204:
	s_cmp_eq_u32 s14, 15
	s_cbranch_scc0 .LBB224_209
; %bb.205:
	global_load_ushort v3, v[1:2], off
	s_mov_b64 s[2:3], -1
	s_mov_b64 s[8:9], 0
	s_branch .LBB224_210
.LBB224_206:
	s_mov_b64 s[10:11], -1
                                        ; implicit-def: $vgpr3
	s_branch .LBB224_211
.LBB224_207:
	s_or_saveexec_b64 s[10:11], s[10:11]
	v_mov_b32_e32 v4, 0x7f800001
	s_xor_b64 exec, exec, s[10:11]
	s_cbranch_execz .LBB224_188
.LBB224_208:
	v_cmp_ne_u16_e32 vcc, 0, v3
	s_andn2_b64 s[2:3], s[2:3], exec
	s_and_b64 s[12:13], vcc, exec
	v_mov_b32_e32 v4, 0
	s_or_b64 s[2:3], s[2:3], s[12:13]
	s_or_b64 exec, exec, s[10:11]
	s_and_saveexec_b64 s[10:11], s[2:3]
	s_cbranch_execnz .LBB224_189
	s_branch .LBB224_190
.LBB224_209:
	s_mov_b64 s[8:9], -1
                                        ; implicit-def: $vgpr3
.LBB224_210:
	s_mov_b64 s[10:11], 0
.LBB224_211:
	s_and_b64 vcc, exec, s[10:11]
	s_cbranch_vccz .LBB224_215
; %bb.212:
	s_cmp_eq_u32 s14, 11
	s_cbranch_scc0 .LBB224_214
; %bb.213:
	global_load_ubyte v3, v[1:2], off
	s_mov_b64 s[2:3], -1
	s_mov_b64 s[8:9], 0
	s_waitcnt vmcnt(0)
	v_cmp_ne_u16_e32 vcc, 0, v3
	v_cndmask_b32_e64 v3, 0, 1.0, vcc
	v_lshrrev_b32_e32 v3, 16, v3
	s_branch .LBB224_215
.LBB224_214:
	s_mov_b64 s[8:9], -1
                                        ; implicit-def: $vgpr3
.LBB224_215:
	s_branch .LBB224_24
.LBB224_216:
	s_cmp_lt_i32 s14, 5
	s_cbranch_scc1 .LBB224_221
; %bb.217:
	s_cmp_lt_i32 s14, 8
	s_cbranch_scc1 .LBB224_222
; %bb.218:
	;; [unrolled: 3-line block ×3, first 2 shown]
	s_cmp_gt_i32 s14, 9
	s_cbranch_scc0 .LBB224_224
; %bb.220:
	global_load_dwordx2 v[3:4], v[1:2], off
	s_movk_i32 s2, 0x7fff
	s_waitcnt vmcnt(0)
	v_cvt_f32_f64_e32 v3, v[3:4]
	v_mov_b32_e32 v4, 0x7fc0
	v_bfe_u32 v5, v3, 16, 1
	v_cmp_o_f32_e32 vcc, v3, v3
	v_add3_u32 v3, v3, v5, s2
	v_cndmask_b32_sdwa v3, v4, v3, vcc dst_sel:DWORD dst_unused:UNUSED_PAD src0_sel:DWORD src1_sel:WORD_1
	s_mov_b64 s[2:3], 0
	s_branch .LBB224_225
.LBB224_221:
                                        ; implicit-def: $vgpr3
	s_branch .LBB224_243
.LBB224_222:
	s_mov_b64 s[2:3], -1
                                        ; implicit-def: $vgpr3
	s_branch .LBB224_231
.LBB224_223:
	s_mov_b64 s[2:3], -1
                                        ; implicit-def: $vgpr3
	s_branch .LBB224_228
.LBB224_224:
	s_mov_b64 s[2:3], -1
                                        ; implicit-def: $vgpr3
.LBB224_225:
	s_andn2_b64 vcc, exec, s[2:3]
	s_cbranch_vccnz .LBB224_227
; %bb.226:
	global_load_dword v3, v[1:2], off
	s_movk_i32 s2, 0x7fff
	v_mov_b32_e32 v4, 0x7fc0
	s_waitcnt vmcnt(0)
	v_bfe_u32 v5, v3, 16, 1
	v_cmp_o_f32_e32 vcc, v3, v3
	v_add3_u32 v3, v3, v5, s2
	v_cndmask_b32_sdwa v3, v4, v3, vcc dst_sel:DWORD dst_unused:UNUSED_PAD src0_sel:DWORD src1_sel:WORD_1
.LBB224_227:
	s_mov_b64 s[2:3], 0
.LBB224_228:
	s_andn2_b64 vcc, exec, s[2:3]
	s_cbranch_vccnz .LBB224_230
; %bb.229:
	global_load_dword v3, v[1:2], off
	s_movk_i32 s2, 0x7fff
	v_mov_b32_e32 v5, 0x7fc0
	s_waitcnt vmcnt(0)
	v_cvt_f32_f16_e32 v4, v3
	v_cmp_o_f16_e32 vcc, v3, v3
	v_bfe_u32 v3, v4, 16, 1
	v_add3_u32 v3, v4, v3, s2
	v_cndmask_b32_sdwa v3, v5, v3, vcc dst_sel:DWORD dst_unused:UNUSED_PAD src0_sel:DWORD src1_sel:WORD_1
.LBB224_230:
	s_mov_b64 s[2:3], 0
.LBB224_231:
	s_andn2_b64 vcc, exec, s[2:3]
	s_cbranch_vccnz .LBB224_242
; %bb.232:
	s_cmp_lt_i32 s14, 6
	s_cbranch_scc1 .LBB224_235
; %bb.233:
	s_cmp_gt_i32 s14, 6
	s_cbranch_scc0 .LBB224_236
; %bb.234:
	global_load_dwordx2 v[3:4], v[1:2], off
	s_movk_i32 s2, 0x7fff
	s_waitcnt vmcnt(0)
	v_cvt_f32_f64_e32 v3, v[3:4]
	v_mov_b32_e32 v4, 0x7fc0
	v_bfe_u32 v5, v3, 16, 1
	v_cmp_o_f32_e32 vcc, v3, v3
	v_add3_u32 v3, v3, v5, s2
	v_cndmask_b32_sdwa v3, v4, v3, vcc dst_sel:DWORD dst_unused:UNUSED_PAD src0_sel:DWORD src1_sel:WORD_1
	s_mov_b64 s[2:3], 0
	s_branch .LBB224_237
.LBB224_235:
	s_mov_b64 s[2:3], -1
                                        ; implicit-def: $vgpr3
	s_branch .LBB224_240
.LBB224_236:
	s_mov_b64 s[2:3], -1
                                        ; implicit-def: $vgpr3
.LBB224_237:
	s_andn2_b64 vcc, exec, s[2:3]
	s_cbranch_vccnz .LBB224_239
; %bb.238:
	global_load_dword v3, v[1:2], off
	s_movk_i32 s2, 0x7fff
	v_mov_b32_e32 v4, 0x7fc0
	s_waitcnt vmcnt(0)
	v_bfe_u32 v5, v3, 16, 1
	v_cmp_o_f32_e32 vcc, v3, v3
	v_add3_u32 v3, v3, v5, s2
	v_cndmask_b32_sdwa v3, v4, v3, vcc dst_sel:DWORD dst_unused:UNUSED_PAD src0_sel:DWORD src1_sel:WORD_1
.LBB224_239:
	s_mov_b64 s[2:3], 0
.LBB224_240:
	s_andn2_b64 vcc, exec, s[2:3]
	s_cbranch_vccnz .LBB224_242
; %bb.241:
	global_load_ushort v3, v[1:2], off
	s_movk_i32 s2, 0x7fff
	v_mov_b32_e32 v5, 0x7fc0
	s_waitcnt vmcnt(0)
	v_cvt_f32_f16_e32 v4, v3
	v_cmp_o_f16_e32 vcc, v3, v3
	v_bfe_u32 v3, v4, 16, 1
	v_add3_u32 v3, v4, v3, s2
	v_cndmask_b32_sdwa v3, v5, v3, vcc dst_sel:DWORD dst_unused:UNUSED_PAD src0_sel:DWORD src1_sel:WORD_1
.LBB224_242:
	s_cbranch_execnz .LBB224_262
.LBB224_243:
	s_cmp_lt_i32 s14, 2
	s_cbranch_scc1 .LBB224_247
; %bb.244:
	s_cmp_lt_i32 s14, 3
	s_cbranch_scc1 .LBB224_248
; %bb.245:
	s_cmp_gt_i32 s14, 3
	s_cbranch_scc0 .LBB224_249
; %bb.246:
	global_load_dwordx2 v[3:4], v[1:2], off
	s_movk_i32 s2, 0x7fff
	s_waitcnt vmcnt(0)
	v_xor_b32_e32 v6, v3, v4
	v_ffbh_i32_e32 v5, v4
	v_ashrrev_i32_e32 v6, 31, v6
	v_add_u32_e32 v5, -1, v5
	v_add_u32_e32 v6, 32, v6
	v_min_u32_e32 v5, v5, v6
	v_lshlrev_b64 v[3:4], v5, v[3:4]
	v_min_u32_e32 v3, 1, v3
	v_or_b32_e32 v3, v4, v3
	v_cvt_f32_i32_e32 v3, v3
	v_sub_u32_e32 v4, 32, v5
	v_ldexp_f32 v3, v3, v4
	v_bfe_u32 v4, v3, 16, 1
	v_add3_u32 v3, v3, v4, s2
	v_lshrrev_b32_e32 v3, 16, v3
	s_mov_b64 s[2:3], 0
	s_branch .LBB224_250
.LBB224_247:
	s_mov_b64 s[2:3], -1
                                        ; implicit-def: $vgpr3
	s_branch .LBB224_256
.LBB224_248:
	s_mov_b64 s[2:3], -1
                                        ; implicit-def: $vgpr3
	s_branch .LBB224_253
.LBB224_249:
	s_mov_b64 s[2:3], -1
                                        ; implicit-def: $vgpr3
.LBB224_250:
	s_andn2_b64 vcc, exec, s[2:3]
	s_cbranch_vccnz .LBB224_252
; %bb.251:
	global_load_dword v3, v[1:2], off
	s_movk_i32 s2, 0x7fff
	s_waitcnt vmcnt(0)
	v_cvt_f32_i32_e32 v3, v3
	v_bfe_u32 v4, v3, 16, 1
	v_add3_u32 v3, v3, v4, s2
	v_lshrrev_b32_e32 v3, 16, v3
.LBB224_252:
	s_mov_b64 s[2:3], 0
.LBB224_253:
	s_andn2_b64 vcc, exec, s[2:3]
	s_cbranch_vccnz .LBB224_255
; %bb.254:
	global_load_sshort v3, v[1:2], off
	s_movk_i32 s2, 0x7fff
	s_waitcnt vmcnt(0)
	v_cvt_f32_i32_e32 v3, v3
	v_bfe_u32 v4, v3, 16, 1
	v_add3_u32 v3, v3, v4, s2
	v_lshrrev_b32_e32 v3, 16, v3
.LBB224_255:
	s_mov_b64 s[2:3], 0
.LBB224_256:
	s_andn2_b64 vcc, exec, s[2:3]
	s_cbranch_vccnz .LBB224_262
; %bb.257:
	s_cmp_gt_i32 s14, 0
	s_cbranch_scc0 .LBB224_259
; %bb.258:
	global_load_sbyte v3, v[1:2], off
	s_movk_i32 s2, 0x7fff
	s_waitcnt vmcnt(0)
	v_cvt_f32_i32_e32 v3, v3
	v_bfe_u32 v4, v3, 16, 1
	v_add3_u32 v3, v3, v4, s2
	v_lshrrev_b32_e32 v3, 16, v3
	s_mov_b64 s[2:3], 0
	s_branch .LBB224_260
.LBB224_259:
	s_mov_b64 s[2:3], -1
                                        ; implicit-def: $vgpr3
.LBB224_260:
	s_andn2_b64 vcc, exec, s[2:3]
	s_cbranch_vccnz .LBB224_262
; %bb.261:
	global_load_ubyte v1, v[1:2], off
	s_movk_i32 s2, 0x7fff
	s_waitcnt vmcnt(0)
	v_cvt_f32_ubyte0_e32 v1, v1
	v_bfe_u32 v2, v1, 16, 1
	v_add3_u32 v1, v1, v2, s2
	v_lshrrev_b32_e32 v3, 16, v1
.LBB224_262:
	s_branch .LBB224_25
.LBB224_263:
	s_mov_b64 s[2:3], 0
.LBB224_264:
	s_mov_b64 s[10:11], 0
                                        ; implicit-def: $vgpr8
.LBB224_265:
	s_and_b64 s[56:57], s[2:3], exec
	s_and_b64 s[58:59], s[8:9], exec
	s_orn2_b64 s[2:3], s[10:11], exec
.LBB224_266:
	s_or_b64 exec, exec, s[60:61]
	s_mov_b64 s[12:13], 0
	s_mov_b64 s[10:11], 0
                                        ; implicit-def: $vgpr1_vgpr2
                                        ; implicit-def: $vgpr0
                                        ; implicit-def: $vgpr4
	s_and_saveexec_b64 s[60:61], s[2:3]
	s_cbranch_execz .LBB224_273
; %bb.267:
	v_cmp_gt_i32_e32 vcc, s72, v8
	s_mov_b64 s[2:3], -1
	s_mov_b64 s[62:63], s[58:59]
	s_mov_b64 s[64:65], s[56:57]
	s_and_saveexec_b64 s[66:67], vcc
	s_cbranch_execz .LBB224_542
; %bb.268:
	s_andn2_b64 vcc, exec, s[44:45]
	s_cbranch_vccnz .LBB224_276
; %bb.269:
	s_andn2_b64 vcc, exec, s[54:55]
	s_cbranch_vccnz .LBB224_277
; %bb.270:
	s_add_i32 s65, s78, 1
	s_cmp_eq_u32 s74, 2
	s_cbranch_scc1 .LBB224_278
; %bb.271:
	s_and_b32 s64, s65, 28
	v_mov_b32_e32 v2, 0
	s_mov_b32 s68, 0
	s_mov_b64 s[2:3], s[34:35]
	s_mov_b64 s[62:63], s[52:53]
	v_mov_b32_e32 v0, 0
	v_mov_b32_e32 v1, v8
.LBB224_272:                            ; =>This Inner Loop Header: Depth=1
	s_load_dwordx8 s[16:23], s[2:3], 0x4
	s_load_dwordx4 s[40:43], s[2:3], 0x24
	s_load_dwordx8 s[8:15], s[62:63], 0x0
	s_add_u32 s2, s2, 48
	s_addc_u32 s3, s3, 0
	s_waitcnt vmcnt(0) lgkmcnt(0)
	v_mul_hi_u32 v3, s17, v1
	s_add_i32 s68, s68, 4
	s_add_u32 s62, s62, 32
	s_addc_u32 s63, s63, 0
	v_add_u32_e32 v3, v1, v3
	v_lshrrev_b32_e32 v3, s18, v3
	v_mul_lo_u32 v4, v3, s16
	v_mul_hi_u32 v5, s20, v3
	s_cmp_eq_u32 s64, s68
	v_sub_u32_e32 v1, v1, v4
	v_add_u32_e32 v4, v3, v5
	v_mul_lo_u32 v5, v1, s8
	v_mul_lo_u32 v6, v1, s9
	v_lshrrev_b32_e32 v1, s21, v4
	v_mul_lo_u32 v4, v1, s19
	v_mul_hi_u32 v7, s23, v1
	v_sub_u32_e32 v3, v3, v4
	v_add_u32_e32 v4, v1, v7
	v_lshrrev_b32_e32 v4, s40, v4
	v_mul_hi_u32 v9, s42, v4
	v_mul_lo_u32 v10, v4, s22
	v_mul_lo_u32 v7, v3, s10
	;; [unrolled: 1-line block ×3, first 2 shown]
	v_sub_u32_e32 v10, v1, v10
	v_add_u32_e32 v1, v4, v9
	v_lshrrev_b32_e32 v1, s43, v1
	v_mul_lo_u32 v9, v1, s41
	v_mul_lo_u32 v11, v10, s12
	;; [unrolled: 1-line block ×3, first 2 shown]
	v_add3_u32 v0, v5, v0, v7
	v_sub_u32_e32 v4, v4, v9
	v_mul_lo_u32 v9, v4, s14
	v_mul_lo_u32 v4, v4, s15
	v_add3_u32 v2, v6, v2, v3
	v_add3_u32 v0, v11, v0, v9
	;; [unrolled: 1-line block ×3, first 2 shown]
	s_cbranch_scc0 .LBB224_272
	s_branch .LBB224_279
.LBB224_273:
	s_or_b64 exec, exec, s[60:61]
	s_mov_b64 s[2:3], 0
	s_and_saveexec_b64 s[8:9], s[58:59]
	s_cbranch_execnz .LBB224_918
.LBB224_274:
	s_or_b64 exec, exec, s[8:9]
	s_and_saveexec_b64 s[8:9], s[64:65]
	s_xor_b64 s[8:9], exec, s[8:9]
	s_cbranch_execz .LBB224_919
.LBB224_275:
	global_load_ubyte v3, v[1:2], off
	s_or_b64 s[10:11], s[10:11], exec
	s_waitcnt vmcnt(0)
	v_cmp_ne_u16_e32 vcc, 0, v3
	v_cndmask_b32_e64 v3, 0, 1.0, vcc
	v_lshrrev_b32_e32 v4, 16, v3
	s_or_b64 exec, exec, s[8:9]
	s_and_saveexec_b64 s[8:9], s[12:13]
	s_cbranch_execz .LBB224_965
	s_branch .LBB224_920
.LBB224_276:
                                        ; implicit-def: $vgpr0
                                        ; implicit-def: $vgpr2
	s_andn2_b64 vcc, exec, s[2:3]
	s_cbranch_vccz .LBB224_283
	s_branch .LBB224_285
.LBB224_277:
	v_mov_b32_e32 v0, 0
	v_mov_b32_e32 v2, 0
	s_branch .LBB224_282
.LBB224_278:
	s_mov_b32 s64, 0
	v_mov_b32_e32 v0, 0
	v_mov_b32_e32 v2, 0
	;; [unrolled: 1-line block ×3, first 2 shown]
.LBB224_279:
	s_and_b32 s10, s65, 3
	s_cmp_eq_u32 s10, 0
	s_cbranch_scc1 .LBB224_282
; %bb.280:
	s_lshl_b32 s2, s64, 3
	s_add_u32 s2, s34, s2
	s_addc_u32 s3, s35, 0
	s_add_u32 s2, s2, 0xc4
	s_addc_u32 s3, s3, 0
	s_mul_i32 s8, s64, 12
	s_add_u32 s8, s34, s8
	s_addc_u32 s9, s35, 0
.LBB224_281:                            ; =>This Inner Loop Header: Depth=1
	s_load_dwordx2 s[12:13], s[8:9], 0x4
	s_load_dword s11, s[8:9], 0xc
	s_load_dwordx2 s[14:15], s[2:3], 0x0
	s_add_u32 s8, s8, 12
	s_addc_u32 s9, s9, 0
	s_waitcnt vmcnt(0) lgkmcnt(0)
	v_mul_hi_u32 v3, s13, v1
	s_add_u32 s2, s2, 8
	s_addc_u32 s3, s3, 0
	s_add_i32 s10, s10, -1
	v_add_u32_e32 v3, v1, v3
	v_lshrrev_b32_e32 v4, s11, v3
	v_mul_lo_u32 v3, v4, s12
	s_cmp_lg_u32 s10, 0
	v_sub_u32_e32 v3, v1, v3
	v_mad_u64_u32 v[0:1], s[12:13], v3, s14, v[0:1]
	v_mad_u64_u32 v[2:3], s[12:13], v3, s15, v[2:3]
	v_mov_b32_e32 v1, v4
	s_cbranch_scc1 .LBB224_281
.LBB224_282:
	s_cbranch_execnz .LBB224_285
.LBB224_283:
	v_mul_hi_u32 v0, s29, v8
	s_andn2_b64 vcc, exec, s[50:51]
	v_add_u32_e32 v0, v8, v0
	v_lshrrev_b32_e32 v1, s30, v0
	v_mul_lo_u32 v0, v1, s28
	v_sub_u32_e32 v2, v8, v0
	v_mul_lo_u32 v0, v2, s36
	v_mul_lo_u32 v2, v2, s37
	s_cbranch_vccnz .LBB224_285
; %bb.284:
	s_waitcnt vmcnt(0)
	v_mul_hi_u32 v3, s48, v1
	v_add_u32_e32 v3, v1, v3
	v_lshrrev_b32_e32 v3, s49, v3
	v_mul_lo_u32 v3, v3, s31
	v_sub_u32_e32 v3, v1, v3
	v_mad_u64_u32 v[0:1], s[2:3], v3, s38, v[0:1]
	v_mad_u64_u32 v[2:3], s[2:3], v3, s39, v[2:3]
.LBB224_285:
	s_waitcnt vmcnt(0)
	v_mov_b32_e32 v3, s27
	s_and_b32 s14, 0xffff, s77
	v_add_co_u32_e32 v1, vcc, s26, v2
	s_cmp_lt_i32 s14, 11
	v_addc_co_u32_e32 v2, vcc, 0, v3, vcc
	s_cbranch_scc1 .LBB224_292
; %bb.286:
	s_cmp_gt_i32 s14, 25
	s_cbranch_scc0 .LBB224_301
; %bb.287:
	s_cmp_gt_i32 s14, 28
	s_cbranch_scc0 .LBB224_303
	;; [unrolled: 3-line block ×4, first 2 shown]
; %bb.290:
	s_cmp_eq_u32 s14, 46
	s_mov_b64 s[10:11], 0
	s_cbranch_scc0 .LBB224_313
; %bb.291:
	global_load_dword v3, v[1:2], off
	s_mov_b64 s[2:3], -1
	s_mov_b64 s[8:9], 0
	s_branch .LBB224_314
.LBB224_292:
	s_mov_b64 s[2:3], 0
                                        ; implicit-def: $vgpr3
	s_mov_b64 s[8:9], s[58:59]
	s_cbranch_execnz .LBB224_491
.LBB224_293:
	s_andn2_b64 vcc, exec, s[2:3]
	s_cbranch_vccnz .LBB224_539
.LBB224_294:
	v_mov_b32_e32 v1, s75
	s_waitcnt vmcnt(0)
	v_cndmask_b32_e64 v2, v3, v1, s[0:1]
	s_and_b32 s16, s76, 0xff
	v_mov_b32_e32 v1, s25
	v_add_co_u32_e32 v0, vcc, s24, v0
	s_cmp_lt_i32 s16, 11
	v_addc_co_u32_e32 v1, vcc, 0, v1, vcc
	s_cbranch_scc1 .LBB224_302
; %bb.295:
	s_and_b32 s17, 0xffff, s16
	s_cmp_gt_i32 s17, 25
	s_cbranch_scc0 .LBB224_304
; %bb.296:
	s_cmp_gt_i32 s17, 28
	s_cbranch_scc0 .LBB224_306
; %bb.297:
	;; [unrolled: 3-line block ×4, first 2 shown]
	s_mov_b64 s[12:13], 0
	s_mov_b64 s[2:3], -1
	s_cmp_eq_u32 s17, 46
	s_mov_b64 s[10:11], 0
	s_cbranch_scc0 .LBB224_318
; %bb.300:
	v_and_b32_e32 v3, 0xffff, v2
	global_store_dword v[0:1], v3, off
	s_mov_b64 s[10:11], -1
	s_mov_b64 s[2:3], 0
	s_branch .LBB224_318
.LBB224_301:
	s_mov_b64 s[10:11], -1
	s_mov_b64 s[2:3], 0
	s_mov_b64 s[8:9], s[58:59]
                                        ; implicit-def: $vgpr3
	s_branch .LBB224_455
.LBB224_302:
	s_mov_b64 s[12:13], -1
	s_mov_b64 s[10:11], 0
	s_mov_b64 s[2:3], s[56:57]
	s_branch .LBB224_387
.LBB224_303:
	s_mov_b64 s[10:11], -1
	s_mov_b64 s[2:3], 0
	s_mov_b64 s[8:9], s[58:59]
                                        ; implicit-def: $vgpr3
	s_branch .LBB224_436
.LBB224_304:
	s_mov_b64 s[12:13], -1
	s_mov_b64 s[10:11], 0
	s_mov_b64 s[2:3], s[56:57]
	s_branch .LBB224_345
.LBB224_305:
	s_mov_b64 s[10:11], -1
	s_mov_b64 s[2:3], 0
	s_mov_b64 s[8:9], s[58:59]
                                        ; implicit-def: $vgpr3
	s_branch .LBB224_431
.LBB224_306:
	s_mov_b64 s[12:13], -1
	s_mov_b64 s[10:11], 0
	s_mov_b64 s[2:3], s[56:57]
	s_branch .LBB224_328
.LBB224_307:
	s_andn2_saveexec_b64 s[14:15], s[14:15]
	s_cbranch_execz .LBB224_68
.LBB224_308:
	s_mov_b32 s18, 0x46000000
	v_add_f32_e64 v4, |v5|, s18
	v_and_b32_e32 v4, 0xff, v4
	v_cmp_ne_u32_e32 vcc, 0, v4
	s_andn2_b64 s[12:13], s[12:13], exec
	s_and_b64 s[18:19], vcc, exec
	s_or_b64 s[12:13], s[12:13], s[18:19]
	s_or_b64 exec, exec, s[14:15]
	v_mov_b32_e32 v6, 0
	s_and_saveexec_b64 s[14:15], s[12:13]
	s_cbranch_execnz .LBB224_69
	s_branch .LBB224_70
.LBB224_309:
	s_mov_b64 s[10:11], -1
	s_mov_b64 s[2:3], 0
	s_mov_b64 s[8:9], s[58:59]
                                        ; implicit-def: $vgpr3
	s_branch .LBB224_314
.LBB224_310:
	s_mov_b64 s[12:13], -1
	s_mov_b64 s[10:11], 0
	s_mov_b64 s[2:3], s[56:57]
	s_branch .LBB224_324
.LBB224_311:
	s_andn2_saveexec_b64 s[14:15], s[14:15]
	s_cbranch_execz .LBB224_81
.LBB224_312:
	s_mov_b32 s18, 0x42800000
	v_add_f32_e64 v4, |v5|, s18
	v_and_b32_e32 v4, 0xff, v4
	v_cmp_ne_u32_e32 vcc, 0, v4
	s_andn2_b64 s[12:13], s[12:13], exec
	s_and_b64 s[18:19], vcc, exec
	s_or_b64 s[12:13], s[12:13], s[18:19]
	s_or_b64 exec, exec, s[14:15]
	v_mov_b32_e32 v6, 0
	s_and_saveexec_b64 s[14:15], s[12:13]
	s_cbranch_execnz .LBB224_82
	s_branch .LBB224_83
.LBB224_313:
	s_mov_b64 s[8:9], -1
                                        ; implicit-def: $vgpr3
	s_mov_b64 s[2:3], 0
.LBB224_314:
	s_and_b64 vcc, exec, s[10:11]
	s_cbranch_vccz .LBB224_430
; %bb.315:
	s_cmp_eq_u32 s14, 44
	s_cbranch_scc0 .LBB224_429
; %bb.316:
	global_load_ubyte v3, v[1:2], off
	s_movk_i32 s8, 0xff
	v_mov_b32_e32 v4, 0x7f800001
	v_mov_b32_e32 v5, 0x400000
	;; [unrolled: 1-line block ×3, first 2 shown]
	s_mov_b64 s[2:3], -1
	s_waitcnt vmcnt(0)
	v_lshlrev_b32_e32 v7, 23, v3
	v_cmp_ne_u32_e32 vcc, s8, v3
	v_cndmask_b32_e32 v4, v4, v7, vcc
	v_cmp_ne_u32_e32 vcc, 0, v3
	v_cndmask_b32_e32 v3, v5, v4, vcc
	v_add_u32_e32 v4, 0x7fff, v3
	v_cmp_o_f32_e32 vcc, v3, v3
	v_cndmask_b32_sdwa v3, v6, v4, vcc dst_sel:DWORD dst_unused:UNUSED_PAD src0_sel:DWORD src1_sel:WORD_1
	s_mov_b64 s[8:9], 0
	s_branch .LBB224_430
.LBB224_317:
	s_mov_b64 s[12:13], -1
	s_mov_b64 s[10:11], 0
	s_mov_b64 s[2:3], s[56:57]
.LBB224_318:
	s_and_b64 vcc, exec, s[12:13]
	s_cbranch_vccz .LBB224_323
; %bb.319:
	s_cmp_eq_u32 s17, 44
	s_mov_b64 s[2:3], -1
	s_cbranch_scc0 .LBB224_323
; %bb.320:
	v_and_b32_e32 v4, 0xffff, v2
	v_bfe_u32 v3, v4, 7, 8
	s_movk_i32 s2, 0xff
	v_cmp_ne_u32_e32 vcc, s2, v3
	v_mov_b32_e32 v5, 0xff
	s_and_saveexec_b64 s[10:11], vcc
	s_cbranch_execz .LBB224_322
; %bb.321:
	v_lshlrev_b32_e32 v6, 16, v4
	s_mov_b32 s2, 0x3f0000
	v_lshrrev_b32_e32 v5, 7, v4
	v_and_b32_e32 v4, 64, v4
	v_and_or_b32 v3, v6, s2, v3
	v_cmp_ne_u32_e32 vcc, 0, v4
	v_cmp_ne_u32_e64 s[2:3], 0, v3
	s_and_b64 s[2:3], vcc, s[2:3]
	v_cndmask_b32_e64 v3, 0, 1, s[2:3]
	v_add_u32_e32 v5, v5, v3
.LBB224_322:
	s_or_b64 exec, exec, s[10:11]
	s_mov_b64 s[10:11], -1
	s_mov_b64 s[2:3], 0
	global_store_byte v[0:1], v5, off
.LBB224_323:
	s_mov_b64 s[12:13], 0
.LBB224_324:
	s_and_b64 vcc, exec, s[12:13]
	s_cbranch_vccz .LBB224_327
; %bb.325:
	s_cmp_eq_u32 s17, 29
	s_mov_b64 s[2:3], -1
	s_cbranch_scc0 .LBB224_327
; %bb.326:
	v_lshlrev_b32_e32 v3, 16, v2
	v_trunc_f32_e32 v3, v3
	v_mul_f32_e32 v4, 0x2f800000, v3
	v_floor_f32_e32 v5, v4
	v_fmac_f32_e32 v3, 0xcf800000, v5
	v_cvt_u32_f32_e32 v4, v5
	v_cvt_u32_f32_e32 v3, v3
	s_mov_b64 s[10:11], -1
	s_mov_b64 s[2:3], 0
	s_mov_b64 s[12:13], 0
	global_store_dwordx2 v[0:1], v[3:4], off
	s_branch .LBB224_328
.LBB224_327:
	s_mov_b64 s[12:13], 0
.LBB224_328:
	s_and_b64 vcc, exec, s[12:13]
	s_cbranch_vccz .LBB224_344
; %bb.329:
	s_cmp_lt_i32 s17, 27
	s_mov_b64 s[10:11], -1
	s_cbranch_scc1 .LBB224_335
; %bb.330:
	s_cmp_gt_i32 s17, 27
	s_cbranch_scc0 .LBB224_332
; %bb.331:
	v_lshlrev_b32_e32 v3, 16, v2
	v_cvt_u32_f32_e32 v3, v3
	s_mov_b64 s[10:11], 0
	global_store_dword v[0:1], v3, off
.LBB224_332:
	s_andn2_b64 vcc, exec, s[10:11]
	s_cbranch_vccnz .LBB224_334
; %bb.333:
	v_lshlrev_b32_e32 v3, 16, v2
	v_cvt_u32_f32_e32 v3, v3
	global_store_short v[0:1], v3, off
.LBB224_334:
	s_mov_b64 s[10:11], 0
.LBB224_335:
	s_andn2_b64 vcc, exec, s[10:11]
	s_cbranch_vccnz .LBB224_343
; %bb.336:
	v_lshlrev_b32_e32 v5, 16, v2
	v_and_b32_e32 v4, 0x7fffffff, v5
	s_mov_b32 s10, 0x43800000
	v_cmp_gt_u32_e32 vcc, s10, v4
	v_mov_b32_e32 v6, 0x80
	s_and_saveexec_b64 s[10:11], vcc
	s_cbranch_execz .LBB224_342
; %bb.337:
	s_mov_b32 s12, 0x3bffffff
	v_and_b32_e32 v3, 0xffff, v2
	v_cmp_lt_u32_e32 vcc, s12, v4
	s_mov_b64 s[12:13], 0
                                        ; implicit-def: $vgpr4
	s_and_saveexec_b64 s[14:15], vcc
	s_xor_b64 s[14:15], exec, s[14:15]
	s_cbranch_execz .LBB224_570
; %bb.338:
	v_bfe_u32 v4, v3, 4, 1
	s_mov_b32 s18, 0x487ffff
	v_add3_u32 v4, v5, v4, s18
	s_mov_b64 s[12:13], exec
	v_lshrrev_b32_e32 v4, 20, v4
                                        ; implicit-def: $vgpr5
	s_andn2_saveexec_b64 s[14:15], s[14:15]
	s_cbranch_execnz .LBB224_571
.LBB224_339:
	s_or_b64 exec, exec, s[14:15]
	v_mov_b32_e32 v6, 0
	s_and_saveexec_b64 s[14:15], s[12:13]
.LBB224_340:
	v_lshrrev_b32_e32 v3, 8, v3
	s_movk_i32 s12, 0x80
	v_and_or_b32 v6, v3, s12, v4
.LBB224_341:
	s_or_b64 exec, exec, s[14:15]
.LBB224_342:
	s_or_b64 exec, exec, s[10:11]
	global_store_byte v[0:1], v6, off
.LBB224_343:
	s_mov_b64 s[10:11], -1
.LBB224_344:
	s_mov_b64 s[12:13], 0
.LBB224_345:
	s_and_b64 vcc, exec, s[12:13]
	s_cbranch_vccz .LBB224_386
; %bb.346:
	s_cmp_gt_i32 s17, 22
	s_mov_b64 s[12:13], -1
	s_cbranch_scc0 .LBB224_378
; %bb.347:
	s_cmp_lt_i32 s17, 24
	s_mov_b64 s[10:11], -1
	s_cbranch_scc1 .LBB224_367
; %bb.348:
	s_cmp_gt_i32 s17, 24
	s_cbranch_scc0 .LBB224_356
; %bb.349:
	v_lshlrev_b32_e32 v5, 16, v2
	v_and_b32_e32 v4, 0x7fffffff, v5
	s_mov_b32 s10, 0x47800000
	v_cmp_gt_u32_e32 vcc, s10, v4
	v_mov_b32_e32 v6, 0x80
	s_and_saveexec_b64 s[10:11], vcc
	s_cbranch_execz .LBB224_355
; %bb.350:
	s_mov_b32 s12, 0x37ffffff
	v_and_b32_e32 v3, 0xffff, v2
	v_cmp_lt_u32_e32 vcc, s12, v4
	s_mov_b64 s[12:13], 0
                                        ; implicit-def: $vgpr4
	s_and_saveexec_b64 s[14:15], vcc
	s_xor_b64 s[14:15], exec, s[14:15]
	s_cbranch_execz .LBB224_573
; %bb.351:
	v_bfe_u32 v4, v3, 5, 1
	s_mov_b32 s18, 0x88fffff
	v_add3_u32 v4, v5, v4, s18
	s_mov_b64 s[12:13], exec
	v_lshrrev_b32_e32 v4, 21, v4
                                        ; implicit-def: $vgpr5
	s_andn2_saveexec_b64 s[14:15], s[14:15]
	s_cbranch_execnz .LBB224_574
.LBB224_352:
	s_or_b64 exec, exec, s[14:15]
	v_mov_b32_e32 v6, 0
	s_and_saveexec_b64 s[14:15], s[12:13]
.LBB224_353:
	v_lshrrev_b32_e32 v3, 8, v3
	s_movk_i32 s12, 0x80
	v_and_or_b32 v6, v3, s12, v4
.LBB224_354:
	s_or_b64 exec, exec, s[14:15]
.LBB224_355:
	s_or_b64 exec, exec, s[10:11]
	s_mov_b64 s[10:11], 0
	global_store_byte v[0:1], v6, off
.LBB224_356:
	s_and_b64 vcc, exec, s[10:11]
	s_cbranch_vccz .LBB224_366
; %bb.357:
	v_lshlrev_b32_e32 v5, 16, v2
	v_and_b32_e32 v6, 0x7fffffff, v5
	s_mov_b32 s10, 0x43f00000
	v_and_b32_e32 v3, 0xffff, v2
	v_cmp_gt_u32_e32 vcc, s10, v6
                                        ; implicit-def: $vgpr4
	s_and_saveexec_b64 s[10:11], vcc
	s_xor_b64 s[10:11], exec, s[10:11]
	s_cbranch_execz .LBB224_363
; %bb.358:
	s_mov_b32 s12, 0x3c7fffff
	v_cmp_lt_u32_e32 vcc, s12, v6
                                        ; implicit-def: $vgpr4
	s_and_saveexec_b64 s[12:13], vcc
	s_xor_b64 s[12:13], exec, s[12:13]
; %bb.359:
	v_bfe_u32 v4, v3, 4, 1
	s_mov_b32 s14, 0x407ffff
	v_add3_u32 v4, v5, v4, s14
	v_lshrrev_b32_e32 v5, 20, v4
	v_and_b32_e32 v4, 0xff00000, v4
	s_mov_b32 s14, 0x7f00000
	v_mov_b32_e32 v6, 0x7e
	v_cmp_ne_u32_e32 vcc, s14, v4
	v_cndmask_b32_e32 v4, v6, v5, vcc
                                        ; implicit-def: $vgpr5
; %bb.360:
	s_andn2_saveexec_b64 s[12:13], s[12:13]
; %bb.361:
	s_mov_b32 s14, 0x46800000
	v_add_f32_e64 v4, |v5|, s14
; %bb.362:
	s_or_b64 exec, exec, s[12:13]
                                        ; implicit-def: $vgpr6
.LBB224_363:
	s_andn2_saveexec_b64 s[10:11], s[10:11]
; %bb.364:
	s_mov_b32 s12, 0x7f800000
	v_mov_b32_e32 v4, 0x7e
	v_mov_b32_e32 v5, 0x7f
	v_cmp_lt_u32_e32 vcc, s12, v6
	v_cndmask_b32_e32 v4, v4, v5, vcc
; %bb.365:
	s_or_b64 exec, exec, s[10:11]
	v_lshrrev_b32_e32 v3, 8, v3
	s_movk_i32 s10, 0x80
	v_and_or_b32 v3, v3, s10, v4
	global_store_byte v[0:1], v3, off
.LBB224_366:
	s_mov_b64 s[10:11], 0
.LBB224_367:
	s_andn2_b64 vcc, exec, s[10:11]
	s_cbranch_vccnz .LBB224_377
; %bb.368:
	v_lshlrev_b32_e32 v5, 16, v2
	v_and_b32_e32 v6, 0x7fffffff, v5
	s_mov_b32 s10, 0x47800000
	v_and_b32_e32 v3, 0xffff, v2
	v_cmp_gt_u32_e32 vcc, s10, v6
                                        ; implicit-def: $vgpr4
	s_and_saveexec_b64 s[10:11], vcc
	s_xor_b64 s[10:11], exec, s[10:11]
	s_cbranch_execz .LBB224_374
; %bb.369:
	s_mov_b32 s12, 0x387fffff
	v_cmp_lt_u32_e32 vcc, s12, v6
                                        ; implicit-def: $vgpr4
	s_and_saveexec_b64 s[12:13], vcc
	s_xor_b64 s[12:13], exec, s[12:13]
; %bb.370:
	v_bfe_u32 v4, v3, 5, 1
	s_mov_b32 s14, 0x80fffff
	v_add3_u32 v4, v5, v4, s14
	v_lshrrev_b32_e32 v4, 21, v4
                                        ; implicit-def: $vgpr5
; %bb.371:
	s_andn2_saveexec_b64 s[12:13], s[12:13]
; %bb.372:
	s_mov_b32 s14, 0x43000000
	v_add_f32_e64 v4, |v5|, s14
; %bb.373:
	s_or_b64 exec, exec, s[12:13]
                                        ; implicit-def: $vgpr6
.LBB224_374:
	s_andn2_saveexec_b64 s[10:11], s[10:11]
; %bb.375:
	s_mov_b32 s12, 0x7f800000
	v_mov_b32_e32 v4, 0x7c
	v_mov_b32_e32 v5, 0x7f
	v_cmp_lt_u32_e32 vcc, s12, v6
	v_cndmask_b32_e32 v4, v4, v5, vcc
; %bb.376:
	s_or_b64 exec, exec, s[10:11]
	v_lshrrev_b32_e32 v3, 8, v3
	s_movk_i32 s10, 0x80
	v_and_or_b32 v3, v3, s10, v4
	global_store_byte v[0:1], v3, off
.LBB224_377:
	s_mov_b64 s[12:13], 0
	s_mov_b64 s[10:11], -1
.LBB224_378:
	s_andn2_b64 vcc, exec, s[12:13]
	s_cbranch_vccnz .LBB224_386
; %bb.379:
	s_cmp_gt_i32 s17, 14
	s_mov_b64 s[12:13], -1
	s_cbranch_scc0 .LBB224_383
; %bb.380:
	s_cmp_eq_u32 s17, 15
	s_mov_b64 s[2:3], -1
	s_cbranch_scc0 .LBB224_382
; %bb.381:
	global_store_short v[0:1], v2, off
	s_mov_b64 s[10:11], -1
	s_mov_b64 s[2:3], 0
.LBB224_382:
	s_mov_b64 s[12:13], 0
.LBB224_383:
	s_and_b64 vcc, exec, s[12:13]
	s_cbranch_vccz .LBB224_386
; %bb.384:
	s_cmp_eq_u32 s17, 11
	s_mov_b64 s[2:3], -1
	s_cbranch_scc0 .LBB224_386
; %bb.385:
	v_and_b32_e32 v3, 0x7fff, v2
	v_cmp_ne_u16_e32 vcc, 0, v3
	v_cndmask_b32_e64 v3, 0, 1, vcc
	s_mov_b64 s[10:11], -1
	s_mov_b64 s[2:3], 0
	global_store_byte v[0:1], v3, off
.LBB224_386:
	s_mov_b64 s[12:13], 0
.LBB224_387:
	s_and_b64 vcc, exec, s[12:13]
	s_cbranch_vccz .LBB224_426
; %bb.388:
	s_and_b32 s12, 0xffff, s16
	s_cmp_lt_i32 s12, 5
	s_mov_b64 s[10:11], -1
	s_cbranch_scc1 .LBB224_409
; %bb.389:
	s_cmp_lt_i32 s12, 8
	s_cbranch_scc1 .LBB224_399
; %bb.390:
	s_cmp_lt_i32 s12, 9
	s_cbranch_scc1 .LBB224_396
; %bb.391:
	s_cmp_gt_i32 s12, 9
	s_cbranch_scc0 .LBB224_393
; %bb.392:
	v_lshlrev_b32_e32 v3, 16, v2
	v_cvt_f64_f32_e32 v[3:4], v3
	v_mov_b32_e32 v5, 0
	v_mov_b32_e32 v6, v5
	s_mov_b64 s[10:11], 0
	global_store_dwordx4 v[0:1], v[3:6], off
.LBB224_393:
	s_andn2_b64 vcc, exec, s[10:11]
	s_cbranch_vccnz .LBB224_395
; %bb.394:
	v_lshlrev_b32_e32 v3, 16, v2
	v_mov_b32_e32 v4, 0
	global_store_dwordx2 v[0:1], v[3:4], off
.LBB224_395:
	s_mov_b64 s[10:11], 0
.LBB224_396:
	s_andn2_b64 vcc, exec, s[10:11]
	s_cbranch_vccnz .LBB224_398
; %bb.397:
	v_lshlrev_b32_e32 v3, 16, v2
	v_cvt_f16_f32_e32 v3, v3
	global_store_dword v[0:1], v3, off
.LBB224_398:
	s_mov_b64 s[10:11], 0
.LBB224_399:
	s_andn2_b64 vcc, exec, s[10:11]
	s_cbranch_vccnz .LBB224_408
; %bb.400:
	s_cmp_lt_i32 s12, 6
	s_mov_b64 s[10:11], -1
	s_cbranch_scc1 .LBB224_406
; %bb.401:
	s_cmp_gt_i32 s12, 6
	s_cbranch_scc0 .LBB224_403
; %bb.402:
	v_lshlrev_b32_e32 v3, 16, v2
	v_cvt_f64_f32_e32 v[3:4], v3
	s_mov_b64 s[10:11], 0
	global_store_dwordx2 v[0:1], v[3:4], off
.LBB224_403:
	s_andn2_b64 vcc, exec, s[10:11]
	s_cbranch_vccnz .LBB224_405
; %bb.404:
	v_lshlrev_b32_e32 v3, 16, v2
	global_store_dword v[0:1], v3, off
.LBB224_405:
	s_mov_b64 s[10:11], 0
.LBB224_406:
	s_andn2_b64 vcc, exec, s[10:11]
	s_cbranch_vccnz .LBB224_408
; %bb.407:
	v_lshlrev_b32_e32 v3, 16, v2
	v_cvt_f16_f32_e32 v3, v3
	global_store_short v[0:1], v3, off
.LBB224_408:
	s_mov_b64 s[10:11], 0
.LBB224_409:
	s_andn2_b64 vcc, exec, s[10:11]
	s_cbranch_vccnz .LBB224_425
; %bb.410:
	s_cmp_lt_i32 s12, 2
	s_mov_b64 s[10:11], -1
	s_cbranch_scc1 .LBB224_420
; %bb.411:
	s_cmp_lt_i32 s12, 3
	s_cbranch_scc1 .LBB224_417
; %bb.412:
	s_cmp_gt_i32 s12, 3
	s_cbranch_scc0 .LBB224_414
; %bb.413:
	v_lshlrev_b32_e32 v3, 16, v2
	v_trunc_f32_e32 v3, v3
	s_mov_b32 s10, 0x2f800000
	v_mul_f32_e64 v4, |v3|, s10
	v_floor_f32_e32 v4, v4
	s_mov_b32 s10, 0xcf800000
	v_cvt_u32_f32_e32 v5, v4
	v_fma_f32 v4, v4, s10, |v3|
	v_cvt_u32_f32_e32 v4, v4
	v_ashrrev_i32_e32 v6, 31, v3
	v_xor_b32_e32 v5, v5, v6
	s_mov_b64 s[10:11], 0
	v_xor_b32_e32 v3, v4, v6
	v_sub_co_u32_e32 v3, vcc, v3, v6
	v_subb_co_u32_e32 v4, vcc, v5, v6, vcc
	global_store_dwordx2 v[0:1], v[3:4], off
.LBB224_414:
	s_andn2_b64 vcc, exec, s[10:11]
	s_cbranch_vccnz .LBB224_416
; %bb.415:
	v_lshlrev_b32_e32 v3, 16, v2
	v_cvt_i32_f32_e32 v3, v3
	global_store_dword v[0:1], v3, off
.LBB224_416:
	s_mov_b64 s[10:11], 0
.LBB224_417:
	s_andn2_b64 vcc, exec, s[10:11]
	s_cbranch_vccnz .LBB224_419
; %bb.418:
	v_lshlrev_b32_e32 v3, 16, v2
	v_cvt_i32_f32_e32 v3, v3
	global_store_short v[0:1], v3, off
.LBB224_419:
	s_mov_b64 s[10:11], 0
.LBB224_420:
	s_andn2_b64 vcc, exec, s[10:11]
	s_cbranch_vccnz .LBB224_425
; %bb.421:
	s_mov_b64 s[10:11], -1
	s_cmp_gt_i32 s12, 0
	v_lshlrev_b32_e32 v2, 16, v2
	s_cbranch_scc0 .LBB224_423
; %bb.422:
	v_cvt_i32_f32_e32 v3, v2
	s_mov_b64 s[10:11], 0
	global_store_byte v[0:1], v3, off
.LBB224_423:
	s_andn2_b64 vcc, exec, s[10:11]
	s_cbranch_vccnz .LBB224_425
; %bb.424:
	v_trunc_f32_e32 v2, v2
	s_mov_b32 s10, 0x2f800000
	v_mul_f32_e64 v3, |v2|, s10
	v_floor_f32_e32 v3, v3
	s_mov_b32 s10, 0xcf800000
	v_fma_f32 v3, v3, s10, |v2|
	v_cvt_u32_f32_e32 v3, v3
	v_ashrrev_i32_e32 v2, 31, v2
	v_xor_b32_e32 v3, v3, v2
	v_sub_u32_e32 v2, v3, v2
	global_store_byte v[0:1], v2, off
.LBB224_425:
	s_mov_b64 s[10:11], -1
.LBB224_426:
	s_andn2_b64 vcc, exec, s[10:11]
	s_cbranch_vccnz .LBB224_428
; %bb.427:
	v_add_u32_e32 v8, 0x80, v8
	s_mov_b64 s[10:11], -1
	s_branch .LBB224_541
.LBB224_428:
	s_mov_b64 s[10:11], 0
	s_branch .LBB224_540
.LBB224_429:
	s_mov_b64 s[8:9], -1
                                        ; implicit-def: $vgpr3
.LBB224_430:
	s_mov_b64 s[10:11], 0
.LBB224_431:
	s_and_b64 vcc, exec, s[10:11]
	s_cbranch_vccz .LBB224_435
; %bb.432:
	s_cmp_eq_u32 s14, 29
	s_cbranch_scc0 .LBB224_434
; %bb.433:
	global_load_dwordx2 v[3:4], v[1:2], off
	s_movk_i32 s8, 0x7fff
	s_mov_b64 s[2:3], -1
	s_mov_b64 s[10:11], 0
	s_waitcnt vmcnt(0)
	v_ffbh_u32_e32 v5, v4
	v_min_u32_e32 v5, 32, v5
	v_lshlrev_b64 v[3:4], v5, v[3:4]
	v_min_u32_e32 v3, 1, v3
	v_or_b32_e32 v3, v4, v3
	v_cvt_f32_u32_e32 v3, v3
	v_sub_u32_e32 v4, 32, v5
	v_ldexp_f32 v3, v3, v4
	v_bfe_u32 v4, v3, 16, 1
	v_add3_u32 v3, v3, v4, s8
	v_lshrrev_b32_e32 v3, 16, v3
	s_mov_b64 s[8:9], 0
	s_branch .LBB224_436
.LBB224_434:
	s_mov_b64 s[8:9], -1
                                        ; implicit-def: $vgpr3
.LBB224_435:
	s_mov_b64 s[10:11], 0
.LBB224_436:
	s_and_b64 vcc, exec, s[10:11]
	s_cbranch_vccz .LBB224_454
; %bb.437:
	s_cmp_lt_i32 s14, 27
	s_cbranch_scc1 .LBB224_440
; %bb.438:
	s_cmp_gt_i32 s14, 27
	s_cbranch_scc0 .LBB224_441
; %bb.439:
	global_load_dword v3, v[1:2], off
	s_movk_i32 s2, 0x7fff
	s_waitcnt vmcnt(0)
	v_cvt_f32_u32_e32 v3, v3
	v_bfe_u32 v4, v3, 16, 1
	v_add3_u32 v3, v3, v4, s2
	v_lshrrev_b32_e32 v3, 16, v3
	s_mov_b64 s[2:3], 0
	s_branch .LBB224_442
.LBB224_440:
	s_mov_b64 s[2:3], -1
                                        ; implicit-def: $vgpr3
	s_branch .LBB224_445
.LBB224_441:
	s_mov_b64 s[2:3], -1
                                        ; implicit-def: $vgpr3
.LBB224_442:
	s_andn2_b64 vcc, exec, s[2:3]
	s_cbranch_vccnz .LBB224_444
; %bb.443:
	global_load_ushort v3, v[1:2], off
	s_movk_i32 s2, 0x7fff
	s_waitcnt vmcnt(0)
	v_cvt_f32_u32_e32 v3, v3
	v_bfe_u32 v4, v3, 16, 1
	v_add3_u32 v3, v3, v4, s2
	v_lshrrev_b32_e32 v3, 16, v3
.LBB224_444:
	s_mov_b64 s[2:3], 0
.LBB224_445:
	s_andn2_b64 vcc, exec, s[2:3]
	s_cbranch_vccnz .LBB224_453
; %bb.446:
	global_load_ubyte v3, v[1:2], off
	s_movk_i32 s2, 0x7f
	s_waitcnt vmcnt(0)
	v_cmp_lt_i16_e32 vcc, s2, v3
	s_mov_b64 s[2:3], 0
	s_and_saveexec_b64 s[10:11], vcc
	s_xor_b64 s[10:11], exec, s[10:11]
	s_cbranch_execz .LBB224_467
; %bb.447:
	s_movk_i32 s2, 0x80
	v_cmp_eq_u16_e32 vcc, s2, v3
	s_mov_b64 s[2:3], -1
	s_and_saveexec_b64 s[12:13], vcc
; %bb.448:
	s_xor_b64 s[2:3], exec, -1
; %bb.449:
	s_or_b64 exec, exec, s[12:13]
	s_and_b64 s[2:3], s[2:3], exec
	s_or_saveexec_b64 s[10:11], s[10:11]
	v_mov_b32_e32 v4, 0x7f800001
	s_xor_b64 exec, exec, s[10:11]
	s_cbranch_execnz .LBB224_468
.LBB224_450:
	s_or_b64 exec, exec, s[10:11]
	s_and_saveexec_b64 s[10:11], s[2:3]
	s_cbranch_execz .LBB224_452
.LBB224_451:
	v_lshlrev_b32_e32 v4, 24, v3
	v_and_b32_e32 v3, 0xffff, v3
	v_and_b32_e32 v5, 7, v3
	v_ffbh_u32_e32 v7, v5
	v_min_u32_e32 v7, 32, v7
	v_subrev_u32_e32 v9, 28, v7
	v_bfe_u32 v6, v3, 3, 4
	v_lshlrev_b32_e32 v3, v9, v3
	v_sub_u32_e32 v7, 29, v7
	v_and_b32_e32 v3, 7, v3
	v_cmp_eq_u32_e32 vcc, 0, v6
	v_cndmask_b32_e32 v6, v6, v7, vcc
	v_cndmask_b32_e32 v3, v5, v3, vcc
	v_mov_b32_e32 v5, 0x3b800000
	v_lshlrev_b32_e32 v3, 20, v3
	v_and_b32_e32 v4, 0x80000000, v4
	v_lshl_add_u32 v5, v6, 23, v5
	v_or3_b32 v4, v4, v5, v3
.LBB224_452:
	s_or_b64 exec, exec, s[10:11]
	v_bfe_u32 v3, v4, 16, 1
	s_movk_i32 s2, 0x7fff
	v_add3_u32 v3, v4, v3, s2
	v_cmp_o_f32_e32 vcc, v4, v4
	v_mov_b32_e32 v4, 0x7fc0
	v_cndmask_b32_sdwa v3, v4, v3, vcc dst_sel:DWORD dst_unused:UNUSED_PAD src0_sel:DWORD src1_sel:WORD_1
.LBB224_453:
	s_mov_b64 s[2:3], -1
.LBB224_454:
	s_mov_b64 s[10:11], 0
.LBB224_455:
	s_and_b64 vcc, exec, s[10:11]
	s_cbranch_vccz .LBB224_490
; %bb.456:
	s_cmp_gt_i32 s14, 22
	s_cbranch_scc0 .LBB224_466
; %bb.457:
	s_cmp_lt_i32 s14, 24
	s_cbranch_scc1 .LBB224_469
; %bb.458:
	s_cmp_gt_i32 s14, 24
	s_cbranch_scc0 .LBB224_470
; %bb.459:
	global_load_ubyte v3, v[1:2], off
	s_movk_i32 s2, 0x7f
	s_waitcnt vmcnt(0)
	v_cmp_lt_i16_e32 vcc, s2, v3
	s_mov_b64 s[2:3], 0
	s_and_saveexec_b64 s[10:11], vcc
	s_xor_b64 s[10:11], exec, s[10:11]
	s_cbranch_execz .LBB224_482
; %bb.460:
	s_movk_i32 s2, 0x80
	v_cmp_eq_u16_e32 vcc, s2, v3
	s_mov_b64 s[2:3], -1
	s_and_saveexec_b64 s[12:13], vcc
; %bb.461:
	s_xor_b64 s[2:3], exec, -1
; %bb.462:
	s_or_b64 exec, exec, s[12:13]
	s_and_b64 s[2:3], s[2:3], exec
	s_or_saveexec_b64 s[10:11], s[10:11]
	v_mov_b32_e32 v4, 0x7f800001
	s_xor_b64 exec, exec, s[10:11]
	s_cbranch_execnz .LBB224_483
.LBB224_463:
	s_or_b64 exec, exec, s[10:11]
	s_and_saveexec_b64 s[10:11], s[2:3]
	s_cbranch_execz .LBB224_465
.LBB224_464:
	v_lshlrev_b32_e32 v4, 24, v3
	v_and_b32_e32 v3, 0xffff, v3
	v_and_b32_e32 v5, 3, v3
	v_ffbh_u32_e32 v7, v5
	v_min_u32_e32 v7, 32, v7
	v_subrev_u32_e32 v9, 29, v7
	v_bfe_u32 v6, v3, 2, 5
	v_lshlrev_b32_e32 v3, v9, v3
	v_sub_u32_e32 v7, 30, v7
	v_and_b32_e32 v3, 3, v3
	v_cmp_eq_u32_e32 vcc, 0, v6
	v_cndmask_b32_e32 v6, v6, v7, vcc
	v_cndmask_b32_e32 v3, v5, v3, vcc
	v_mov_b32_e32 v5, 0x37800000
	v_lshlrev_b32_e32 v3, 21, v3
	v_and_b32_e32 v4, 0x80000000, v4
	v_lshl_add_u32 v5, v6, 23, v5
	v_or3_b32 v4, v4, v5, v3
.LBB224_465:
	s_or_b64 exec, exec, s[10:11]
	v_bfe_u32 v3, v4, 16, 1
	s_movk_i32 s2, 0x7fff
	v_add3_u32 v3, v4, v3, s2
	v_cmp_o_f32_e32 vcc, v4, v4
	v_mov_b32_e32 v4, 0x7fc0
	v_cndmask_b32_sdwa v3, v4, v3, vcc dst_sel:DWORD dst_unused:UNUSED_PAD src0_sel:DWORD src1_sel:WORD_1
	s_mov_b64 s[2:3], 0
	s_branch .LBB224_471
.LBB224_466:
	s_mov_b64 s[10:11], -1
                                        ; implicit-def: $vgpr3
	s_branch .LBB224_477
.LBB224_467:
	s_or_saveexec_b64 s[10:11], s[10:11]
	v_mov_b32_e32 v4, 0x7f800001
	s_xor_b64 exec, exec, s[10:11]
	s_cbranch_execz .LBB224_450
.LBB224_468:
	v_cmp_ne_u16_e32 vcc, 0, v3
	s_andn2_b64 s[2:3], s[2:3], exec
	s_and_b64 s[12:13], vcc, exec
	v_mov_b32_e32 v4, 0
	s_or_b64 s[2:3], s[2:3], s[12:13]
	s_or_b64 exec, exec, s[10:11]
	s_and_saveexec_b64 s[10:11], s[2:3]
	s_cbranch_execnz .LBB224_451
	s_branch .LBB224_452
.LBB224_469:
	s_mov_b64 s[2:3], -1
                                        ; implicit-def: $vgpr3
	s_branch .LBB224_474
.LBB224_470:
	s_mov_b64 s[2:3], -1
                                        ; implicit-def: $vgpr3
.LBB224_471:
	s_and_b64 vcc, exec, s[2:3]
	s_cbranch_vccz .LBB224_473
; %bb.472:
	global_load_ubyte v3, v[1:2], off
	s_mov_b32 s2, 0x7f800000
	s_brev_b32 s3, 1
	s_movk_i32 s10, 0x7fff
	s_waitcnt vmcnt(0)
	v_lshlrev_b32_e32 v3, 24, v3
	v_and_b32_e32 v4, 0x7f000000, v3
	v_ffbh_u32_e32 v5, v4
	v_min_u32_e32 v5, 32, v5
	v_sub_u32_e64 v5, v5, 4 clamp
	v_lshlrev_b32_e32 v7, v5, v4
	v_lshlrev_b32_e32 v5, 23, v5
	v_lshrrev_b32_e32 v7, 4, v7
	v_add_u32_e32 v6, 0x1000000, v4
	v_sub_u32_e32 v5, v7, v5
	v_ashrrev_i32_e32 v6, 8, v6
	v_add_u32_e32 v5, 0x3c000000, v5
	v_and_or_b32 v5, v6, s2, v5
	v_cmp_ne_u32_e32 vcc, 0, v4
	v_cndmask_b32_e32 v4, 0, v5, vcc
	v_and_or_b32 v3, v3, s3, v4
	v_bfe_u32 v4, v4, 16, 1
	v_add3_u32 v4, v3, v4, s10
	v_cmp_o_f32_e32 vcc, v3, v3
	v_mov_b32_e32 v3, 0x7fc0
	v_cndmask_b32_sdwa v3, v3, v4, vcc dst_sel:DWORD dst_unused:UNUSED_PAD src0_sel:DWORD src1_sel:WORD_1
.LBB224_473:
	s_mov_b64 s[2:3], 0
.LBB224_474:
	s_andn2_b64 vcc, exec, s[2:3]
	s_cbranch_vccnz .LBB224_476
; %bb.475:
	global_load_ubyte v3, v[1:2], off
	s_movk_i32 s2, 0x7f00
	s_brev_b32 s3, 16
	s_brev_b32 s10, 1
	s_movk_i32 s11, 0x7fff
	s_waitcnt vmcnt(0)
	v_lshlrev_b16_e32 v4, 8, v3
	v_lshlrev_b32_e32 v3, 25, v3
	v_lshrrev_b32_e32 v5, 4, v3
	v_and_or_b32 v6, v4, s2, 0.5
	v_or_b32_e32 v5, 0x70000000, v5
	v_add_f32_e32 v6, -0.5, v6
	v_mul_f32_e32 v5, 0x7800000, v5
	v_cmp_gt_u32_e32 vcc, s3, v3
	v_bfe_i32 v4, v4, 0, 16
	v_cndmask_b32_e32 v3, v5, v6, vcc
	v_and_or_b32 v4, v4, s10, v3
	v_bfe_u32 v3, v3, 16, 1
	v_add3_u32 v3, v4, v3, s11
	v_cmp_o_f32_e32 vcc, v4, v4
	v_mov_b32_e32 v4, 0x7fc0
	v_cndmask_b32_sdwa v3, v4, v3, vcc dst_sel:DWORD dst_unused:UNUSED_PAD src0_sel:DWORD src1_sel:WORD_1
.LBB224_476:
	s_mov_b64 s[10:11], 0
	s_mov_b64 s[2:3], -1
.LBB224_477:
	s_andn2_b64 vcc, exec, s[10:11]
	s_cbranch_vccnz .LBB224_490
; %bb.478:
	s_cmp_gt_i32 s14, 14
	s_cbranch_scc0 .LBB224_481
; %bb.479:
	s_cmp_eq_u32 s14, 15
	s_cbranch_scc0 .LBB224_484
; %bb.480:
	global_load_ushort v3, v[1:2], off
	s_mov_b64 s[2:3], -1
	s_mov_b64 s[8:9], 0
	s_branch .LBB224_485
.LBB224_481:
	s_mov_b64 s[10:11], -1
                                        ; implicit-def: $vgpr3
	s_branch .LBB224_486
.LBB224_482:
	s_or_saveexec_b64 s[10:11], s[10:11]
	v_mov_b32_e32 v4, 0x7f800001
	s_xor_b64 exec, exec, s[10:11]
	s_cbranch_execz .LBB224_463
.LBB224_483:
	v_cmp_ne_u16_e32 vcc, 0, v3
	s_andn2_b64 s[2:3], s[2:3], exec
	s_and_b64 s[12:13], vcc, exec
	v_mov_b32_e32 v4, 0
	s_or_b64 s[2:3], s[2:3], s[12:13]
	s_or_b64 exec, exec, s[10:11]
	s_and_saveexec_b64 s[10:11], s[2:3]
	s_cbranch_execnz .LBB224_464
	s_branch .LBB224_465
.LBB224_484:
	s_mov_b64 s[8:9], -1
                                        ; implicit-def: $vgpr3
.LBB224_485:
	s_mov_b64 s[10:11], 0
.LBB224_486:
	s_and_b64 vcc, exec, s[10:11]
	s_cbranch_vccz .LBB224_490
; %bb.487:
	s_cmp_eq_u32 s14, 11
	s_cbranch_scc0 .LBB224_489
; %bb.488:
	global_load_ubyte v3, v[1:2], off
	s_mov_b64 s[2:3], -1
	s_mov_b64 s[8:9], 0
	s_waitcnt vmcnt(0)
	v_cmp_ne_u16_e32 vcc, 0, v3
	v_cndmask_b32_e64 v3, 0, 1.0, vcc
	v_lshrrev_b32_e32 v3, 16, v3
	s_branch .LBB224_490
.LBB224_489:
	s_mov_b64 s[8:9], -1
                                        ; implicit-def: $vgpr3
.LBB224_490:
	s_branch .LBB224_293
.LBB224_491:
	s_cmp_lt_i32 s14, 5
	s_cbranch_scc1 .LBB224_496
; %bb.492:
	s_cmp_lt_i32 s14, 8
	s_cbranch_scc1 .LBB224_497
; %bb.493:
	;; [unrolled: 3-line block ×3, first 2 shown]
	s_cmp_gt_i32 s14, 9
	s_cbranch_scc0 .LBB224_499
; %bb.495:
	global_load_dwordx2 v[3:4], v[1:2], off
	s_movk_i32 s2, 0x7fff
	s_waitcnt vmcnt(0)
	v_cvt_f32_f64_e32 v3, v[3:4]
	v_mov_b32_e32 v4, 0x7fc0
	v_bfe_u32 v5, v3, 16, 1
	v_cmp_o_f32_e32 vcc, v3, v3
	v_add3_u32 v3, v3, v5, s2
	v_cndmask_b32_sdwa v3, v4, v3, vcc dst_sel:DWORD dst_unused:UNUSED_PAD src0_sel:DWORD src1_sel:WORD_1
	s_mov_b64 s[2:3], 0
	s_branch .LBB224_500
.LBB224_496:
	s_mov_b64 s[2:3], -1
                                        ; implicit-def: $vgpr3
	s_branch .LBB224_518
.LBB224_497:
	s_mov_b64 s[2:3], -1
                                        ; implicit-def: $vgpr3
	s_branch .LBB224_506
.LBB224_498:
	s_mov_b64 s[2:3], -1
                                        ; implicit-def: $vgpr3
	s_branch .LBB224_503
.LBB224_499:
	s_mov_b64 s[2:3], -1
                                        ; implicit-def: $vgpr3
.LBB224_500:
	s_andn2_b64 vcc, exec, s[2:3]
	s_cbranch_vccnz .LBB224_502
; %bb.501:
	global_load_dword v3, v[1:2], off
	s_movk_i32 s2, 0x7fff
	v_mov_b32_e32 v4, 0x7fc0
	s_waitcnt vmcnt(0)
	v_bfe_u32 v5, v3, 16, 1
	v_cmp_o_f32_e32 vcc, v3, v3
	v_add3_u32 v3, v3, v5, s2
	v_cndmask_b32_sdwa v3, v4, v3, vcc dst_sel:DWORD dst_unused:UNUSED_PAD src0_sel:DWORD src1_sel:WORD_1
.LBB224_502:
	s_mov_b64 s[2:3], 0
.LBB224_503:
	s_andn2_b64 vcc, exec, s[2:3]
	s_cbranch_vccnz .LBB224_505
; %bb.504:
	global_load_dword v3, v[1:2], off
	s_movk_i32 s2, 0x7fff
	v_mov_b32_e32 v5, 0x7fc0
	s_waitcnt vmcnt(0)
	v_cvt_f32_f16_e32 v4, v3
	v_cmp_o_f16_e32 vcc, v3, v3
	v_bfe_u32 v3, v4, 16, 1
	v_add3_u32 v3, v4, v3, s2
	v_cndmask_b32_sdwa v3, v5, v3, vcc dst_sel:DWORD dst_unused:UNUSED_PAD src0_sel:DWORD src1_sel:WORD_1
.LBB224_505:
	s_mov_b64 s[2:3], 0
.LBB224_506:
	s_andn2_b64 vcc, exec, s[2:3]
	s_cbranch_vccnz .LBB224_517
; %bb.507:
	s_cmp_lt_i32 s14, 6
	s_cbranch_scc1 .LBB224_510
; %bb.508:
	s_cmp_gt_i32 s14, 6
	s_cbranch_scc0 .LBB224_511
; %bb.509:
	global_load_dwordx2 v[3:4], v[1:2], off
	s_movk_i32 s2, 0x7fff
	s_waitcnt vmcnt(0)
	v_cvt_f32_f64_e32 v3, v[3:4]
	v_mov_b32_e32 v4, 0x7fc0
	v_bfe_u32 v5, v3, 16, 1
	v_cmp_o_f32_e32 vcc, v3, v3
	v_add3_u32 v3, v3, v5, s2
	v_cndmask_b32_sdwa v3, v4, v3, vcc dst_sel:DWORD dst_unused:UNUSED_PAD src0_sel:DWORD src1_sel:WORD_1
	s_mov_b64 s[2:3], 0
	s_branch .LBB224_512
.LBB224_510:
	s_mov_b64 s[2:3], -1
                                        ; implicit-def: $vgpr3
	s_branch .LBB224_515
.LBB224_511:
	s_mov_b64 s[2:3], -1
                                        ; implicit-def: $vgpr3
.LBB224_512:
	s_andn2_b64 vcc, exec, s[2:3]
	s_cbranch_vccnz .LBB224_514
; %bb.513:
	global_load_dword v3, v[1:2], off
	s_movk_i32 s2, 0x7fff
	v_mov_b32_e32 v4, 0x7fc0
	s_waitcnt vmcnt(0)
	v_bfe_u32 v5, v3, 16, 1
	v_cmp_o_f32_e32 vcc, v3, v3
	v_add3_u32 v3, v3, v5, s2
	v_cndmask_b32_sdwa v3, v4, v3, vcc dst_sel:DWORD dst_unused:UNUSED_PAD src0_sel:DWORD src1_sel:WORD_1
.LBB224_514:
	s_mov_b64 s[2:3], 0
.LBB224_515:
	s_andn2_b64 vcc, exec, s[2:3]
	s_cbranch_vccnz .LBB224_517
; %bb.516:
	global_load_ushort v3, v[1:2], off
	s_movk_i32 s2, 0x7fff
	v_mov_b32_e32 v5, 0x7fc0
	s_waitcnt vmcnt(0)
	v_cvt_f32_f16_e32 v4, v3
	v_cmp_o_f16_e32 vcc, v3, v3
	v_bfe_u32 v3, v4, 16, 1
	v_add3_u32 v3, v4, v3, s2
	v_cndmask_b32_sdwa v3, v5, v3, vcc dst_sel:DWORD dst_unused:UNUSED_PAD src0_sel:DWORD src1_sel:WORD_1
.LBB224_517:
	s_mov_b64 s[2:3], 0
.LBB224_518:
	s_andn2_b64 vcc, exec, s[2:3]
	s_cbranch_vccnz .LBB224_538
; %bb.519:
	s_cmp_lt_i32 s14, 2
	s_cbranch_scc1 .LBB224_523
; %bb.520:
	s_cmp_lt_i32 s14, 3
	s_cbranch_scc1 .LBB224_524
; %bb.521:
	s_cmp_gt_i32 s14, 3
	s_cbranch_scc0 .LBB224_525
; %bb.522:
	global_load_dwordx2 v[3:4], v[1:2], off
	s_movk_i32 s2, 0x7fff
	s_waitcnt vmcnt(0)
	v_xor_b32_e32 v6, v3, v4
	v_ffbh_i32_e32 v5, v4
	v_ashrrev_i32_e32 v6, 31, v6
	v_add_u32_e32 v5, -1, v5
	v_add_u32_e32 v6, 32, v6
	v_min_u32_e32 v5, v5, v6
	v_lshlrev_b64 v[3:4], v5, v[3:4]
	v_min_u32_e32 v3, 1, v3
	v_or_b32_e32 v3, v4, v3
	v_cvt_f32_i32_e32 v3, v3
	v_sub_u32_e32 v4, 32, v5
	v_ldexp_f32 v3, v3, v4
	v_bfe_u32 v4, v3, 16, 1
	v_add3_u32 v3, v3, v4, s2
	v_lshrrev_b32_e32 v3, 16, v3
	s_mov_b64 s[2:3], 0
	s_branch .LBB224_526
.LBB224_523:
	s_mov_b64 s[2:3], -1
                                        ; implicit-def: $vgpr3
	s_branch .LBB224_532
.LBB224_524:
	s_mov_b64 s[2:3], -1
                                        ; implicit-def: $vgpr3
	s_branch .LBB224_529
.LBB224_525:
	s_mov_b64 s[2:3], -1
                                        ; implicit-def: $vgpr3
.LBB224_526:
	s_andn2_b64 vcc, exec, s[2:3]
	s_cbranch_vccnz .LBB224_528
; %bb.527:
	global_load_dword v3, v[1:2], off
	s_movk_i32 s2, 0x7fff
	s_waitcnt vmcnt(0)
	v_cvt_f32_i32_e32 v3, v3
	v_bfe_u32 v4, v3, 16, 1
	v_add3_u32 v3, v3, v4, s2
	v_lshrrev_b32_e32 v3, 16, v3
.LBB224_528:
	s_mov_b64 s[2:3], 0
.LBB224_529:
	s_andn2_b64 vcc, exec, s[2:3]
	s_cbranch_vccnz .LBB224_531
; %bb.530:
	global_load_sshort v3, v[1:2], off
	s_movk_i32 s2, 0x7fff
	s_waitcnt vmcnt(0)
	v_cvt_f32_i32_e32 v3, v3
	v_bfe_u32 v4, v3, 16, 1
	v_add3_u32 v3, v3, v4, s2
	v_lshrrev_b32_e32 v3, 16, v3
.LBB224_531:
	s_mov_b64 s[2:3], 0
.LBB224_532:
	s_andn2_b64 vcc, exec, s[2:3]
	s_cbranch_vccnz .LBB224_538
; %bb.533:
	s_cmp_gt_i32 s14, 0
	s_cbranch_scc0 .LBB224_535
; %bb.534:
	global_load_sbyte v3, v[1:2], off
	s_movk_i32 s2, 0x7fff
	s_waitcnt vmcnt(0)
	v_cvt_f32_i32_e32 v3, v3
	v_bfe_u32 v4, v3, 16, 1
	v_add3_u32 v3, v3, v4, s2
	v_lshrrev_b32_e32 v3, 16, v3
	s_mov_b64 s[2:3], 0
	s_branch .LBB224_536
.LBB224_535:
	s_mov_b64 s[2:3], -1
                                        ; implicit-def: $vgpr3
.LBB224_536:
	s_andn2_b64 vcc, exec, s[2:3]
	s_cbranch_vccnz .LBB224_538
; %bb.537:
	global_load_ubyte v1, v[1:2], off
	s_movk_i32 s2, 0x7fff
	s_waitcnt vmcnt(0)
	v_cvt_f32_ubyte0_e32 v1, v1
	v_bfe_u32 v2, v1, 16, 1
	v_add3_u32 v1, v1, v2, s2
	v_lshrrev_b32_e32 v3, 16, v1
.LBB224_538:
	s_branch .LBB224_294
.LBB224_539:
	s_mov_b64 s[10:11], 0
	s_mov_b64 s[2:3], s[56:57]
.LBB224_540:
                                        ; implicit-def: $vgpr8
.LBB224_541:
	s_andn2_b64 s[12:13], s[56:57], exec
	s_and_b64 s[2:3], s[2:3], exec
	s_or_b64 s[64:65], s[12:13], s[2:3]
	s_andn2_b64 s[2:3], s[58:59], exec
	s_and_b64 s[8:9], s[8:9], exec
	s_or_b64 s[62:63], s[2:3], s[8:9]
	s_orn2_b64 s[2:3], s[10:11], exec
.LBB224_542:
	s_or_b64 exec, exec, s[66:67]
	s_mov_b64 s[8:9], 0
	s_mov_b64 s[12:13], 0
	s_mov_b64 s[10:11], 0
                                        ; implicit-def: $vgpr1_vgpr2
                                        ; implicit-def: $vgpr0
                                        ; implicit-def: $vgpr4
	s_and_saveexec_b64 s[66:67], s[2:3]
	s_cbranch_execz .LBB224_917
; %bb.543:
	v_cmp_gt_i32_e32 vcc, s72, v8
	s_mov_b64 s[10:11], -1
	s_mov_b64 s[2:3], s[62:63]
	s_mov_b64 s[70:71], s[64:65]
	s_and_saveexec_b64 s[68:69], vcc
	s_cbranch_execz .LBB224_817
; %bb.544:
	s_andn2_b64 vcc, exec, s[44:45]
	s_cbranch_vccnz .LBB224_549
; %bb.545:
	s_andn2_b64 vcc, exec, s[54:55]
	s_cbranch_vccnz .LBB224_550
; %bb.546:
	s_add_i32 s79, s78, 1
	s_cmp_eq_u32 s74, 2
	s_cbranch_scc1 .LBB224_551
; %bb.547:
	s_and_b32 s73, s79, 28
	v_mov_b32_e32 v2, 0
	s_mov_b32 s80, 0
	s_mov_b64 s[2:3], s[34:35]
	s_mov_b64 s[70:71], s[52:53]
	v_mov_b32_e32 v0, 0
	v_mov_b32_e32 v1, v8
.LBB224_548:                            ; =>This Inner Loop Header: Depth=1
	s_load_dwordx8 s[16:23], s[2:3], 0x4
	s_load_dwordx4 s[40:43], s[2:3], 0x24
	s_load_dwordx8 s[8:15], s[70:71], 0x0
	s_add_u32 s2, s2, 48
	s_addc_u32 s3, s3, 0
	s_waitcnt vmcnt(0) lgkmcnt(0)
	v_mul_hi_u32 v3, s17, v1
	s_add_i32 s80, s80, 4
	s_add_u32 s70, s70, 32
	s_addc_u32 s71, s71, 0
	v_add_u32_e32 v3, v1, v3
	v_lshrrev_b32_e32 v3, s18, v3
	v_mul_lo_u32 v4, v3, s16
	v_mul_hi_u32 v5, s20, v3
	s_cmp_eq_u32 s73, s80
	v_sub_u32_e32 v1, v1, v4
	v_add_u32_e32 v4, v3, v5
	v_mul_lo_u32 v5, v1, s8
	v_mul_lo_u32 v6, v1, s9
	v_lshrrev_b32_e32 v1, s21, v4
	v_mul_lo_u32 v4, v1, s19
	v_mul_hi_u32 v7, s23, v1
	v_sub_u32_e32 v3, v3, v4
	v_add_u32_e32 v4, v1, v7
	v_lshrrev_b32_e32 v4, s40, v4
	v_mul_hi_u32 v9, s42, v4
	v_mul_lo_u32 v10, v4, s22
	v_mul_lo_u32 v7, v3, s10
	;; [unrolled: 1-line block ×3, first 2 shown]
	v_sub_u32_e32 v10, v1, v10
	v_add_u32_e32 v1, v4, v9
	v_lshrrev_b32_e32 v1, s43, v1
	v_mul_lo_u32 v9, v1, s41
	v_mul_lo_u32 v11, v10, s12
	;; [unrolled: 1-line block ×3, first 2 shown]
	v_add3_u32 v0, v5, v0, v7
	v_sub_u32_e32 v4, v4, v9
	v_mul_lo_u32 v9, v4, s14
	v_mul_lo_u32 v4, v4, s15
	v_add3_u32 v2, v6, v2, v3
	v_add3_u32 v0, v11, v0, v9
	;; [unrolled: 1-line block ×3, first 2 shown]
	s_cbranch_scc0 .LBB224_548
	s_branch .LBB224_552
.LBB224_549:
	s_mov_b64 s[2:3], -1
                                        ; implicit-def: $vgpr0
                                        ; implicit-def: $vgpr2
	s_branch .LBB224_556
.LBB224_550:
	v_mov_b32_e32 v0, 0
	v_mov_b32_e32 v2, 0
	s_branch .LBB224_555
.LBB224_551:
	s_mov_b32 s73, 0
	v_mov_b32_e32 v0, 0
	v_mov_b32_e32 v2, 0
	;; [unrolled: 1-line block ×3, first 2 shown]
.LBB224_552:
	s_and_b32 s10, s79, 3
	s_cmp_eq_u32 s10, 0
	s_cbranch_scc1 .LBB224_555
; %bb.553:
	s_lshl_b32 s2, s73, 3
	s_add_u32 s2, s34, s2
	s_addc_u32 s3, s35, 0
	s_add_u32 s2, s2, 0xc4
	s_addc_u32 s3, s3, 0
	s_mul_i32 s8, s73, 12
	s_add_u32 s8, s34, s8
	s_addc_u32 s9, s35, 0
.LBB224_554:                            ; =>This Inner Loop Header: Depth=1
	s_load_dwordx2 s[12:13], s[8:9], 0x4
	s_load_dword s11, s[8:9], 0xc
	s_load_dwordx2 s[14:15], s[2:3], 0x0
	s_add_u32 s8, s8, 12
	s_addc_u32 s9, s9, 0
	s_waitcnt vmcnt(0) lgkmcnt(0)
	v_mul_hi_u32 v3, s13, v1
	s_add_u32 s2, s2, 8
	s_addc_u32 s3, s3, 0
	s_add_i32 s10, s10, -1
	v_add_u32_e32 v3, v1, v3
	v_lshrrev_b32_e32 v4, s11, v3
	v_mul_lo_u32 v3, v4, s12
	s_cmp_lg_u32 s10, 0
	v_sub_u32_e32 v3, v1, v3
	v_mad_u64_u32 v[0:1], s[12:13], v3, s14, v[0:1]
	v_mad_u64_u32 v[2:3], s[12:13], v3, s15, v[2:3]
	v_mov_b32_e32 v1, v4
	s_cbranch_scc1 .LBB224_554
.LBB224_555:
	s_mov_b64 s[2:3], 0
.LBB224_556:
	s_andn2_b64 vcc, exec, s[2:3]
	s_cbranch_vccnz .LBB224_559
; %bb.557:
	v_mul_hi_u32 v0, s29, v8
	s_andn2_b64 vcc, exec, s[50:51]
	v_add_u32_e32 v0, v8, v0
	v_lshrrev_b32_e32 v1, s30, v0
	v_mul_lo_u32 v0, v1, s28
	v_sub_u32_e32 v2, v8, v0
	v_mul_lo_u32 v0, v2, s36
	v_mul_lo_u32 v2, v2, s37
	s_cbranch_vccnz .LBB224_559
; %bb.558:
	s_waitcnt vmcnt(0)
	v_mul_hi_u32 v3, s48, v1
	v_add_u32_e32 v3, v1, v3
	v_lshrrev_b32_e32 v3, s49, v3
	v_mul_lo_u32 v3, v3, s31
	v_sub_u32_e32 v3, v1, v3
	v_mad_u64_u32 v[0:1], s[2:3], v3, s38, v[0:1]
	v_mad_u64_u32 v[2:3], s[2:3], v3, s39, v[2:3]
.LBB224_559:
	s_waitcnt vmcnt(0)
	v_mov_b32_e32 v3, s27
	s_and_b32 s14, 0xffff, s77
	v_add_co_u32_e32 v1, vcc, s26, v2
	s_cmp_lt_i32 s14, 11
	v_addc_co_u32_e32 v2, vcc, 0, v3, vcc
	s_cbranch_scc1 .LBB224_566
; %bb.560:
	s_cmp_gt_i32 s14, 25
	s_cbranch_scc0 .LBB224_567
; %bb.561:
	s_cmp_gt_i32 s14, 28
	s_cbranch_scc0 .LBB224_568
	;; [unrolled: 3-line block ×4, first 2 shown]
; %bb.564:
	s_cmp_eq_u32 s14, 46
	s_mov_b64 s[10:11], 0
	s_cbranch_scc0 .LBB224_575
; %bb.565:
	global_load_dword v3, v[1:2], off
	s_mov_b64 s[2:3], -1
	s_mov_b64 s[8:9], 0
	s_branch .LBB224_576
.LBB224_566:
	s_mov_b64 s[10:11], -1
	s_mov_b64 s[2:3], 0
                                        ; implicit-def: $vgpr3
	s_mov_b64 s[8:9], s[62:63]
	s_branch .LBB224_641
.LBB224_567:
	s_mov_b64 s[10:11], -1
	s_mov_b64 s[2:3], 0
	s_mov_b64 s[8:9], s[62:63]
                                        ; implicit-def: $vgpr3
	s_branch .LBB224_605
.LBB224_568:
	s_mov_b64 s[10:11], -1
	s_mov_b64 s[2:3], 0
	s_mov_b64 s[8:9], s[62:63]
                                        ; implicit-def: $vgpr3
	s_branch .LBB224_586
.LBB224_569:
	s_mov_b64 s[10:11], -1
	s_mov_b64 s[2:3], 0
	s_mov_b64 s[8:9], s[62:63]
                                        ; implicit-def: $vgpr3
	s_branch .LBB224_581
.LBB224_570:
	s_andn2_saveexec_b64 s[14:15], s[14:15]
	s_cbranch_execz .LBB224_339
.LBB224_571:
	s_mov_b32 s18, 0x46000000
	v_add_f32_e64 v4, |v5|, s18
	v_and_b32_e32 v4, 0xff, v4
	v_cmp_ne_u32_e32 vcc, 0, v4
	s_andn2_b64 s[12:13], s[12:13], exec
	s_and_b64 s[18:19], vcc, exec
	s_or_b64 s[12:13], s[12:13], s[18:19]
	s_or_b64 exec, exec, s[14:15]
	v_mov_b32_e32 v6, 0
	s_and_saveexec_b64 s[14:15], s[12:13]
	s_cbranch_execnz .LBB224_340
	s_branch .LBB224_341
.LBB224_572:
	s_mov_b64 s[10:11], -1
	s_mov_b64 s[2:3], 0
	s_mov_b64 s[8:9], s[62:63]
                                        ; implicit-def: $vgpr3
	s_branch .LBB224_576
.LBB224_573:
	s_andn2_saveexec_b64 s[14:15], s[14:15]
	s_cbranch_execz .LBB224_352
.LBB224_574:
	s_mov_b32 s18, 0x42800000
	v_add_f32_e64 v4, |v5|, s18
	v_and_b32_e32 v4, 0xff, v4
	v_cmp_ne_u32_e32 vcc, 0, v4
	s_andn2_b64 s[12:13], s[12:13], exec
	s_and_b64 s[18:19], vcc, exec
	s_or_b64 s[12:13], s[12:13], s[18:19]
	s_or_b64 exec, exec, s[14:15]
	v_mov_b32_e32 v6, 0
	s_and_saveexec_b64 s[14:15], s[12:13]
	s_cbranch_execnz .LBB224_353
	s_branch .LBB224_354
.LBB224_575:
	s_mov_b64 s[8:9], -1
                                        ; implicit-def: $vgpr3
	s_mov_b64 s[2:3], 0
.LBB224_576:
	s_and_b64 vcc, exec, s[10:11]
	s_cbranch_vccz .LBB224_580
; %bb.577:
	s_cmp_eq_u32 s14, 44
	s_cbranch_scc0 .LBB224_579
; %bb.578:
	global_load_ubyte v3, v[1:2], off
	s_movk_i32 s8, 0xff
	v_mov_b32_e32 v4, 0x7f800001
	v_mov_b32_e32 v5, 0x400000
	;; [unrolled: 1-line block ×3, first 2 shown]
	s_mov_b64 s[2:3], -1
	s_waitcnt vmcnt(0)
	v_lshlrev_b32_e32 v7, 23, v3
	v_cmp_ne_u32_e32 vcc, s8, v3
	v_cndmask_b32_e32 v4, v4, v7, vcc
	v_cmp_ne_u32_e32 vcc, 0, v3
	v_cndmask_b32_e32 v3, v5, v4, vcc
	v_add_u32_e32 v4, 0x7fff, v3
	v_cmp_o_f32_e32 vcc, v3, v3
	v_cndmask_b32_sdwa v3, v6, v4, vcc dst_sel:DWORD dst_unused:UNUSED_PAD src0_sel:DWORD src1_sel:WORD_1
	s_mov_b64 s[8:9], 0
	s_branch .LBB224_580
.LBB224_579:
	s_mov_b64 s[8:9], -1
                                        ; implicit-def: $vgpr3
.LBB224_580:
	s_mov_b64 s[10:11], 0
.LBB224_581:
	s_and_b64 vcc, exec, s[10:11]
	s_cbranch_vccz .LBB224_585
; %bb.582:
	s_cmp_eq_u32 s14, 29
	s_cbranch_scc0 .LBB224_584
; %bb.583:
	global_load_dwordx2 v[3:4], v[1:2], off
	s_movk_i32 s8, 0x7fff
	s_mov_b64 s[2:3], -1
	s_mov_b64 s[10:11], 0
	s_waitcnt vmcnt(0)
	v_ffbh_u32_e32 v5, v4
	v_min_u32_e32 v5, 32, v5
	v_lshlrev_b64 v[3:4], v5, v[3:4]
	v_min_u32_e32 v3, 1, v3
	v_or_b32_e32 v3, v4, v3
	v_cvt_f32_u32_e32 v3, v3
	v_sub_u32_e32 v4, 32, v5
	v_ldexp_f32 v3, v3, v4
	v_bfe_u32 v4, v3, 16, 1
	v_add3_u32 v3, v3, v4, s8
	v_lshrrev_b32_e32 v3, 16, v3
	s_mov_b64 s[8:9], 0
	s_branch .LBB224_586
.LBB224_584:
	s_mov_b64 s[8:9], -1
                                        ; implicit-def: $vgpr3
.LBB224_585:
	s_mov_b64 s[10:11], 0
.LBB224_586:
	s_and_b64 vcc, exec, s[10:11]
	s_cbranch_vccz .LBB224_604
; %bb.587:
	s_cmp_lt_i32 s14, 27
	s_cbranch_scc1 .LBB224_590
; %bb.588:
	s_cmp_gt_i32 s14, 27
	s_cbranch_scc0 .LBB224_591
; %bb.589:
	global_load_dword v3, v[1:2], off
	s_movk_i32 s2, 0x7fff
	s_waitcnt vmcnt(0)
	v_cvt_f32_u32_e32 v3, v3
	v_bfe_u32 v4, v3, 16, 1
	v_add3_u32 v3, v3, v4, s2
	v_lshrrev_b32_e32 v3, 16, v3
	s_mov_b64 s[2:3], 0
	s_branch .LBB224_592
.LBB224_590:
	s_mov_b64 s[2:3], -1
                                        ; implicit-def: $vgpr3
	s_branch .LBB224_595
.LBB224_591:
	s_mov_b64 s[2:3], -1
                                        ; implicit-def: $vgpr3
.LBB224_592:
	s_andn2_b64 vcc, exec, s[2:3]
	s_cbranch_vccnz .LBB224_594
; %bb.593:
	global_load_ushort v3, v[1:2], off
	s_movk_i32 s2, 0x7fff
	s_waitcnt vmcnt(0)
	v_cvt_f32_u32_e32 v3, v3
	v_bfe_u32 v4, v3, 16, 1
	v_add3_u32 v3, v3, v4, s2
	v_lshrrev_b32_e32 v3, 16, v3
.LBB224_594:
	s_mov_b64 s[2:3], 0
.LBB224_595:
	s_andn2_b64 vcc, exec, s[2:3]
	s_cbranch_vccnz .LBB224_603
; %bb.596:
	global_load_ubyte v3, v[1:2], off
	s_movk_i32 s2, 0x7f
	s_waitcnt vmcnt(0)
	v_cmp_lt_i16_e32 vcc, s2, v3
	s_mov_b64 s[2:3], 0
	s_and_saveexec_b64 s[10:11], vcc
	s_xor_b64 s[10:11], exec, s[10:11]
	s_cbranch_execz .LBB224_617
; %bb.597:
	s_movk_i32 s2, 0x80
	v_cmp_eq_u16_e32 vcc, s2, v3
	s_mov_b64 s[2:3], -1
	s_and_saveexec_b64 s[12:13], vcc
; %bb.598:
	s_xor_b64 s[2:3], exec, -1
; %bb.599:
	s_or_b64 exec, exec, s[12:13]
	s_and_b64 s[2:3], s[2:3], exec
	s_or_saveexec_b64 s[10:11], s[10:11]
	v_mov_b32_e32 v4, 0x7f800001
	s_xor_b64 exec, exec, s[10:11]
	s_cbranch_execnz .LBB224_618
.LBB224_600:
	s_or_b64 exec, exec, s[10:11]
	s_and_saveexec_b64 s[10:11], s[2:3]
	s_cbranch_execz .LBB224_602
.LBB224_601:
	v_lshlrev_b32_e32 v4, 24, v3
	v_and_b32_e32 v3, 0xffff, v3
	v_and_b32_e32 v5, 7, v3
	v_ffbh_u32_e32 v7, v5
	v_min_u32_e32 v7, 32, v7
	v_subrev_u32_e32 v9, 28, v7
	v_bfe_u32 v6, v3, 3, 4
	v_lshlrev_b32_e32 v3, v9, v3
	v_sub_u32_e32 v7, 29, v7
	v_and_b32_e32 v3, 7, v3
	v_cmp_eq_u32_e32 vcc, 0, v6
	v_cndmask_b32_e32 v6, v6, v7, vcc
	v_cndmask_b32_e32 v3, v5, v3, vcc
	v_mov_b32_e32 v5, 0x3b800000
	v_lshlrev_b32_e32 v3, 20, v3
	v_and_b32_e32 v4, 0x80000000, v4
	v_lshl_add_u32 v5, v6, 23, v5
	v_or3_b32 v4, v4, v5, v3
.LBB224_602:
	s_or_b64 exec, exec, s[10:11]
	v_bfe_u32 v3, v4, 16, 1
	s_movk_i32 s2, 0x7fff
	v_add3_u32 v3, v4, v3, s2
	v_cmp_o_f32_e32 vcc, v4, v4
	v_mov_b32_e32 v4, 0x7fc0
	v_cndmask_b32_sdwa v3, v4, v3, vcc dst_sel:DWORD dst_unused:UNUSED_PAD src0_sel:DWORD src1_sel:WORD_1
.LBB224_603:
	s_mov_b64 s[2:3], -1
.LBB224_604:
	s_mov_b64 s[10:11], 0
.LBB224_605:
	s_and_b64 vcc, exec, s[10:11]
	s_cbranch_vccz .LBB224_640
; %bb.606:
	s_cmp_gt_i32 s14, 22
	s_cbranch_scc0 .LBB224_616
; %bb.607:
	s_cmp_lt_i32 s14, 24
	s_cbranch_scc1 .LBB224_619
; %bb.608:
	s_cmp_gt_i32 s14, 24
	s_cbranch_scc0 .LBB224_620
; %bb.609:
	global_load_ubyte v3, v[1:2], off
	s_movk_i32 s2, 0x7f
	s_waitcnt vmcnt(0)
	v_cmp_lt_i16_e32 vcc, s2, v3
	s_mov_b64 s[2:3], 0
	s_and_saveexec_b64 s[10:11], vcc
	s_xor_b64 s[10:11], exec, s[10:11]
	s_cbranch_execz .LBB224_632
; %bb.610:
	s_movk_i32 s2, 0x80
	v_cmp_eq_u16_e32 vcc, s2, v3
	s_mov_b64 s[2:3], -1
	s_and_saveexec_b64 s[12:13], vcc
; %bb.611:
	s_xor_b64 s[2:3], exec, -1
; %bb.612:
	s_or_b64 exec, exec, s[12:13]
	s_and_b64 s[2:3], s[2:3], exec
	s_or_saveexec_b64 s[10:11], s[10:11]
	v_mov_b32_e32 v4, 0x7f800001
	s_xor_b64 exec, exec, s[10:11]
	s_cbranch_execnz .LBB224_633
.LBB224_613:
	s_or_b64 exec, exec, s[10:11]
	s_and_saveexec_b64 s[10:11], s[2:3]
	s_cbranch_execz .LBB224_615
.LBB224_614:
	v_lshlrev_b32_e32 v4, 24, v3
	v_and_b32_e32 v3, 0xffff, v3
	v_and_b32_e32 v5, 3, v3
	v_ffbh_u32_e32 v7, v5
	v_min_u32_e32 v7, 32, v7
	v_subrev_u32_e32 v9, 29, v7
	v_bfe_u32 v6, v3, 2, 5
	v_lshlrev_b32_e32 v3, v9, v3
	v_sub_u32_e32 v7, 30, v7
	v_and_b32_e32 v3, 3, v3
	v_cmp_eq_u32_e32 vcc, 0, v6
	v_cndmask_b32_e32 v6, v6, v7, vcc
	v_cndmask_b32_e32 v3, v5, v3, vcc
	v_mov_b32_e32 v5, 0x37800000
	v_lshlrev_b32_e32 v3, 21, v3
	v_and_b32_e32 v4, 0x80000000, v4
	v_lshl_add_u32 v5, v6, 23, v5
	v_or3_b32 v4, v4, v5, v3
.LBB224_615:
	s_or_b64 exec, exec, s[10:11]
	v_bfe_u32 v3, v4, 16, 1
	s_movk_i32 s2, 0x7fff
	v_add3_u32 v3, v4, v3, s2
	v_cmp_o_f32_e32 vcc, v4, v4
	v_mov_b32_e32 v4, 0x7fc0
	v_cndmask_b32_sdwa v3, v4, v3, vcc dst_sel:DWORD dst_unused:UNUSED_PAD src0_sel:DWORD src1_sel:WORD_1
	s_mov_b64 s[2:3], 0
	s_branch .LBB224_621
.LBB224_616:
	s_mov_b64 s[10:11], -1
                                        ; implicit-def: $vgpr3
	s_branch .LBB224_627
.LBB224_617:
	s_or_saveexec_b64 s[10:11], s[10:11]
	v_mov_b32_e32 v4, 0x7f800001
	s_xor_b64 exec, exec, s[10:11]
	s_cbranch_execz .LBB224_600
.LBB224_618:
	v_cmp_ne_u16_e32 vcc, 0, v3
	s_andn2_b64 s[2:3], s[2:3], exec
	s_and_b64 s[12:13], vcc, exec
	v_mov_b32_e32 v4, 0
	s_or_b64 s[2:3], s[2:3], s[12:13]
	s_or_b64 exec, exec, s[10:11]
	s_and_saveexec_b64 s[10:11], s[2:3]
	s_cbranch_execnz .LBB224_601
	s_branch .LBB224_602
.LBB224_619:
	s_mov_b64 s[2:3], -1
                                        ; implicit-def: $vgpr3
	s_branch .LBB224_624
.LBB224_620:
	s_mov_b64 s[2:3], -1
                                        ; implicit-def: $vgpr3
.LBB224_621:
	s_and_b64 vcc, exec, s[2:3]
	s_cbranch_vccz .LBB224_623
; %bb.622:
	global_load_ubyte v3, v[1:2], off
	s_mov_b32 s2, 0x7f800000
	s_brev_b32 s3, 1
	s_movk_i32 s10, 0x7fff
	s_waitcnt vmcnt(0)
	v_lshlrev_b32_e32 v3, 24, v3
	v_and_b32_e32 v4, 0x7f000000, v3
	v_ffbh_u32_e32 v5, v4
	v_min_u32_e32 v5, 32, v5
	v_sub_u32_e64 v5, v5, 4 clamp
	v_lshlrev_b32_e32 v7, v5, v4
	v_lshlrev_b32_e32 v5, 23, v5
	v_lshrrev_b32_e32 v7, 4, v7
	v_add_u32_e32 v6, 0x1000000, v4
	v_sub_u32_e32 v5, v7, v5
	v_ashrrev_i32_e32 v6, 8, v6
	v_add_u32_e32 v5, 0x3c000000, v5
	v_and_or_b32 v5, v6, s2, v5
	v_cmp_ne_u32_e32 vcc, 0, v4
	v_cndmask_b32_e32 v4, 0, v5, vcc
	v_and_or_b32 v3, v3, s3, v4
	v_bfe_u32 v4, v4, 16, 1
	v_add3_u32 v4, v3, v4, s10
	v_cmp_o_f32_e32 vcc, v3, v3
	v_mov_b32_e32 v3, 0x7fc0
	v_cndmask_b32_sdwa v3, v3, v4, vcc dst_sel:DWORD dst_unused:UNUSED_PAD src0_sel:DWORD src1_sel:WORD_1
.LBB224_623:
	s_mov_b64 s[2:3], 0
.LBB224_624:
	s_andn2_b64 vcc, exec, s[2:3]
	s_cbranch_vccnz .LBB224_626
; %bb.625:
	global_load_ubyte v3, v[1:2], off
	s_movk_i32 s2, 0x7f00
	s_brev_b32 s3, 16
	s_brev_b32 s10, 1
	s_movk_i32 s11, 0x7fff
	s_waitcnt vmcnt(0)
	v_lshlrev_b16_e32 v4, 8, v3
	v_lshlrev_b32_e32 v3, 25, v3
	v_lshrrev_b32_e32 v5, 4, v3
	v_and_or_b32 v6, v4, s2, 0.5
	v_or_b32_e32 v5, 0x70000000, v5
	v_add_f32_e32 v6, -0.5, v6
	v_mul_f32_e32 v5, 0x7800000, v5
	v_cmp_gt_u32_e32 vcc, s3, v3
	v_bfe_i32 v4, v4, 0, 16
	v_cndmask_b32_e32 v3, v5, v6, vcc
	v_and_or_b32 v4, v4, s10, v3
	v_bfe_u32 v3, v3, 16, 1
	v_add3_u32 v3, v4, v3, s11
	v_cmp_o_f32_e32 vcc, v4, v4
	v_mov_b32_e32 v4, 0x7fc0
	v_cndmask_b32_sdwa v3, v4, v3, vcc dst_sel:DWORD dst_unused:UNUSED_PAD src0_sel:DWORD src1_sel:WORD_1
.LBB224_626:
	s_mov_b64 s[10:11], 0
	s_mov_b64 s[2:3], -1
.LBB224_627:
	s_andn2_b64 vcc, exec, s[10:11]
	s_cbranch_vccnz .LBB224_640
; %bb.628:
	s_cmp_gt_i32 s14, 14
	s_cbranch_scc0 .LBB224_631
; %bb.629:
	s_cmp_eq_u32 s14, 15
	s_cbranch_scc0 .LBB224_634
; %bb.630:
	global_load_ushort v3, v[1:2], off
	s_mov_b64 s[2:3], -1
	s_mov_b64 s[8:9], 0
	s_branch .LBB224_635
.LBB224_631:
	s_mov_b64 s[10:11], -1
                                        ; implicit-def: $vgpr3
	s_branch .LBB224_636
.LBB224_632:
	s_or_saveexec_b64 s[10:11], s[10:11]
	v_mov_b32_e32 v4, 0x7f800001
	s_xor_b64 exec, exec, s[10:11]
	s_cbranch_execz .LBB224_613
.LBB224_633:
	v_cmp_ne_u16_e32 vcc, 0, v3
	s_andn2_b64 s[2:3], s[2:3], exec
	s_and_b64 s[12:13], vcc, exec
	v_mov_b32_e32 v4, 0
	s_or_b64 s[2:3], s[2:3], s[12:13]
	s_or_b64 exec, exec, s[10:11]
	s_and_saveexec_b64 s[10:11], s[2:3]
	s_cbranch_execnz .LBB224_614
	s_branch .LBB224_615
.LBB224_634:
	s_mov_b64 s[8:9], -1
                                        ; implicit-def: $vgpr3
.LBB224_635:
	s_mov_b64 s[10:11], 0
.LBB224_636:
	s_and_b64 vcc, exec, s[10:11]
	s_cbranch_vccz .LBB224_640
; %bb.637:
	s_cmp_eq_u32 s14, 11
	s_cbranch_scc0 .LBB224_639
; %bb.638:
	global_load_ubyte v3, v[1:2], off
	s_mov_b64 s[2:3], -1
	s_mov_b64 s[8:9], 0
	s_waitcnt vmcnt(0)
	v_cmp_ne_u16_e32 vcc, 0, v3
	v_cndmask_b32_e64 v3, 0, 1.0, vcc
	v_lshrrev_b32_e32 v3, 16, v3
	s_branch .LBB224_640
.LBB224_639:
	s_mov_b64 s[8:9], -1
                                        ; implicit-def: $vgpr3
.LBB224_640:
	s_mov_b64 s[10:11], 0
.LBB224_641:
	s_and_b64 vcc, exec, s[10:11]
	s_cbranch_vccz .LBB224_690
; %bb.642:
	s_cmp_lt_i32 s14, 5
	s_cbranch_scc1 .LBB224_647
; %bb.643:
	s_cmp_lt_i32 s14, 8
	s_cbranch_scc1 .LBB224_648
	;; [unrolled: 3-line block ×3, first 2 shown]
; %bb.645:
	s_cmp_gt_i32 s14, 9
	s_cbranch_scc0 .LBB224_650
; %bb.646:
	global_load_dwordx2 v[3:4], v[1:2], off
	s_movk_i32 s2, 0x7fff
	s_waitcnt vmcnt(0)
	v_cvt_f32_f64_e32 v3, v[3:4]
	v_mov_b32_e32 v4, 0x7fc0
	v_bfe_u32 v5, v3, 16, 1
	v_cmp_o_f32_e32 vcc, v3, v3
	v_add3_u32 v3, v3, v5, s2
	v_cndmask_b32_sdwa v3, v4, v3, vcc dst_sel:DWORD dst_unused:UNUSED_PAD src0_sel:DWORD src1_sel:WORD_1
	s_mov_b64 s[2:3], 0
	s_branch .LBB224_651
.LBB224_647:
	s_mov_b64 s[2:3], -1
                                        ; implicit-def: $vgpr3
	s_branch .LBB224_669
.LBB224_648:
	s_mov_b64 s[2:3], -1
                                        ; implicit-def: $vgpr3
	s_branch .LBB224_657
.LBB224_649:
	s_mov_b64 s[2:3], -1
                                        ; implicit-def: $vgpr3
	s_branch .LBB224_654
.LBB224_650:
	s_mov_b64 s[2:3], -1
                                        ; implicit-def: $vgpr3
.LBB224_651:
	s_andn2_b64 vcc, exec, s[2:3]
	s_cbranch_vccnz .LBB224_653
; %bb.652:
	global_load_dword v3, v[1:2], off
	s_movk_i32 s2, 0x7fff
	v_mov_b32_e32 v4, 0x7fc0
	s_waitcnt vmcnt(0)
	v_bfe_u32 v5, v3, 16, 1
	v_cmp_o_f32_e32 vcc, v3, v3
	v_add3_u32 v3, v3, v5, s2
	v_cndmask_b32_sdwa v3, v4, v3, vcc dst_sel:DWORD dst_unused:UNUSED_PAD src0_sel:DWORD src1_sel:WORD_1
.LBB224_653:
	s_mov_b64 s[2:3], 0
.LBB224_654:
	s_andn2_b64 vcc, exec, s[2:3]
	s_cbranch_vccnz .LBB224_656
; %bb.655:
	global_load_dword v3, v[1:2], off
	s_movk_i32 s2, 0x7fff
	v_mov_b32_e32 v5, 0x7fc0
	s_waitcnt vmcnt(0)
	v_cvt_f32_f16_e32 v4, v3
	v_cmp_o_f16_e32 vcc, v3, v3
	v_bfe_u32 v3, v4, 16, 1
	v_add3_u32 v3, v4, v3, s2
	v_cndmask_b32_sdwa v3, v5, v3, vcc dst_sel:DWORD dst_unused:UNUSED_PAD src0_sel:DWORD src1_sel:WORD_1
.LBB224_656:
	s_mov_b64 s[2:3], 0
.LBB224_657:
	s_andn2_b64 vcc, exec, s[2:3]
	s_cbranch_vccnz .LBB224_668
; %bb.658:
	s_cmp_lt_i32 s14, 6
	s_cbranch_scc1 .LBB224_661
; %bb.659:
	s_cmp_gt_i32 s14, 6
	s_cbranch_scc0 .LBB224_662
; %bb.660:
	global_load_dwordx2 v[3:4], v[1:2], off
	s_movk_i32 s2, 0x7fff
	s_waitcnt vmcnt(0)
	v_cvt_f32_f64_e32 v3, v[3:4]
	v_mov_b32_e32 v4, 0x7fc0
	v_bfe_u32 v5, v3, 16, 1
	v_cmp_o_f32_e32 vcc, v3, v3
	v_add3_u32 v3, v3, v5, s2
	v_cndmask_b32_sdwa v3, v4, v3, vcc dst_sel:DWORD dst_unused:UNUSED_PAD src0_sel:DWORD src1_sel:WORD_1
	s_mov_b64 s[2:3], 0
	s_branch .LBB224_663
.LBB224_661:
	s_mov_b64 s[2:3], -1
                                        ; implicit-def: $vgpr3
	s_branch .LBB224_666
.LBB224_662:
	s_mov_b64 s[2:3], -1
                                        ; implicit-def: $vgpr3
.LBB224_663:
	s_andn2_b64 vcc, exec, s[2:3]
	s_cbranch_vccnz .LBB224_665
; %bb.664:
	global_load_dword v3, v[1:2], off
	s_movk_i32 s2, 0x7fff
	v_mov_b32_e32 v4, 0x7fc0
	s_waitcnt vmcnt(0)
	v_bfe_u32 v5, v3, 16, 1
	v_cmp_o_f32_e32 vcc, v3, v3
	v_add3_u32 v3, v3, v5, s2
	v_cndmask_b32_sdwa v3, v4, v3, vcc dst_sel:DWORD dst_unused:UNUSED_PAD src0_sel:DWORD src1_sel:WORD_1
.LBB224_665:
	s_mov_b64 s[2:3], 0
.LBB224_666:
	s_andn2_b64 vcc, exec, s[2:3]
	s_cbranch_vccnz .LBB224_668
; %bb.667:
	global_load_ushort v3, v[1:2], off
	s_movk_i32 s2, 0x7fff
	v_mov_b32_e32 v5, 0x7fc0
	s_waitcnt vmcnt(0)
	v_cvt_f32_f16_e32 v4, v3
	v_cmp_o_f16_e32 vcc, v3, v3
	v_bfe_u32 v3, v4, 16, 1
	v_add3_u32 v3, v4, v3, s2
	v_cndmask_b32_sdwa v3, v5, v3, vcc dst_sel:DWORD dst_unused:UNUSED_PAD src0_sel:DWORD src1_sel:WORD_1
.LBB224_668:
	s_mov_b64 s[2:3], 0
.LBB224_669:
	s_andn2_b64 vcc, exec, s[2:3]
	s_cbranch_vccnz .LBB224_689
; %bb.670:
	s_cmp_lt_i32 s14, 2
	s_cbranch_scc1 .LBB224_674
; %bb.671:
	s_cmp_lt_i32 s14, 3
	s_cbranch_scc1 .LBB224_675
; %bb.672:
	s_cmp_gt_i32 s14, 3
	s_cbranch_scc0 .LBB224_676
; %bb.673:
	global_load_dwordx2 v[3:4], v[1:2], off
	s_movk_i32 s2, 0x7fff
	s_waitcnt vmcnt(0)
	v_xor_b32_e32 v6, v3, v4
	v_ffbh_i32_e32 v5, v4
	v_ashrrev_i32_e32 v6, 31, v6
	v_add_u32_e32 v5, -1, v5
	v_add_u32_e32 v6, 32, v6
	v_min_u32_e32 v5, v5, v6
	v_lshlrev_b64 v[3:4], v5, v[3:4]
	v_min_u32_e32 v3, 1, v3
	v_or_b32_e32 v3, v4, v3
	v_cvt_f32_i32_e32 v3, v3
	v_sub_u32_e32 v4, 32, v5
	v_ldexp_f32 v3, v3, v4
	v_bfe_u32 v4, v3, 16, 1
	v_add3_u32 v3, v3, v4, s2
	v_lshrrev_b32_e32 v3, 16, v3
	s_mov_b64 s[2:3], 0
	s_branch .LBB224_677
.LBB224_674:
	s_mov_b64 s[2:3], -1
                                        ; implicit-def: $vgpr3
	s_branch .LBB224_683
.LBB224_675:
	s_mov_b64 s[2:3], -1
                                        ; implicit-def: $vgpr3
	s_branch .LBB224_680
.LBB224_676:
	s_mov_b64 s[2:3], -1
                                        ; implicit-def: $vgpr3
.LBB224_677:
	s_andn2_b64 vcc, exec, s[2:3]
	s_cbranch_vccnz .LBB224_679
; %bb.678:
	global_load_dword v3, v[1:2], off
	s_movk_i32 s2, 0x7fff
	s_waitcnt vmcnt(0)
	v_cvt_f32_i32_e32 v3, v3
	v_bfe_u32 v4, v3, 16, 1
	v_add3_u32 v3, v3, v4, s2
	v_lshrrev_b32_e32 v3, 16, v3
.LBB224_679:
	s_mov_b64 s[2:3], 0
.LBB224_680:
	s_andn2_b64 vcc, exec, s[2:3]
	s_cbranch_vccnz .LBB224_682
; %bb.681:
	global_load_sshort v3, v[1:2], off
	s_movk_i32 s2, 0x7fff
	s_waitcnt vmcnt(0)
	v_cvt_f32_i32_e32 v3, v3
	v_bfe_u32 v4, v3, 16, 1
	v_add3_u32 v3, v3, v4, s2
	v_lshrrev_b32_e32 v3, 16, v3
.LBB224_682:
	s_mov_b64 s[2:3], 0
.LBB224_683:
	s_andn2_b64 vcc, exec, s[2:3]
	s_cbranch_vccnz .LBB224_689
; %bb.684:
	s_cmp_gt_i32 s14, 0
	s_cbranch_scc0 .LBB224_686
; %bb.685:
	global_load_sbyte v3, v[1:2], off
	s_movk_i32 s2, 0x7fff
	s_waitcnt vmcnt(0)
	v_cvt_f32_i32_e32 v3, v3
	v_bfe_u32 v4, v3, 16, 1
	v_add3_u32 v3, v3, v4, s2
	v_lshrrev_b32_e32 v3, 16, v3
	s_mov_b64 s[2:3], 0
	s_branch .LBB224_687
.LBB224_686:
	s_mov_b64 s[2:3], -1
                                        ; implicit-def: $vgpr3
.LBB224_687:
	s_andn2_b64 vcc, exec, s[2:3]
	s_cbranch_vccnz .LBB224_689
; %bb.688:
	global_load_ubyte v1, v[1:2], off
	s_movk_i32 s2, 0x7fff
	s_waitcnt vmcnt(0)
	v_cvt_f32_ubyte0_e32 v1, v1
	v_bfe_u32 v2, v1, 16, 1
	v_add3_u32 v1, v1, v2, s2
	v_lshrrev_b32_e32 v3, 16, v1
.LBB224_689:
	s_mov_b64 s[2:3], -1
.LBB224_690:
	s_andn2_b64 vcc, exec, s[2:3]
	s_cbranch_vccnz .LBB224_698
; %bb.691:
	v_mov_b32_e32 v1, s75
	s_waitcnt vmcnt(0)
	v_cndmask_b32_e64 v2, v3, v1, s[0:1]
	s_and_b32 s16, s76, 0xff
	v_mov_b32_e32 v1, s25
	v_add_co_u32_e32 v0, vcc, s24, v0
	s_cmp_lt_i32 s16, 11
	v_addc_co_u32_e32 v1, vcc, 0, v1, vcc
	s_cbranch_scc1 .LBB224_699
; %bb.692:
	s_and_b32 s17, 0xffff, s16
	s_cmp_gt_i32 s17, 25
	s_cbranch_scc0 .LBB224_700
; %bb.693:
	s_cmp_gt_i32 s17, 28
	s_cbranch_scc0 .LBB224_701
; %bb.694:
	;; [unrolled: 3-line block ×4, first 2 shown]
	s_mov_b64 s[12:13], 0
	s_mov_b64 s[2:3], -1
	s_cmp_eq_u32 s17, 46
	s_mov_b64 s[10:11], 0
	s_cbranch_scc0 .LBB224_704
; %bb.697:
	v_and_b32_e32 v3, 0xffff, v2
	global_store_dword v[0:1], v3, off
	s_mov_b64 s[10:11], -1
	s_mov_b64 s[2:3], 0
	s_branch .LBB224_704
.LBB224_698:
	s_mov_b64 s[10:11], 0
	s_mov_b64 s[2:3], s[64:65]
	s_branch .LBB224_815
.LBB224_699:
	s_mov_b64 s[12:13], -1
	s_mov_b64 s[10:11], 0
	s_mov_b64 s[2:3], s[64:65]
	s_branch .LBB224_773
.LBB224_700:
	s_mov_b64 s[12:13], -1
	s_mov_b64 s[10:11], 0
	s_mov_b64 s[2:3], s[64:65]
	s_branch .LBB224_731
.LBB224_701:
	s_mov_b64 s[12:13], -1
	s_mov_b64 s[10:11], 0
	s_mov_b64 s[2:3], s[64:65]
	s_branch .LBB224_714
.LBB224_702:
	s_mov_b64 s[12:13], -1
	s_mov_b64 s[10:11], 0
	s_mov_b64 s[2:3], s[64:65]
	s_branch .LBB224_710
.LBB224_703:
	s_mov_b64 s[12:13], -1
	s_mov_b64 s[10:11], 0
	s_mov_b64 s[2:3], s[64:65]
.LBB224_704:
	s_and_b64 vcc, exec, s[12:13]
	s_cbranch_vccz .LBB224_709
; %bb.705:
	s_cmp_eq_u32 s17, 44
	s_mov_b64 s[2:3], -1
	s_cbranch_scc0 .LBB224_709
; %bb.706:
	v_and_b32_e32 v4, 0xffff, v2
	v_bfe_u32 v3, v4, 7, 8
	s_movk_i32 s2, 0xff
	v_cmp_ne_u32_e32 vcc, s2, v3
	v_mov_b32_e32 v5, 0xff
	s_and_saveexec_b64 s[10:11], vcc
	s_cbranch_execz .LBB224_708
; %bb.707:
	v_lshlrev_b32_e32 v6, 16, v4
	s_mov_b32 s2, 0x3f0000
	v_lshrrev_b32_e32 v5, 7, v4
	v_and_b32_e32 v4, 64, v4
	v_and_or_b32 v3, v6, s2, v3
	v_cmp_ne_u32_e32 vcc, 0, v4
	v_cmp_ne_u32_e64 s[2:3], 0, v3
	s_and_b64 s[2:3], vcc, s[2:3]
	v_cndmask_b32_e64 v3, 0, 1, s[2:3]
	v_add_u32_e32 v5, v5, v3
.LBB224_708:
	s_or_b64 exec, exec, s[10:11]
	s_mov_b64 s[10:11], -1
	s_mov_b64 s[2:3], 0
	global_store_byte v[0:1], v5, off
.LBB224_709:
	s_mov_b64 s[12:13], 0
.LBB224_710:
	s_and_b64 vcc, exec, s[12:13]
	s_cbranch_vccz .LBB224_713
; %bb.711:
	s_cmp_eq_u32 s17, 29
	s_mov_b64 s[2:3], -1
	s_cbranch_scc0 .LBB224_713
; %bb.712:
	v_lshlrev_b32_e32 v3, 16, v2
	v_trunc_f32_e32 v3, v3
	v_mul_f32_e32 v4, 0x2f800000, v3
	v_floor_f32_e32 v5, v4
	v_fmac_f32_e32 v3, 0xcf800000, v5
	v_cvt_u32_f32_e32 v4, v5
	v_cvt_u32_f32_e32 v3, v3
	s_mov_b64 s[10:11], -1
	s_mov_b64 s[2:3], 0
	s_mov_b64 s[12:13], 0
	global_store_dwordx2 v[0:1], v[3:4], off
	s_branch .LBB224_714
.LBB224_713:
	s_mov_b64 s[12:13], 0
.LBB224_714:
	s_and_b64 vcc, exec, s[12:13]
	s_cbranch_vccz .LBB224_730
; %bb.715:
	s_cmp_lt_i32 s17, 27
	s_mov_b64 s[10:11], -1
	s_cbranch_scc1 .LBB224_721
; %bb.716:
	s_cmp_gt_i32 s17, 27
	s_cbranch_scc0 .LBB224_718
; %bb.717:
	v_lshlrev_b32_e32 v3, 16, v2
	v_cvt_u32_f32_e32 v3, v3
	s_mov_b64 s[10:11], 0
	global_store_dword v[0:1], v3, off
.LBB224_718:
	s_andn2_b64 vcc, exec, s[10:11]
	s_cbranch_vccnz .LBB224_720
; %bb.719:
	v_lshlrev_b32_e32 v3, 16, v2
	v_cvt_u32_f32_e32 v3, v3
	global_store_short v[0:1], v3, off
.LBB224_720:
	s_mov_b64 s[10:11], 0
.LBB224_721:
	s_andn2_b64 vcc, exec, s[10:11]
	s_cbranch_vccnz .LBB224_729
; %bb.722:
	v_lshlrev_b32_e32 v5, 16, v2
	v_and_b32_e32 v4, 0x7fffffff, v5
	s_mov_b32 s10, 0x43800000
	v_cmp_gt_u32_e32 vcc, s10, v4
	v_mov_b32_e32 v6, 0x80
	s_and_saveexec_b64 s[10:11], vcc
	s_cbranch_execz .LBB224_728
; %bb.723:
	s_mov_b32 s12, 0x3bffffff
	v_and_b32_e32 v3, 0xffff, v2
	v_cmp_lt_u32_e32 vcc, s12, v4
	s_mov_b64 s[12:13], 0
                                        ; implicit-def: $vgpr4
	s_and_saveexec_b64 s[14:15], vcc
	s_xor_b64 s[14:15], exec, s[14:15]
	s_cbranch_execz .LBB224_845
; %bb.724:
	v_bfe_u32 v4, v3, 4, 1
	s_mov_b32 s18, 0x487ffff
	v_add3_u32 v4, v5, v4, s18
	s_mov_b64 s[12:13], exec
	v_lshrrev_b32_e32 v4, 20, v4
                                        ; implicit-def: $vgpr5
	s_andn2_saveexec_b64 s[14:15], s[14:15]
	s_cbranch_execnz .LBB224_846
.LBB224_725:
	s_or_b64 exec, exec, s[14:15]
	v_mov_b32_e32 v6, 0
	s_and_saveexec_b64 s[14:15], s[12:13]
.LBB224_726:
	v_lshrrev_b32_e32 v3, 8, v3
	s_movk_i32 s12, 0x80
	v_and_or_b32 v6, v3, s12, v4
.LBB224_727:
	s_or_b64 exec, exec, s[14:15]
.LBB224_728:
	s_or_b64 exec, exec, s[10:11]
	global_store_byte v[0:1], v6, off
.LBB224_729:
	s_mov_b64 s[10:11], -1
.LBB224_730:
	s_mov_b64 s[12:13], 0
.LBB224_731:
	s_and_b64 vcc, exec, s[12:13]
	s_cbranch_vccz .LBB224_772
; %bb.732:
	s_cmp_gt_i32 s17, 22
	s_mov_b64 s[12:13], -1
	s_cbranch_scc0 .LBB224_764
; %bb.733:
	s_cmp_lt_i32 s17, 24
	s_mov_b64 s[10:11], -1
	s_cbranch_scc1 .LBB224_753
; %bb.734:
	s_cmp_gt_i32 s17, 24
	s_cbranch_scc0 .LBB224_742
; %bb.735:
	v_lshlrev_b32_e32 v5, 16, v2
	v_and_b32_e32 v4, 0x7fffffff, v5
	s_mov_b32 s10, 0x47800000
	v_cmp_gt_u32_e32 vcc, s10, v4
	v_mov_b32_e32 v6, 0x80
	s_and_saveexec_b64 s[10:11], vcc
	s_cbranch_execz .LBB224_741
; %bb.736:
	s_mov_b32 s12, 0x37ffffff
	v_and_b32_e32 v3, 0xffff, v2
	v_cmp_lt_u32_e32 vcc, s12, v4
	s_mov_b64 s[12:13], 0
                                        ; implicit-def: $vgpr4
	s_and_saveexec_b64 s[14:15], vcc
	s_xor_b64 s[14:15], exec, s[14:15]
	s_cbranch_execz .LBB224_848
; %bb.737:
	v_bfe_u32 v4, v3, 5, 1
	s_mov_b32 s18, 0x88fffff
	v_add3_u32 v4, v5, v4, s18
	s_mov_b64 s[12:13], exec
	v_lshrrev_b32_e32 v4, 21, v4
                                        ; implicit-def: $vgpr5
	s_andn2_saveexec_b64 s[14:15], s[14:15]
	s_cbranch_execnz .LBB224_849
.LBB224_738:
	s_or_b64 exec, exec, s[14:15]
	v_mov_b32_e32 v6, 0
	s_and_saveexec_b64 s[14:15], s[12:13]
.LBB224_739:
	v_lshrrev_b32_e32 v3, 8, v3
	s_movk_i32 s12, 0x80
	v_and_or_b32 v6, v3, s12, v4
.LBB224_740:
	s_or_b64 exec, exec, s[14:15]
.LBB224_741:
	s_or_b64 exec, exec, s[10:11]
	s_mov_b64 s[10:11], 0
	global_store_byte v[0:1], v6, off
.LBB224_742:
	s_and_b64 vcc, exec, s[10:11]
	s_cbranch_vccz .LBB224_752
; %bb.743:
	v_lshlrev_b32_e32 v5, 16, v2
	v_and_b32_e32 v6, 0x7fffffff, v5
	s_mov_b32 s10, 0x43f00000
	v_and_b32_e32 v3, 0xffff, v2
	v_cmp_gt_u32_e32 vcc, s10, v6
                                        ; implicit-def: $vgpr4
	s_and_saveexec_b64 s[10:11], vcc
	s_xor_b64 s[10:11], exec, s[10:11]
	s_cbranch_execz .LBB224_749
; %bb.744:
	s_mov_b32 s12, 0x3c7fffff
	v_cmp_lt_u32_e32 vcc, s12, v6
                                        ; implicit-def: $vgpr4
	s_and_saveexec_b64 s[12:13], vcc
	s_xor_b64 s[12:13], exec, s[12:13]
; %bb.745:
	v_bfe_u32 v4, v3, 4, 1
	s_mov_b32 s14, 0x407ffff
	v_add3_u32 v4, v5, v4, s14
	v_lshrrev_b32_e32 v5, 20, v4
	v_and_b32_e32 v4, 0xff00000, v4
	s_mov_b32 s14, 0x7f00000
	v_mov_b32_e32 v6, 0x7e
	v_cmp_ne_u32_e32 vcc, s14, v4
	v_cndmask_b32_e32 v4, v6, v5, vcc
                                        ; implicit-def: $vgpr5
; %bb.746:
	s_andn2_saveexec_b64 s[12:13], s[12:13]
; %bb.747:
	s_mov_b32 s14, 0x46800000
	v_add_f32_e64 v4, |v5|, s14
; %bb.748:
	s_or_b64 exec, exec, s[12:13]
                                        ; implicit-def: $vgpr6
.LBB224_749:
	s_andn2_saveexec_b64 s[10:11], s[10:11]
; %bb.750:
	s_mov_b32 s12, 0x7f800000
	v_mov_b32_e32 v4, 0x7e
	v_mov_b32_e32 v5, 0x7f
	v_cmp_lt_u32_e32 vcc, s12, v6
	v_cndmask_b32_e32 v4, v4, v5, vcc
; %bb.751:
	s_or_b64 exec, exec, s[10:11]
	v_lshrrev_b32_e32 v3, 8, v3
	s_movk_i32 s10, 0x80
	v_and_or_b32 v3, v3, s10, v4
	global_store_byte v[0:1], v3, off
.LBB224_752:
	s_mov_b64 s[10:11], 0
.LBB224_753:
	s_andn2_b64 vcc, exec, s[10:11]
	s_cbranch_vccnz .LBB224_763
; %bb.754:
	v_lshlrev_b32_e32 v5, 16, v2
	v_and_b32_e32 v6, 0x7fffffff, v5
	s_mov_b32 s10, 0x47800000
	v_and_b32_e32 v3, 0xffff, v2
	v_cmp_gt_u32_e32 vcc, s10, v6
                                        ; implicit-def: $vgpr4
	s_and_saveexec_b64 s[10:11], vcc
	s_xor_b64 s[10:11], exec, s[10:11]
	s_cbranch_execz .LBB224_760
; %bb.755:
	s_mov_b32 s12, 0x387fffff
	v_cmp_lt_u32_e32 vcc, s12, v6
                                        ; implicit-def: $vgpr4
	s_and_saveexec_b64 s[12:13], vcc
	s_xor_b64 s[12:13], exec, s[12:13]
; %bb.756:
	v_bfe_u32 v4, v3, 5, 1
	s_mov_b32 s14, 0x80fffff
	v_add3_u32 v4, v5, v4, s14
	v_lshrrev_b32_e32 v4, 21, v4
                                        ; implicit-def: $vgpr5
; %bb.757:
	s_andn2_saveexec_b64 s[12:13], s[12:13]
; %bb.758:
	s_mov_b32 s14, 0x43000000
	v_add_f32_e64 v4, |v5|, s14
; %bb.759:
	s_or_b64 exec, exec, s[12:13]
                                        ; implicit-def: $vgpr6
.LBB224_760:
	s_andn2_saveexec_b64 s[10:11], s[10:11]
; %bb.761:
	s_mov_b32 s12, 0x7f800000
	v_mov_b32_e32 v4, 0x7c
	v_mov_b32_e32 v5, 0x7f
	v_cmp_lt_u32_e32 vcc, s12, v6
	v_cndmask_b32_e32 v4, v4, v5, vcc
; %bb.762:
	s_or_b64 exec, exec, s[10:11]
	v_lshrrev_b32_e32 v3, 8, v3
	s_movk_i32 s10, 0x80
	v_and_or_b32 v3, v3, s10, v4
	global_store_byte v[0:1], v3, off
.LBB224_763:
	s_mov_b64 s[12:13], 0
	s_mov_b64 s[10:11], -1
.LBB224_764:
	s_andn2_b64 vcc, exec, s[12:13]
	s_cbranch_vccnz .LBB224_772
; %bb.765:
	s_cmp_gt_i32 s17, 14
	s_mov_b64 s[12:13], -1
	s_cbranch_scc0 .LBB224_769
; %bb.766:
	s_cmp_eq_u32 s17, 15
	s_mov_b64 s[2:3], -1
	s_cbranch_scc0 .LBB224_768
; %bb.767:
	global_store_short v[0:1], v2, off
	s_mov_b64 s[10:11], -1
	s_mov_b64 s[2:3], 0
.LBB224_768:
	s_mov_b64 s[12:13], 0
.LBB224_769:
	s_and_b64 vcc, exec, s[12:13]
	s_cbranch_vccz .LBB224_772
; %bb.770:
	s_cmp_eq_u32 s17, 11
	s_mov_b64 s[2:3], -1
	s_cbranch_scc0 .LBB224_772
; %bb.771:
	v_and_b32_e32 v3, 0x7fff, v2
	v_cmp_ne_u16_e32 vcc, 0, v3
	v_cndmask_b32_e64 v3, 0, 1, vcc
	s_mov_b64 s[10:11], -1
	s_mov_b64 s[2:3], 0
	global_store_byte v[0:1], v3, off
.LBB224_772:
	s_mov_b64 s[12:13], 0
.LBB224_773:
	s_and_b64 vcc, exec, s[12:13]
	s_cbranch_vccz .LBB224_812
; %bb.774:
	s_and_b32 s12, 0xffff, s16
	s_cmp_lt_i32 s12, 5
	s_mov_b64 s[10:11], -1
	s_cbranch_scc1 .LBB224_795
; %bb.775:
	s_cmp_lt_i32 s12, 8
	s_cbranch_scc1 .LBB224_785
; %bb.776:
	s_cmp_lt_i32 s12, 9
	s_cbranch_scc1 .LBB224_782
; %bb.777:
	s_cmp_gt_i32 s12, 9
	s_cbranch_scc0 .LBB224_779
; %bb.778:
	v_lshlrev_b32_e32 v3, 16, v2
	v_cvt_f64_f32_e32 v[3:4], v3
	v_mov_b32_e32 v5, 0
	v_mov_b32_e32 v6, v5
	s_mov_b64 s[10:11], 0
	global_store_dwordx4 v[0:1], v[3:6], off
.LBB224_779:
	s_andn2_b64 vcc, exec, s[10:11]
	s_cbranch_vccnz .LBB224_781
; %bb.780:
	v_lshlrev_b32_e32 v3, 16, v2
	v_mov_b32_e32 v4, 0
	global_store_dwordx2 v[0:1], v[3:4], off
.LBB224_781:
	s_mov_b64 s[10:11], 0
.LBB224_782:
	s_andn2_b64 vcc, exec, s[10:11]
	s_cbranch_vccnz .LBB224_784
; %bb.783:
	v_lshlrev_b32_e32 v3, 16, v2
	v_cvt_f16_f32_e32 v3, v3
	global_store_dword v[0:1], v3, off
.LBB224_784:
	s_mov_b64 s[10:11], 0
.LBB224_785:
	s_andn2_b64 vcc, exec, s[10:11]
	s_cbranch_vccnz .LBB224_794
; %bb.786:
	s_cmp_lt_i32 s12, 6
	s_mov_b64 s[10:11], -1
	s_cbranch_scc1 .LBB224_792
; %bb.787:
	s_cmp_gt_i32 s12, 6
	s_cbranch_scc0 .LBB224_789
; %bb.788:
	v_lshlrev_b32_e32 v3, 16, v2
	v_cvt_f64_f32_e32 v[3:4], v3
	s_mov_b64 s[10:11], 0
	global_store_dwordx2 v[0:1], v[3:4], off
.LBB224_789:
	s_andn2_b64 vcc, exec, s[10:11]
	s_cbranch_vccnz .LBB224_791
; %bb.790:
	v_lshlrev_b32_e32 v3, 16, v2
	global_store_dword v[0:1], v3, off
.LBB224_791:
	s_mov_b64 s[10:11], 0
.LBB224_792:
	s_andn2_b64 vcc, exec, s[10:11]
	s_cbranch_vccnz .LBB224_794
; %bb.793:
	v_lshlrev_b32_e32 v3, 16, v2
	v_cvt_f16_f32_e32 v3, v3
	global_store_short v[0:1], v3, off
.LBB224_794:
	s_mov_b64 s[10:11], 0
.LBB224_795:
	s_andn2_b64 vcc, exec, s[10:11]
	s_cbranch_vccnz .LBB224_811
; %bb.796:
	s_cmp_lt_i32 s12, 2
	s_mov_b64 s[10:11], -1
	s_cbranch_scc1 .LBB224_806
; %bb.797:
	s_cmp_lt_i32 s12, 3
	s_cbranch_scc1 .LBB224_803
; %bb.798:
	s_cmp_gt_i32 s12, 3
	s_cbranch_scc0 .LBB224_800
; %bb.799:
	v_lshlrev_b32_e32 v3, 16, v2
	v_trunc_f32_e32 v3, v3
	s_mov_b32 s10, 0x2f800000
	v_mul_f32_e64 v4, |v3|, s10
	v_floor_f32_e32 v4, v4
	s_mov_b32 s10, 0xcf800000
	v_cvt_u32_f32_e32 v5, v4
	v_fma_f32 v4, v4, s10, |v3|
	v_cvt_u32_f32_e32 v4, v4
	v_ashrrev_i32_e32 v6, 31, v3
	v_xor_b32_e32 v5, v5, v6
	s_mov_b64 s[10:11], 0
	v_xor_b32_e32 v3, v4, v6
	v_sub_co_u32_e32 v3, vcc, v3, v6
	v_subb_co_u32_e32 v4, vcc, v5, v6, vcc
	global_store_dwordx2 v[0:1], v[3:4], off
.LBB224_800:
	s_andn2_b64 vcc, exec, s[10:11]
	s_cbranch_vccnz .LBB224_802
; %bb.801:
	v_lshlrev_b32_e32 v3, 16, v2
	v_cvt_i32_f32_e32 v3, v3
	global_store_dword v[0:1], v3, off
.LBB224_802:
	s_mov_b64 s[10:11], 0
.LBB224_803:
	s_andn2_b64 vcc, exec, s[10:11]
	s_cbranch_vccnz .LBB224_805
; %bb.804:
	v_lshlrev_b32_e32 v3, 16, v2
	v_cvt_i32_f32_e32 v3, v3
	global_store_short v[0:1], v3, off
.LBB224_805:
	s_mov_b64 s[10:11], 0
.LBB224_806:
	s_andn2_b64 vcc, exec, s[10:11]
	s_cbranch_vccnz .LBB224_811
; %bb.807:
	s_mov_b64 s[10:11], -1
	s_cmp_gt_i32 s12, 0
	v_lshlrev_b32_e32 v2, 16, v2
	s_cbranch_scc0 .LBB224_809
; %bb.808:
	v_cvt_i32_f32_e32 v3, v2
	s_mov_b64 s[10:11], 0
	global_store_byte v[0:1], v3, off
.LBB224_809:
	s_andn2_b64 vcc, exec, s[10:11]
	s_cbranch_vccnz .LBB224_811
; %bb.810:
	v_trunc_f32_e32 v2, v2
	s_mov_b32 s10, 0x2f800000
	v_mul_f32_e64 v3, |v2|, s10
	v_floor_f32_e32 v3, v3
	s_mov_b32 s10, 0xcf800000
	v_fma_f32 v3, v3, s10, |v2|
	v_cvt_u32_f32_e32 v3, v3
	v_ashrrev_i32_e32 v2, 31, v2
	v_xor_b32_e32 v3, v3, v2
	v_sub_u32_e32 v2, v3, v2
	global_store_byte v[0:1], v2, off
.LBB224_811:
	s_mov_b64 s[10:11], -1
.LBB224_812:
	s_andn2_b64 vcc, exec, s[10:11]
	s_cbranch_vccnz .LBB224_814
; %bb.813:
	v_add_u32_e32 v8, 0x80, v8
	s_mov_b64 s[10:11], -1
	s_branch .LBB224_816
.LBB224_814:
	s_mov_b64 s[10:11], 0
.LBB224_815:
                                        ; implicit-def: $vgpr8
.LBB224_816:
	s_andn2_b64 s[12:13], s[64:65], exec
	s_and_b64 s[2:3], s[2:3], exec
	s_or_b64 s[70:71], s[12:13], s[2:3]
	s_andn2_b64 s[2:3], s[62:63], exec
	s_and_b64 s[8:9], s[8:9], exec
	s_or_b64 s[2:3], s[2:3], s[8:9]
	s_orn2_b64 s[10:11], s[10:11], exec
.LBB224_817:
	s_or_b64 exec, exec, s[68:69]
	s_mov_b64 s[8:9], 0
	s_mov_b64 s[12:13], 0
	;; [unrolled: 1-line block ×3, first 2 shown]
                                        ; implicit-def: $vgpr1_vgpr2
                                        ; implicit-def: $vgpr0
                                        ; implicit-def: $vgpr4
	s_and_saveexec_b64 s[68:69], s[10:11]
	s_cbranch_execz .LBB224_916
; %bb.818:
	v_cmp_gt_i32_e32 vcc, s72, v8
	s_mov_b64 s[10:11], 0
	s_mov_b64 s[16:17], s[2:3]
                                        ; implicit-def: $vgpr1_vgpr2
                                        ; implicit-def: $vgpr0
                                        ; implicit-def: $vgpr4
	s_and_saveexec_b64 s[72:73], vcc
	s_cbranch_execz .LBB224_915
; %bb.819:
	s_andn2_b64 vcc, exec, s[44:45]
	s_cbranch_vccnz .LBB224_824
; %bb.820:
	s_andn2_b64 vcc, exec, s[54:55]
	s_cbranch_vccnz .LBB224_825
; %bb.821:
	s_add_i32 s79, s78, 1
	s_cmp_eq_u32 s74, 2
	s_cbranch_scc1 .LBB224_826
; %bb.822:
	s_and_b32 s78, s79, 28
	v_mov_b32_e32 v2, 0
	s_mov_b32 s80, 0
	s_mov_b64 s[54:55], s[34:35]
	v_mov_b32_e32 v0, 0
	v_mov_b32_e32 v1, v8
.LBB224_823:                            ; =>This Inner Loop Header: Depth=1
	s_load_dwordx8 s[16:23], s[54:55], 0x4
	s_load_dwordx4 s[40:43], s[54:55], 0x24
	s_load_dwordx8 s[8:15], s[52:53], 0x0
	s_add_u32 s54, s54, 48
	s_addc_u32 s55, s55, 0
	s_waitcnt vmcnt(0) lgkmcnt(0)
	v_mul_hi_u32 v3, s17, v1
	s_add_i32 s80, s80, 4
	s_add_u32 s52, s52, 32
	s_addc_u32 s53, s53, 0
	v_add_u32_e32 v3, v1, v3
	v_lshrrev_b32_e32 v3, s18, v3
	v_mul_lo_u32 v4, v3, s16
	v_mul_hi_u32 v5, s20, v3
	s_cmp_eq_u32 s78, s80
	v_sub_u32_e32 v1, v1, v4
	v_add_u32_e32 v4, v3, v5
	v_mul_lo_u32 v5, v1, s8
	v_mul_lo_u32 v6, v1, s9
	v_lshrrev_b32_e32 v1, s21, v4
	v_mul_lo_u32 v4, v1, s19
	v_mul_hi_u32 v7, s23, v1
	v_sub_u32_e32 v3, v3, v4
	v_add_u32_e32 v4, v1, v7
	v_lshrrev_b32_e32 v4, s40, v4
	v_mul_hi_u32 v9, s42, v4
	v_mul_lo_u32 v10, v4, s22
	v_mul_lo_u32 v7, v3, s10
	;; [unrolled: 1-line block ×3, first 2 shown]
	v_sub_u32_e32 v10, v1, v10
	v_add_u32_e32 v1, v4, v9
	v_lshrrev_b32_e32 v1, s43, v1
	v_mul_lo_u32 v9, v1, s41
	v_mul_lo_u32 v11, v10, s12
	;; [unrolled: 1-line block ×3, first 2 shown]
	v_add3_u32 v0, v5, v0, v7
	v_sub_u32_e32 v4, v4, v9
	v_mul_lo_u32 v9, v4, s14
	v_mul_lo_u32 v4, v4, s15
	v_add3_u32 v2, v6, v2, v3
	v_add3_u32 v0, v11, v0, v9
	;; [unrolled: 1-line block ×3, first 2 shown]
	s_cbranch_scc0 .LBB224_823
	s_branch .LBB224_827
.LBB224_824:
	s_mov_b64 s[8:9], -1
                                        ; implicit-def: $vgpr0
                                        ; implicit-def: $vgpr2
	s_branch .LBB224_831
.LBB224_825:
	v_mov_b32_e32 v0, 0
	v_mov_b32_e32 v2, 0
	s_branch .LBB224_830
.LBB224_826:
	s_mov_b32 s78, 0
	v_mov_b32_e32 v0, 0
	v_mov_b32_e32 v2, 0
	;; [unrolled: 1-line block ×3, first 2 shown]
.LBB224_827:
	s_and_b32 s12, s79, 3
	s_cmp_eq_u32 s12, 0
	s_cbranch_scc1 .LBB224_830
; %bb.828:
	s_lshl_b32 s8, s78, 3
	s_add_u32 s8, s34, s8
	s_addc_u32 s9, s35, 0
	s_add_u32 s8, s8, 0xc4
	s_addc_u32 s9, s9, 0
	s_mul_i32 s10, s78, 12
	s_add_u32 s10, s34, s10
	s_addc_u32 s11, s35, 0
.LBB224_829:                            ; =>This Inner Loop Header: Depth=1
	s_load_dwordx2 s[14:15], s[10:11], 0x4
	s_load_dword s13, s[10:11], 0xc
	s_load_dwordx2 s[16:17], s[8:9], 0x0
	s_add_u32 s10, s10, 12
	s_addc_u32 s11, s11, 0
	s_waitcnt vmcnt(0) lgkmcnt(0)
	v_mul_hi_u32 v3, s15, v1
	s_add_u32 s8, s8, 8
	s_addc_u32 s9, s9, 0
	s_add_i32 s12, s12, -1
	v_add_u32_e32 v3, v1, v3
	v_lshrrev_b32_e32 v4, s13, v3
	v_mul_lo_u32 v3, v4, s14
	s_cmp_lg_u32 s12, 0
	v_sub_u32_e32 v3, v1, v3
	v_mad_u64_u32 v[0:1], s[14:15], v3, s16, v[0:1]
	v_mad_u64_u32 v[2:3], s[14:15], v3, s17, v[2:3]
	v_mov_b32_e32 v1, v4
	s_cbranch_scc1 .LBB224_829
.LBB224_830:
	s_mov_b64 s[8:9], 0
.LBB224_831:
	s_andn2_b64 vcc, exec, s[8:9]
	s_cbranch_vccnz .LBB224_834
; %bb.832:
	v_mul_hi_u32 v0, s29, v8
	s_andn2_b64 vcc, exec, s[50:51]
	v_add_u32_e32 v0, v8, v0
	v_lshrrev_b32_e32 v1, s30, v0
	v_mul_lo_u32 v0, v1, s28
	v_sub_u32_e32 v2, v8, v0
	v_mul_lo_u32 v0, v2, s36
	v_mul_lo_u32 v2, v2, s37
	s_cbranch_vccnz .LBB224_834
; %bb.833:
	s_waitcnt vmcnt(0)
	v_mul_hi_u32 v3, s48, v1
	v_add_u32_e32 v3, v1, v3
	v_lshrrev_b32_e32 v3, s49, v3
	v_mul_lo_u32 v3, v3, s31
	v_sub_u32_e32 v3, v1, v3
	v_mad_u64_u32 v[0:1], s[8:9], v3, s38, v[0:1]
	v_mad_u64_u32 v[2:3], s[8:9], v3, s39, v[2:3]
.LBB224_834:
	s_waitcnt vmcnt(0)
	v_mov_b32_e32 v3, s27
	s_and_b32 s18, 0xffff, s77
	v_add_co_u32_e32 v1, vcc, s26, v2
	s_cmp_lt_i32 s18, 11
	v_addc_co_u32_e32 v2, vcc, 0, v3, vcc
	s_cbranch_scc1 .LBB224_841
; %bb.835:
	s_cmp_gt_i32 s18, 25
	s_mov_b64 s[10:11], 0
	s_cbranch_scc0 .LBB224_842
; %bb.836:
	s_cmp_gt_i32 s18, 28
	s_cbranch_scc0 .LBB224_843
; %bb.837:
	s_cmp_gt_i32 s18, 43
	s_cbranch_scc0 .LBB224_844
; %bb.838:
	s_cmp_gt_i32 s18, 45
	s_cbranch_scc0 .LBB224_847
; %bb.839:
	s_cmp_eq_u32 s18, 46
	s_mov_b64 s[14:15], 0
	s_cbranch_scc0 .LBB224_850
; %bb.840:
	global_load_dword v4, v[1:2], off
	s_mov_b64 s[8:9], 0
	s_mov_b64 s[12:13], -1
	s_branch .LBB224_851
.LBB224_841:
	s_mov_b64 s[16:17], -1
	s_mov_b64 s[12:13], 0
	s_mov_b64 s[10:11], 0
	;; [unrolled: 1-line block ×3, first 2 shown]
                                        ; implicit-def: $vgpr4
	s_branch .LBB224_914
.LBB224_842:
	s_mov_b64 s[14:15], -1
	s_mov_b64 s[12:13], 0
	s_mov_b64 s[8:9], s[2:3]
                                        ; implicit-def: $vgpr4
	s_branch .LBB224_880
.LBB224_843:
	s_mov_b64 s[14:15], -1
	s_mov_b64 s[12:13], 0
	s_mov_b64 s[8:9], s[2:3]
                                        ; implicit-def: $vgpr4
	s_branch .LBB224_861
.LBB224_844:
	s_mov_b64 s[14:15], -1
	s_mov_b64 s[12:13], 0
	s_mov_b64 s[8:9], s[2:3]
                                        ; implicit-def: $vgpr4
	s_branch .LBB224_856
.LBB224_845:
	s_andn2_saveexec_b64 s[14:15], s[14:15]
	s_cbranch_execz .LBB224_725
.LBB224_846:
	s_mov_b32 s18, 0x46000000
	v_add_f32_e64 v4, |v5|, s18
	v_and_b32_e32 v4, 0xff, v4
	v_cmp_ne_u32_e32 vcc, 0, v4
	s_andn2_b64 s[12:13], s[12:13], exec
	s_and_b64 s[18:19], vcc, exec
	s_or_b64 s[12:13], s[12:13], s[18:19]
	s_or_b64 exec, exec, s[14:15]
	v_mov_b32_e32 v6, 0
	s_and_saveexec_b64 s[14:15], s[12:13]
	s_cbranch_execnz .LBB224_726
	s_branch .LBB224_727
.LBB224_847:
	s_mov_b64 s[14:15], -1
	s_mov_b64 s[12:13], 0
	s_mov_b64 s[8:9], s[2:3]
                                        ; implicit-def: $vgpr4
	s_branch .LBB224_851
.LBB224_848:
	s_andn2_saveexec_b64 s[14:15], s[14:15]
	s_cbranch_execz .LBB224_738
.LBB224_849:
	s_mov_b32 s18, 0x42800000
	v_add_f32_e64 v4, |v5|, s18
	v_and_b32_e32 v4, 0xff, v4
	v_cmp_ne_u32_e32 vcc, 0, v4
	s_andn2_b64 s[12:13], s[12:13], exec
	s_and_b64 s[18:19], vcc, exec
	s_or_b64 s[12:13], s[12:13], s[18:19]
	s_or_b64 exec, exec, s[14:15]
	v_mov_b32_e32 v6, 0
	s_and_saveexec_b64 s[14:15], s[12:13]
	s_cbranch_execnz .LBB224_739
	s_branch .LBB224_740
.LBB224_850:
	s_mov_b64 s[8:9], -1
                                        ; implicit-def: $vgpr4
	s_mov_b64 s[12:13], 0
.LBB224_851:
	s_and_b64 vcc, exec, s[14:15]
	s_cbranch_vccz .LBB224_855
; %bb.852:
	s_cmp_eq_u32 s18, 44
	s_cbranch_scc0 .LBB224_854
; %bb.853:
	global_load_ubyte v3, v[1:2], off
	s_movk_i32 s12, 0xff
	s_waitcnt vmcnt(1)
	v_mov_b32_e32 v4, 0x7f800001
	v_mov_b32_e32 v5, 0x400000
	;; [unrolled: 1-line block ×3, first 2 shown]
	s_mov_b64 s[8:9], 0
	s_waitcnt vmcnt(0)
	v_lshlrev_b32_e32 v7, 23, v3
	v_cmp_ne_u32_e32 vcc, s12, v3
	v_cndmask_b32_e32 v4, v4, v7, vcc
	v_cmp_ne_u32_e32 vcc, 0, v3
	v_cndmask_b32_e32 v3, v5, v4, vcc
	v_add_u32_e32 v4, 0x7fff, v3
	v_cmp_o_f32_e32 vcc, v3, v3
	v_cndmask_b32_sdwa v4, v6, v4, vcc dst_sel:DWORD dst_unused:UNUSED_PAD src0_sel:DWORD src1_sel:WORD_1
	s_mov_b64 s[12:13], -1
	s_branch .LBB224_855
.LBB224_854:
	s_mov_b64 s[8:9], -1
                                        ; implicit-def: $vgpr4
.LBB224_855:
	s_mov_b64 s[14:15], 0
.LBB224_856:
	s_and_b64 vcc, exec, s[14:15]
	s_cbranch_vccz .LBB224_860
; %bb.857:
	s_cmp_eq_u32 s18, 29
	s_cbranch_scc0 .LBB224_859
; %bb.858:
	global_load_dwordx2 v[3:4], v[1:2], off
	s_movk_i32 s12, 0x7fff
	s_mov_b64 s[8:9], 0
	s_mov_b64 s[14:15], 0
	s_waitcnt vmcnt(0)
	v_ffbh_u32_e32 v5, v4
	v_min_u32_e32 v5, 32, v5
	v_lshlrev_b64 v[3:4], v5, v[3:4]
	v_min_u32_e32 v3, 1, v3
	v_or_b32_e32 v3, v4, v3
	v_cvt_f32_u32_e32 v3, v3
	v_sub_u32_e32 v4, 32, v5
	v_ldexp_f32 v3, v3, v4
	v_bfe_u32 v4, v3, 16, 1
	v_add3_u32 v3, v3, v4, s12
	v_lshrrev_b32_e32 v4, 16, v3
	s_mov_b64 s[12:13], -1
	s_branch .LBB224_861
.LBB224_859:
	s_mov_b64 s[8:9], -1
                                        ; implicit-def: $vgpr4
.LBB224_860:
	s_mov_b64 s[14:15], 0
.LBB224_861:
	s_and_b64 vcc, exec, s[14:15]
	s_cbranch_vccz .LBB224_879
; %bb.862:
	s_cmp_lt_i32 s18, 27
	s_cbranch_scc1 .LBB224_865
; %bb.863:
	s_cmp_gt_i32 s18, 27
	s_cbranch_scc0 .LBB224_866
; %bb.864:
	global_load_dword v3, v[1:2], off
	s_movk_i32 s12, 0x7fff
	s_waitcnt vmcnt(0)
	v_cvt_f32_u32_e32 v3, v3
	v_bfe_u32 v4, v3, 16, 1
	v_add3_u32 v3, v3, v4, s12
	v_lshrrev_b32_e32 v4, 16, v3
	s_mov_b64 s[12:13], 0
	s_branch .LBB224_867
.LBB224_865:
	s_mov_b64 s[12:13], -1
                                        ; implicit-def: $vgpr4
	s_branch .LBB224_870
.LBB224_866:
	s_mov_b64 s[12:13], -1
                                        ; implicit-def: $vgpr4
.LBB224_867:
	s_andn2_b64 vcc, exec, s[12:13]
	s_cbranch_vccnz .LBB224_869
; %bb.868:
	global_load_ushort v3, v[1:2], off
	s_movk_i32 s12, 0x7fff
	s_waitcnt vmcnt(0)
	v_cvt_f32_u32_e32 v3, v3
	v_bfe_u32 v4, v3, 16, 1
	v_add3_u32 v3, v3, v4, s12
	v_lshrrev_b32_e32 v4, 16, v3
.LBB224_869:
	s_mov_b64 s[12:13], 0
.LBB224_870:
	s_andn2_b64 vcc, exec, s[12:13]
	s_cbranch_vccnz .LBB224_878
; %bb.871:
	global_load_ubyte v3, v[1:2], off
	s_movk_i32 s12, 0x7f
	s_waitcnt vmcnt(0)
	v_cmp_lt_i16_e32 vcc, s12, v3
	s_mov_b64 s[12:13], 0
	s_and_saveexec_b64 s[14:15], vcc
	s_xor_b64 s[14:15], exec, s[14:15]
	s_cbranch_execz .LBB224_892
; %bb.872:
	s_movk_i32 s12, 0x80
	v_cmp_eq_u16_e32 vcc, s12, v3
	s_mov_b64 s[12:13], -1
	s_and_saveexec_b64 s[16:17], vcc
; %bb.873:
	s_xor_b64 s[12:13], exec, -1
; %bb.874:
	s_or_b64 exec, exec, s[16:17]
	s_and_b64 s[12:13], s[12:13], exec
	s_or_saveexec_b64 s[14:15], s[14:15]
	v_mov_b32_e32 v4, 0x7f800001
	s_xor_b64 exec, exec, s[14:15]
	s_cbranch_execnz .LBB224_893
.LBB224_875:
	s_or_b64 exec, exec, s[14:15]
	s_and_saveexec_b64 s[14:15], s[12:13]
	s_cbranch_execz .LBB224_877
.LBB224_876:
	v_lshlrev_b32_e32 v4, 24, v3
	v_and_b32_e32 v3, 0xffff, v3
	v_and_b32_e32 v5, 7, v3
	v_ffbh_u32_e32 v7, v5
	v_min_u32_e32 v7, 32, v7
	v_subrev_u32_e32 v8, 28, v7
	v_bfe_u32 v6, v3, 3, 4
	v_lshlrev_b32_e32 v3, v8, v3
	v_sub_u32_e32 v7, 29, v7
	v_and_b32_e32 v3, 7, v3
	v_cmp_eq_u32_e32 vcc, 0, v6
	v_cndmask_b32_e32 v6, v6, v7, vcc
	v_cndmask_b32_e32 v3, v5, v3, vcc
	v_mov_b32_e32 v5, 0x3b800000
	v_lshlrev_b32_e32 v3, 20, v3
	v_and_b32_e32 v4, 0x80000000, v4
	v_lshl_add_u32 v5, v6, 23, v5
	v_or3_b32 v4, v4, v5, v3
.LBB224_877:
	s_or_b64 exec, exec, s[14:15]
	v_bfe_u32 v3, v4, 16, 1
	s_movk_i32 s12, 0x7fff
	v_add3_u32 v3, v4, v3, s12
	v_cmp_o_f32_e32 vcc, v4, v4
	v_mov_b32_e32 v4, 0x7fc0
	v_cndmask_b32_sdwa v4, v4, v3, vcc dst_sel:DWORD dst_unused:UNUSED_PAD src0_sel:DWORD src1_sel:WORD_1
.LBB224_878:
	s_mov_b64 s[12:13], -1
.LBB224_879:
	s_mov_b64 s[14:15], 0
.LBB224_880:
	s_and_b64 vcc, exec, s[14:15]
	s_cbranch_vccz .LBB224_913
; %bb.881:
	s_cmp_gt_i32 s18, 22
	s_cbranch_scc0 .LBB224_891
; %bb.882:
	s_cmp_lt_i32 s18, 24
	s_cbranch_scc1 .LBB224_894
; %bb.883:
	s_cmp_gt_i32 s18, 24
	s_cbranch_scc0 .LBB224_895
; %bb.884:
	global_load_ubyte v3, v[1:2], off
	s_movk_i32 s10, 0x7f
	s_waitcnt vmcnt(0)
	v_cmp_lt_i16_e32 vcc, s10, v3
	s_mov_b64 s[10:11], 0
	s_and_saveexec_b64 s[12:13], vcc
	s_xor_b64 s[12:13], exec, s[12:13]
	s_cbranch_execz .LBB224_907
; %bb.885:
	s_movk_i32 s10, 0x80
	v_cmp_eq_u16_e32 vcc, s10, v3
	s_mov_b64 s[10:11], -1
	s_and_saveexec_b64 s[14:15], vcc
; %bb.886:
	s_xor_b64 s[10:11], exec, -1
; %bb.887:
	s_or_b64 exec, exec, s[14:15]
	s_and_b64 s[10:11], s[10:11], exec
	s_or_saveexec_b64 s[12:13], s[12:13]
	v_mov_b32_e32 v4, 0x7f800001
	s_xor_b64 exec, exec, s[12:13]
	s_cbranch_execnz .LBB224_908
.LBB224_888:
	s_or_b64 exec, exec, s[12:13]
	s_and_saveexec_b64 s[12:13], s[10:11]
	s_cbranch_execz .LBB224_890
.LBB224_889:
	v_lshlrev_b32_e32 v4, 24, v3
	v_and_b32_e32 v3, 0xffff, v3
	v_and_b32_e32 v5, 3, v3
	v_ffbh_u32_e32 v7, v5
	v_min_u32_e32 v7, 32, v7
	v_subrev_u32_e32 v8, 29, v7
	v_bfe_u32 v6, v3, 2, 5
	v_lshlrev_b32_e32 v3, v8, v3
	v_sub_u32_e32 v7, 30, v7
	v_and_b32_e32 v3, 3, v3
	v_cmp_eq_u32_e32 vcc, 0, v6
	v_cndmask_b32_e32 v6, v6, v7, vcc
	v_cndmask_b32_e32 v3, v5, v3, vcc
	v_mov_b32_e32 v5, 0x37800000
	v_lshlrev_b32_e32 v3, 21, v3
	v_and_b32_e32 v4, 0x80000000, v4
	v_lshl_add_u32 v5, v6, 23, v5
	v_or3_b32 v4, v4, v5, v3
.LBB224_890:
	s_or_b64 exec, exec, s[12:13]
	v_bfe_u32 v3, v4, 16, 1
	s_movk_i32 s10, 0x7fff
	v_add3_u32 v3, v4, v3, s10
	v_cmp_o_f32_e32 vcc, v4, v4
	v_mov_b32_e32 v4, 0x7fc0
	v_cndmask_b32_sdwa v4, v4, v3, vcc dst_sel:DWORD dst_unused:UNUSED_PAD src0_sel:DWORD src1_sel:WORD_1
	s_mov_b64 s[10:11], 0
	s_branch .LBB224_896
.LBB224_891:
	s_mov_b64 s[10:11], -1
                                        ; implicit-def: $vgpr4
	s_branch .LBB224_902
.LBB224_892:
	s_or_saveexec_b64 s[14:15], s[14:15]
	v_mov_b32_e32 v4, 0x7f800001
	s_xor_b64 exec, exec, s[14:15]
	s_cbranch_execz .LBB224_875
.LBB224_893:
	v_cmp_ne_u16_e32 vcc, 0, v3
	s_andn2_b64 s[12:13], s[12:13], exec
	s_and_b64 s[16:17], vcc, exec
	v_mov_b32_e32 v4, 0
	s_or_b64 s[12:13], s[12:13], s[16:17]
	s_or_b64 exec, exec, s[14:15]
	s_and_saveexec_b64 s[14:15], s[12:13]
	s_cbranch_execnz .LBB224_876
	s_branch .LBB224_877
.LBB224_894:
	s_mov_b64 s[10:11], -1
                                        ; implicit-def: $vgpr4
	s_branch .LBB224_899
.LBB224_895:
	s_mov_b64 s[10:11], -1
                                        ; implicit-def: $vgpr4
.LBB224_896:
	s_and_b64 vcc, exec, s[10:11]
	s_cbranch_vccz .LBB224_898
; %bb.897:
	global_load_ubyte v3, v[1:2], off
	s_mov_b32 s10, 0x7f800000
	s_brev_b32 s11, 1
	s_movk_i32 s12, 0x7fff
	s_waitcnt vmcnt(0)
	v_lshlrev_b32_e32 v3, 24, v3
	v_and_b32_e32 v4, 0x7f000000, v3
	v_ffbh_u32_e32 v5, v4
	v_min_u32_e32 v5, 32, v5
	v_sub_u32_e64 v5, v5, 4 clamp
	v_lshlrev_b32_e32 v7, v5, v4
	v_lshlrev_b32_e32 v5, 23, v5
	v_lshrrev_b32_e32 v7, 4, v7
	v_add_u32_e32 v6, 0x1000000, v4
	v_sub_u32_e32 v5, v7, v5
	v_ashrrev_i32_e32 v6, 8, v6
	v_add_u32_e32 v5, 0x3c000000, v5
	v_and_or_b32 v5, v6, s10, v5
	v_cmp_ne_u32_e32 vcc, 0, v4
	v_cndmask_b32_e32 v4, 0, v5, vcc
	v_and_or_b32 v3, v3, s11, v4
	v_bfe_u32 v4, v4, 16, 1
	v_add3_u32 v4, v3, v4, s12
	v_cmp_o_f32_e32 vcc, v3, v3
	v_mov_b32_e32 v3, 0x7fc0
	v_cndmask_b32_sdwa v4, v3, v4, vcc dst_sel:DWORD dst_unused:UNUSED_PAD src0_sel:DWORD src1_sel:WORD_1
.LBB224_898:
	s_mov_b64 s[10:11], 0
.LBB224_899:
	s_andn2_b64 vcc, exec, s[10:11]
	s_cbranch_vccnz .LBB224_901
; %bb.900:
	global_load_ubyte v3, v[1:2], off
	s_movk_i32 s10, 0x7f00
	s_brev_b32 s11, 16
	s_brev_b32 s12, 1
	s_movk_i32 s13, 0x7fff
	s_waitcnt vmcnt(0)
	v_lshlrev_b16_e32 v4, 8, v3
	v_lshlrev_b32_e32 v3, 25, v3
	v_lshrrev_b32_e32 v5, 4, v3
	v_and_or_b32 v6, v4, s10, 0.5
	v_or_b32_e32 v5, 0x70000000, v5
	v_add_f32_e32 v6, -0.5, v6
	v_mul_f32_e32 v5, 0x7800000, v5
	v_cmp_gt_u32_e32 vcc, s11, v3
	v_bfe_i32 v4, v4, 0, 16
	v_cndmask_b32_e32 v3, v5, v6, vcc
	v_and_or_b32 v4, v4, s12, v3
	v_bfe_u32 v3, v3, 16, 1
	v_add3_u32 v3, v4, v3, s13
	v_cmp_o_f32_e32 vcc, v4, v4
	v_mov_b32_e32 v4, 0x7fc0
	v_cndmask_b32_sdwa v4, v4, v3, vcc dst_sel:DWORD dst_unused:UNUSED_PAD src0_sel:DWORD src1_sel:WORD_1
.LBB224_901:
	s_mov_b64 s[10:11], 0
	s_mov_b64 s[12:13], -1
.LBB224_902:
	s_andn2_b64 vcc, exec, s[10:11]
	s_mov_b64 s[10:11], 0
	s_cbranch_vccnz .LBB224_913
; %bb.903:
	s_cmp_gt_i32 s18, 14
	s_cbranch_scc0 .LBB224_906
; %bb.904:
	s_cmp_eq_u32 s18, 15
	s_cbranch_scc0 .LBB224_909
; %bb.905:
	global_load_ushort v4, v[1:2], off
	s_mov_b64 s[8:9], 0
	s_mov_b64 s[12:13], -1
	s_branch .LBB224_910
.LBB224_906:
	s_mov_b64 s[14:15], -1
                                        ; implicit-def: $vgpr4
	s_branch .LBB224_911
.LBB224_907:
	s_or_saveexec_b64 s[12:13], s[12:13]
	v_mov_b32_e32 v4, 0x7f800001
	s_xor_b64 exec, exec, s[12:13]
	s_cbranch_execz .LBB224_888
.LBB224_908:
	v_cmp_ne_u16_e32 vcc, 0, v3
	s_andn2_b64 s[10:11], s[10:11], exec
	s_and_b64 s[14:15], vcc, exec
	v_mov_b32_e32 v4, 0
	s_or_b64 s[10:11], s[10:11], s[14:15]
	s_or_b64 exec, exec, s[12:13]
	s_and_saveexec_b64 s[12:13], s[10:11]
	s_cbranch_execnz .LBB224_889
	s_branch .LBB224_890
.LBB224_909:
	s_mov_b64 s[8:9], -1
                                        ; implicit-def: $vgpr4
.LBB224_910:
	s_mov_b64 s[14:15], 0
.LBB224_911:
	s_and_b64 vcc, exec, s[14:15]
	s_cbranch_vccz .LBB224_913
; %bb.912:
	s_cmp_lg_u32 s18, 11
	s_cselect_b64 s[14:15], -1, 0
	s_andn2_b64 s[8:9], s[8:9], exec
	s_and_b64 s[14:15], s[14:15], exec
	s_mov_b64 s[10:11], -1
	s_or_b64 s[8:9], s[8:9], s[14:15]
.LBB224_913:
	s_mov_b64 s[16:17], 0
.LBB224_914:
	s_and_b64 s[14:15], s[12:13], exec
	s_and_b64 s[12:13], s[16:17], exec
	s_andn2_b64 s[16:17], s[2:3], exec
	s_and_b64 s[8:9], s[8:9], exec
	s_and_b64 s[10:11], s[10:11], exec
	s_or_b64 s[16:17], s[16:17], s[8:9]
.LBB224_915:
	s_or_b64 exec, exec, s[72:73]
	s_and_b64 s[8:9], s[10:11], exec
	s_andn2_b64 s[2:3], s[2:3], exec
	s_and_b64 s[10:11], s[16:17], exec
	s_and_b64 s[14:15], s[14:15], exec
	;; [unrolled: 1-line block ×3, first 2 shown]
	s_or_b64 s[2:3], s[2:3], s[10:11]
.LBB224_916:
	s_or_b64 exec, exec, s[68:69]
	s_andn2_b64 s[10:11], s[64:65], exec
	s_and_b64 s[16:17], s[70:71], exec
	s_or_b64 s[64:65], s[10:11], s[16:17]
	s_and_b64 s[10:11], s[14:15], exec
	s_andn2_b64 s[14:15], s[62:63], exec
	s_and_b64 s[2:3], s[2:3], exec
	s_and_b64 s[12:13], s[12:13], exec
	;; [unrolled: 1-line block ×3, first 2 shown]
	s_or_b64 s[62:63], s[14:15], s[2:3]
.LBB224_917:
	s_or_b64 exec, exec, s[66:67]
	s_andn2_b64 s[2:3], s[56:57], exec
	s_and_b64 s[14:15], s[64:65], exec
	s_or_b64 s[56:57], s[2:3], s[14:15]
	s_and_b64 s[64:65], s[8:9], exec
	s_andn2_b64 s[2:3], s[58:59], exec
	s_and_b64 s[8:9], s[62:63], exec
	s_and_b64 s[10:11], s[10:11], exec
	;; [unrolled: 1-line block ×3, first 2 shown]
	s_or_b64 s[58:59], s[2:3], s[8:9]
	s_or_b64 exec, exec, s[60:61]
	s_mov_b64 s[2:3], 0
	s_and_saveexec_b64 s[8:9], s[58:59]
	s_cbranch_execz .LBB224_274
.LBB224_918:
	s_mov_b64 s[2:3], exec
	s_andn2_b64 s[64:65], s[64:65], exec
	s_trap 2
	s_or_b64 exec, exec, s[8:9]
	s_and_saveexec_b64 s[8:9], s[64:65]
	s_xor_b64 s[8:9], exec, s[8:9]
	s_cbranch_execnz .LBB224_275
.LBB224_919:
	s_or_b64 exec, exec, s[8:9]
	s_and_saveexec_b64 s[8:9], s[12:13]
	s_cbranch_execz .LBB224_965
.LBB224_920:
	s_sext_i32_i16 s12, s77
	s_cmp_lt_i32 s12, 5
	s_cbranch_scc1 .LBB224_925
; %bb.921:
	s_cmp_lt_i32 s12, 8
	s_cbranch_scc1 .LBB224_926
; %bb.922:
	;; [unrolled: 3-line block ×3, first 2 shown]
	s_cmp_gt_i32 s12, 9
	s_cbranch_scc0 .LBB224_928
; %bb.924:
	global_load_dwordx2 v[3:4], v[1:2], off
	s_movk_i32 s12, 0x7fff
	s_waitcnt vmcnt(0)
	v_cvt_f32_f64_e32 v3, v[3:4]
	v_mov_b32_e32 v4, 0x7fc0
	v_bfe_u32 v5, v3, 16, 1
	v_cmp_o_f32_e32 vcc, v3, v3
	v_add3_u32 v3, v3, v5, s12
	v_cndmask_b32_sdwa v4, v4, v3, vcc dst_sel:DWORD dst_unused:UNUSED_PAD src0_sel:DWORD src1_sel:WORD_1
	s_mov_b64 s[12:13], 0
	s_branch .LBB224_929
.LBB224_925:
                                        ; implicit-def: $vgpr4
	s_branch .LBB224_946
.LBB224_926:
                                        ; implicit-def: $vgpr4
	s_branch .LBB224_935
.LBB224_927:
	s_mov_b64 s[12:13], -1
                                        ; implicit-def: $vgpr4
	s_branch .LBB224_932
.LBB224_928:
	s_mov_b64 s[12:13], -1
                                        ; implicit-def: $vgpr4
.LBB224_929:
	s_andn2_b64 vcc, exec, s[12:13]
	s_cbranch_vccnz .LBB224_931
; %bb.930:
	global_load_dword v3, v[1:2], off
	s_movk_i32 s12, 0x7fff
	s_waitcnt vmcnt(1)
	v_mov_b32_e32 v4, 0x7fc0
	s_waitcnt vmcnt(0)
	v_bfe_u32 v5, v3, 16, 1
	v_cmp_o_f32_e32 vcc, v3, v3
	v_add3_u32 v3, v3, v5, s12
	v_cndmask_b32_sdwa v4, v4, v3, vcc dst_sel:DWORD dst_unused:UNUSED_PAD src0_sel:DWORD src1_sel:WORD_1
.LBB224_931:
	s_mov_b64 s[12:13], 0
.LBB224_932:
	s_andn2_b64 vcc, exec, s[12:13]
	s_cbranch_vccnz .LBB224_934
; %bb.933:
	global_load_dword v3, v[1:2], off
	s_movk_i32 s12, 0x7fff
	v_mov_b32_e32 v5, 0x7fc0
	s_waitcnt vmcnt(0)
	v_cvt_f32_f16_e32 v4, v3
	v_cmp_o_f16_e32 vcc, v3, v3
	v_bfe_u32 v3, v4, 16, 1
	v_add3_u32 v3, v4, v3, s12
	v_cndmask_b32_sdwa v4, v5, v3, vcc dst_sel:DWORD dst_unused:UNUSED_PAD src0_sel:DWORD src1_sel:WORD_1
.LBB224_934:
	s_cbranch_execnz .LBB224_945
.LBB224_935:
	s_sext_i32_i16 s12, s77
	s_cmp_lt_i32 s12, 6
	s_cbranch_scc1 .LBB224_938
; %bb.936:
	s_cmp_gt_i32 s12, 6
	s_cbranch_scc0 .LBB224_939
; %bb.937:
	global_load_dwordx2 v[3:4], v[1:2], off
	s_movk_i32 s12, 0x7fff
	s_waitcnt vmcnt(0)
	v_cvt_f32_f64_e32 v3, v[3:4]
	v_mov_b32_e32 v4, 0x7fc0
	v_bfe_u32 v5, v3, 16, 1
	v_cmp_o_f32_e32 vcc, v3, v3
	v_add3_u32 v3, v3, v5, s12
	v_cndmask_b32_sdwa v4, v4, v3, vcc dst_sel:DWORD dst_unused:UNUSED_PAD src0_sel:DWORD src1_sel:WORD_1
	s_mov_b64 s[12:13], 0
	s_branch .LBB224_940
.LBB224_938:
	s_mov_b64 s[12:13], -1
                                        ; implicit-def: $vgpr4
	s_branch .LBB224_943
.LBB224_939:
	s_mov_b64 s[12:13], -1
                                        ; implicit-def: $vgpr4
.LBB224_940:
	s_andn2_b64 vcc, exec, s[12:13]
	s_cbranch_vccnz .LBB224_942
; %bb.941:
	global_load_dword v3, v[1:2], off
	s_movk_i32 s12, 0x7fff
	s_waitcnt vmcnt(1)
	v_mov_b32_e32 v4, 0x7fc0
	s_waitcnt vmcnt(0)
	v_bfe_u32 v5, v3, 16, 1
	v_cmp_o_f32_e32 vcc, v3, v3
	v_add3_u32 v3, v3, v5, s12
	v_cndmask_b32_sdwa v4, v4, v3, vcc dst_sel:DWORD dst_unused:UNUSED_PAD src0_sel:DWORD src1_sel:WORD_1
.LBB224_942:
	s_mov_b64 s[12:13], 0
.LBB224_943:
	s_andn2_b64 vcc, exec, s[12:13]
	s_cbranch_vccnz .LBB224_945
; %bb.944:
	global_load_ushort v3, v[1:2], off
	s_movk_i32 s12, 0x7fff
	v_mov_b32_e32 v5, 0x7fc0
	s_waitcnt vmcnt(0)
	v_cvt_f32_f16_e32 v4, v3
	v_cmp_o_f16_e32 vcc, v3, v3
	v_bfe_u32 v3, v4, 16, 1
	v_add3_u32 v3, v4, v3, s12
	v_cndmask_b32_sdwa v4, v5, v3, vcc dst_sel:DWORD dst_unused:UNUSED_PAD src0_sel:DWORD src1_sel:WORD_1
.LBB224_945:
	s_cbranch_execnz .LBB224_964
.LBB224_946:
	s_sext_i32_i16 s12, s77
	s_cmp_lt_i32 s12, 2
	s_cbranch_scc1 .LBB224_950
; %bb.947:
	s_cmp_lt_i32 s12, 3
	s_cbranch_scc1 .LBB224_951
; %bb.948:
	s_cmp_gt_i32 s12, 3
	s_cbranch_scc0 .LBB224_952
; %bb.949:
	global_load_dwordx2 v[3:4], v[1:2], off
	s_movk_i32 s12, 0x7fff
	s_waitcnt vmcnt(0)
	v_xor_b32_e32 v6, v3, v4
	v_ffbh_i32_e32 v5, v4
	v_ashrrev_i32_e32 v6, 31, v6
	v_add_u32_e32 v5, -1, v5
	v_add_u32_e32 v6, 32, v6
	v_min_u32_e32 v5, v5, v6
	v_lshlrev_b64 v[3:4], v5, v[3:4]
	v_min_u32_e32 v3, 1, v3
	v_or_b32_e32 v3, v4, v3
	v_cvt_f32_i32_e32 v3, v3
	v_sub_u32_e32 v4, 32, v5
	v_ldexp_f32 v3, v3, v4
	v_bfe_u32 v4, v3, 16, 1
	v_add3_u32 v3, v3, v4, s12
	v_lshrrev_b32_e32 v4, 16, v3
	s_mov_b64 s[12:13], 0
	s_branch .LBB224_953
.LBB224_950:
                                        ; implicit-def: $vgpr4
	s_branch .LBB224_959
.LBB224_951:
	s_mov_b64 s[12:13], -1
                                        ; implicit-def: $vgpr4
	s_branch .LBB224_956
.LBB224_952:
	s_mov_b64 s[12:13], -1
                                        ; implicit-def: $vgpr4
.LBB224_953:
	s_andn2_b64 vcc, exec, s[12:13]
	s_cbranch_vccnz .LBB224_955
; %bb.954:
	global_load_dword v3, v[1:2], off
	s_movk_i32 s12, 0x7fff
	s_waitcnt vmcnt(0)
	v_cvt_f32_i32_e32 v3, v3
	v_bfe_u32 v4, v3, 16, 1
	v_add3_u32 v3, v3, v4, s12
	v_lshrrev_b32_e32 v4, 16, v3
.LBB224_955:
	s_mov_b64 s[12:13], 0
.LBB224_956:
	s_andn2_b64 vcc, exec, s[12:13]
	s_cbranch_vccnz .LBB224_958
; %bb.957:
	global_load_sshort v3, v[1:2], off
	s_movk_i32 s12, 0x7fff
	s_waitcnt vmcnt(0)
	v_cvt_f32_i32_e32 v3, v3
	v_bfe_u32 v4, v3, 16, 1
	v_add3_u32 v3, v3, v4, s12
	v_lshrrev_b32_e32 v4, 16, v3
.LBB224_958:
	s_cbranch_execnz .LBB224_964
.LBB224_959:
	s_sext_i32_i16 s12, s77
	s_cmp_gt_i32 s12, 0
	s_cbranch_scc0 .LBB224_961
; %bb.960:
	global_load_sbyte v3, v[1:2], off
	s_movk_i32 s12, 0x7fff
	s_waitcnt vmcnt(0)
	v_cvt_f32_i32_e32 v3, v3
	v_bfe_u32 v4, v3, 16, 1
	v_add3_u32 v3, v3, v4, s12
	v_lshrrev_b32_e32 v4, 16, v3
	s_mov_b64 s[12:13], 0
	s_branch .LBB224_962
.LBB224_961:
	s_mov_b64 s[12:13], -1
                                        ; implicit-def: $vgpr4
.LBB224_962:
	s_andn2_b64 vcc, exec, s[12:13]
	s_cbranch_vccnz .LBB224_964
; %bb.963:
	global_load_ubyte v1, v[1:2], off
	s_movk_i32 s12, 0x7fff
	s_waitcnt vmcnt(0)
	v_cvt_f32_ubyte0_e32 v1, v1
	v_bfe_u32 v2, v1, 16, 1
	v_add3_u32 v1, v1, v2, s12
	v_lshrrev_b32_e32 v4, 16, v1
.LBB224_964:
	s_or_b64 s[10:11], s[10:11], exec
.LBB224_965:
	s_or_b64 exec, exec, s[8:9]
	s_mov_b64 s[14:15], 0
	s_mov_b64 s[12:13], 0
                                        ; implicit-def: $vgpr1_vgpr2
                                        ; implicit-def: $sgpr18
                                        ; implicit-def: $vgpr3
	s_and_saveexec_b64 s[8:9], s[10:11]
	s_cbranch_execz .LBB224_983
; %bb.966:
	v_mov_b32_e32 v1, s75
	s_waitcnt vmcnt(0)
	v_cndmask_b32_e64 v3, v4, v1, s[0:1]
	s_and_b32 s18, s76, 0xff
	v_mov_b32_e32 v2, s25
	v_add_co_u32_e32 v1, vcc, s24, v0
	s_cmp_lt_i32 s18, 11
	v_addc_co_u32_e32 v2, vcc, 0, v2, vcc
	s_cbranch_scc1 .LBB224_986
; %bb.967:
	s_and_b32 s19, 0xffff, s18
	s_mov_b64 s[12:13], -1
	s_cmp_gt_i32 s19, 25
	s_mov_b64 s[0:1], s[56:57]
	s_cbranch_scc0 .LBB224_1004
; %bb.968:
	s_mov_b64 s[10:11], -1
	s_cmp_gt_i32 s19, 28
	s_mov_b64 s[0:1], s[56:57]
	s_cbranch_scc0 .LBB224_988
; %bb.969:
	s_cmp_gt_i32 s19, 43
	s_mov_b64 s[0:1], s[56:57]
	s_cbranch_scc0 .LBB224_980
; %bb.970:
	s_cmp_gt_i32 s19, 45
	s_mov_b64 s[0:1], s[56:57]
	s_cbranch_scc0 .LBB224_974
; %bb.971:
	s_cmp_eq_u32 s19, 46
	s_mov_b64 s[0:1], -1
	s_cbranch_scc0 .LBB224_973
; %bb.972:
	v_and_b32_e32 v0, 0xffff, v3
	global_store_dword v[1:2], v0, off
	s_mov_b64 s[0:1], 0
.LBB224_973:
	s_mov_b64 s[10:11], 0
.LBB224_974:
	s_and_b64 vcc, exec, s[10:11]
	s_cbranch_vccz .LBB224_979
; %bb.975:
	s_cmp_eq_u32 s19, 44
	s_mov_b64 s[0:1], -1
	s_cbranch_scc0 .LBB224_979
; %bb.976:
	v_and_b32_e32 v4, 0xffff, v3
	v_bfe_u32 v0, v4, 7, 8
	s_movk_i32 s0, 0xff
	v_cmp_ne_u32_e32 vcc, s0, v0
	v_mov_b32_e32 v5, 0xff
	s_and_saveexec_b64 s[10:11], vcc
	s_cbranch_execz .LBB224_978
; %bb.977:
	v_lshlrev_b32_e32 v6, 16, v4
	s_mov_b32 s0, 0x3f0000
	v_lshrrev_b32_e32 v5, 7, v4
	v_and_b32_e32 v4, 64, v4
	v_and_or_b32 v0, v6, s0, v0
	v_cmp_ne_u32_e32 vcc, 0, v4
	v_cmp_ne_u32_e64 s[0:1], 0, v0
	s_and_b64 s[0:1], vcc, s[0:1]
	v_cndmask_b32_e64 v0, 0, 1, s[0:1]
	v_add_u32_e32 v5, v5, v0
.LBB224_978:
	s_or_b64 exec, exec, s[10:11]
	s_mov_b64 s[0:1], 0
	global_store_byte v[1:2], v5, off
.LBB224_979:
	s_mov_b64 s[10:11], 0
.LBB224_980:
	s_and_b64 vcc, exec, s[10:11]
	s_cbranch_vccz .LBB224_987
; %bb.981:
	s_cmp_eq_u32 s19, 29
	s_mov_b64 s[0:1], -1
	s_cbranch_scc0 .LBB224_987
; %bb.982:
	v_lshlrev_b32_e32 v0, 16, v3
	v_trunc_f32_e32 v0, v0
	v_mul_f32_e32 v4, 0x2f800000, v0
	v_floor_f32_e32 v4, v4
	v_fmac_f32_e32 v0, 0xcf800000, v4
	v_cvt_u32_f32_e32 v5, v4
	v_cvt_u32_f32_e32 v4, v0
	s_mov_b64 s[0:1], 0
	s_mov_b64 s[10:11], 0
	global_store_dwordx2 v[1:2], v[4:5], off
	s_branch .LBB224_988
.LBB224_983:
	s_or_b64 exec, exec, s[8:9]
	s_and_saveexec_b64 s[0:1], s[56:57]
	s_cbranch_execnz .LBB224_1046
.LBB224_984:
	s_or_b64 exec, exec, s[0:1]
	s_and_saveexec_b64 s[0:1], s[14:15]
	s_xor_b64 s[0:1], exec, s[0:1]
	s_cbranch_execz .LBB224_1047
.LBB224_985:
	s_waitcnt vmcnt(0)
	v_and_b32_e32 v0, 0x7fff, v3
	v_cmp_ne_u16_e32 vcc, 0, v0
	v_cndmask_b32_e64 v0, 0, 1, vcc
	global_store_byte v[1:2], v0, off
	s_or_b64 exec, exec, s[0:1]
	s_and_saveexec_b64 s[0:1], s[12:13]
	s_xor_b64 s[0:1], exec, s[0:1]
	s_cbranch_execz .LBB224_1085
	s_branch .LBB224_1048
.LBB224_986:
	s_mov_b64 s[10:11], -1
	s_mov_b64 s[0:1], s[56:57]
	s_branch .LBB224_1045
.LBB224_987:
	s_mov_b64 s[10:11], 0
.LBB224_988:
	s_and_b64 vcc, exec, s[10:11]
	s_cbranch_vccz .LBB224_1003
; %bb.989:
	s_cmp_lt_i32 s19, 27
	s_mov_b64 s[10:11], -1
	s_cbranch_scc1 .LBB224_995
; %bb.990:
	s_cmp_gt_i32 s19, 27
	s_cbranch_scc0 .LBB224_992
; %bb.991:
	v_lshlrev_b32_e32 v0, 16, v3
	v_cvt_u32_f32_e32 v0, v0
	s_mov_b64 s[10:11], 0
	global_store_dword v[1:2], v0, off
.LBB224_992:
	s_andn2_b64 vcc, exec, s[10:11]
	s_cbranch_vccnz .LBB224_994
; %bb.993:
	v_lshlrev_b32_e32 v0, 16, v3
	v_cvt_u32_f32_e32 v0, v0
	global_store_short v[1:2], v0, off
.LBB224_994:
	s_mov_b64 s[10:11], 0
.LBB224_995:
	s_andn2_b64 vcc, exec, s[10:11]
	s_cbranch_vccnz .LBB224_1003
; %bb.996:
	v_lshlrev_b32_e32 v5, 16, v3
	v_and_b32_e32 v4, 0x7fffffff, v5
	s_mov_b32 s10, 0x43800000
	v_cmp_gt_u32_e32 vcc, s10, v4
	v_mov_b32_e32 v6, 0x80
	s_and_saveexec_b64 s[10:11], vcc
	s_cbranch_execz .LBB224_1002
; %bb.997:
	s_mov_b32 s12, 0x3bffffff
	v_and_b32_e32 v0, 0xffff, v3
	v_cmp_lt_u32_e32 vcc, s12, v4
	s_mov_b64 s[12:13], 0
                                        ; implicit-def: $vgpr4
	s_and_saveexec_b64 s[14:15], vcc
	s_xor_b64 s[14:15], exec, s[14:15]
	s_cbranch_execz .LBB224_1155
; %bb.998:
	v_bfe_u32 v4, v0, 4, 1
	s_mov_b32 s16, 0x487ffff
	v_add3_u32 v4, v5, v4, s16
	s_mov_b64 s[12:13], exec
	v_lshrrev_b32_e32 v4, 20, v4
                                        ; implicit-def: $vgpr5
	s_andn2_saveexec_b64 s[14:15], s[14:15]
	s_cbranch_execnz .LBB224_1156
.LBB224_999:
	s_or_b64 exec, exec, s[14:15]
	v_mov_b32_e32 v6, 0
	s_and_saveexec_b64 s[14:15], s[12:13]
.LBB224_1000:
	v_lshrrev_b32_e32 v0, 8, v0
	s_movk_i32 s12, 0x80
	v_and_or_b32 v6, v0, s12, v4
.LBB224_1001:
	s_or_b64 exec, exec, s[14:15]
.LBB224_1002:
	s_or_b64 exec, exec, s[10:11]
	global_store_byte v[1:2], v6, off
.LBB224_1003:
	s_mov_b64 s[12:13], 0
.LBB224_1004:
	s_mov_b64 s[10:11], 0
	s_and_b64 vcc, exec, s[12:13]
	s_cbranch_vccz .LBB224_1044
; %bb.1005:
	s_cmp_gt_i32 s19, 22
	s_mov_b64 s[12:13], -1
	s_cbranch_scc0 .LBB224_1037
; %bb.1006:
	s_cmp_lt_i32 s19, 24
	s_cbranch_scc1 .LBB224_1026
; %bb.1007:
	s_cmp_gt_i32 s19, 24
	s_cbranch_scc0 .LBB224_1015
; %bb.1008:
	v_lshlrev_b32_e32 v5, 16, v3
	v_and_b32_e32 v4, 0x7fffffff, v5
	s_mov_b32 s12, 0x47800000
	v_cmp_gt_u32_e32 vcc, s12, v4
	v_mov_b32_e32 v6, 0x80
	s_and_saveexec_b64 s[12:13], vcc
	s_cbranch_execz .LBB224_1014
; %bb.1009:
	s_mov_b32 s14, 0x37ffffff
	v_and_b32_e32 v0, 0xffff, v3
	v_cmp_lt_u32_e32 vcc, s14, v4
	s_mov_b64 s[14:15], 0
                                        ; implicit-def: $vgpr4
	s_and_saveexec_b64 s[16:17], vcc
	s_xor_b64 s[16:17], exec, s[16:17]
	s_cbranch_execz .LBB224_1279
; %bb.1010:
	v_bfe_u32 v4, v0, 5, 1
	s_mov_b32 s20, 0x88fffff
	v_add3_u32 v4, v5, v4, s20
	s_mov_b64 s[14:15], exec
	v_lshrrev_b32_e32 v4, 21, v4
                                        ; implicit-def: $vgpr5
	s_andn2_saveexec_b64 s[16:17], s[16:17]
	s_cbranch_execnz .LBB224_1280
.LBB224_1011:
	s_or_b64 exec, exec, s[16:17]
	v_mov_b32_e32 v6, 0
	s_and_saveexec_b64 s[16:17], s[14:15]
.LBB224_1012:
	v_lshrrev_b32_e32 v0, 8, v0
	s_movk_i32 s14, 0x80
	v_and_or_b32 v6, v0, s14, v4
.LBB224_1013:
	s_or_b64 exec, exec, s[16:17]
.LBB224_1014:
	s_or_b64 exec, exec, s[12:13]
	s_mov_b64 s[12:13], 0
	global_store_byte v[1:2], v6, off
.LBB224_1015:
	s_and_b64 vcc, exec, s[12:13]
	s_cbranch_vccz .LBB224_1025
; %bb.1016:
	v_lshlrev_b32_e32 v5, 16, v3
	v_and_b32_e32 v6, 0x7fffffff, v5
	s_mov_b32 s12, 0x43f00000
	v_and_b32_e32 v0, 0xffff, v3
	v_cmp_gt_u32_e32 vcc, s12, v6
                                        ; implicit-def: $vgpr4
	s_and_saveexec_b64 s[12:13], vcc
	s_xor_b64 s[12:13], exec, s[12:13]
	s_cbranch_execz .LBB224_1022
; %bb.1017:
	s_mov_b32 s14, 0x3c7fffff
	v_cmp_lt_u32_e32 vcc, s14, v6
                                        ; implicit-def: $vgpr4
	s_and_saveexec_b64 s[14:15], vcc
	s_xor_b64 s[14:15], exec, s[14:15]
; %bb.1018:
	v_bfe_u32 v4, v0, 4, 1
	s_mov_b32 s16, 0x407ffff
	v_add3_u32 v4, v5, v4, s16
	v_lshrrev_b32_e32 v5, 20, v4
	v_and_b32_e32 v4, 0xff00000, v4
	s_mov_b32 s16, 0x7f00000
	v_mov_b32_e32 v6, 0x7e
	v_cmp_ne_u32_e32 vcc, s16, v4
	v_cndmask_b32_e32 v4, v6, v5, vcc
                                        ; implicit-def: $vgpr5
; %bb.1019:
	s_andn2_saveexec_b64 s[14:15], s[14:15]
; %bb.1020:
	s_mov_b32 s16, 0x46800000
	v_add_f32_e64 v4, |v5|, s16
; %bb.1021:
	s_or_b64 exec, exec, s[14:15]
                                        ; implicit-def: $vgpr6
.LBB224_1022:
	s_andn2_saveexec_b64 s[12:13], s[12:13]
; %bb.1023:
	s_mov_b32 s14, 0x7f800000
	v_mov_b32_e32 v4, 0x7e
	v_mov_b32_e32 v5, 0x7f
	v_cmp_lt_u32_e32 vcc, s14, v6
	v_cndmask_b32_e32 v4, v4, v5, vcc
; %bb.1024:
	s_or_b64 exec, exec, s[12:13]
	v_lshrrev_b32_e32 v0, 8, v0
	s_movk_i32 s12, 0x80
	v_and_or_b32 v0, v0, s12, v4
	global_store_byte v[1:2], v0, off
.LBB224_1025:
	s_mov_b64 s[12:13], 0
.LBB224_1026:
	s_andn2_b64 vcc, exec, s[12:13]
	s_cbranch_vccnz .LBB224_1036
; %bb.1027:
	v_lshlrev_b32_e32 v5, 16, v3
	v_and_b32_e32 v6, 0x7fffffff, v5
	s_mov_b32 s12, 0x47800000
	v_and_b32_e32 v0, 0xffff, v3
	v_cmp_gt_u32_e32 vcc, s12, v6
                                        ; implicit-def: $vgpr4
	s_and_saveexec_b64 s[12:13], vcc
	s_xor_b64 s[12:13], exec, s[12:13]
	s_cbranch_execz .LBB224_1033
; %bb.1028:
	s_mov_b32 s14, 0x387fffff
	v_cmp_lt_u32_e32 vcc, s14, v6
                                        ; implicit-def: $vgpr4
	s_and_saveexec_b64 s[14:15], vcc
	s_xor_b64 s[14:15], exec, s[14:15]
; %bb.1029:
	v_bfe_u32 v4, v0, 5, 1
	s_mov_b32 s16, 0x80fffff
	v_add3_u32 v4, v5, v4, s16
	v_lshrrev_b32_e32 v4, 21, v4
                                        ; implicit-def: $vgpr5
; %bb.1030:
	s_andn2_saveexec_b64 s[14:15], s[14:15]
; %bb.1031:
	s_mov_b32 s16, 0x43000000
	v_add_f32_e64 v4, |v5|, s16
; %bb.1032:
	s_or_b64 exec, exec, s[14:15]
                                        ; implicit-def: $vgpr6
.LBB224_1033:
	s_andn2_saveexec_b64 s[12:13], s[12:13]
; %bb.1034:
	s_mov_b32 s14, 0x7f800000
	v_mov_b32_e32 v4, 0x7c
	v_mov_b32_e32 v5, 0x7f
	v_cmp_lt_u32_e32 vcc, s14, v6
	v_cndmask_b32_e32 v4, v4, v5, vcc
; %bb.1035:
	s_or_b64 exec, exec, s[12:13]
	v_lshrrev_b32_e32 v0, 8, v0
	s_movk_i32 s12, 0x80
	v_and_or_b32 v0, v0, s12, v4
	global_store_byte v[1:2], v0, off
.LBB224_1036:
	s_mov_b64 s[12:13], 0
.LBB224_1037:
	s_andn2_b64 vcc, exec, s[12:13]
	s_mov_b64 s[14:15], 0
	s_cbranch_vccnz .LBB224_1045
; %bb.1038:
	s_cmp_gt_i32 s19, 14
	s_mov_b64 s[12:13], -1
	s_cbranch_scc0 .LBB224_1042
; %bb.1039:
	s_cmp_eq_u32 s19, 15
	s_mov_b64 s[0:1], -1
	s_cbranch_scc0 .LBB224_1041
; %bb.1040:
	global_store_short v[1:2], v3, off
	s_mov_b64 s[0:1], 0
.LBB224_1041:
	s_mov_b64 s[12:13], 0
.LBB224_1042:
	s_and_b64 vcc, exec, s[12:13]
	s_cbranch_vccz .LBB224_1045
; %bb.1043:
	s_cmp_lg_u32 s19, 11
	s_cselect_b64 s[12:13], -1, 0
	s_andn2_b64 s[0:1], s[0:1], exec
	s_and_b64 s[12:13], s[12:13], exec
	s_mov_b64 s[14:15], -1
	s_or_b64 s[0:1], s[0:1], s[12:13]
	s_branch .LBB224_1045
.LBB224_1044:
	s_mov_b64 s[14:15], 0
.LBB224_1045:
	s_and_b64 s[12:13], s[10:11], exec
	s_andn2_b64 s[10:11], s[56:57], exec
	s_and_b64 s[0:1], s[0:1], exec
	s_and_b64 s[14:15], s[14:15], exec
	s_or_b64 s[56:57], s[10:11], s[0:1]
	s_or_b64 exec, exec, s[8:9]
	s_and_saveexec_b64 s[0:1], s[56:57]
	s_cbranch_execz .LBB224_984
.LBB224_1046:
	s_or_b64 s[2:3], s[2:3], exec
	s_andn2_b64 s[14:15], s[14:15], exec
	s_trap 2
	s_or_b64 exec, exec, s[0:1]
	s_and_saveexec_b64 s[0:1], s[14:15]
	s_xor_b64 s[0:1], exec, s[0:1]
	s_cbranch_execnz .LBB224_985
.LBB224_1047:
	s_or_b64 exec, exec, s[0:1]
	s_and_saveexec_b64 s[0:1], s[12:13]
	s_xor_b64 s[0:1], exec, s[0:1]
	s_cbranch_execz .LBB224_1085
.LBB224_1048:
	s_sext_i32_i16 s10, s18
	s_cmp_lt_i32 s10, 5
	s_mov_b64 s[8:9], -1
	s_cbranch_scc1 .LBB224_1069
; %bb.1049:
	s_cmp_lt_i32 s10, 8
	s_cbranch_scc1 .LBB224_1059
; %bb.1050:
	s_cmp_lt_i32 s10, 9
	s_cbranch_scc1 .LBB224_1056
; %bb.1051:
	s_cmp_gt_i32 s10, 9
	s_cbranch_scc0 .LBB224_1053
; %bb.1052:
	s_waitcnt vmcnt(0)
	v_lshlrev_b32_e32 v0, 16, v3
	v_cvt_f64_f32_e32 v[4:5], v0
	v_mov_b32_e32 v6, 0
	v_mov_b32_e32 v7, v6
	s_mov_b64 s[8:9], 0
	global_store_dwordx4 v[1:2], v[4:7], off
.LBB224_1053:
	s_andn2_b64 vcc, exec, s[8:9]
	s_cbranch_vccnz .LBB224_1055
; %bb.1054:
	s_waitcnt vmcnt(0)
	v_lshlrev_b32_e32 v4, 16, v3
	v_mov_b32_e32 v5, 0
	global_store_dwordx2 v[1:2], v[4:5], off
.LBB224_1055:
	s_mov_b64 s[8:9], 0
.LBB224_1056:
	s_andn2_b64 vcc, exec, s[8:9]
	s_cbranch_vccnz .LBB224_1058
; %bb.1057:
	s_waitcnt vmcnt(0)
	v_lshlrev_b32_e32 v0, 16, v3
	v_cvt_f16_f32_e32 v0, v0
	global_store_dword v[1:2], v0, off
.LBB224_1058:
	s_mov_b64 s[8:9], 0
.LBB224_1059:
	s_andn2_b64 vcc, exec, s[8:9]
	s_cbranch_vccnz .LBB224_1068
; %bb.1060:
	s_sext_i32_i16 s10, s18
	s_cmp_lt_i32 s10, 6
	s_mov_b64 s[8:9], -1
	s_cbranch_scc1 .LBB224_1066
; %bb.1061:
	s_cmp_gt_i32 s10, 6
	s_cbranch_scc0 .LBB224_1063
; %bb.1062:
	s_waitcnt vmcnt(0)
	v_lshlrev_b32_e32 v0, 16, v3
	v_cvt_f64_f32_e32 v[4:5], v0
	s_mov_b64 s[8:9], 0
	global_store_dwordx2 v[1:2], v[4:5], off
.LBB224_1063:
	s_andn2_b64 vcc, exec, s[8:9]
	s_cbranch_vccnz .LBB224_1065
; %bb.1064:
	s_waitcnt vmcnt(0)
	v_lshlrev_b32_e32 v0, 16, v3
	global_store_dword v[1:2], v0, off
.LBB224_1065:
	s_mov_b64 s[8:9], 0
.LBB224_1066:
	s_andn2_b64 vcc, exec, s[8:9]
	s_cbranch_vccnz .LBB224_1068
; %bb.1067:
	s_waitcnt vmcnt(0)
	v_lshlrev_b32_e32 v0, 16, v3
	v_cvt_f16_f32_e32 v0, v0
	global_store_short v[1:2], v0, off
.LBB224_1068:
	s_mov_b64 s[8:9], 0
.LBB224_1069:
	s_andn2_b64 vcc, exec, s[8:9]
	s_cbranch_vccnz .LBB224_1085
; %bb.1070:
	s_sext_i32_i16 s10, s18
	s_cmp_lt_i32 s10, 2
	s_mov_b64 s[8:9], -1
	s_cbranch_scc1 .LBB224_1080
; %bb.1071:
	s_cmp_lt_i32 s10, 3
	s_cbranch_scc1 .LBB224_1077
; %bb.1072:
	s_cmp_gt_i32 s10, 3
	s_cbranch_scc0 .LBB224_1074
; %bb.1073:
	s_waitcnt vmcnt(0)
	v_lshlrev_b32_e32 v0, 16, v3
	v_trunc_f32_e32 v0, v0
	s_mov_b32 s8, 0x2f800000
	v_mul_f32_e64 v4, |v0|, s8
	v_floor_f32_e32 v4, v4
	s_mov_b32 s8, 0xcf800000
	v_cvt_u32_f32_e32 v5, v4
	v_fma_f32 v4, v4, s8, |v0|
	v_cvt_u32_f32_e32 v4, v4
	v_ashrrev_i32_e32 v0, 31, v0
	v_xor_b32_e32 v5, v5, v0
	s_mov_b64 s[8:9], 0
	v_xor_b32_e32 v4, v4, v0
	v_sub_co_u32_e32 v4, vcc, v4, v0
	v_subb_co_u32_e32 v5, vcc, v5, v0, vcc
	global_store_dwordx2 v[1:2], v[4:5], off
.LBB224_1074:
	s_andn2_b64 vcc, exec, s[8:9]
	s_cbranch_vccnz .LBB224_1076
; %bb.1075:
	s_waitcnt vmcnt(0)
	v_lshlrev_b32_e32 v0, 16, v3
	v_cvt_i32_f32_e32 v0, v0
	global_store_dword v[1:2], v0, off
.LBB224_1076:
	s_mov_b64 s[8:9], 0
.LBB224_1077:
	s_andn2_b64 vcc, exec, s[8:9]
	s_cbranch_vccnz .LBB224_1079
; %bb.1078:
	s_waitcnt vmcnt(0)
	v_lshlrev_b32_e32 v0, 16, v3
	v_cvt_i32_f32_e32 v0, v0
	global_store_short v[1:2], v0, off
.LBB224_1079:
	s_mov_b64 s[8:9], 0
.LBB224_1080:
	s_andn2_b64 vcc, exec, s[8:9]
	s_cbranch_vccnz .LBB224_1085
; %bb.1081:
	s_sext_i32_i16 s8, s18
	s_cmp_gt_i32 s8, 0
	s_mov_b64 s[8:9], -1
	s_cbranch_scc0 .LBB224_1083
; %bb.1082:
	s_waitcnt vmcnt(0)
	v_lshlrev_b32_e32 v0, 16, v3
	v_cvt_i32_f32_e32 v0, v0
	s_mov_b64 s[8:9], 0
	global_store_byte v[1:2], v0, off
.LBB224_1083:
	s_andn2_b64 vcc, exec, s[8:9]
	s_cbranch_vccnz .LBB224_1085
; %bb.1084:
	s_waitcnt vmcnt(0)
	v_lshlrev_b32_e32 v0, 16, v3
	v_trunc_f32_e32 v0, v0
	s_mov_b32 s8, 0x2f800000
	v_mul_f32_e64 v3, |v0|, s8
	v_floor_f32_e32 v3, v3
	s_mov_b32 s8, 0xcf800000
	v_fma_f32 v3, v3, s8, |v0|
	v_cvt_u32_f32_e32 v3, v3
	v_ashrrev_i32_e32 v0, 31, v0
	v_xor_b32_e32 v3, v3, v0
	v_sub_u32_e32 v0, v3, v0
	global_store_byte v[1:2], v0, off
.LBB224_1085:
	s_or_b64 exec, exec, s[0:1]
	s_and_b64 s[28:29], s[2:3], exec
                                        ; implicit-def: $vgpr15
                                        ; implicit-def: $vgpr8
.LBB224_1086:
	s_or_saveexec_b64 s[30:31], s[46:47]
	v_readfirstlane_b32 s12, v0
	s_mov_b64 s[0:1], 0
                                        ; implicit-def: $vgpr0_vgpr1
                                        ; implicit-def: $vgpr2
	s_xor_b64 exec, exec, s[30:31]
	s_cbranch_execz .LBB224_2089
; %bb.1087:
	v_cndmask_b32_e64 v0, 0, 1, s[44:45]
	v_cmp_ne_u32_e64 s[0:1], 1, v0
	s_andn2_b64 vcc, exec, s[44:45]
	s_cbranch_vccnz .LBB224_1093
; %bb.1088:
	s_cmp_lg_u32 s33, 0
	s_mov_b32 s36, 0
	s_cbranch_scc0 .LBB224_1094
; %bb.1089:
	s_min_u32 s37, s74, 15
	s_add_i32 s37, s37, 1
	s_cmp_eq_u32 s74, 2
	s_cbranch_scc1 .LBB224_1095
; %bb.1090:
	s_and_b32 s36, s37, 28
	s_add_u32 s2, s34, 0xc4
	s_addc_u32 s3, s35, 0
	v_mov_b32_e32 v13, 0
	s_mov_b32 s38, 0
	s_mov_b64 s[6:7], s[34:35]
	v_mov_b32_e32 v6, 0
	v_mov_b32_e32 v0, v8
.LBB224_1091:                           ; =>This Inner Loop Header: Depth=1
	s_load_dwordx8 s[16:23], s[6:7], 0x4
	s_load_dwordx4 s[24:27], s[6:7], 0x24
	s_load_dwordx8 s[8:15], s[2:3], 0x0
	s_add_u32 s6, s6, 48
	s_addc_u32 s7, s7, 0
	s_waitcnt lgkmcnt(0)
	v_mul_hi_u32 v1, s17, v0
	s_add_i32 s38, s38, 4
	s_add_u32 s2, s2, 32
	s_addc_u32 s3, s3, 0
	v_add_u32_e32 v1, v0, v1
	v_lshrrev_b32_e32 v1, s18, v1
	v_mul_lo_u32 v2, v1, s16
	s_waitcnt vmcnt(0)
	v_mul_hi_u32 v3, s20, v1
	s_cmp_lg_u32 s36, s38
	v_sub_u32_e32 v0, v0, v2
	v_add_u32_e32 v2, v1, v3
	v_mul_lo_u32 v3, v0, s8
	v_mul_lo_u32 v4, v0, s9
	v_lshrrev_b32_e32 v0, s21, v2
	v_mul_lo_u32 v2, v0, s19
	v_mul_hi_u32 v5, s23, v0
	v_sub_u32_e32 v1, v1, v2
	v_add_u32_e32 v2, v0, v5
	v_lshrrev_b32_e32 v2, s24, v2
	v_mul_hi_u32 v7, s26, v2
	v_mul_lo_u32 v9, v2, s22
	v_mul_lo_u32 v5, v1, s10
	v_mul_lo_u32 v1, v1, s11
	v_sub_u32_e32 v9, v0, v9
	v_add_u32_e32 v0, v2, v7
	v_lshrrev_b32_e32 v0, s27, v0
	v_mul_lo_u32 v7, v0, s25
	v_mul_lo_u32 v10, v9, s12
	;; [unrolled: 1-line block ×3, first 2 shown]
	v_add3_u32 v3, v3, v6, v5
	v_sub_u32_e32 v2, v2, v7
	v_mul_lo_u32 v7, v2, s14
	v_mul_lo_u32 v2, v2, s15
	v_add3_u32 v1, v4, v13, v1
	v_add3_u32 v6, v10, v3, v7
	;; [unrolled: 1-line block ×3, first 2 shown]
	s_cbranch_scc1 .LBB224_1091
; %bb.1092:
	s_and_b32 s8, s37, 3
	s_cmp_eq_u32 s8, 0
	s_cbranch_scc0 .LBB224_1096
	s_branch .LBB224_1098
.LBB224_1093:
                                        ; implicit-def: $vgpr6
                                        ; implicit-def: $vgpr13
	s_branch .LBB224_1099
.LBB224_1094:
	v_mov_b32_e32 v6, 0
	v_mov_b32_e32 v13, 0
	s_branch .LBB224_1098
.LBB224_1095:
	v_mov_b32_e32 v6, 0
	v_mov_b32_e32 v13, 0
	;; [unrolled: 1-line block ×3, first 2 shown]
	s_and_b32 s8, s37, 3
	s_cmp_eq_u32 s8, 0
	s_cbranch_scc1 .LBB224_1098
.LBB224_1096:
	s_lshl_b32 s2, s36, 3
	s_add_u32 s2, s34, s2
	s_addc_u32 s3, s35, 0
	s_add_u32 s2, s2, 0xc4
	s_addc_u32 s3, s3, 0
	s_mul_i32 s6, s36, 12
	s_add_u32 s6, s34, s6
	s_addc_u32 s7, s35, 0
.LBB224_1097:                           ; =>This Inner Loop Header: Depth=1
	s_load_dwordx2 s[10:11], s[6:7], 0x4
	s_load_dword s9, s[6:7], 0xc
	s_load_dwordx2 s[12:13], s[2:3], 0x0
	s_add_u32 s6, s6, 12
	s_addc_u32 s7, s7, 0
	s_waitcnt lgkmcnt(0)
	v_mul_hi_u32 v1, s11, v0
	s_add_u32 s2, s2, 8
	s_addc_u32 s3, s3, 0
	s_add_i32 s8, s8, -1
	v_add_u32_e32 v1, v0, v1
	v_lshrrev_b32_e32 v1, s9, v1
	v_mul_lo_u32 v2, v1, s10
	s_cmp_lg_u32 s8, 0
	v_sub_u32_e32 v0, v0, v2
	v_mad_u64_u32 v[6:7], s[10:11], v0, s12, v[6:7]
	v_mad_u64_u32 v[13:14], s[10:11], v0, s13, v[13:14]
	v_mov_b32_e32 v0, v1
	s_cbranch_scc1 .LBB224_1097
.LBB224_1098:
	s_cbranch_execnz .LBB224_1101
.LBB224_1099:
	s_load_dwordx4 s[8:11], s[34:35], 0x4
	s_load_dwordx2 s[2:3], s[34:35], 0xc4
	s_cmp_lt_u32 s33, 2
	s_waitcnt lgkmcnt(0)
	v_mul_hi_u32 v0, s9, v8
	v_add_u32_e32 v0, v8, v0
	v_lshrrev_b32_e32 v0, s10, v0
	v_mul_lo_u32 v1, v0, s8
	v_sub_u32_e32 v1, v8, v1
	v_mul_lo_u32 v6, v1, s2
	v_mul_lo_u32 v13, v1, s3
	s_cbranch_scc1 .LBB224_1101
; %bb.1100:
	s_load_dwordx4 s[8:11], s[34:35], 0x10
	s_load_dwordx2 s[2:3], s[34:35], 0xcc
	s_waitcnt lgkmcnt(0)
	v_mul_hi_u32 v1, s9, v0
	v_add_u32_e32 v1, v0, v1
	v_lshrrev_b32_e32 v1, s10, v1
	v_mul_lo_u32 v1, v1, s8
	v_sub_u32_e32 v0, v0, v1
	v_mad_u64_u32 v[6:7], s[6:7], v0, s2, v[6:7]
	v_mad_u64_u32 v[13:14], s[2:3], v0, s3, v[13:14]
.LBB224_1101:
	s_and_b64 vcc, exec, s[0:1]
	v_add_u32_e32 v0, 0x80, v8
	s_cbranch_vccnz .LBB224_1107
; %bb.1102:
	s_cmp_lg_u32 s33, 0
	s_mov_b32 s36, 0
	s_cbranch_scc0 .LBB224_1108
; %bb.1103:
	s_min_u32 s37, s74, 15
	s_add_i32 s37, s37, 1
	s_cmp_eq_u32 s74, 2
	s_cbranch_scc1 .LBB224_1109
; %bb.1104:
	s_and_b32 s36, s37, 28
	s_add_u32 s2, s34, 0xc4
	s_addc_u32 s3, s35, 0
	v_mov_b32_e32 v11, 0
	s_mov_b32 s38, 0
	s_mov_b64 s[6:7], s[34:35]
	s_waitcnt vmcnt(0)
	v_mov_b32_e32 v4, 0
	v_mov_b32_e32 v1, v0
.LBB224_1105:                           ; =>This Inner Loop Header: Depth=1
	s_load_dwordx8 s[16:23], s[6:7], 0x4
	s_load_dwordx4 s[24:27], s[6:7], 0x24
	s_load_dwordx8 s[8:15], s[2:3], 0x0
	s_add_u32 s6, s6, 48
	s_addc_u32 s7, s7, 0
	s_waitcnt lgkmcnt(0)
	v_mul_hi_u32 v2, s17, v1
	s_add_i32 s38, s38, 4
	s_add_u32 s2, s2, 32
	s_addc_u32 s3, s3, 0
	v_add_u32_e32 v2, v1, v2
	v_lshrrev_b32_e32 v2, s18, v2
	v_mul_lo_u32 v3, v2, s16
	v_mul_hi_u32 v5, s20, v2
	s_cmp_lg_u32 s36, s38
	v_sub_u32_e32 v1, v1, v3
	v_add_u32_e32 v3, v2, v5
	v_mul_lo_u32 v5, v1, s8
	v_mul_lo_u32 v7, v1, s9
	v_lshrrev_b32_e32 v1, s21, v3
	v_mul_lo_u32 v3, v1, s19
	v_mul_hi_u32 v9, s23, v1
	v_sub_u32_e32 v2, v2, v3
	v_add_u32_e32 v3, v1, v9
	v_lshrrev_b32_e32 v3, s24, v3
	v_mul_hi_u32 v10, s26, v3
	v_mul_lo_u32 v12, v3, s22
	v_mul_lo_u32 v9, v2, s10
	;; [unrolled: 1-line block ×3, first 2 shown]
	v_sub_u32_e32 v12, v1, v12
	v_add_u32_e32 v1, v3, v10
	v_lshrrev_b32_e32 v1, s27, v1
	v_mul_lo_u32 v10, v1, s25
	v_mul_lo_u32 v14, v12, s12
	;; [unrolled: 1-line block ×3, first 2 shown]
	v_add3_u32 v4, v5, v4, v9
	v_sub_u32_e32 v3, v3, v10
	v_mul_lo_u32 v10, v3, s14
	v_mul_lo_u32 v3, v3, s15
	v_add3_u32 v2, v7, v11, v2
	v_add3_u32 v4, v14, v4, v10
	;; [unrolled: 1-line block ×3, first 2 shown]
	s_cbranch_scc1 .LBB224_1105
; %bb.1106:
	s_and_b32 s8, s37, 3
	s_cmp_eq_u32 s8, 0
	s_cbranch_scc0 .LBB224_1110
	s_branch .LBB224_1112
.LBB224_1107:
                                        ; implicit-def: $vgpr4
                                        ; implicit-def: $vgpr11
	s_branch .LBB224_1113
.LBB224_1108:
	s_waitcnt vmcnt(0)
	v_mov_b32_e32 v4, 0
	v_mov_b32_e32 v11, 0
	s_branch .LBB224_1112
.LBB224_1109:
	s_waitcnt vmcnt(0)
	v_mov_b32_e32 v4, 0
	v_mov_b32_e32 v11, 0
	;; [unrolled: 1-line block ×3, first 2 shown]
	s_and_b32 s8, s37, 3
	s_cmp_eq_u32 s8, 0
	s_cbranch_scc1 .LBB224_1112
.LBB224_1110:
	s_lshl_b32 s2, s36, 3
	s_add_u32 s2, s34, s2
	s_addc_u32 s3, s35, 0
	s_add_u32 s2, s2, 0xc4
	s_addc_u32 s3, s3, 0
	s_mul_i32 s6, s36, 12
	s_add_u32 s6, s34, s6
	s_addc_u32 s7, s35, 0
.LBB224_1111:                           ; =>This Inner Loop Header: Depth=1
	s_load_dwordx2 s[10:11], s[6:7], 0x4
	s_load_dword s9, s[6:7], 0xc
	s_load_dwordx2 s[12:13], s[2:3], 0x0
	s_add_u32 s6, s6, 12
	s_addc_u32 s7, s7, 0
	s_waitcnt lgkmcnt(0)
	v_mul_hi_u32 v2, s11, v1
	s_add_u32 s2, s2, 8
	s_addc_u32 s3, s3, 0
	s_add_i32 s8, s8, -1
	v_add_u32_e32 v2, v1, v2
	v_lshrrev_b32_e32 v2, s9, v2
	v_mul_lo_u32 v3, v2, s10
	s_cmp_lg_u32 s8, 0
	v_sub_u32_e32 v1, v1, v3
	v_mad_u64_u32 v[4:5], s[10:11], v1, s12, v[4:5]
	v_mad_u64_u32 v[11:12], s[10:11], v1, s13, v[11:12]
	v_mov_b32_e32 v1, v2
	s_cbranch_scc1 .LBB224_1111
.LBB224_1112:
	s_cbranch_execnz .LBB224_1115
.LBB224_1113:
	s_load_dwordx4 s[8:11], s[34:35], 0x4
	s_load_dwordx2 s[2:3], s[34:35], 0xc4
	s_cmp_lt_u32 s33, 2
	s_waitcnt lgkmcnt(0)
	v_mul_hi_u32 v1, s9, v0
	v_add_u32_e32 v1, v0, v1
	v_lshrrev_b32_e32 v1, s10, v1
	v_mul_lo_u32 v2, v1, s8
	v_sub_u32_e32 v0, v0, v2
	s_waitcnt vmcnt(0)
	v_mul_lo_u32 v4, v0, s2
	v_mul_lo_u32 v11, v0, s3
	s_cbranch_scc1 .LBB224_1115
; %bb.1114:
	s_load_dwordx4 s[8:11], s[34:35], 0x10
	s_load_dwordx2 s[2:3], s[34:35], 0xcc
	s_waitcnt lgkmcnt(0)
	v_mul_hi_u32 v0, s9, v1
	v_add_u32_e32 v0, v1, v0
	v_lshrrev_b32_e32 v0, s10, v0
	v_mul_lo_u32 v0, v0, s8
	v_sub_u32_e32 v0, v1, v0
	v_mad_u64_u32 v[4:5], s[6:7], v0, s2, v[4:5]
	v_mad_u64_u32 v[11:12], s[2:3], v0, s3, v[11:12]
.LBB224_1115:
	s_and_b64 vcc, exec, s[0:1]
	v_add_u32_e32 v0, 0x100, v8
	s_cbranch_vccnz .LBB224_1121
; %bb.1116:
	s_cmp_lg_u32 s33, 0
	s_mov_b32 s36, 0
	s_cbranch_scc0 .LBB224_1122
; %bb.1117:
	s_min_u32 s37, s74, 15
	s_add_i32 s37, s37, 1
	s_cmp_eq_u32 s74, 2
	s_cbranch_scc1 .LBB224_1123
; %bb.1118:
	s_and_b32 s36, s37, 28
	s_add_u32 s2, s34, 0xc4
	s_addc_u32 s3, s35, 0
	v_mov_b32_e32 v9, 0
	s_mov_b32 s38, 0
	s_mov_b64 s[6:7], s[34:35]
	v_mov_b32_e32 v2, 0
	v_mov_b32_e32 v1, v0
.LBB224_1119:                           ; =>This Inner Loop Header: Depth=1
	s_load_dwordx8 s[16:23], s[6:7], 0x4
	s_load_dwordx4 s[24:27], s[6:7], 0x24
	s_load_dwordx8 s[8:15], s[2:3], 0x0
	s_add_u32 s6, s6, 48
	s_addc_u32 s7, s7, 0
	s_waitcnt vmcnt(0) lgkmcnt(0)
	v_mul_hi_u32 v3, s17, v1
	s_add_i32 s38, s38, 4
	s_add_u32 s2, s2, 32
	s_addc_u32 s3, s3, 0
	v_add_u32_e32 v3, v1, v3
	v_lshrrev_b32_e32 v3, s18, v3
	v_mul_lo_u32 v5, v3, s16
	v_mul_hi_u32 v7, s20, v3
	s_cmp_lg_u32 s36, s38
	v_sub_u32_e32 v1, v1, v5
	v_add_u32_e32 v5, v3, v7
	v_mul_lo_u32 v7, v1, s8
	v_mul_lo_u32 v8, v1, s9
	v_lshrrev_b32_e32 v1, s21, v5
	v_mul_lo_u32 v5, v1, s19
	v_mul_hi_u32 v10, s23, v1
	v_sub_u32_e32 v3, v3, v5
	v_add_u32_e32 v5, v1, v10
	v_lshrrev_b32_e32 v5, s24, v5
	v_mul_hi_u32 v12, s26, v5
	v_mul_lo_u32 v14, v5, s22
	v_mul_lo_u32 v10, v3, s10
	;; [unrolled: 1-line block ×3, first 2 shown]
	v_sub_u32_e32 v14, v1, v14
	v_add_u32_e32 v1, v5, v12
	v_lshrrev_b32_e32 v1, s27, v1
	v_mul_lo_u32 v12, v1, s25
	v_mul_lo_u32 v16, v14, s12
	;; [unrolled: 1-line block ×3, first 2 shown]
	v_add3_u32 v2, v7, v2, v10
	v_sub_u32_e32 v5, v5, v12
	v_mul_lo_u32 v12, v5, s14
	v_mul_lo_u32 v5, v5, s15
	v_add3_u32 v3, v8, v9, v3
	v_add3_u32 v2, v16, v2, v12
	;; [unrolled: 1-line block ×3, first 2 shown]
	s_cbranch_scc1 .LBB224_1119
; %bb.1120:
	s_and_b32 s8, s37, 3
	s_cmp_eq_u32 s8, 0
	s_cbranch_scc0 .LBB224_1124
	s_branch .LBB224_1126
.LBB224_1121:
                                        ; implicit-def: $vgpr2
                                        ; implicit-def: $vgpr9
	s_branch .LBB224_1127
.LBB224_1122:
	v_mov_b32_e32 v2, 0
	v_mov_b32_e32 v9, 0
	s_branch .LBB224_1126
.LBB224_1123:
	v_mov_b32_e32 v2, 0
	v_mov_b32_e32 v9, 0
	v_mov_b32_e32 v1, v0
	s_and_b32 s8, s37, 3
	s_cmp_eq_u32 s8, 0
	s_cbranch_scc1 .LBB224_1126
.LBB224_1124:
	s_lshl_b32 s2, s36, 3
	s_add_u32 s2, s34, s2
	s_addc_u32 s3, s35, 0
	s_add_u32 s2, s2, 0xc4
	s_addc_u32 s3, s3, 0
	s_mul_i32 s6, s36, 12
	s_add_u32 s6, s34, s6
	s_addc_u32 s7, s35, 0
.LBB224_1125:                           ; =>This Inner Loop Header: Depth=1
	s_load_dwordx2 s[10:11], s[6:7], 0x4
	s_load_dword s9, s[6:7], 0xc
	s_load_dwordx2 s[12:13], s[2:3], 0x0
	s_add_u32 s6, s6, 12
	s_addc_u32 s7, s7, 0
	s_waitcnt vmcnt(0) lgkmcnt(0)
	v_mul_hi_u32 v3, s11, v1
	s_add_u32 s2, s2, 8
	s_addc_u32 s3, s3, 0
	s_add_i32 s8, s8, -1
	v_add_u32_e32 v3, v1, v3
	v_lshrrev_b32_e32 v5, s9, v3
	v_mul_lo_u32 v3, v5, s10
	s_cmp_lg_u32 s8, 0
	v_sub_u32_e32 v1, v1, v3
	v_mad_u64_u32 v[2:3], s[10:11], v1, s12, v[2:3]
	v_mad_u64_u32 v[9:10], s[10:11], v1, s13, v[9:10]
	v_mov_b32_e32 v1, v5
	s_cbranch_scc1 .LBB224_1125
.LBB224_1126:
	s_cbranch_execnz .LBB224_1129
.LBB224_1127:
	s_load_dwordx4 s[8:11], s[34:35], 0x4
	s_load_dwordx2 s[2:3], s[34:35], 0xc4
	s_cmp_lt_u32 s33, 2
	s_waitcnt lgkmcnt(0)
	v_mul_hi_u32 v1, s9, v0
	v_add_u32_e32 v1, v0, v1
	v_lshrrev_b32_e32 v1, s10, v1
	v_mul_lo_u32 v2, v1, s8
	v_sub_u32_e32 v0, v0, v2
	v_mul_lo_u32 v2, v0, s2
	v_mul_lo_u32 v9, v0, s3
	s_cbranch_scc1 .LBB224_1129
; %bb.1128:
	s_load_dwordx4 s[8:11], s[34:35], 0x10
	s_load_dwordx2 s[2:3], s[34:35], 0xcc
	s_waitcnt lgkmcnt(0)
	v_mul_hi_u32 v0, s9, v1
	v_add_u32_e32 v0, v1, v0
	v_lshrrev_b32_e32 v0, s10, v0
	v_mul_lo_u32 v0, v0, s8
	v_sub_u32_e32 v0, v1, v0
	s_waitcnt vmcnt(0)
	v_mad_u64_u32 v[2:3], s[6:7], v0, s2, v[2:3]
	v_mad_u64_u32 v[9:10], s[2:3], v0, s3, v[9:10]
.LBB224_1129:
	s_and_b64 vcc, exec, s[0:1]
	s_cbranch_vccnz .LBB224_1135
; %bb.1130:
	s_cmp_lg_u32 s33, 0
	s_mov_b32 s26, 0
	s_cbranch_scc0 .LBB224_1136
; %bb.1131:
	s_min_u32 s27, s74, 15
	s_add_i32 s27, s27, 1
	s_cmp_eq_u32 s74, 2
	s_cbranch_scc1 .LBB224_1137
; %bb.1132:
	s_and_b32 s26, s27, 28
	s_add_u32 s6, s34, 0xc4
	s_addc_u32 s7, s35, 0
	v_mov_b32_e32 v7, 0
	s_mov_b32 s36, 0
	s_mov_b64 s[24:25], s[34:35]
	v_mov_b32_e32 v0, 0
	v_mov_b32_e32 v1, v15
.LBB224_1133:                           ; =>This Inner Loop Header: Depth=1
	s_load_dwordx8 s[16:23], s[24:25], 0x4
	s_load_dwordx4 s[0:3], s[24:25], 0x24
	s_load_dwordx8 s[8:15], s[6:7], 0x0
	s_add_u32 s24, s24, 48
	s_addc_u32 s25, s25, 0
	s_waitcnt vmcnt(0) lgkmcnt(0)
	v_mul_hi_u32 v3, s17, v1
	s_add_i32 s36, s36, 4
	s_add_u32 s6, s6, 32
	s_addc_u32 s7, s7, 0
	v_add_u32_e32 v3, v1, v3
	v_lshrrev_b32_e32 v3, s18, v3
	v_mul_lo_u32 v5, v3, s16
	v_mul_hi_u32 v8, s20, v3
	s_cmp_lg_u32 s26, s36
	v_sub_u32_e32 v1, v1, v5
	v_add_u32_e32 v5, v3, v8
	v_mul_lo_u32 v8, v1, s8
	v_mul_lo_u32 v10, v1, s9
	v_lshrrev_b32_e32 v1, s21, v5
	v_mul_lo_u32 v5, v1, s19
	v_mul_hi_u32 v12, s23, v1
	v_sub_u32_e32 v3, v3, v5
	v_add_u32_e32 v5, v1, v12
	v_lshrrev_b32_e32 v5, s0, v5
	v_mul_hi_u32 v14, s2, v5
	v_mul_lo_u32 v16, v5, s22
	v_mul_lo_u32 v12, v3, s10
	;; [unrolled: 1-line block ×3, first 2 shown]
	v_sub_u32_e32 v16, v1, v16
	v_add_u32_e32 v1, v5, v14
	v_lshrrev_b32_e32 v1, s3, v1
	v_mul_lo_u32 v14, v1, s1
	v_mul_lo_u32 v17, v16, s12
	;; [unrolled: 1-line block ×3, first 2 shown]
	v_add3_u32 v0, v8, v0, v12
	v_sub_u32_e32 v5, v5, v14
	v_mul_lo_u32 v14, v5, s14
	v_mul_lo_u32 v5, v5, s15
	v_add3_u32 v3, v10, v7, v3
	v_add3_u32 v0, v17, v0, v14
	;; [unrolled: 1-line block ×3, first 2 shown]
	s_cbranch_scc1 .LBB224_1133
; %bb.1134:
	s_and_b32 s6, s27, 3
	s_cmp_eq_u32 s6, 0
	s_cbranch_scc0 .LBB224_1138
	s_branch .LBB224_1140
.LBB224_1135:
                                        ; implicit-def: $vgpr0
                                        ; implicit-def: $vgpr7
	s_branch .LBB224_1141
.LBB224_1136:
	v_mov_b32_e32 v0, 0
	v_mov_b32_e32 v7, 0
	s_branch .LBB224_1140
.LBB224_1137:
	v_mov_b32_e32 v0, 0
	v_mov_b32_e32 v7, 0
	;; [unrolled: 1-line block ×3, first 2 shown]
	s_and_b32 s6, s27, 3
	s_cmp_eq_u32 s6, 0
	s_cbranch_scc1 .LBB224_1140
.LBB224_1138:
	s_lshl_b32 s0, s26, 3
	s_add_u32 s0, s34, s0
	s_addc_u32 s1, s35, 0
	s_add_u32 s0, s0, 0xc4
	s_addc_u32 s1, s1, 0
	s_mul_i32 s2, s26, 12
	s_add_u32 s2, s34, s2
	s_addc_u32 s3, s35, 0
.LBB224_1139:                           ; =>This Inner Loop Header: Depth=1
	s_load_dwordx2 s[8:9], s[2:3], 0x4
	s_load_dword s7, s[2:3], 0xc
	s_load_dwordx2 s[10:11], s[0:1], 0x0
	s_add_u32 s2, s2, 12
	s_addc_u32 s3, s3, 0
	s_waitcnt vmcnt(0) lgkmcnt(0)
	v_mul_hi_u32 v3, s9, v1
	s_add_u32 s0, s0, 8
	s_addc_u32 s1, s1, 0
	s_add_i32 s6, s6, -1
	v_add_u32_e32 v3, v1, v3
	v_lshrrev_b32_e32 v3, s7, v3
	v_mul_lo_u32 v5, v3, s8
	s_cmp_lg_u32 s6, 0
	v_sub_u32_e32 v5, v1, v5
	v_mad_u64_u32 v[0:1], s[8:9], v5, s10, v[0:1]
	v_mad_u64_u32 v[7:8], s[8:9], v5, s11, v[7:8]
	v_mov_b32_e32 v1, v3
	s_cbranch_scc1 .LBB224_1139
.LBB224_1140:
	s_cbranch_execnz .LBB224_1143
.LBB224_1141:
	s_load_dwordx4 s[0:3], s[34:35], 0x4
	s_load_dwordx2 s[6:7], s[34:35], 0xc4
	s_cmp_lt_u32 s33, 2
	s_waitcnt lgkmcnt(0)
	v_mul_hi_u32 v0, s1, v15
	v_add_u32_e32 v0, v15, v0
	v_lshrrev_b32_e32 v1, s2, v0
	v_mul_lo_u32 v0, v1, s0
	s_waitcnt vmcnt(0)
	v_sub_u32_e32 v3, v15, v0
	v_mul_lo_u32 v0, v3, s6
	v_mul_lo_u32 v7, v3, s7
	s_cbranch_scc1 .LBB224_1143
; %bb.1142:
	s_load_dwordx4 s[0:3], s[34:35], 0x10
	s_load_dwordx2 s[6:7], s[34:35], 0xcc
	s_waitcnt lgkmcnt(0)
	v_mul_hi_u32 v3, s1, v1
	v_add_u32_e32 v3, v1, v3
	v_lshrrev_b32_e32 v3, s2, v3
	v_mul_lo_u32 v3, v3, s0
	v_sub_u32_e32 v3, v1, v3
	v_mad_u64_u32 v[0:1], s[0:1], v3, s6, v[0:1]
	v_mad_u64_u32 v[7:8], s[0:1], v3, s7, v[7:8]
.LBB224_1143:
	s_load_dword s0, s[4:5], 0x164
	s_load_dwordx4 s[8:11], s[34:35], 0x148
	s_waitcnt lgkmcnt(0)
	s_lshr_b32 s14, s0, 24
	v_mov_b32_e32 v1, s11
	v_add_co_u32_e32 v12, vcc, s10, v13
	s_cmp_lt_i32 s14, 11
	v_addc_co_u32_e32 v13, vcc, 0, v1, vcc
	s_cbranch_scc1 .LBB224_1150
; %bb.1144:
	s_and_b32 s15, 0xffff, s14
	s_cmp_gt_i32 s15, 25
	s_mov_b64 s[2:3], 0
	s_cbranch_scc0 .LBB224_1151
; %bb.1145:
	s_cmp_gt_i32 s15, 28
	s_cbranch_scc0 .LBB224_1152
; %bb.1146:
	s_cmp_gt_i32 s15, 43
	;; [unrolled: 3-line block ×3, first 2 shown]
	s_cbranch_scc0 .LBB224_1154
; %bb.1148:
	s_cmp_eq_u32 s15, 46
	s_mov_b64 s[4:5], 0
	s_cbranch_scc0 .LBB224_1157
; %bb.1149:
	global_load_dword v1, v[12:13], off
	s_mov_b64 s[0:1], 0
	s_mov_b64 s[6:7], -1
	s_branch .LBB224_1158
.LBB224_1150:
	s_mov_b64 s[6:7], 0
                                        ; implicit-def: $vgpr1
	s_mov_b64 s[4:5], s[28:29]
	s_cbranch_execnz .LBB224_1220
	s_branch .LBB224_1265
.LBB224_1151:
	s_mov_b64 s[6:7], 0
	s_mov_b64 s[0:1], 0
                                        ; implicit-def: $vgpr1
	s_cbranch_execnz .LBB224_1185
	s_branch .LBB224_1216
.LBB224_1152:
	s_mov_b64 s[6:7], 0
	s_mov_b64 s[0:1], 0
                                        ; implicit-def: $vgpr1
	s_cbranch_execz .LBB224_1184
	s_branch .LBB224_1167
.LBB224_1153:
	s_mov_b64 s[6:7], 0
	s_mov_b64 s[0:1], 0
                                        ; implicit-def: $vgpr1
	s_cbranch_execnz .LBB224_1163
	s_branch .LBB224_1166
.LBB224_1154:
	s_mov_b64 s[4:5], -1
	s_mov_b64 s[6:7], 0
	s_mov_b64 s[0:1], 0
                                        ; implicit-def: $vgpr1
	s_branch .LBB224_1158
.LBB224_1155:
	s_andn2_saveexec_b64 s[14:15], s[14:15]
	s_cbranch_execz .LBB224_999
.LBB224_1156:
	s_mov_b32 s16, 0x46000000
	v_add_f32_e64 v4, |v5|, s16
	v_and_b32_e32 v4, 0xff, v4
	v_cmp_ne_u32_e32 vcc, 0, v4
	s_andn2_b64 s[12:13], s[12:13], exec
	s_and_b64 s[16:17], vcc, exec
	s_or_b64 s[12:13], s[12:13], s[16:17]
	s_or_b64 exec, exec, s[14:15]
	v_mov_b32_e32 v6, 0
	s_and_saveexec_b64 s[14:15], s[12:13]
	s_cbranch_execnz .LBB224_1000
	s_branch .LBB224_1001
.LBB224_1157:
	s_mov_b64 s[0:1], -1
                                        ; implicit-def: $vgpr1
	s_mov_b64 s[6:7], 0
.LBB224_1158:
	s_and_b64 vcc, exec, s[4:5]
	s_cbranch_vccz .LBB224_1161
; %bb.1159:
	s_cmp_eq_u32 s15, 44
	s_cbranch_scc0 .LBB224_1162
; %bb.1160:
	global_load_ubyte v1, v[12:13], off
	s_movk_i32 s4, 0xff
	s_waitcnt vmcnt(1)
	v_mov_b32_e32 v3, 0x7f800001
	v_mov_b32_e32 v5, 0x400000
	v_mov_b32_e32 v8, 0x7fc0
	s_mov_b64 s[0:1], 0
	s_mov_b64 s[6:7], -1
	s_waitcnt vmcnt(0)
	v_lshlrev_b32_e32 v10, 23, v1
	v_cmp_ne_u32_e32 vcc, s4, v1
	v_cndmask_b32_e32 v3, v3, v10, vcc
	v_cmp_ne_u32_e32 vcc, 0, v1
	v_cndmask_b32_e32 v1, v5, v3, vcc
	v_add_u32_e32 v3, 0x7fff, v1
	v_cmp_o_f32_e32 vcc, v1, v1
	v_cndmask_b32_sdwa v1, v8, v3, vcc dst_sel:DWORD dst_unused:UNUSED_PAD src0_sel:DWORD src1_sel:WORD_1
.LBB224_1161:
	s_branch .LBB224_1166
.LBB224_1162:
	s_mov_b64 s[0:1], -1
                                        ; implicit-def: $vgpr1
	s_branch .LBB224_1166
.LBB224_1163:
	s_cmp_eq_u32 s15, 29
	s_cbranch_scc0 .LBB224_1165
; %bb.1164:
	global_load_dwordx2 v[14:15], v[12:13], off
	s_movk_i32 s4, 0x7fff
	s_mov_b64 s[0:1], 0
	s_mov_b64 s[6:7], -1
	s_waitcnt vmcnt(0)
	v_ffbh_u32_e32 v1, v15
	v_min_u32_e32 v1, 32, v1
	v_lshlrev_b64 v[14:15], v1, v[14:15]
	v_sub_u32_e32 v1, 32, v1
	v_min_u32_e32 v3, 1, v14
	v_or_b32_e32 v3, v15, v3
	v_cvt_f32_u32_e32 v3, v3
	v_ldexp_f32 v1, v3, v1
	v_bfe_u32 v3, v1, 16, 1
	v_add3_u32 v1, v1, v3, s4
	v_lshrrev_b32_e32 v1, 16, v1
	s_branch .LBB224_1166
.LBB224_1165:
	s_mov_b64 s[0:1], -1
                                        ; implicit-def: $vgpr1
.LBB224_1166:
	s_branch .LBB224_1184
.LBB224_1167:
	s_cmp_lt_i32 s15, 27
	s_cbranch_scc1 .LBB224_1170
; %bb.1168:
	s_cmp_gt_i32 s15, 27
	s_cbranch_scc0 .LBB224_1171
; %bb.1169:
	global_load_dword v1, v[12:13], off
	s_movk_i32 s4, 0x7fff
	s_waitcnt vmcnt(0)
	v_cvt_f32_u32_e32 v1, v1
	v_bfe_u32 v3, v1, 16, 1
	v_add3_u32 v1, v1, v3, s4
	v_lshrrev_b32_e32 v1, 16, v1
	s_mov_b64 s[4:5], 0
	s_branch .LBB224_1172
.LBB224_1170:
	s_mov_b64 s[4:5], -1
                                        ; implicit-def: $vgpr1
	s_branch .LBB224_1175
.LBB224_1171:
	s_mov_b64 s[4:5], -1
                                        ; implicit-def: $vgpr1
.LBB224_1172:
	s_andn2_b64 vcc, exec, s[4:5]
	s_cbranch_vccnz .LBB224_1174
; %bb.1173:
	global_load_ushort v1, v[12:13], off
	s_movk_i32 s4, 0x7fff
	s_waitcnt vmcnt(0)
	v_cvt_f32_u32_e32 v1, v1
	v_bfe_u32 v3, v1, 16, 1
	v_add3_u32 v1, v1, v3, s4
	v_lshrrev_b32_e32 v1, 16, v1
.LBB224_1174:
	s_mov_b64 s[4:5], 0
.LBB224_1175:
	s_andn2_b64 vcc, exec, s[4:5]
	s_cbranch_vccnz .LBB224_1183
; %bb.1176:
	global_load_ubyte v1, v[12:13], off
	s_movk_i32 s4, 0x7f
	s_waitcnt vmcnt(0)
	v_cmp_lt_i16_e32 vcc, s4, v1
	s_mov_b64 s[4:5], 0
	s_and_saveexec_b64 s[6:7], vcc
	s_xor_b64 s[6:7], exec, s[6:7]
	s_cbranch_execz .LBB224_1196
; %bb.1177:
	s_movk_i32 s4, 0x80
	v_cmp_eq_u16_e32 vcc, s4, v1
	s_mov_b64 s[4:5], -1
	s_and_saveexec_b64 s[12:13], vcc
; %bb.1178:
	s_xor_b64 s[4:5], exec, -1
; %bb.1179:
	s_or_b64 exec, exec, s[12:13]
	s_and_b64 s[4:5], s[4:5], exec
	s_or_saveexec_b64 s[6:7], s[6:7]
	v_mov_b32_e32 v3, 0x7f800001
	s_xor_b64 exec, exec, s[6:7]
	s_cbranch_execnz .LBB224_1197
.LBB224_1180:
	s_or_b64 exec, exec, s[6:7]
	s_and_saveexec_b64 s[6:7], s[4:5]
	s_cbranch_execz .LBB224_1182
.LBB224_1181:
	v_lshlrev_b32_e32 v3, 24, v1
	v_and_b32_e32 v1, 0xffff, v1
	v_and_b32_e32 v5, 7, v1
	v_ffbh_u32_e32 v10, v5
	v_min_u32_e32 v10, 32, v10
	v_subrev_u32_e32 v14, 28, v10
	v_bfe_u32 v8, v1, 3, 4
	v_lshlrev_b32_e32 v1, v14, v1
	v_sub_u32_e32 v10, 29, v10
	v_and_b32_e32 v1, 7, v1
	v_cmp_eq_u32_e32 vcc, 0, v8
	v_cndmask_b32_e32 v8, v8, v10, vcc
	v_cndmask_b32_e32 v1, v5, v1, vcc
	v_mov_b32_e32 v5, 0x3b800000
	v_lshlrev_b32_e32 v1, 20, v1
	v_and_b32_e32 v3, 0x80000000, v3
	v_lshl_add_u32 v5, v8, 23, v5
	v_or3_b32 v3, v3, v5, v1
.LBB224_1182:
	s_or_b64 exec, exec, s[6:7]
	v_bfe_u32 v1, v3, 16, 1
	s_movk_i32 s4, 0x7fff
	v_add3_u32 v1, v3, v1, s4
	v_cmp_o_f32_e32 vcc, v3, v3
	v_mov_b32_e32 v3, 0x7fc0
	v_cndmask_b32_sdwa v1, v3, v1, vcc dst_sel:DWORD dst_unused:UNUSED_PAD src0_sel:DWORD src1_sel:WORD_1
.LBB224_1183:
	s_mov_b64 s[6:7], -1
.LBB224_1184:
	s_branch .LBB224_1216
.LBB224_1185:
	s_cmp_gt_i32 s15, 22
	s_cbranch_scc0 .LBB224_1195
; %bb.1186:
	s_cmp_lt_i32 s15, 24
	s_cbranch_scc1 .LBB224_1198
; %bb.1187:
	s_cmp_gt_i32 s15, 24
	s_cbranch_scc0 .LBB224_1199
; %bb.1188:
	global_load_ubyte v1, v[12:13], off
	s_movk_i32 s2, 0x7f
	s_waitcnt vmcnt(0)
	v_cmp_lt_i16_e32 vcc, s2, v1
	s_mov_b64 s[2:3], 0
	s_and_saveexec_b64 s[4:5], vcc
	s_xor_b64 s[4:5], exec, s[4:5]
	s_cbranch_execz .LBB224_1210
; %bb.1189:
	s_movk_i32 s2, 0x80
	v_cmp_eq_u16_e32 vcc, s2, v1
	s_mov_b64 s[2:3], -1
	s_and_saveexec_b64 s[6:7], vcc
; %bb.1190:
	s_xor_b64 s[2:3], exec, -1
; %bb.1191:
	s_or_b64 exec, exec, s[6:7]
	s_and_b64 s[2:3], s[2:3], exec
	s_or_saveexec_b64 s[4:5], s[4:5]
	v_mov_b32_e32 v3, 0x7f800001
	s_xor_b64 exec, exec, s[4:5]
	s_cbranch_execnz .LBB224_1211
.LBB224_1192:
	s_or_b64 exec, exec, s[4:5]
	s_and_saveexec_b64 s[4:5], s[2:3]
	s_cbranch_execz .LBB224_1194
.LBB224_1193:
	v_lshlrev_b32_e32 v3, 24, v1
	v_and_b32_e32 v1, 0xffff, v1
	v_and_b32_e32 v5, 3, v1
	v_ffbh_u32_e32 v10, v5
	v_min_u32_e32 v10, 32, v10
	v_subrev_u32_e32 v14, 29, v10
	v_bfe_u32 v8, v1, 2, 5
	v_lshlrev_b32_e32 v1, v14, v1
	v_sub_u32_e32 v10, 30, v10
	v_and_b32_e32 v1, 3, v1
	v_cmp_eq_u32_e32 vcc, 0, v8
	v_cndmask_b32_e32 v8, v8, v10, vcc
	v_cndmask_b32_e32 v1, v5, v1, vcc
	v_mov_b32_e32 v5, 0x37800000
	v_lshlrev_b32_e32 v1, 21, v1
	v_and_b32_e32 v3, 0x80000000, v3
	v_lshl_add_u32 v5, v8, 23, v5
	v_or3_b32 v3, v3, v5, v1
.LBB224_1194:
	s_or_b64 exec, exec, s[4:5]
	v_bfe_u32 v1, v3, 16, 1
	s_movk_i32 s2, 0x7fff
	v_add3_u32 v1, v3, v1, s2
	v_cmp_o_f32_e32 vcc, v3, v3
	v_mov_b32_e32 v3, 0x7fc0
	v_cndmask_b32_sdwa v1, v3, v1, vcc dst_sel:DWORD dst_unused:UNUSED_PAD src0_sel:DWORD src1_sel:WORD_1
	s_mov_b64 s[2:3], 0
	s_branch .LBB224_1200
.LBB224_1195:
                                        ; implicit-def: $vgpr1
	s_mov_b64 s[2:3], 0
	s_branch .LBB224_1206
.LBB224_1196:
	s_or_saveexec_b64 s[6:7], s[6:7]
	v_mov_b32_e32 v3, 0x7f800001
	s_xor_b64 exec, exec, s[6:7]
	s_cbranch_execz .LBB224_1180
.LBB224_1197:
	v_cmp_ne_u16_e32 vcc, 0, v1
	s_andn2_b64 s[4:5], s[4:5], exec
	s_and_b64 s[12:13], vcc, exec
	v_mov_b32_e32 v3, 0
	s_or_b64 s[4:5], s[4:5], s[12:13]
	s_or_b64 exec, exec, s[6:7]
	s_and_saveexec_b64 s[6:7], s[4:5]
	s_cbranch_execnz .LBB224_1181
	s_branch .LBB224_1182
.LBB224_1198:
	s_mov_b64 s[2:3], -1
                                        ; implicit-def: $vgpr1
	s_branch .LBB224_1203
.LBB224_1199:
	s_mov_b64 s[2:3], -1
                                        ; implicit-def: $vgpr1
.LBB224_1200:
	s_and_b64 vcc, exec, s[2:3]
	s_cbranch_vccz .LBB224_1202
; %bb.1201:
	global_load_ubyte v1, v[12:13], off
	s_mov_b32 s2, 0x7f800000
	s_brev_b32 s3, 1
	s_movk_i32 s4, 0x7fff
	s_waitcnt vmcnt(0)
	v_lshlrev_b32_e32 v1, 24, v1
	v_and_b32_e32 v3, 0x7f000000, v1
	v_ffbh_u32_e32 v5, v3
	v_min_u32_e32 v5, 32, v5
	v_sub_u32_e64 v5, v5, 4 clamp
	v_lshlrev_b32_e32 v10, v5, v3
	v_lshlrev_b32_e32 v5, 23, v5
	v_lshrrev_b32_e32 v10, 4, v10
	v_add_u32_e32 v8, 0x1000000, v3
	v_sub_u32_e32 v5, v10, v5
	v_ashrrev_i32_e32 v8, 8, v8
	v_add_u32_e32 v5, 0x3c000000, v5
	v_and_or_b32 v5, v8, s2, v5
	v_cmp_ne_u32_e32 vcc, 0, v3
	v_cndmask_b32_e32 v3, 0, v5, vcc
	v_and_or_b32 v1, v1, s3, v3
	v_bfe_u32 v3, v3, 16, 1
	v_add3_u32 v3, v1, v3, s4
	v_cmp_o_f32_e32 vcc, v1, v1
	v_mov_b32_e32 v1, 0x7fc0
	v_cndmask_b32_sdwa v1, v1, v3, vcc dst_sel:DWORD dst_unused:UNUSED_PAD src0_sel:DWORD src1_sel:WORD_1
.LBB224_1202:
	s_mov_b64 s[2:3], 0
.LBB224_1203:
	s_andn2_b64 vcc, exec, s[2:3]
	s_cbranch_vccnz .LBB224_1205
; %bb.1204:
	global_load_ubyte v1, v[12:13], off
	s_movk_i32 s2, 0x7f00
	s_brev_b32 s3, 16
	s_brev_b32 s4, 1
	s_movk_i32 s5, 0x7fff
	s_waitcnt vmcnt(0)
	v_lshlrev_b16_e32 v3, 8, v1
	v_lshlrev_b32_e32 v1, 25, v1
	v_lshrrev_b32_e32 v5, 4, v1
	v_and_or_b32 v8, v3, s2, 0.5
	v_or_b32_e32 v5, 0x70000000, v5
	v_add_f32_e32 v8, -0.5, v8
	v_mul_f32_e32 v5, 0x7800000, v5
	v_cmp_gt_u32_e32 vcc, s3, v1
	v_bfe_i32 v3, v3, 0, 16
	v_cndmask_b32_e32 v1, v5, v8, vcc
	v_and_or_b32 v3, v3, s4, v1
	v_bfe_u32 v1, v1, 16, 1
	v_add3_u32 v1, v3, v1, s5
	v_cmp_o_f32_e32 vcc, v3, v3
	v_mov_b32_e32 v3, 0x7fc0
	v_cndmask_b32_sdwa v1, v3, v1, vcc dst_sel:DWORD dst_unused:UNUSED_PAD src0_sel:DWORD src1_sel:WORD_1
.LBB224_1205:
	s_mov_b64 s[6:7], -1
	s_mov_b64 s[2:3], 0
	s_cbranch_execnz .LBB224_1216
.LBB224_1206:
	s_cmp_gt_i32 s15, 14
	s_cbranch_scc0 .LBB224_1209
; %bb.1207:
	s_cmp_eq_u32 s15, 15
	s_cbranch_scc0 .LBB224_1212
; %bb.1208:
	global_load_ushort v1, v[12:13], off
	s_mov_b64 s[0:1], 0
	s_mov_b64 s[6:7], -1
	s_branch .LBB224_1213
.LBB224_1209:
	s_mov_b64 s[4:5], -1
                                        ; implicit-def: $vgpr1
	s_branch .LBB224_1214
.LBB224_1210:
	s_or_saveexec_b64 s[4:5], s[4:5]
	v_mov_b32_e32 v3, 0x7f800001
	s_xor_b64 exec, exec, s[4:5]
	s_cbranch_execz .LBB224_1192
.LBB224_1211:
	v_cmp_ne_u16_e32 vcc, 0, v1
	s_andn2_b64 s[2:3], s[2:3], exec
	s_and_b64 s[6:7], vcc, exec
	v_mov_b32_e32 v3, 0
	s_or_b64 s[2:3], s[2:3], s[6:7]
	s_or_b64 exec, exec, s[4:5]
	s_and_saveexec_b64 s[4:5], s[2:3]
	s_cbranch_execnz .LBB224_1193
	s_branch .LBB224_1194
.LBB224_1212:
	s_mov_b64 s[0:1], -1
                                        ; implicit-def: $vgpr1
.LBB224_1213:
	s_mov_b64 s[4:5], 0
.LBB224_1214:
	s_and_b64 vcc, exec, s[4:5]
	s_cbranch_vccz .LBB224_1216
; %bb.1215:
	s_cmp_lg_u32 s15, 11
	s_mov_b64 s[2:3], -1
	s_cselect_b64 s[0:1], -1, 0
.LBB224_1216:
	s_and_b64 vcc, exec, s[0:1]
	s_mov_b64 s[4:5], s[28:29]
	s_cbranch_vccnz .LBB224_1277
; %bb.1217:
	s_andn2_b64 vcc, exec, s[2:3]
	s_cbranch_vccnz .LBB224_1219
.LBB224_1218:
	global_load_ubyte v1, v[12:13], off
	s_mov_b64 s[6:7], -1
	s_waitcnt vmcnt(0)
	v_cmp_ne_u16_e32 vcc, 0, v1
	v_cndmask_b32_e64 v1, 0, 1.0, vcc
	v_lshrrev_b32_e32 v1, 16, v1
.LBB224_1219:
	s_branch .LBB224_1265
.LBB224_1220:
	s_and_b32 s2, 0xffff, s14
	s_cmp_lt_i32 s2, 5
	s_cbranch_scc1 .LBB224_1225
; %bb.1221:
	s_cmp_lt_i32 s2, 8
	s_cbranch_scc1 .LBB224_1226
; %bb.1222:
	;; [unrolled: 3-line block ×3, first 2 shown]
	s_cmp_gt_i32 s2, 9
	s_cbranch_scc0 .LBB224_1228
; %bb.1224:
	global_load_dwordx2 v[14:15], v[12:13], off
	s_movk_i32 s0, 0x7fff
	s_waitcnt vmcnt(1)
	v_mov_b32_e32 v3, 0x7fc0
	s_waitcnt vmcnt(0)
	v_cvt_f32_f64_e32 v1, v[14:15]
	v_bfe_u32 v5, v1, 16, 1
	v_cmp_o_f32_e32 vcc, v1, v1
	v_add3_u32 v1, v1, v5, s0
	v_cndmask_b32_sdwa v1, v3, v1, vcc dst_sel:DWORD dst_unused:UNUSED_PAD src0_sel:DWORD src1_sel:WORD_1
	s_mov_b64 s[0:1], 0
	s_branch .LBB224_1229
.LBB224_1225:
                                        ; implicit-def: $vgpr1
	s_branch .LBB224_1246
.LBB224_1226:
                                        ; implicit-def: $vgpr1
	s_branch .LBB224_1235
.LBB224_1227:
	s_mov_b64 s[0:1], -1
                                        ; implicit-def: $vgpr1
	s_branch .LBB224_1232
.LBB224_1228:
	s_mov_b64 s[0:1], -1
                                        ; implicit-def: $vgpr1
.LBB224_1229:
	s_andn2_b64 vcc, exec, s[0:1]
	s_cbranch_vccnz .LBB224_1231
; %bb.1230:
	global_load_dword v1, v[12:13], off
	s_movk_i32 s0, 0x7fff
	s_waitcnt vmcnt(1)
	v_mov_b32_e32 v3, 0x7fc0
	s_waitcnt vmcnt(0)
	v_bfe_u32 v5, v1, 16, 1
	v_cmp_o_f32_e32 vcc, v1, v1
	v_add3_u32 v1, v1, v5, s0
	v_cndmask_b32_sdwa v1, v3, v1, vcc dst_sel:DWORD dst_unused:UNUSED_PAD src0_sel:DWORD src1_sel:WORD_1
.LBB224_1231:
	s_mov_b64 s[0:1], 0
.LBB224_1232:
	s_andn2_b64 vcc, exec, s[0:1]
	s_cbranch_vccnz .LBB224_1234
; %bb.1233:
	global_load_dword v1, v[12:13], off
	s_movk_i32 s0, 0x7fff
	v_mov_b32_e32 v5, 0x7fc0
	s_waitcnt vmcnt(0)
	v_cvt_f32_f16_e32 v3, v1
	v_cmp_o_f16_e32 vcc, v1, v1
	v_bfe_u32 v1, v3, 16, 1
	v_add3_u32 v1, v3, v1, s0
	v_cndmask_b32_sdwa v1, v5, v1, vcc dst_sel:DWORD dst_unused:UNUSED_PAD src0_sel:DWORD src1_sel:WORD_1
.LBB224_1234:
	s_cbranch_execnz .LBB224_1245
.LBB224_1235:
	s_cmp_lt_i32 s2, 6
	s_cbranch_scc1 .LBB224_1238
; %bb.1236:
	s_cmp_gt_i32 s2, 6
	s_cbranch_scc0 .LBB224_1239
; %bb.1237:
	global_load_dwordx2 v[14:15], v[12:13], off
	s_movk_i32 s0, 0x7fff
	s_waitcnt vmcnt(1)
	v_mov_b32_e32 v3, 0x7fc0
	s_waitcnt vmcnt(0)
	v_cvt_f32_f64_e32 v1, v[14:15]
	v_bfe_u32 v5, v1, 16, 1
	v_cmp_o_f32_e32 vcc, v1, v1
	v_add3_u32 v1, v1, v5, s0
	v_cndmask_b32_sdwa v1, v3, v1, vcc dst_sel:DWORD dst_unused:UNUSED_PAD src0_sel:DWORD src1_sel:WORD_1
	s_mov_b64 s[0:1], 0
	s_branch .LBB224_1240
.LBB224_1238:
	s_mov_b64 s[0:1], -1
                                        ; implicit-def: $vgpr1
	s_branch .LBB224_1243
.LBB224_1239:
	s_mov_b64 s[0:1], -1
                                        ; implicit-def: $vgpr1
.LBB224_1240:
	s_andn2_b64 vcc, exec, s[0:1]
	s_cbranch_vccnz .LBB224_1242
; %bb.1241:
	global_load_dword v1, v[12:13], off
	s_movk_i32 s0, 0x7fff
	s_waitcnt vmcnt(1)
	v_mov_b32_e32 v3, 0x7fc0
	s_waitcnt vmcnt(0)
	v_bfe_u32 v5, v1, 16, 1
	v_cmp_o_f32_e32 vcc, v1, v1
	v_add3_u32 v1, v1, v5, s0
	v_cndmask_b32_sdwa v1, v3, v1, vcc dst_sel:DWORD dst_unused:UNUSED_PAD src0_sel:DWORD src1_sel:WORD_1
.LBB224_1242:
	s_mov_b64 s[0:1], 0
.LBB224_1243:
	s_andn2_b64 vcc, exec, s[0:1]
	s_cbranch_vccnz .LBB224_1245
; %bb.1244:
	global_load_ushort v1, v[12:13], off
	s_movk_i32 s0, 0x7fff
	v_mov_b32_e32 v5, 0x7fc0
	s_waitcnt vmcnt(0)
	v_cvt_f32_f16_e32 v3, v1
	v_cmp_o_f16_e32 vcc, v1, v1
	v_bfe_u32 v1, v3, 16, 1
	v_add3_u32 v1, v3, v1, s0
	v_cndmask_b32_sdwa v1, v5, v1, vcc dst_sel:DWORD dst_unused:UNUSED_PAD src0_sel:DWORD src1_sel:WORD_1
.LBB224_1245:
	s_cbranch_execnz .LBB224_1264
.LBB224_1246:
	s_cmp_lt_i32 s2, 2
	s_cbranch_scc1 .LBB224_1250
; %bb.1247:
	s_cmp_lt_i32 s2, 3
	s_cbranch_scc1 .LBB224_1251
; %bb.1248:
	s_cmp_gt_i32 s2, 3
	s_cbranch_scc0 .LBB224_1252
; %bb.1249:
	global_load_dwordx2 v[14:15], v[12:13], off
	s_movk_i32 s0, 0x7fff
	s_waitcnt vmcnt(0)
	v_xor_b32_e32 v3, v14, v15
	v_ffbh_i32_e32 v1, v15
	v_ashrrev_i32_e32 v3, 31, v3
	v_add_u32_e32 v1, -1, v1
	v_add_u32_e32 v3, 32, v3
	v_min_u32_e32 v1, v1, v3
	v_lshlrev_b64 v[14:15], v1, v[14:15]
	v_sub_u32_e32 v1, 32, v1
	v_min_u32_e32 v3, 1, v14
	v_or_b32_e32 v3, v15, v3
	v_cvt_f32_i32_e32 v3, v3
	v_ldexp_f32 v1, v3, v1
	v_bfe_u32 v3, v1, 16, 1
	v_add3_u32 v1, v1, v3, s0
	v_lshrrev_b32_e32 v1, 16, v1
	s_mov_b64 s[0:1], 0
	s_branch .LBB224_1253
.LBB224_1250:
                                        ; implicit-def: $vgpr1
	s_branch .LBB224_1259
.LBB224_1251:
	s_mov_b64 s[0:1], -1
                                        ; implicit-def: $vgpr1
	s_branch .LBB224_1256
.LBB224_1252:
	s_mov_b64 s[0:1], -1
                                        ; implicit-def: $vgpr1
.LBB224_1253:
	s_andn2_b64 vcc, exec, s[0:1]
	s_cbranch_vccnz .LBB224_1255
; %bb.1254:
	global_load_dword v1, v[12:13], off
	s_movk_i32 s0, 0x7fff
	s_waitcnt vmcnt(0)
	v_cvt_f32_i32_e32 v1, v1
	v_bfe_u32 v3, v1, 16, 1
	v_add3_u32 v1, v1, v3, s0
	v_lshrrev_b32_e32 v1, 16, v1
.LBB224_1255:
	s_mov_b64 s[0:1], 0
.LBB224_1256:
	s_andn2_b64 vcc, exec, s[0:1]
	s_cbranch_vccnz .LBB224_1258
; %bb.1257:
	global_load_sshort v1, v[12:13], off
	s_movk_i32 s0, 0x7fff
	s_waitcnt vmcnt(0)
	v_cvt_f32_i32_e32 v1, v1
	v_bfe_u32 v3, v1, 16, 1
	v_add3_u32 v1, v1, v3, s0
	v_lshrrev_b32_e32 v1, 16, v1
.LBB224_1258:
	s_cbranch_execnz .LBB224_1264
.LBB224_1259:
	s_cmp_gt_i32 s2, 0
	s_cbranch_scc0 .LBB224_1261
; %bb.1260:
	global_load_sbyte v1, v[12:13], off
	s_movk_i32 s0, 0x7fff
	s_waitcnt vmcnt(0)
	v_cvt_f32_i32_e32 v1, v1
	v_bfe_u32 v3, v1, 16, 1
	v_add3_u32 v1, v1, v3, s0
	v_lshrrev_b32_e32 v1, 16, v1
	s_mov_b64 s[0:1], 0
	s_branch .LBB224_1262
.LBB224_1261:
	s_mov_b64 s[0:1], -1
                                        ; implicit-def: $vgpr1
.LBB224_1262:
	s_andn2_b64 vcc, exec, s[0:1]
	s_cbranch_vccnz .LBB224_1264
; %bb.1263:
	global_load_ubyte v1, v[12:13], off
	s_movk_i32 s0, 0x7fff
	s_waitcnt vmcnt(0)
	v_cvt_f32_ubyte0_e32 v1, v1
	v_bfe_u32 v3, v1, 16, 1
	v_add3_u32 v1, v1, v3, s0
	v_lshrrev_b32_e32 v1, 16, v1
.LBB224_1264:
	s_mov_b64 s[6:7], -1
.LBB224_1265:
	s_andn2_b64 vcc, exec, s[6:7]
	v_readfirstlane_b32 s12, v0
	s_cbranch_vccnz .LBB224_2087
; %bb.1266:
	s_waitcnt vmcnt(0)
	v_mov_b32_e32 v3, s11
	s_and_b32 s16, 0xffff, s14
	v_add_co_u32_e32 v10, vcc, s10, v11
	s_cmp_lt_i32 s16, 11
	v_addc_co_u32_e32 v11, vcc, 0, v3, vcc
	s_cbranch_scc1 .LBB224_1273
; %bb.1267:
	s_cmp_gt_i32 s16, 25
	s_mov_b64 s[2:3], 0
	s_cbranch_scc0 .LBB224_1274
; %bb.1268:
	s_cmp_gt_i32 s16, 28
	s_cbranch_scc0 .LBB224_1275
; %bb.1269:
	s_cmp_gt_i32 s16, 43
	;; [unrolled: 3-line block ×3, first 2 shown]
	s_cbranch_scc0 .LBB224_1278
; %bb.1271:
	s_cmp_eq_u32 s16, 46
	s_mov_b64 s[12:13], 0
	s_cbranch_scc0 .LBB224_1281
; %bb.1272:
	global_load_dword v3, v[10:11], off
	s_mov_b64 s[0:1], 0
	s_mov_b64 s[6:7], -1
	s_branch .LBB224_1282
.LBB224_1273:
	s_mov_b64 s[6:7], 0
                                        ; implicit-def: $vgpr3
	s_cbranch_execnz .LBB224_1347
	s_branch .LBB224_1394
.LBB224_1274:
	s_mov_b64 s[6:7], 0
	s_mov_b64 s[0:1], 0
                                        ; implicit-def: $vgpr3
	s_cbranch_execnz .LBB224_1311
	s_branch .LBB224_1343
.LBB224_1275:
	s_mov_b64 s[12:13], -1
	s_mov_b64 s[6:7], 0
	s_mov_b64 s[0:1], 0
                                        ; implicit-def: $vgpr3
	s_branch .LBB224_1292
.LBB224_1276:
	s_mov_b64 s[12:13], -1
	s_mov_b64 s[6:7], 0
	s_mov_b64 s[0:1], 0
                                        ; implicit-def: $vgpr3
	s_branch .LBB224_1287
.LBB224_1277:
	s_or_b64 s[4:5], s[28:29], exec
	s_trap 2
	s_cbranch_execz .LBB224_1218
	s_branch .LBB224_1219
.LBB224_1278:
	s_mov_b64 s[12:13], -1
	s_mov_b64 s[6:7], 0
	s_mov_b64 s[0:1], 0
                                        ; implicit-def: $vgpr3
	s_branch .LBB224_1282
.LBB224_1279:
	s_andn2_saveexec_b64 s[16:17], s[16:17]
	s_cbranch_execz .LBB224_1011
.LBB224_1280:
	s_mov_b32 s20, 0x42800000
	v_add_f32_e64 v4, |v5|, s20
	v_and_b32_e32 v4, 0xff, v4
	v_cmp_ne_u32_e32 vcc, 0, v4
	s_andn2_b64 s[14:15], s[14:15], exec
	s_and_b64 s[20:21], vcc, exec
	s_or_b64 s[14:15], s[14:15], s[20:21]
	s_or_b64 exec, exec, s[16:17]
	v_mov_b32_e32 v6, 0
	s_and_saveexec_b64 s[16:17], s[14:15]
	s_cbranch_execnz .LBB224_1012
	s_branch .LBB224_1013
.LBB224_1281:
	s_mov_b64 s[0:1], -1
                                        ; implicit-def: $vgpr3
	s_mov_b64 s[6:7], 0
.LBB224_1282:
	s_and_b64 vcc, exec, s[12:13]
	s_cbranch_vccz .LBB224_1286
; %bb.1283:
	s_cmp_eq_u32 s16, 44
	s_cbranch_scc0 .LBB224_1285
; %bb.1284:
	global_load_ubyte v3, v[10:11], off
	s_movk_i32 s6, 0xff
	v_mov_b32_e32 v5, 0x7f800001
	v_mov_b32_e32 v8, 0x400000
	;; [unrolled: 1-line block ×3, first 2 shown]
	s_mov_b64 s[0:1], 0
	s_waitcnt vmcnt(0)
	v_lshlrev_b32_e32 v13, 23, v3
	v_cmp_ne_u32_e32 vcc, s6, v3
	v_cndmask_b32_e32 v5, v5, v13, vcc
	v_cmp_ne_u32_e32 vcc, 0, v3
	v_cndmask_b32_e32 v3, v8, v5, vcc
	v_add_u32_e32 v5, 0x7fff, v3
	v_cmp_o_f32_e32 vcc, v3, v3
	v_cndmask_b32_sdwa v3, v12, v5, vcc dst_sel:DWORD dst_unused:UNUSED_PAD src0_sel:DWORD src1_sel:WORD_1
	s_mov_b64 s[6:7], -1
	s_branch .LBB224_1286
.LBB224_1285:
	s_mov_b64 s[0:1], -1
                                        ; implicit-def: $vgpr3
.LBB224_1286:
	s_mov_b64 s[12:13], 0
.LBB224_1287:
	s_and_b64 vcc, exec, s[12:13]
	s_cbranch_vccz .LBB224_1291
; %bb.1288:
	s_cmp_eq_u32 s16, 29
	s_cbranch_scc0 .LBB224_1290
; %bb.1289:
	global_load_dwordx2 v[12:13], v[10:11], off
	s_movk_i32 s6, 0x7fff
	s_mov_b64 s[0:1], 0
	s_mov_b64 s[12:13], 0
	s_waitcnt vmcnt(0)
	v_ffbh_u32_e32 v3, v13
	v_min_u32_e32 v3, 32, v3
	v_lshlrev_b64 v[12:13], v3, v[12:13]
	v_sub_u32_e32 v3, 32, v3
	v_min_u32_e32 v5, 1, v12
	v_or_b32_e32 v5, v13, v5
	v_cvt_f32_u32_e32 v5, v5
	v_ldexp_f32 v3, v5, v3
	v_bfe_u32 v5, v3, 16, 1
	v_add3_u32 v3, v3, v5, s6
	v_lshrrev_b32_e32 v3, 16, v3
	s_mov_b64 s[6:7], -1
	s_branch .LBB224_1292
.LBB224_1290:
	s_mov_b64 s[0:1], -1
                                        ; implicit-def: $vgpr3
.LBB224_1291:
	s_mov_b64 s[12:13], 0
.LBB224_1292:
	s_and_b64 vcc, exec, s[12:13]
	s_cbranch_vccz .LBB224_1310
; %bb.1293:
	s_cmp_lt_i32 s16, 27
	s_cbranch_scc1 .LBB224_1296
; %bb.1294:
	s_cmp_gt_i32 s16, 27
	s_cbranch_scc0 .LBB224_1297
; %bb.1295:
	global_load_dword v3, v[10:11], off
	s_movk_i32 s6, 0x7fff
	s_waitcnt vmcnt(0)
	v_cvt_f32_u32_e32 v3, v3
	v_bfe_u32 v5, v3, 16, 1
	v_add3_u32 v3, v3, v5, s6
	v_lshrrev_b32_e32 v3, 16, v3
	s_mov_b64 s[6:7], 0
	s_branch .LBB224_1298
.LBB224_1296:
	s_mov_b64 s[6:7], -1
                                        ; implicit-def: $vgpr3
	s_branch .LBB224_1301
.LBB224_1297:
	s_mov_b64 s[6:7], -1
                                        ; implicit-def: $vgpr3
.LBB224_1298:
	s_andn2_b64 vcc, exec, s[6:7]
	s_cbranch_vccnz .LBB224_1300
; %bb.1299:
	global_load_ushort v3, v[10:11], off
	s_movk_i32 s6, 0x7fff
	s_waitcnt vmcnt(0)
	v_cvt_f32_u32_e32 v3, v3
	v_bfe_u32 v5, v3, 16, 1
	v_add3_u32 v3, v3, v5, s6
	v_lshrrev_b32_e32 v3, 16, v3
.LBB224_1300:
	s_mov_b64 s[6:7], 0
.LBB224_1301:
	s_andn2_b64 vcc, exec, s[6:7]
	s_cbranch_vccnz .LBB224_1309
; %bb.1302:
	global_load_ubyte v3, v[10:11], off
	s_movk_i32 s6, 0x7f
	s_waitcnt vmcnt(0)
	v_cmp_lt_i16_e32 vcc, s6, v3
	s_mov_b64 s[6:7], 0
	s_and_saveexec_b64 s[12:13], vcc
	s_xor_b64 s[12:13], exec, s[12:13]
	s_cbranch_execz .LBB224_1322
; %bb.1303:
	s_movk_i32 s6, 0x80
	v_cmp_eq_u16_e32 vcc, s6, v3
	s_mov_b64 s[6:7], -1
	s_and_saveexec_b64 s[14:15], vcc
; %bb.1304:
	s_xor_b64 s[6:7], exec, -1
; %bb.1305:
	s_or_b64 exec, exec, s[14:15]
	s_and_b64 s[6:7], s[6:7], exec
	s_or_saveexec_b64 s[12:13], s[12:13]
	v_mov_b32_e32 v5, 0x7f800001
	s_xor_b64 exec, exec, s[12:13]
	s_cbranch_execnz .LBB224_1323
.LBB224_1306:
	s_or_b64 exec, exec, s[12:13]
	s_and_saveexec_b64 s[12:13], s[6:7]
	s_cbranch_execz .LBB224_1308
.LBB224_1307:
	v_lshlrev_b32_e32 v5, 24, v3
	v_and_b32_e32 v3, 0xffff, v3
	v_and_b32_e32 v8, 7, v3
	v_ffbh_u32_e32 v13, v8
	v_min_u32_e32 v13, 32, v13
	v_subrev_u32_e32 v14, 28, v13
	v_bfe_u32 v12, v3, 3, 4
	v_lshlrev_b32_e32 v3, v14, v3
	v_sub_u32_e32 v13, 29, v13
	v_and_b32_e32 v3, 7, v3
	v_cmp_eq_u32_e32 vcc, 0, v12
	v_cndmask_b32_e32 v12, v12, v13, vcc
	v_cndmask_b32_e32 v3, v8, v3, vcc
	v_mov_b32_e32 v8, 0x3b800000
	v_lshlrev_b32_e32 v3, 20, v3
	v_and_b32_e32 v5, 0x80000000, v5
	v_lshl_add_u32 v8, v12, 23, v8
	v_or3_b32 v5, v5, v8, v3
.LBB224_1308:
	s_or_b64 exec, exec, s[12:13]
	v_bfe_u32 v3, v5, 16, 1
	s_movk_i32 s6, 0x7fff
	v_add3_u32 v3, v5, v3, s6
	v_cmp_o_f32_e32 vcc, v5, v5
	v_mov_b32_e32 v5, 0x7fc0
	v_cndmask_b32_sdwa v3, v5, v3, vcc dst_sel:DWORD dst_unused:UNUSED_PAD src0_sel:DWORD src1_sel:WORD_1
.LBB224_1309:
	s_mov_b64 s[6:7], -1
.LBB224_1310:
	s_branch .LBB224_1343
.LBB224_1311:
	s_cmp_gt_i32 s16, 22
	s_cbranch_scc0 .LBB224_1321
; %bb.1312:
	s_cmp_lt_i32 s16, 24
	s_cbranch_scc1 .LBB224_1324
; %bb.1313:
	s_cmp_gt_i32 s16, 24
	s_cbranch_scc0 .LBB224_1325
; %bb.1314:
	global_load_ubyte v3, v[10:11], off
	s_movk_i32 s2, 0x7f
	s_waitcnt vmcnt(0)
	v_cmp_lt_i16_e32 vcc, s2, v3
	s_mov_b64 s[2:3], 0
	s_and_saveexec_b64 s[6:7], vcc
	s_xor_b64 s[6:7], exec, s[6:7]
	s_cbranch_execz .LBB224_1337
; %bb.1315:
	s_movk_i32 s2, 0x80
	v_cmp_eq_u16_e32 vcc, s2, v3
	s_mov_b64 s[2:3], -1
	s_and_saveexec_b64 s[12:13], vcc
; %bb.1316:
	s_xor_b64 s[2:3], exec, -1
; %bb.1317:
	s_or_b64 exec, exec, s[12:13]
	s_and_b64 s[2:3], s[2:3], exec
	s_or_saveexec_b64 s[6:7], s[6:7]
	v_mov_b32_e32 v5, 0x7f800001
	s_xor_b64 exec, exec, s[6:7]
	s_cbranch_execnz .LBB224_1338
.LBB224_1318:
	s_or_b64 exec, exec, s[6:7]
	s_and_saveexec_b64 s[6:7], s[2:3]
	s_cbranch_execz .LBB224_1320
.LBB224_1319:
	v_lshlrev_b32_e32 v5, 24, v3
	v_and_b32_e32 v3, 0xffff, v3
	v_and_b32_e32 v8, 3, v3
	v_ffbh_u32_e32 v13, v8
	v_min_u32_e32 v13, 32, v13
	v_subrev_u32_e32 v14, 29, v13
	v_bfe_u32 v12, v3, 2, 5
	v_lshlrev_b32_e32 v3, v14, v3
	v_sub_u32_e32 v13, 30, v13
	v_and_b32_e32 v3, 3, v3
	v_cmp_eq_u32_e32 vcc, 0, v12
	v_cndmask_b32_e32 v12, v12, v13, vcc
	v_cndmask_b32_e32 v3, v8, v3, vcc
	v_mov_b32_e32 v8, 0x37800000
	v_lshlrev_b32_e32 v3, 21, v3
	v_and_b32_e32 v5, 0x80000000, v5
	v_lshl_add_u32 v8, v12, 23, v8
	v_or3_b32 v5, v5, v8, v3
.LBB224_1320:
	s_or_b64 exec, exec, s[6:7]
	v_bfe_u32 v3, v5, 16, 1
	s_movk_i32 s2, 0x7fff
	v_add3_u32 v3, v5, v3, s2
	v_cmp_o_f32_e32 vcc, v5, v5
	v_mov_b32_e32 v5, 0x7fc0
	v_cndmask_b32_sdwa v3, v5, v3, vcc dst_sel:DWORD dst_unused:UNUSED_PAD src0_sel:DWORD src1_sel:WORD_1
	s_mov_b64 s[2:3], 0
	s_branch .LBB224_1326
.LBB224_1321:
	s_mov_b64 s[2:3], -1
                                        ; implicit-def: $vgpr3
	s_branch .LBB224_1332
.LBB224_1322:
	s_or_saveexec_b64 s[12:13], s[12:13]
	v_mov_b32_e32 v5, 0x7f800001
	s_xor_b64 exec, exec, s[12:13]
	s_cbranch_execz .LBB224_1306
.LBB224_1323:
	v_cmp_ne_u16_e32 vcc, 0, v3
	s_andn2_b64 s[6:7], s[6:7], exec
	s_and_b64 s[14:15], vcc, exec
	v_mov_b32_e32 v5, 0
	s_or_b64 s[6:7], s[6:7], s[14:15]
	s_or_b64 exec, exec, s[12:13]
	s_and_saveexec_b64 s[12:13], s[6:7]
	s_cbranch_execnz .LBB224_1307
	s_branch .LBB224_1308
.LBB224_1324:
	s_mov_b64 s[2:3], -1
                                        ; implicit-def: $vgpr3
	s_branch .LBB224_1329
.LBB224_1325:
	s_mov_b64 s[2:3], -1
                                        ; implicit-def: $vgpr3
.LBB224_1326:
	s_and_b64 vcc, exec, s[2:3]
	s_cbranch_vccz .LBB224_1328
; %bb.1327:
	global_load_ubyte v3, v[10:11], off
	s_mov_b32 s2, 0x7f800000
	s_brev_b32 s3, 1
	s_movk_i32 s6, 0x7fff
	s_waitcnt vmcnt(0)
	v_lshlrev_b32_e32 v3, 24, v3
	v_and_b32_e32 v5, 0x7f000000, v3
	v_ffbh_u32_e32 v8, v5
	v_min_u32_e32 v8, 32, v8
	v_sub_u32_e64 v8, v8, 4 clamp
	v_lshlrev_b32_e32 v13, v8, v5
	v_lshlrev_b32_e32 v8, 23, v8
	v_lshrrev_b32_e32 v13, 4, v13
	v_add_u32_e32 v12, 0x1000000, v5
	v_sub_u32_e32 v8, v13, v8
	v_ashrrev_i32_e32 v12, 8, v12
	v_add_u32_e32 v8, 0x3c000000, v8
	v_and_or_b32 v8, v12, s2, v8
	v_cmp_ne_u32_e32 vcc, 0, v5
	v_cndmask_b32_e32 v5, 0, v8, vcc
	v_and_or_b32 v3, v3, s3, v5
	v_bfe_u32 v5, v5, 16, 1
	v_add3_u32 v5, v3, v5, s6
	v_cmp_o_f32_e32 vcc, v3, v3
	v_mov_b32_e32 v3, 0x7fc0
	v_cndmask_b32_sdwa v3, v3, v5, vcc dst_sel:DWORD dst_unused:UNUSED_PAD src0_sel:DWORD src1_sel:WORD_1
.LBB224_1328:
	s_mov_b64 s[2:3], 0
.LBB224_1329:
	s_andn2_b64 vcc, exec, s[2:3]
	s_cbranch_vccnz .LBB224_1331
; %bb.1330:
	global_load_ubyte v3, v[10:11], off
	s_movk_i32 s2, 0x7f00
	s_brev_b32 s3, 16
	s_brev_b32 s6, 1
	s_movk_i32 s7, 0x7fff
	s_waitcnt vmcnt(0)
	v_lshlrev_b16_e32 v5, 8, v3
	v_lshlrev_b32_e32 v3, 25, v3
	v_lshrrev_b32_e32 v8, 4, v3
	v_and_or_b32 v12, v5, s2, 0.5
	v_or_b32_e32 v8, 0x70000000, v8
	v_add_f32_e32 v12, -0.5, v12
	v_mul_f32_e32 v8, 0x7800000, v8
	v_cmp_gt_u32_e32 vcc, s3, v3
	v_bfe_i32 v5, v5, 0, 16
	v_cndmask_b32_e32 v3, v8, v12, vcc
	v_and_or_b32 v5, v5, s6, v3
	v_bfe_u32 v3, v3, 16, 1
	v_add3_u32 v3, v5, v3, s7
	v_cmp_o_f32_e32 vcc, v5, v5
	v_mov_b32_e32 v5, 0x7fc0
	v_cndmask_b32_sdwa v3, v5, v3, vcc dst_sel:DWORD dst_unused:UNUSED_PAD src0_sel:DWORD src1_sel:WORD_1
.LBB224_1331:
	s_mov_b64 s[2:3], 0
	s_mov_b64 s[6:7], -1
.LBB224_1332:
	s_andn2_b64 vcc, exec, s[2:3]
	s_mov_b64 s[2:3], 0
	s_cbranch_vccnz .LBB224_1343
; %bb.1333:
	s_cmp_gt_i32 s16, 14
	s_cbranch_scc0 .LBB224_1336
; %bb.1334:
	s_cmp_eq_u32 s16, 15
	s_cbranch_scc0 .LBB224_1339
; %bb.1335:
	global_load_ushort v3, v[10:11], off
	s_mov_b64 s[0:1], 0
	s_mov_b64 s[6:7], -1
	s_branch .LBB224_1340
.LBB224_1336:
	s_mov_b64 s[12:13], -1
                                        ; implicit-def: $vgpr3
	s_branch .LBB224_1341
.LBB224_1337:
	s_or_saveexec_b64 s[6:7], s[6:7]
	v_mov_b32_e32 v5, 0x7f800001
	s_xor_b64 exec, exec, s[6:7]
	s_cbranch_execz .LBB224_1318
.LBB224_1338:
	v_cmp_ne_u16_e32 vcc, 0, v3
	s_andn2_b64 s[2:3], s[2:3], exec
	s_and_b64 s[12:13], vcc, exec
	v_mov_b32_e32 v5, 0
	s_or_b64 s[2:3], s[2:3], s[12:13]
	s_or_b64 exec, exec, s[6:7]
	s_and_saveexec_b64 s[6:7], s[2:3]
	s_cbranch_execnz .LBB224_1319
	s_branch .LBB224_1320
.LBB224_1339:
	s_mov_b64 s[0:1], -1
                                        ; implicit-def: $vgpr3
.LBB224_1340:
	s_mov_b64 s[12:13], 0
.LBB224_1341:
	s_and_b64 vcc, exec, s[12:13]
	s_cbranch_vccz .LBB224_1343
; %bb.1342:
	s_cmp_lg_u32 s16, 11
	s_mov_b64 s[2:3], -1
	s_cselect_b64 s[0:1], -1, 0
.LBB224_1343:
	s_and_b64 vcc, exec, s[0:1]
	s_cbranch_vccnz .LBB224_1406
; %bb.1344:
	s_andn2_b64 vcc, exec, s[2:3]
	s_cbranch_vccnz .LBB224_1346
.LBB224_1345:
	global_load_ubyte v3, v[10:11], off
	s_mov_b64 s[6:7], -1
	s_waitcnt vmcnt(0)
	v_cmp_ne_u16_e32 vcc, 0, v3
	v_cndmask_b32_e64 v3, 0, 1.0, vcc
	v_lshrrev_b32_e32 v3, 16, v3
.LBB224_1346:
	s_branch .LBB224_1394
.LBB224_1347:
	s_cmp_lt_i32 s16, 5
	s_cbranch_scc1 .LBB224_1352
; %bb.1348:
	s_cmp_lt_i32 s16, 8
	s_cbranch_scc1 .LBB224_1353
; %bb.1349:
	;; [unrolled: 3-line block ×3, first 2 shown]
	s_cmp_gt_i32 s16, 9
	s_cbranch_scc0 .LBB224_1355
; %bb.1351:
	global_load_dwordx2 v[12:13], v[10:11], off
	s_movk_i32 s0, 0x7fff
	v_mov_b32_e32 v5, 0x7fc0
	s_waitcnt vmcnt(0)
	v_cvt_f32_f64_e32 v3, v[12:13]
	v_bfe_u32 v8, v3, 16, 1
	v_cmp_o_f32_e32 vcc, v3, v3
	v_add3_u32 v3, v3, v8, s0
	v_cndmask_b32_sdwa v3, v5, v3, vcc dst_sel:DWORD dst_unused:UNUSED_PAD src0_sel:DWORD src1_sel:WORD_1
	s_mov_b64 s[0:1], 0
	s_branch .LBB224_1356
.LBB224_1352:
                                        ; implicit-def: $vgpr3
	s_branch .LBB224_1374
.LBB224_1353:
	s_mov_b64 s[0:1], -1
                                        ; implicit-def: $vgpr3
	s_branch .LBB224_1362
.LBB224_1354:
	s_mov_b64 s[0:1], -1
                                        ; implicit-def: $vgpr3
	s_branch .LBB224_1359
.LBB224_1355:
	s_mov_b64 s[0:1], -1
                                        ; implicit-def: $vgpr3
.LBB224_1356:
	s_andn2_b64 vcc, exec, s[0:1]
	s_cbranch_vccnz .LBB224_1358
; %bb.1357:
	global_load_dword v3, v[10:11], off
	s_movk_i32 s0, 0x7fff
	v_mov_b32_e32 v5, 0x7fc0
	s_waitcnt vmcnt(0)
	v_bfe_u32 v8, v3, 16, 1
	v_cmp_o_f32_e32 vcc, v3, v3
	v_add3_u32 v3, v3, v8, s0
	v_cndmask_b32_sdwa v3, v5, v3, vcc dst_sel:DWORD dst_unused:UNUSED_PAD src0_sel:DWORD src1_sel:WORD_1
.LBB224_1358:
	s_mov_b64 s[0:1], 0
.LBB224_1359:
	s_andn2_b64 vcc, exec, s[0:1]
	s_cbranch_vccnz .LBB224_1361
; %bb.1360:
	global_load_dword v3, v[10:11], off
	s_movk_i32 s0, 0x7fff
	v_mov_b32_e32 v8, 0x7fc0
	s_waitcnt vmcnt(0)
	v_cvt_f32_f16_e32 v5, v3
	v_cmp_o_f16_e32 vcc, v3, v3
	v_bfe_u32 v3, v5, 16, 1
	v_add3_u32 v3, v5, v3, s0
	v_cndmask_b32_sdwa v3, v8, v3, vcc dst_sel:DWORD dst_unused:UNUSED_PAD src0_sel:DWORD src1_sel:WORD_1
.LBB224_1361:
	s_mov_b64 s[0:1], 0
.LBB224_1362:
	s_andn2_b64 vcc, exec, s[0:1]
	s_cbranch_vccnz .LBB224_1373
; %bb.1363:
	s_cmp_lt_i32 s16, 6
	s_cbranch_scc1 .LBB224_1366
; %bb.1364:
	s_cmp_gt_i32 s16, 6
	s_cbranch_scc0 .LBB224_1367
; %bb.1365:
	global_load_dwordx2 v[12:13], v[10:11], off
	s_movk_i32 s0, 0x7fff
	v_mov_b32_e32 v5, 0x7fc0
	s_waitcnt vmcnt(0)
	v_cvt_f32_f64_e32 v3, v[12:13]
	v_bfe_u32 v8, v3, 16, 1
	v_cmp_o_f32_e32 vcc, v3, v3
	v_add3_u32 v3, v3, v8, s0
	v_cndmask_b32_sdwa v3, v5, v3, vcc dst_sel:DWORD dst_unused:UNUSED_PAD src0_sel:DWORD src1_sel:WORD_1
	s_mov_b64 s[0:1], 0
	s_branch .LBB224_1368
.LBB224_1366:
	s_mov_b64 s[0:1], -1
                                        ; implicit-def: $vgpr3
	s_branch .LBB224_1371
.LBB224_1367:
	s_mov_b64 s[0:1], -1
                                        ; implicit-def: $vgpr3
.LBB224_1368:
	s_andn2_b64 vcc, exec, s[0:1]
	s_cbranch_vccnz .LBB224_1370
; %bb.1369:
	global_load_dword v3, v[10:11], off
	s_movk_i32 s0, 0x7fff
	v_mov_b32_e32 v5, 0x7fc0
	s_waitcnt vmcnt(0)
	v_bfe_u32 v8, v3, 16, 1
	v_cmp_o_f32_e32 vcc, v3, v3
	v_add3_u32 v3, v3, v8, s0
	v_cndmask_b32_sdwa v3, v5, v3, vcc dst_sel:DWORD dst_unused:UNUSED_PAD src0_sel:DWORD src1_sel:WORD_1
.LBB224_1370:
	s_mov_b64 s[0:1], 0
.LBB224_1371:
	s_andn2_b64 vcc, exec, s[0:1]
	s_cbranch_vccnz .LBB224_1373
; %bb.1372:
	global_load_ushort v3, v[10:11], off
	s_movk_i32 s0, 0x7fff
	v_mov_b32_e32 v8, 0x7fc0
	s_waitcnt vmcnt(0)
	v_cvt_f32_f16_e32 v5, v3
	v_cmp_o_f16_e32 vcc, v3, v3
	v_bfe_u32 v3, v5, 16, 1
	v_add3_u32 v3, v5, v3, s0
	v_cndmask_b32_sdwa v3, v8, v3, vcc dst_sel:DWORD dst_unused:UNUSED_PAD src0_sel:DWORD src1_sel:WORD_1
.LBB224_1373:
	s_cbranch_execnz .LBB224_1393
.LBB224_1374:
	s_cmp_lt_i32 s16, 2
	s_cbranch_scc1 .LBB224_1378
; %bb.1375:
	s_cmp_lt_i32 s16, 3
	s_cbranch_scc1 .LBB224_1379
; %bb.1376:
	s_cmp_gt_i32 s16, 3
	s_cbranch_scc0 .LBB224_1380
; %bb.1377:
	global_load_dwordx2 v[12:13], v[10:11], off
	s_movk_i32 s0, 0x7fff
	s_waitcnt vmcnt(0)
	v_xor_b32_e32 v5, v12, v13
	v_ffbh_i32_e32 v3, v13
	v_ashrrev_i32_e32 v5, 31, v5
	v_add_u32_e32 v3, -1, v3
	v_add_u32_e32 v5, 32, v5
	v_min_u32_e32 v3, v3, v5
	v_lshlrev_b64 v[12:13], v3, v[12:13]
	v_sub_u32_e32 v3, 32, v3
	v_min_u32_e32 v5, 1, v12
	v_or_b32_e32 v5, v13, v5
	v_cvt_f32_i32_e32 v5, v5
	v_ldexp_f32 v3, v5, v3
	v_bfe_u32 v5, v3, 16, 1
	v_add3_u32 v3, v3, v5, s0
	v_lshrrev_b32_e32 v3, 16, v3
	s_mov_b64 s[0:1], 0
	s_branch .LBB224_1381
.LBB224_1378:
	s_mov_b64 s[0:1], -1
                                        ; implicit-def: $vgpr3
	s_branch .LBB224_1387
.LBB224_1379:
	s_mov_b64 s[0:1], -1
                                        ; implicit-def: $vgpr3
	s_branch .LBB224_1384
.LBB224_1380:
	s_mov_b64 s[0:1], -1
                                        ; implicit-def: $vgpr3
.LBB224_1381:
	s_andn2_b64 vcc, exec, s[0:1]
	s_cbranch_vccnz .LBB224_1383
; %bb.1382:
	global_load_dword v3, v[10:11], off
	s_movk_i32 s0, 0x7fff
	s_waitcnt vmcnt(0)
	v_cvt_f32_i32_e32 v3, v3
	v_bfe_u32 v5, v3, 16, 1
	v_add3_u32 v3, v3, v5, s0
	v_lshrrev_b32_e32 v3, 16, v3
.LBB224_1383:
	s_mov_b64 s[0:1], 0
.LBB224_1384:
	s_andn2_b64 vcc, exec, s[0:1]
	s_cbranch_vccnz .LBB224_1386
; %bb.1385:
	global_load_sshort v3, v[10:11], off
	s_movk_i32 s0, 0x7fff
	s_waitcnt vmcnt(0)
	v_cvt_f32_i32_e32 v3, v3
	v_bfe_u32 v5, v3, 16, 1
	v_add3_u32 v3, v3, v5, s0
	v_lshrrev_b32_e32 v3, 16, v3
.LBB224_1386:
	s_mov_b64 s[0:1], 0
.LBB224_1387:
	s_andn2_b64 vcc, exec, s[0:1]
	s_cbranch_vccnz .LBB224_1393
; %bb.1388:
	s_cmp_gt_i32 s16, 0
	s_cbranch_scc0 .LBB224_1390
; %bb.1389:
	global_load_sbyte v3, v[10:11], off
	s_movk_i32 s0, 0x7fff
	s_waitcnt vmcnt(0)
	v_cvt_f32_i32_e32 v3, v3
	v_bfe_u32 v5, v3, 16, 1
	v_add3_u32 v3, v3, v5, s0
	v_lshrrev_b32_e32 v3, 16, v3
	s_mov_b64 s[0:1], 0
	s_branch .LBB224_1391
.LBB224_1390:
	s_mov_b64 s[0:1], -1
                                        ; implicit-def: $vgpr3
.LBB224_1391:
	s_andn2_b64 vcc, exec, s[0:1]
	s_cbranch_vccnz .LBB224_1393
; %bb.1392:
	global_load_ubyte v3, v[10:11], off
	s_movk_i32 s0, 0x7fff
	s_waitcnt vmcnt(0)
	v_cvt_f32_ubyte0_e32 v3, v3
	v_bfe_u32 v5, v3, 16, 1
	v_add3_u32 v3, v3, v5, s0
	v_lshrrev_b32_e32 v3, 16, v3
.LBB224_1393:
	s_mov_b64 s[6:7], -1
.LBB224_1394:
	s_andn2_b64 vcc, exec, s[6:7]
	v_readfirstlane_b32 s12, v0
	s_cbranch_vccnz .LBB224_2087
; %bb.1395:
	v_mov_b32_e32 v5, s11
	v_add_co_u32_e32 v8, vcc, s10, v9
	s_cmp_lt_i32 s16, 11
	v_addc_co_u32_e32 v9, vcc, 0, v5, vcc
	s_cbranch_scc1 .LBB224_1402
; %bb.1396:
	s_cmp_gt_i32 s16, 25
	s_mov_b64 s[2:3], 0
	s_cbranch_scc0 .LBB224_1403
; %bb.1397:
	s_cmp_gt_i32 s16, 28
	s_cbranch_scc0 .LBB224_1404
; %bb.1398:
	s_cmp_gt_i32 s16, 43
	;; [unrolled: 3-line block ×3, first 2 shown]
	s_cbranch_scc0 .LBB224_1407
; %bb.1400:
	s_cmp_eq_u32 s16, 46
	s_mov_b64 s[12:13], 0
	s_cbranch_scc0 .LBB224_1408
; %bb.1401:
	global_load_dword v10, v[8:9], off
	s_mov_b64 s[0:1], 0
	s_mov_b64 s[6:7], -1
	s_branch .LBB224_1409
.LBB224_1402:
	s_mov_b64 s[6:7], 0
                                        ; implicit-def: $vgpr10
	s_cbranch_execnz .LBB224_1475
	s_branch .LBB224_1523
.LBB224_1403:
	s_mov_b64 s[12:13], -1
	s_mov_b64 s[6:7], 0
	s_mov_b64 s[0:1], 0
                                        ; implicit-def: $vgpr10
	s_branch .LBB224_1438
.LBB224_1404:
	s_mov_b64 s[12:13], -1
	s_mov_b64 s[6:7], 0
	s_mov_b64 s[0:1], 0
                                        ; implicit-def: $vgpr10
	s_branch .LBB224_1419
.LBB224_1405:
	s_mov_b64 s[12:13], -1
	s_mov_b64 s[6:7], 0
	s_mov_b64 s[0:1], 0
                                        ; implicit-def: $vgpr10
	s_branch .LBB224_1414
.LBB224_1406:
	s_trap 2
	s_or_b64 s[4:5], s[4:5], exec
	s_cbranch_execz .LBB224_1345
	s_branch .LBB224_1346
.LBB224_1407:
	s_mov_b64 s[12:13], -1
	s_mov_b64 s[6:7], 0
	s_mov_b64 s[0:1], 0
                                        ; implicit-def: $vgpr10
	s_branch .LBB224_1409
.LBB224_1408:
	s_mov_b64 s[0:1], -1
                                        ; implicit-def: $vgpr10
	s_mov_b64 s[6:7], 0
.LBB224_1409:
	s_and_b64 vcc, exec, s[12:13]
	s_cbranch_vccz .LBB224_1413
; %bb.1410:
	s_cmp_eq_u32 s16, 44
	s_cbranch_scc0 .LBB224_1412
; %bb.1411:
	global_load_ubyte v5, v[8:9], off
	s_movk_i32 s6, 0xff
	s_waitcnt vmcnt(1)
	v_mov_b32_e32 v10, 0x7f800001
	v_mov_b32_e32 v11, 0x400000
	v_mov_b32_e32 v12, 0x7fc0
	s_mov_b64 s[0:1], 0
	s_waitcnt vmcnt(0)
	v_lshlrev_b32_e32 v13, 23, v5
	v_cmp_ne_u32_e32 vcc, s6, v5
	v_cndmask_b32_e32 v10, v10, v13, vcc
	v_cmp_ne_u32_e32 vcc, 0, v5
	v_cndmask_b32_e32 v5, v11, v10, vcc
	v_add_u32_e32 v10, 0x7fff, v5
	v_cmp_o_f32_e32 vcc, v5, v5
	v_cndmask_b32_sdwa v10, v12, v10, vcc dst_sel:DWORD dst_unused:UNUSED_PAD src0_sel:DWORD src1_sel:WORD_1
	s_mov_b64 s[6:7], -1
	s_branch .LBB224_1413
.LBB224_1412:
	s_mov_b64 s[0:1], -1
                                        ; implicit-def: $vgpr10
.LBB224_1413:
	s_mov_b64 s[12:13], 0
.LBB224_1414:
	s_and_b64 vcc, exec, s[12:13]
	s_cbranch_vccz .LBB224_1418
; %bb.1415:
	s_cmp_eq_u32 s16, 29
	s_cbranch_scc0 .LBB224_1417
; %bb.1416:
	global_load_dwordx2 v[10:11], v[8:9], off
	s_movk_i32 s6, 0x7fff
	s_mov_b64 s[0:1], 0
	s_mov_b64 s[12:13], 0
	s_waitcnt vmcnt(0)
	v_ffbh_u32_e32 v5, v11
	v_min_u32_e32 v5, 32, v5
	v_lshlrev_b64 v[10:11], v5, v[10:11]
	v_sub_u32_e32 v5, 32, v5
	v_min_u32_e32 v10, 1, v10
	v_or_b32_e32 v10, v11, v10
	v_cvt_f32_u32_e32 v10, v10
	v_ldexp_f32 v5, v10, v5
	v_bfe_u32 v10, v5, 16, 1
	v_add3_u32 v5, v5, v10, s6
	v_lshrrev_b32_e32 v10, 16, v5
	s_mov_b64 s[6:7], -1
	s_branch .LBB224_1419
.LBB224_1417:
	s_mov_b64 s[0:1], -1
                                        ; implicit-def: $vgpr10
.LBB224_1418:
	s_mov_b64 s[12:13], 0
.LBB224_1419:
	s_and_b64 vcc, exec, s[12:13]
	s_cbranch_vccz .LBB224_1437
; %bb.1420:
	s_cmp_lt_i32 s16, 27
	s_cbranch_scc1 .LBB224_1423
; %bb.1421:
	s_cmp_gt_i32 s16, 27
	s_cbranch_scc0 .LBB224_1424
; %bb.1422:
	global_load_dword v5, v[8:9], off
	s_movk_i32 s6, 0x7fff
	s_waitcnt vmcnt(0)
	v_cvt_f32_u32_e32 v5, v5
	v_bfe_u32 v10, v5, 16, 1
	v_add3_u32 v5, v5, v10, s6
	v_lshrrev_b32_e32 v10, 16, v5
	s_mov_b64 s[6:7], 0
	s_branch .LBB224_1425
.LBB224_1423:
	s_mov_b64 s[6:7], -1
                                        ; implicit-def: $vgpr10
	s_branch .LBB224_1428
.LBB224_1424:
	s_mov_b64 s[6:7], -1
                                        ; implicit-def: $vgpr10
.LBB224_1425:
	s_andn2_b64 vcc, exec, s[6:7]
	s_cbranch_vccnz .LBB224_1427
; %bb.1426:
	global_load_ushort v5, v[8:9], off
	s_movk_i32 s6, 0x7fff
	s_waitcnt vmcnt(0)
	v_cvt_f32_u32_e32 v5, v5
	v_bfe_u32 v10, v5, 16, 1
	v_add3_u32 v5, v5, v10, s6
	v_lshrrev_b32_e32 v10, 16, v5
.LBB224_1427:
	s_mov_b64 s[6:7], 0
.LBB224_1428:
	s_andn2_b64 vcc, exec, s[6:7]
	s_cbranch_vccnz .LBB224_1436
; %bb.1429:
	global_load_ubyte v5, v[8:9], off
	s_movk_i32 s6, 0x7f
	s_waitcnt vmcnt(0)
	v_cmp_lt_i16_e32 vcc, s6, v5
	s_mov_b64 s[6:7], 0
	s_and_saveexec_b64 s[12:13], vcc
	s_xor_b64 s[12:13], exec, s[12:13]
	s_cbranch_execz .LBB224_1450
; %bb.1430:
	s_movk_i32 s6, 0x80
	v_cmp_eq_u16_e32 vcc, s6, v5
	s_mov_b64 s[6:7], -1
	s_and_saveexec_b64 s[14:15], vcc
; %bb.1431:
	s_xor_b64 s[6:7], exec, -1
; %bb.1432:
	s_or_b64 exec, exec, s[14:15]
	s_and_b64 s[6:7], s[6:7], exec
	s_or_saveexec_b64 s[12:13], s[12:13]
	v_mov_b32_e32 v10, 0x7f800001
	s_xor_b64 exec, exec, s[12:13]
	s_cbranch_execnz .LBB224_1451
.LBB224_1433:
	s_or_b64 exec, exec, s[12:13]
	s_and_saveexec_b64 s[12:13], s[6:7]
	s_cbranch_execz .LBB224_1435
.LBB224_1434:
	v_lshlrev_b32_e32 v10, 24, v5
	v_and_b32_e32 v5, 0xffff, v5
	v_and_b32_e32 v11, 7, v5
	v_ffbh_u32_e32 v13, v11
	v_min_u32_e32 v13, 32, v13
	v_subrev_u32_e32 v14, 28, v13
	v_bfe_u32 v12, v5, 3, 4
	v_lshlrev_b32_e32 v5, v14, v5
	v_sub_u32_e32 v13, 29, v13
	v_and_b32_e32 v5, 7, v5
	v_cmp_eq_u32_e32 vcc, 0, v12
	v_cndmask_b32_e32 v12, v12, v13, vcc
	v_cndmask_b32_e32 v5, v11, v5, vcc
	v_mov_b32_e32 v11, 0x3b800000
	v_lshlrev_b32_e32 v5, 20, v5
	v_and_b32_e32 v10, 0x80000000, v10
	v_lshl_add_u32 v11, v12, 23, v11
	v_or3_b32 v10, v10, v11, v5
.LBB224_1435:
	s_or_b64 exec, exec, s[12:13]
	v_bfe_u32 v5, v10, 16, 1
	s_movk_i32 s6, 0x7fff
	v_add3_u32 v5, v10, v5, s6
	v_cmp_o_f32_e32 vcc, v10, v10
	v_mov_b32_e32 v10, 0x7fc0
	v_cndmask_b32_sdwa v10, v10, v5, vcc dst_sel:DWORD dst_unused:UNUSED_PAD src0_sel:DWORD src1_sel:WORD_1
.LBB224_1436:
	s_mov_b64 s[6:7], -1
.LBB224_1437:
	s_mov_b64 s[12:13], 0
.LBB224_1438:
	s_and_b64 vcc, exec, s[12:13]
	s_cbranch_vccz .LBB224_1471
; %bb.1439:
	s_cmp_gt_i32 s16, 22
	s_cbranch_scc0 .LBB224_1449
; %bb.1440:
	s_cmp_lt_i32 s16, 24
	s_cbranch_scc1 .LBB224_1452
; %bb.1441:
	s_cmp_gt_i32 s16, 24
	s_cbranch_scc0 .LBB224_1453
; %bb.1442:
	global_load_ubyte v5, v[8:9], off
	s_movk_i32 s2, 0x7f
	s_waitcnt vmcnt(0)
	v_cmp_lt_i16_e32 vcc, s2, v5
	s_mov_b64 s[2:3], 0
	s_and_saveexec_b64 s[6:7], vcc
	s_xor_b64 s[6:7], exec, s[6:7]
	s_cbranch_execz .LBB224_1465
; %bb.1443:
	s_movk_i32 s2, 0x80
	v_cmp_eq_u16_e32 vcc, s2, v5
	s_mov_b64 s[2:3], -1
	s_and_saveexec_b64 s[12:13], vcc
; %bb.1444:
	s_xor_b64 s[2:3], exec, -1
; %bb.1445:
	s_or_b64 exec, exec, s[12:13]
	s_and_b64 s[2:3], s[2:3], exec
	s_or_saveexec_b64 s[6:7], s[6:7]
	v_mov_b32_e32 v10, 0x7f800001
	s_xor_b64 exec, exec, s[6:7]
	s_cbranch_execnz .LBB224_1466
.LBB224_1446:
	s_or_b64 exec, exec, s[6:7]
	s_and_saveexec_b64 s[6:7], s[2:3]
	s_cbranch_execz .LBB224_1448
.LBB224_1447:
	v_lshlrev_b32_e32 v10, 24, v5
	v_and_b32_e32 v5, 0xffff, v5
	v_and_b32_e32 v11, 3, v5
	v_ffbh_u32_e32 v13, v11
	v_min_u32_e32 v13, 32, v13
	v_subrev_u32_e32 v14, 29, v13
	v_bfe_u32 v12, v5, 2, 5
	v_lshlrev_b32_e32 v5, v14, v5
	v_sub_u32_e32 v13, 30, v13
	v_and_b32_e32 v5, 3, v5
	v_cmp_eq_u32_e32 vcc, 0, v12
	v_cndmask_b32_e32 v12, v12, v13, vcc
	v_cndmask_b32_e32 v5, v11, v5, vcc
	v_mov_b32_e32 v11, 0x37800000
	v_lshlrev_b32_e32 v5, 21, v5
	v_and_b32_e32 v10, 0x80000000, v10
	v_lshl_add_u32 v11, v12, 23, v11
	v_or3_b32 v10, v10, v11, v5
.LBB224_1448:
	s_or_b64 exec, exec, s[6:7]
	v_bfe_u32 v5, v10, 16, 1
	s_movk_i32 s2, 0x7fff
	v_add3_u32 v5, v10, v5, s2
	v_cmp_o_f32_e32 vcc, v10, v10
	v_mov_b32_e32 v10, 0x7fc0
	v_cndmask_b32_sdwa v10, v10, v5, vcc dst_sel:DWORD dst_unused:UNUSED_PAD src0_sel:DWORD src1_sel:WORD_1
	s_mov_b64 s[2:3], 0
	s_branch .LBB224_1454
.LBB224_1449:
	s_mov_b64 s[2:3], -1
                                        ; implicit-def: $vgpr10
	s_branch .LBB224_1460
.LBB224_1450:
	s_or_saveexec_b64 s[12:13], s[12:13]
	v_mov_b32_e32 v10, 0x7f800001
	s_xor_b64 exec, exec, s[12:13]
	s_cbranch_execz .LBB224_1433
.LBB224_1451:
	v_cmp_ne_u16_e32 vcc, 0, v5
	s_andn2_b64 s[6:7], s[6:7], exec
	s_and_b64 s[14:15], vcc, exec
	v_mov_b32_e32 v10, 0
	s_or_b64 s[6:7], s[6:7], s[14:15]
	s_or_b64 exec, exec, s[12:13]
	s_and_saveexec_b64 s[12:13], s[6:7]
	s_cbranch_execnz .LBB224_1434
	s_branch .LBB224_1435
.LBB224_1452:
	s_mov_b64 s[2:3], -1
                                        ; implicit-def: $vgpr10
	s_branch .LBB224_1457
.LBB224_1453:
	s_mov_b64 s[2:3], -1
                                        ; implicit-def: $vgpr10
.LBB224_1454:
	s_and_b64 vcc, exec, s[2:3]
	s_cbranch_vccz .LBB224_1456
; %bb.1455:
	global_load_ubyte v5, v[8:9], off
	s_mov_b32 s2, 0x7f800000
	s_brev_b32 s3, 1
	s_movk_i32 s6, 0x7fff
	s_waitcnt vmcnt(0)
	v_lshlrev_b32_e32 v5, 24, v5
	v_and_b32_e32 v10, 0x7f000000, v5
	v_ffbh_u32_e32 v11, v10
	v_min_u32_e32 v11, 32, v11
	v_sub_u32_e64 v11, v11, 4 clamp
	v_lshlrev_b32_e32 v13, v11, v10
	v_lshlrev_b32_e32 v11, 23, v11
	v_lshrrev_b32_e32 v13, 4, v13
	v_add_u32_e32 v12, 0x1000000, v10
	v_sub_u32_e32 v11, v13, v11
	v_ashrrev_i32_e32 v12, 8, v12
	v_add_u32_e32 v11, 0x3c000000, v11
	v_and_or_b32 v11, v12, s2, v11
	v_cmp_ne_u32_e32 vcc, 0, v10
	v_cndmask_b32_e32 v10, 0, v11, vcc
	v_and_or_b32 v5, v5, s3, v10
	v_bfe_u32 v10, v10, 16, 1
	v_add3_u32 v10, v5, v10, s6
	v_cmp_o_f32_e32 vcc, v5, v5
	v_mov_b32_e32 v5, 0x7fc0
	v_cndmask_b32_sdwa v10, v5, v10, vcc dst_sel:DWORD dst_unused:UNUSED_PAD src0_sel:DWORD src1_sel:WORD_1
.LBB224_1456:
	s_mov_b64 s[2:3], 0
.LBB224_1457:
	s_andn2_b64 vcc, exec, s[2:3]
	s_cbranch_vccnz .LBB224_1459
; %bb.1458:
	global_load_ubyte v5, v[8:9], off
	s_movk_i32 s2, 0x7f00
	s_brev_b32 s3, 16
	s_brev_b32 s6, 1
	s_movk_i32 s7, 0x7fff
	s_waitcnt vmcnt(0)
	v_lshlrev_b16_e32 v10, 8, v5
	v_lshlrev_b32_e32 v5, 25, v5
	v_lshrrev_b32_e32 v11, 4, v5
	v_and_or_b32 v12, v10, s2, 0.5
	v_or_b32_e32 v11, 0x70000000, v11
	v_add_f32_e32 v12, -0.5, v12
	v_mul_f32_e32 v11, 0x7800000, v11
	v_cmp_gt_u32_e32 vcc, s3, v5
	v_bfe_i32 v10, v10, 0, 16
	v_cndmask_b32_e32 v5, v11, v12, vcc
	v_and_or_b32 v10, v10, s6, v5
	v_bfe_u32 v5, v5, 16, 1
	v_add3_u32 v5, v10, v5, s7
	v_cmp_o_f32_e32 vcc, v10, v10
	v_mov_b32_e32 v10, 0x7fc0
	v_cndmask_b32_sdwa v10, v10, v5, vcc dst_sel:DWORD dst_unused:UNUSED_PAD src0_sel:DWORD src1_sel:WORD_1
.LBB224_1459:
	s_mov_b64 s[2:3], 0
	s_mov_b64 s[6:7], -1
.LBB224_1460:
	s_andn2_b64 vcc, exec, s[2:3]
	s_mov_b64 s[2:3], 0
	s_cbranch_vccnz .LBB224_1471
; %bb.1461:
	s_cmp_gt_i32 s16, 14
	s_cbranch_scc0 .LBB224_1464
; %bb.1462:
	s_cmp_eq_u32 s16, 15
	s_cbranch_scc0 .LBB224_1467
; %bb.1463:
	global_load_ushort v10, v[8:9], off
	s_mov_b64 s[0:1], 0
	s_mov_b64 s[6:7], -1
	s_branch .LBB224_1468
.LBB224_1464:
	s_mov_b64 s[12:13], -1
                                        ; implicit-def: $vgpr10
	s_branch .LBB224_1469
.LBB224_1465:
	s_or_saveexec_b64 s[6:7], s[6:7]
	v_mov_b32_e32 v10, 0x7f800001
	s_xor_b64 exec, exec, s[6:7]
	s_cbranch_execz .LBB224_1446
.LBB224_1466:
	v_cmp_ne_u16_e32 vcc, 0, v5
	s_andn2_b64 s[2:3], s[2:3], exec
	s_and_b64 s[12:13], vcc, exec
	v_mov_b32_e32 v10, 0
	s_or_b64 s[2:3], s[2:3], s[12:13]
	s_or_b64 exec, exec, s[6:7]
	s_and_saveexec_b64 s[6:7], s[2:3]
	s_cbranch_execnz .LBB224_1447
	s_branch .LBB224_1448
.LBB224_1467:
	s_mov_b64 s[0:1], -1
                                        ; implicit-def: $vgpr10
.LBB224_1468:
	s_mov_b64 s[12:13], 0
.LBB224_1469:
	s_and_b64 vcc, exec, s[12:13]
	s_cbranch_vccz .LBB224_1471
; %bb.1470:
	s_cmp_lg_u32 s16, 11
	s_mov_b64 s[2:3], -1
	s_cselect_b64 s[0:1], -1, 0
.LBB224_1471:
	s_and_b64 vcc, exec, s[0:1]
	s_cbranch_vccnz .LBB224_1535
; %bb.1472:
	s_andn2_b64 vcc, exec, s[2:3]
	s_cbranch_vccnz .LBB224_1474
.LBB224_1473:
	global_load_ubyte v5, v[8:9], off
	s_mov_b64 s[6:7], -1
	s_waitcnt vmcnt(0)
	v_cmp_ne_u16_e32 vcc, 0, v5
	v_cndmask_b32_e64 v5, 0, 1.0, vcc
	v_lshrrev_b32_e32 v10, 16, v5
.LBB224_1474:
	s_branch .LBB224_1523
.LBB224_1475:
	s_cmp_lt_i32 s16, 5
	s_cbranch_scc1 .LBB224_1480
; %bb.1476:
	s_cmp_lt_i32 s16, 8
	s_cbranch_scc1 .LBB224_1481
; %bb.1477:
	;; [unrolled: 3-line block ×3, first 2 shown]
	s_cmp_gt_i32 s16, 9
	s_cbranch_scc0 .LBB224_1483
; %bb.1479:
	global_load_dwordx2 v[10:11], v[8:9], off
	s_movk_i32 s0, 0x7fff
	s_waitcnt vmcnt(0)
	v_cvt_f32_f64_e32 v5, v[10:11]
	v_mov_b32_e32 v10, 0x7fc0
	v_bfe_u32 v11, v5, 16, 1
	v_cmp_o_f32_e32 vcc, v5, v5
	v_add3_u32 v5, v5, v11, s0
	v_cndmask_b32_sdwa v10, v10, v5, vcc dst_sel:DWORD dst_unused:UNUSED_PAD src0_sel:DWORD src1_sel:WORD_1
	s_mov_b64 s[0:1], 0
	s_branch .LBB224_1484
.LBB224_1480:
	s_mov_b64 s[0:1], -1
                                        ; implicit-def: $vgpr10
	s_branch .LBB224_1502
.LBB224_1481:
	s_mov_b64 s[0:1], -1
                                        ; implicit-def: $vgpr10
	s_branch .LBB224_1490
.LBB224_1482:
	s_mov_b64 s[0:1], -1
                                        ; implicit-def: $vgpr10
	s_branch .LBB224_1487
.LBB224_1483:
	s_mov_b64 s[0:1], -1
                                        ; implicit-def: $vgpr10
.LBB224_1484:
	s_andn2_b64 vcc, exec, s[0:1]
	s_cbranch_vccnz .LBB224_1486
; %bb.1485:
	global_load_dword v5, v[8:9], off
	s_movk_i32 s0, 0x7fff
	s_waitcnt vmcnt(1)
	v_mov_b32_e32 v10, 0x7fc0
	s_waitcnt vmcnt(0)
	v_bfe_u32 v11, v5, 16, 1
	v_cmp_o_f32_e32 vcc, v5, v5
	v_add3_u32 v5, v5, v11, s0
	v_cndmask_b32_sdwa v10, v10, v5, vcc dst_sel:DWORD dst_unused:UNUSED_PAD src0_sel:DWORD src1_sel:WORD_1
.LBB224_1486:
	s_mov_b64 s[0:1], 0
.LBB224_1487:
	s_andn2_b64 vcc, exec, s[0:1]
	s_cbranch_vccnz .LBB224_1489
; %bb.1488:
	global_load_dword v5, v[8:9], off
	s_movk_i32 s0, 0x7fff
	v_mov_b32_e32 v11, 0x7fc0
	s_waitcnt vmcnt(0)
	v_cvt_f32_f16_e32 v10, v5
	v_cmp_o_f16_e32 vcc, v5, v5
	v_bfe_u32 v5, v10, 16, 1
	v_add3_u32 v5, v10, v5, s0
	v_cndmask_b32_sdwa v10, v11, v5, vcc dst_sel:DWORD dst_unused:UNUSED_PAD src0_sel:DWORD src1_sel:WORD_1
.LBB224_1489:
	s_mov_b64 s[0:1], 0
.LBB224_1490:
	s_andn2_b64 vcc, exec, s[0:1]
	s_cbranch_vccnz .LBB224_1501
; %bb.1491:
	s_cmp_lt_i32 s16, 6
	s_cbranch_scc1 .LBB224_1494
; %bb.1492:
	s_cmp_gt_i32 s16, 6
	s_cbranch_scc0 .LBB224_1495
; %bb.1493:
	global_load_dwordx2 v[10:11], v[8:9], off
	s_movk_i32 s0, 0x7fff
	s_waitcnt vmcnt(0)
	v_cvt_f32_f64_e32 v5, v[10:11]
	v_mov_b32_e32 v10, 0x7fc0
	v_bfe_u32 v11, v5, 16, 1
	v_cmp_o_f32_e32 vcc, v5, v5
	v_add3_u32 v5, v5, v11, s0
	v_cndmask_b32_sdwa v10, v10, v5, vcc dst_sel:DWORD dst_unused:UNUSED_PAD src0_sel:DWORD src1_sel:WORD_1
	s_mov_b64 s[0:1], 0
	s_branch .LBB224_1496
.LBB224_1494:
	s_mov_b64 s[0:1], -1
                                        ; implicit-def: $vgpr10
	s_branch .LBB224_1499
.LBB224_1495:
	s_mov_b64 s[0:1], -1
                                        ; implicit-def: $vgpr10
.LBB224_1496:
	s_andn2_b64 vcc, exec, s[0:1]
	s_cbranch_vccnz .LBB224_1498
; %bb.1497:
	global_load_dword v5, v[8:9], off
	s_movk_i32 s0, 0x7fff
	s_waitcnt vmcnt(1)
	v_mov_b32_e32 v10, 0x7fc0
	s_waitcnt vmcnt(0)
	v_bfe_u32 v11, v5, 16, 1
	v_cmp_o_f32_e32 vcc, v5, v5
	v_add3_u32 v5, v5, v11, s0
	v_cndmask_b32_sdwa v10, v10, v5, vcc dst_sel:DWORD dst_unused:UNUSED_PAD src0_sel:DWORD src1_sel:WORD_1
.LBB224_1498:
	s_mov_b64 s[0:1], 0
.LBB224_1499:
	s_andn2_b64 vcc, exec, s[0:1]
	s_cbranch_vccnz .LBB224_1501
; %bb.1500:
	global_load_ushort v5, v[8:9], off
	s_movk_i32 s0, 0x7fff
	v_mov_b32_e32 v11, 0x7fc0
	s_waitcnt vmcnt(0)
	v_cvt_f32_f16_e32 v10, v5
	v_cmp_o_f16_e32 vcc, v5, v5
	v_bfe_u32 v5, v10, 16, 1
	v_add3_u32 v5, v10, v5, s0
	v_cndmask_b32_sdwa v10, v11, v5, vcc dst_sel:DWORD dst_unused:UNUSED_PAD src0_sel:DWORD src1_sel:WORD_1
.LBB224_1501:
	s_mov_b64 s[0:1], 0
.LBB224_1502:
	s_andn2_b64 vcc, exec, s[0:1]
	s_cbranch_vccnz .LBB224_1522
; %bb.1503:
	s_cmp_lt_i32 s16, 2
	s_cbranch_scc1 .LBB224_1507
; %bb.1504:
	s_cmp_lt_i32 s16, 3
	s_cbranch_scc1 .LBB224_1508
; %bb.1505:
	s_cmp_gt_i32 s16, 3
	s_cbranch_scc0 .LBB224_1509
; %bb.1506:
	global_load_dwordx2 v[10:11], v[8:9], off
	s_movk_i32 s0, 0x7fff
	s_waitcnt vmcnt(0)
	v_xor_b32_e32 v12, v10, v11
	v_ffbh_i32_e32 v5, v11
	v_ashrrev_i32_e32 v12, 31, v12
	v_add_u32_e32 v5, -1, v5
	v_add_u32_e32 v12, 32, v12
	v_min_u32_e32 v5, v5, v12
	v_lshlrev_b64 v[10:11], v5, v[10:11]
	v_sub_u32_e32 v5, 32, v5
	v_min_u32_e32 v10, 1, v10
	v_or_b32_e32 v10, v11, v10
	v_cvt_f32_i32_e32 v10, v10
	v_ldexp_f32 v5, v10, v5
	v_bfe_u32 v10, v5, 16, 1
	v_add3_u32 v5, v5, v10, s0
	v_lshrrev_b32_e32 v10, 16, v5
	s_mov_b64 s[0:1], 0
	s_branch .LBB224_1510
.LBB224_1507:
	s_mov_b64 s[0:1], -1
                                        ; implicit-def: $vgpr10
	s_branch .LBB224_1516
.LBB224_1508:
	s_mov_b64 s[0:1], -1
                                        ; implicit-def: $vgpr10
	s_branch .LBB224_1513
.LBB224_1509:
	s_mov_b64 s[0:1], -1
                                        ; implicit-def: $vgpr10
.LBB224_1510:
	s_andn2_b64 vcc, exec, s[0:1]
	s_cbranch_vccnz .LBB224_1512
; %bb.1511:
	global_load_dword v5, v[8:9], off
	s_movk_i32 s0, 0x7fff
	s_waitcnt vmcnt(0)
	v_cvt_f32_i32_e32 v5, v5
	v_bfe_u32 v10, v5, 16, 1
	v_add3_u32 v5, v5, v10, s0
	v_lshrrev_b32_e32 v10, 16, v5
.LBB224_1512:
	s_mov_b64 s[0:1], 0
.LBB224_1513:
	s_andn2_b64 vcc, exec, s[0:1]
	s_cbranch_vccnz .LBB224_1515
; %bb.1514:
	global_load_sshort v5, v[8:9], off
	s_movk_i32 s0, 0x7fff
	s_waitcnt vmcnt(0)
	v_cvt_f32_i32_e32 v5, v5
	v_bfe_u32 v10, v5, 16, 1
	v_add3_u32 v5, v5, v10, s0
	v_lshrrev_b32_e32 v10, 16, v5
.LBB224_1515:
	s_mov_b64 s[0:1], 0
.LBB224_1516:
	s_andn2_b64 vcc, exec, s[0:1]
	s_cbranch_vccnz .LBB224_1522
; %bb.1517:
	s_cmp_gt_i32 s16, 0
	s_cbranch_scc0 .LBB224_1519
; %bb.1518:
	global_load_sbyte v5, v[8:9], off
	s_movk_i32 s0, 0x7fff
	s_waitcnt vmcnt(0)
	v_cvt_f32_i32_e32 v5, v5
	v_bfe_u32 v10, v5, 16, 1
	v_add3_u32 v5, v5, v10, s0
	v_lshrrev_b32_e32 v10, 16, v5
	s_mov_b64 s[0:1], 0
	s_branch .LBB224_1520
.LBB224_1519:
	s_mov_b64 s[0:1], -1
                                        ; implicit-def: $vgpr10
.LBB224_1520:
	s_andn2_b64 vcc, exec, s[0:1]
	s_cbranch_vccnz .LBB224_1522
; %bb.1521:
	global_load_ubyte v5, v[8:9], off
	s_movk_i32 s0, 0x7fff
	s_waitcnt vmcnt(0)
	v_cvt_f32_ubyte0_e32 v5, v5
	v_bfe_u32 v8, v5, 16, 1
	v_add3_u32 v5, v5, v8, s0
	v_lshrrev_b32_e32 v10, 16, v5
.LBB224_1522:
	s_mov_b64 s[6:7], -1
.LBB224_1523:
	s_andn2_b64 vcc, exec, s[6:7]
	v_readfirstlane_b32 s12, v0
	s_cbranch_vccnz .LBB224_2087
; %bb.1524:
	v_mov_b32_e32 v5, s11
	v_add_co_u32_e32 v7, vcc, s10, v7
	s_cmp_lt_i32 s16, 11
	v_addc_co_u32_e32 v8, vcc, 0, v5, vcc
	s_cbranch_scc1 .LBB224_1531
; %bb.1525:
	s_cmp_gt_i32 s16, 25
	s_mov_b64 s[2:3], 0
	s_cbranch_scc0 .LBB224_1532
; %bb.1526:
	s_cmp_gt_i32 s16, 28
	s_cbranch_scc0 .LBB224_1533
; %bb.1527:
	s_cmp_gt_i32 s16, 43
	;; [unrolled: 3-line block ×3, first 2 shown]
	s_cbranch_scc0 .LBB224_1536
; %bb.1529:
	s_cmp_eq_u32 s16, 46
	s_mov_b64 s[10:11], 0
	s_cbranch_scc0 .LBB224_1537
; %bb.1530:
	global_load_dword v9, v[7:8], off
	s_mov_b64 s[0:1], 0
	s_mov_b64 s[6:7], -1
	s_branch .LBB224_1538
.LBB224_1531:
	s_mov_b64 s[0:1], -1
	s_mov_b64 s[6:7], 0
                                        ; implicit-def: $vgpr9
	s_branch .LBB224_1604
.LBB224_1532:
	s_mov_b64 s[10:11], -1
	s_mov_b64 s[6:7], 0
	s_mov_b64 s[0:1], 0
                                        ; implicit-def: $vgpr9
	s_branch .LBB224_1567
.LBB224_1533:
	s_mov_b64 s[10:11], -1
	s_mov_b64 s[6:7], 0
	s_mov_b64 s[0:1], 0
                                        ; implicit-def: $vgpr9
	s_branch .LBB224_1548
.LBB224_1534:
	s_mov_b64 s[10:11], -1
	s_mov_b64 s[6:7], 0
	s_mov_b64 s[0:1], 0
                                        ; implicit-def: $vgpr9
	s_branch .LBB224_1543
.LBB224_1535:
	s_trap 2
	s_or_b64 s[4:5], s[4:5], exec
	s_cbranch_execz .LBB224_1473
	s_branch .LBB224_1474
.LBB224_1536:
	s_mov_b64 s[10:11], -1
	s_mov_b64 s[6:7], 0
	s_mov_b64 s[0:1], 0
                                        ; implicit-def: $vgpr9
	s_branch .LBB224_1538
.LBB224_1537:
	s_mov_b64 s[0:1], -1
                                        ; implicit-def: $vgpr9
	s_mov_b64 s[6:7], 0
.LBB224_1538:
	s_and_b64 vcc, exec, s[10:11]
	s_cbranch_vccz .LBB224_1542
; %bb.1539:
	s_cmp_eq_u32 s16, 44
	s_cbranch_scc0 .LBB224_1541
; %bb.1540:
	global_load_ubyte v5, v[7:8], off
	s_movk_i32 s6, 0xff
	s_waitcnt vmcnt(1)
	v_mov_b32_e32 v9, 0x7f800001
	v_mov_b32_e32 v11, 0x400000
	;; [unrolled: 1-line block ×3, first 2 shown]
	s_mov_b64 s[0:1], 0
	s_waitcnt vmcnt(0)
	v_lshlrev_b32_e32 v13, 23, v5
	v_cmp_ne_u32_e32 vcc, s6, v5
	v_cndmask_b32_e32 v9, v9, v13, vcc
	v_cmp_ne_u32_e32 vcc, 0, v5
	v_cndmask_b32_e32 v5, v11, v9, vcc
	v_add_u32_e32 v9, 0x7fff, v5
	v_cmp_o_f32_e32 vcc, v5, v5
	v_cndmask_b32_sdwa v9, v12, v9, vcc dst_sel:DWORD dst_unused:UNUSED_PAD src0_sel:DWORD src1_sel:WORD_1
	s_mov_b64 s[6:7], -1
	s_branch .LBB224_1542
.LBB224_1541:
	s_mov_b64 s[0:1], -1
                                        ; implicit-def: $vgpr9
.LBB224_1542:
	s_mov_b64 s[10:11], 0
.LBB224_1543:
	s_and_b64 vcc, exec, s[10:11]
	s_cbranch_vccz .LBB224_1547
; %bb.1544:
	s_cmp_eq_u32 s16, 29
	s_cbranch_scc0 .LBB224_1546
; %bb.1545:
	global_load_dwordx2 v[11:12], v[7:8], off
	s_movk_i32 s6, 0x7fff
	s_mov_b64 s[0:1], 0
	s_mov_b64 s[10:11], 0
	s_waitcnt vmcnt(0)
	v_ffbh_u32_e32 v5, v12
	v_min_u32_e32 v5, 32, v5
	v_lshlrev_b64 v[11:12], v5, v[11:12]
	v_sub_u32_e32 v5, 32, v5
	v_min_u32_e32 v9, 1, v11
	v_or_b32_e32 v9, v12, v9
	v_cvt_f32_u32_e32 v9, v9
	v_ldexp_f32 v5, v9, v5
	v_bfe_u32 v9, v5, 16, 1
	v_add3_u32 v5, v5, v9, s6
	v_lshrrev_b32_e32 v9, 16, v5
	s_mov_b64 s[6:7], -1
	s_branch .LBB224_1548
.LBB224_1546:
	s_mov_b64 s[0:1], -1
                                        ; implicit-def: $vgpr9
.LBB224_1547:
	s_mov_b64 s[10:11], 0
.LBB224_1548:
	s_and_b64 vcc, exec, s[10:11]
	s_cbranch_vccz .LBB224_1566
; %bb.1549:
	s_cmp_lt_i32 s16, 27
	s_cbranch_scc1 .LBB224_1552
; %bb.1550:
	s_cmp_gt_i32 s16, 27
	s_cbranch_scc0 .LBB224_1553
; %bb.1551:
	global_load_dword v5, v[7:8], off
	s_movk_i32 s6, 0x7fff
	s_waitcnt vmcnt(0)
	v_cvt_f32_u32_e32 v5, v5
	v_bfe_u32 v9, v5, 16, 1
	v_add3_u32 v5, v5, v9, s6
	v_lshrrev_b32_e32 v9, 16, v5
	s_mov_b64 s[6:7], 0
	s_branch .LBB224_1554
.LBB224_1552:
	s_mov_b64 s[6:7], -1
                                        ; implicit-def: $vgpr9
	s_branch .LBB224_1557
.LBB224_1553:
	s_mov_b64 s[6:7], -1
                                        ; implicit-def: $vgpr9
.LBB224_1554:
	s_andn2_b64 vcc, exec, s[6:7]
	s_cbranch_vccnz .LBB224_1556
; %bb.1555:
	global_load_ushort v5, v[7:8], off
	s_movk_i32 s6, 0x7fff
	s_waitcnt vmcnt(0)
	v_cvt_f32_u32_e32 v5, v5
	v_bfe_u32 v9, v5, 16, 1
	v_add3_u32 v5, v5, v9, s6
	v_lshrrev_b32_e32 v9, 16, v5
.LBB224_1556:
	s_mov_b64 s[6:7], 0
.LBB224_1557:
	s_andn2_b64 vcc, exec, s[6:7]
	s_cbranch_vccnz .LBB224_1565
; %bb.1558:
	global_load_ubyte v5, v[7:8], off
	s_movk_i32 s6, 0x7f
	s_waitcnt vmcnt(0)
	v_cmp_lt_i16_e32 vcc, s6, v5
	s_mov_b64 s[6:7], 0
	s_and_saveexec_b64 s[10:11], vcc
	s_xor_b64 s[10:11], exec, s[10:11]
	s_cbranch_execz .LBB224_1579
; %bb.1559:
	s_movk_i32 s6, 0x80
	v_cmp_eq_u16_e32 vcc, s6, v5
	s_mov_b64 s[6:7], -1
	s_and_saveexec_b64 s[12:13], vcc
; %bb.1560:
	s_xor_b64 s[6:7], exec, -1
; %bb.1561:
	s_or_b64 exec, exec, s[12:13]
	s_and_b64 s[6:7], s[6:7], exec
	s_or_saveexec_b64 s[10:11], s[10:11]
	v_mov_b32_e32 v9, 0x7f800001
	s_xor_b64 exec, exec, s[10:11]
	s_cbranch_execnz .LBB224_1580
.LBB224_1562:
	s_or_b64 exec, exec, s[10:11]
	s_and_saveexec_b64 s[10:11], s[6:7]
	s_cbranch_execz .LBB224_1564
.LBB224_1563:
	v_lshlrev_b32_e32 v9, 24, v5
	v_and_b32_e32 v5, 0xffff, v5
	v_and_b32_e32 v11, 7, v5
	v_ffbh_u32_e32 v13, v11
	v_min_u32_e32 v13, 32, v13
	v_subrev_u32_e32 v14, 28, v13
	v_bfe_u32 v12, v5, 3, 4
	v_lshlrev_b32_e32 v5, v14, v5
	v_sub_u32_e32 v13, 29, v13
	v_and_b32_e32 v5, 7, v5
	v_cmp_eq_u32_e32 vcc, 0, v12
	v_cndmask_b32_e32 v12, v12, v13, vcc
	v_cndmask_b32_e32 v5, v11, v5, vcc
	v_mov_b32_e32 v11, 0x3b800000
	v_lshlrev_b32_e32 v5, 20, v5
	v_and_b32_e32 v9, 0x80000000, v9
	v_lshl_add_u32 v11, v12, 23, v11
	v_or3_b32 v9, v9, v11, v5
.LBB224_1564:
	s_or_b64 exec, exec, s[10:11]
	v_bfe_u32 v5, v9, 16, 1
	s_movk_i32 s6, 0x7fff
	v_add3_u32 v5, v9, v5, s6
	v_cmp_o_f32_e32 vcc, v9, v9
	v_mov_b32_e32 v9, 0x7fc0
	v_cndmask_b32_sdwa v9, v9, v5, vcc dst_sel:DWORD dst_unused:UNUSED_PAD src0_sel:DWORD src1_sel:WORD_1
.LBB224_1565:
	s_mov_b64 s[6:7], -1
.LBB224_1566:
	s_mov_b64 s[10:11], 0
.LBB224_1567:
	s_and_b64 vcc, exec, s[10:11]
	s_cbranch_vccz .LBB224_1600
; %bb.1568:
	s_cmp_gt_i32 s16, 22
	s_cbranch_scc0 .LBB224_1578
; %bb.1569:
	s_cmp_lt_i32 s16, 24
	s_cbranch_scc1 .LBB224_1581
; %bb.1570:
	s_cmp_gt_i32 s16, 24
	s_cbranch_scc0 .LBB224_1582
; %bb.1571:
	global_load_ubyte v5, v[7:8], off
	s_movk_i32 s2, 0x7f
	s_waitcnt vmcnt(0)
	v_cmp_lt_i16_e32 vcc, s2, v5
	s_mov_b64 s[2:3], 0
	s_and_saveexec_b64 s[6:7], vcc
	s_xor_b64 s[6:7], exec, s[6:7]
	s_cbranch_execz .LBB224_1594
; %bb.1572:
	s_movk_i32 s2, 0x80
	v_cmp_eq_u16_e32 vcc, s2, v5
	s_mov_b64 s[2:3], -1
	s_and_saveexec_b64 s[10:11], vcc
; %bb.1573:
	s_xor_b64 s[2:3], exec, -1
; %bb.1574:
	s_or_b64 exec, exec, s[10:11]
	s_and_b64 s[2:3], s[2:3], exec
	s_or_saveexec_b64 s[6:7], s[6:7]
	v_mov_b32_e32 v9, 0x7f800001
	s_xor_b64 exec, exec, s[6:7]
	s_cbranch_execnz .LBB224_1595
.LBB224_1575:
	s_or_b64 exec, exec, s[6:7]
	s_and_saveexec_b64 s[6:7], s[2:3]
	s_cbranch_execz .LBB224_1577
.LBB224_1576:
	v_lshlrev_b32_e32 v9, 24, v5
	v_and_b32_e32 v5, 0xffff, v5
	v_and_b32_e32 v11, 3, v5
	v_ffbh_u32_e32 v13, v11
	v_min_u32_e32 v13, 32, v13
	v_subrev_u32_e32 v14, 29, v13
	v_bfe_u32 v12, v5, 2, 5
	v_lshlrev_b32_e32 v5, v14, v5
	v_sub_u32_e32 v13, 30, v13
	v_and_b32_e32 v5, 3, v5
	v_cmp_eq_u32_e32 vcc, 0, v12
	v_cndmask_b32_e32 v12, v12, v13, vcc
	v_cndmask_b32_e32 v5, v11, v5, vcc
	v_mov_b32_e32 v11, 0x37800000
	v_lshlrev_b32_e32 v5, 21, v5
	v_and_b32_e32 v9, 0x80000000, v9
	v_lshl_add_u32 v11, v12, 23, v11
	v_or3_b32 v9, v9, v11, v5
.LBB224_1577:
	s_or_b64 exec, exec, s[6:7]
	v_bfe_u32 v5, v9, 16, 1
	s_movk_i32 s2, 0x7fff
	v_add3_u32 v5, v9, v5, s2
	v_cmp_o_f32_e32 vcc, v9, v9
	v_mov_b32_e32 v9, 0x7fc0
	v_cndmask_b32_sdwa v9, v9, v5, vcc dst_sel:DWORD dst_unused:UNUSED_PAD src0_sel:DWORD src1_sel:WORD_1
	s_mov_b64 s[2:3], 0
	s_branch .LBB224_1583
.LBB224_1578:
	s_mov_b64 s[2:3], -1
                                        ; implicit-def: $vgpr9
	s_branch .LBB224_1589
.LBB224_1579:
	s_or_saveexec_b64 s[10:11], s[10:11]
	v_mov_b32_e32 v9, 0x7f800001
	s_xor_b64 exec, exec, s[10:11]
	s_cbranch_execz .LBB224_1562
.LBB224_1580:
	v_cmp_ne_u16_e32 vcc, 0, v5
	s_andn2_b64 s[6:7], s[6:7], exec
	s_and_b64 s[12:13], vcc, exec
	v_mov_b32_e32 v9, 0
	s_or_b64 s[6:7], s[6:7], s[12:13]
	s_or_b64 exec, exec, s[10:11]
	s_and_saveexec_b64 s[10:11], s[6:7]
	s_cbranch_execnz .LBB224_1563
	s_branch .LBB224_1564
.LBB224_1581:
	s_mov_b64 s[2:3], -1
                                        ; implicit-def: $vgpr9
	s_branch .LBB224_1586
.LBB224_1582:
	s_mov_b64 s[2:3], -1
                                        ; implicit-def: $vgpr9
.LBB224_1583:
	s_and_b64 vcc, exec, s[2:3]
	s_cbranch_vccz .LBB224_1585
; %bb.1584:
	global_load_ubyte v5, v[7:8], off
	s_mov_b32 s2, 0x7f800000
	s_brev_b32 s3, 1
	s_movk_i32 s6, 0x7fff
	s_waitcnt vmcnt(0)
	v_lshlrev_b32_e32 v5, 24, v5
	v_and_b32_e32 v9, 0x7f000000, v5
	v_ffbh_u32_e32 v11, v9
	v_min_u32_e32 v11, 32, v11
	v_sub_u32_e64 v11, v11, 4 clamp
	v_lshlrev_b32_e32 v13, v11, v9
	v_lshlrev_b32_e32 v11, 23, v11
	v_lshrrev_b32_e32 v13, 4, v13
	v_add_u32_e32 v12, 0x1000000, v9
	v_sub_u32_e32 v11, v13, v11
	v_ashrrev_i32_e32 v12, 8, v12
	v_add_u32_e32 v11, 0x3c000000, v11
	v_and_or_b32 v11, v12, s2, v11
	v_cmp_ne_u32_e32 vcc, 0, v9
	v_cndmask_b32_e32 v9, 0, v11, vcc
	v_and_or_b32 v5, v5, s3, v9
	v_bfe_u32 v9, v9, 16, 1
	v_add3_u32 v9, v5, v9, s6
	v_cmp_o_f32_e32 vcc, v5, v5
	v_mov_b32_e32 v5, 0x7fc0
	v_cndmask_b32_sdwa v9, v5, v9, vcc dst_sel:DWORD dst_unused:UNUSED_PAD src0_sel:DWORD src1_sel:WORD_1
.LBB224_1585:
	s_mov_b64 s[2:3], 0
.LBB224_1586:
	s_andn2_b64 vcc, exec, s[2:3]
	s_cbranch_vccnz .LBB224_1588
; %bb.1587:
	global_load_ubyte v5, v[7:8], off
	s_movk_i32 s2, 0x7f00
	s_brev_b32 s3, 16
	s_brev_b32 s6, 1
	s_movk_i32 s7, 0x7fff
	s_waitcnt vmcnt(0)
	v_lshlrev_b16_e32 v9, 8, v5
	v_lshlrev_b32_e32 v5, 25, v5
	v_lshrrev_b32_e32 v11, 4, v5
	v_and_or_b32 v12, v9, s2, 0.5
	v_or_b32_e32 v11, 0x70000000, v11
	v_add_f32_e32 v12, -0.5, v12
	v_mul_f32_e32 v11, 0x7800000, v11
	v_cmp_gt_u32_e32 vcc, s3, v5
	v_bfe_i32 v9, v9, 0, 16
	v_cndmask_b32_e32 v5, v11, v12, vcc
	v_and_or_b32 v9, v9, s6, v5
	v_bfe_u32 v5, v5, 16, 1
	v_add3_u32 v5, v9, v5, s7
	v_cmp_o_f32_e32 vcc, v9, v9
	v_mov_b32_e32 v9, 0x7fc0
	v_cndmask_b32_sdwa v9, v9, v5, vcc dst_sel:DWORD dst_unused:UNUSED_PAD src0_sel:DWORD src1_sel:WORD_1
.LBB224_1588:
	s_mov_b64 s[2:3], 0
	s_mov_b64 s[6:7], -1
.LBB224_1589:
	s_andn2_b64 vcc, exec, s[2:3]
	s_mov_b64 s[2:3], 0
	s_cbranch_vccnz .LBB224_1600
; %bb.1590:
	s_cmp_gt_i32 s16, 14
	s_cbranch_scc0 .LBB224_1593
; %bb.1591:
	s_cmp_eq_u32 s16, 15
	s_cbranch_scc0 .LBB224_1596
; %bb.1592:
	global_load_ushort v9, v[7:8], off
	s_mov_b64 s[0:1], 0
	s_mov_b64 s[6:7], -1
	s_branch .LBB224_1597
.LBB224_1593:
	s_mov_b64 s[10:11], -1
                                        ; implicit-def: $vgpr9
	s_branch .LBB224_1598
.LBB224_1594:
	s_or_saveexec_b64 s[6:7], s[6:7]
	v_mov_b32_e32 v9, 0x7f800001
	s_xor_b64 exec, exec, s[6:7]
	s_cbranch_execz .LBB224_1575
.LBB224_1595:
	v_cmp_ne_u16_e32 vcc, 0, v5
	s_andn2_b64 s[2:3], s[2:3], exec
	s_and_b64 s[10:11], vcc, exec
	v_mov_b32_e32 v9, 0
	s_or_b64 s[2:3], s[2:3], s[10:11]
	s_or_b64 exec, exec, s[6:7]
	s_and_saveexec_b64 s[6:7], s[2:3]
	s_cbranch_execnz .LBB224_1576
	s_branch .LBB224_1577
.LBB224_1596:
	s_mov_b64 s[0:1], -1
                                        ; implicit-def: $vgpr9
.LBB224_1597:
	s_mov_b64 s[10:11], 0
.LBB224_1598:
	s_and_b64 vcc, exec, s[10:11]
	s_cbranch_vccz .LBB224_1600
; %bb.1599:
	s_cmp_lg_u32 s16, 11
	s_mov_b64 s[2:3], -1
	s_cselect_b64 s[0:1], -1, 0
.LBB224_1600:
	s_and_b64 vcc, exec, s[0:1]
	s_cbranch_vccnz .LBB224_2133
; %bb.1601:
	s_andn2_b64 vcc, exec, s[2:3]
	s_cbranch_vccnz .LBB224_1603
.LBB224_1602:
	global_load_ubyte v5, v[7:8], off
	s_mov_b64 s[6:7], -1
	s_waitcnt vmcnt(0)
	v_cmp_ne_u16_e32 vcc, 0, v5
	v_cndmask_b32_e64 v5, 0, 1.0, vcc
	v_lshrrev_b32_e32 v9, 16, v5
.LBB224_1603:
	s_mov_b64 s[0:1], 0
.LBB224_1604:
	s_and_b64 vcc, exec, s[0:1]
	s_cbranch_vccz .LBB224_1653
; %bb.1605:
	s_cmp_lt_i32 s16, 5
	s_cbranch_scc1 .LBB224_1610
; %bb.1606:
	s_cmp_lt_i32 s16, 8
	s_cbranch_scc1 .LBB224_1611
	;; [unrolled: 3-line block ×3, first 2 shown]
; %bb.1608:
	s_cmp_gt_i32 s16, 9
	s_cbranch_scc0 .LBB224_1613
; %bb.1609:
	global_load_dwordx2 v[11:12], v[7:8], off
	s_movk_i32 s0, 0x7fff
	s_waitcnt vmcnt(1)
	v_mov_b32_e32 v9, 0x7fc0
	s_waitcnt vmcnt(0)
	v_cvt_f32_f64_e32 v5, v[11:12]
	v_bfe_u32 v11, v5, 16, 1
	v_cmp_o_f32_e32 vcc, v5, v5
	v_add3_u32 v5, v5, v11, s0
	v_cndmask_b32_sdwa v9, v9, v5, vcc dst_sel:DWORD dst_unused:UNUSED_PAD src0_sel:DWORD src1_sel:WORD_1
	s_mov_b64 s[0:1], 0
	s_branch .LBB224_1614
.LBB224_1610:
	s_mov_b64 s[0:1], -1
                                        ; implicit-def: $vgpr9
	s_branch .LBB224_1632
.LBB224_1611:
	s_mov_b64 s[0:1], -1
                                        ; implicit-def: $vgpr9
	s_branch .LBB224_1620
.LBB224_1612:
	s_mov_b64 s[0:1], -1
                                        ; implicit-def: $vgpr9
	s_branch .LBB224_1617
.LBB224_1613:
	s_mov_b64 s[0:1], -1
                                        ; implicit-def: $vgpr9
.LBB224_1614:
	s_andn2_b64 vcc, exec, s[0:1]
	s_cbranch_vccnz .LBB224_1616
; %bb.1615:
	global_load_dword v5, v[7:8], off
	s_movk_i32 s0, 0x7fff
	s_waitcnt vmcnt(1)
	v_mov_b32_e32 v9, 0x7fc0
	s_waitcnt vmcnt(0)
	v_bfe_u32 v11, v5, 16, 1
	v_cmp_o_f32_e32 vcc, v5, v5
	v_add3_u32 v5, v5, v11, s0
	v_cndmask_b32_sdwa v9, v9, v5, vcc dst_sel:DWORD dst_unused:UNUSED_PAD src0_sel:DWORD src1_sel:WORD_1
.LBB224_1616:
	s_mov_b64 s[0:1], 0
.LBB224_1617:
	s_andn2_b64 vcc, exec, s[0:1]
	s_cbranch_vccnz .LBB224_1619
; %bb.1618:
	global_load_dword v5, v[7:8], off
	s_movk_i32 s0, 0x7fff
	v_mov_b32_e32 v11, 0x7fc0
	s_waitcnt vmcnt(0)
	v_cvt_f32_f16_e32 v9, v5
	v_cmp_o_f16_e32 vcc, v5, v5
	v_bfe_u32 v5, v9, 16, 1
	v_add3_u32 v5, v9, v5, s0
	v_cndmask_b32_sdwa v9, v11, v5, vcc dst_sel:DWORD dst_unused:UNUSED_PAD src0_sel:DWORD src1_sel:WORD_1
.LBB224_1619:
	s_mov_b64 s[0:1], 0
.LBB224_1620:
	s_andn2_b64 vcc, exec, s[0:1]
	s_cbranch_vccnz .LBB224_1631
; %bb.1621:
	s_cmp_lt_i32 s16, 6
	s_cbranch_scc1 .LBB224_1624
; %bb.1622:
	s_cmp_gt_i32 s16, 6
	s_cbranch_scc0 .LBB224_1625
; %bb.1623:
	global_load_dwordx2 v[11:12], v[7:8], off
	s_movk_i32 s0, 0x7fff
	s_waitcnt vmcnt(1)
	v_mov_b32_e32 v9, 0x7fc0
	s_waitcnt vmcnt(0)
	v_cvt_f32_f64_e32 v5, v[11:12]
	v_bfe_u32 v11, v5, 16, 1
	v_cmp_o_f32_e32 vcc, v5, v5
	v_add3_u32 v5, v5, v11, s0
	v_cndmask_b32_sdwa v9, v9, v5, vcc dst_sel:DWORD dst_unused:UNUSED_PAD src0_sel:DWORD src1_sel:WORD_1
	s_mov_b64 s[0:1], 0
	s_branch .LBB224_1626
.LBB224_1624:
	s_mov_b64 s[0:1], -1
                                        ; implicit-def: $vgpr9
	s_branch .LBB224_1629
.LBB224_1625:
	s_mov_b64 s[0:1], -1
                                        ; implicit-def: $vgpr9
.LBB224_1626:
	s_andn2_b64 vcc, exec, s[0:1]
	s_cbranch_vccnz .LBB224_1628
; %bb.1627:
	global_load_dword v5, v[7:8], off
	s_movk_i32 s0, 0x7fff
	s_waitcnt vmcnt(1)
	v_mov_b32_e32 v9, 0x7fc0
	s_waitcnt vmcnt(0)
	v_bfe_u32 v11, v5, 16, 1
	v_cmp_o_f32_e32 vcc, v5, v5
	v_add3_u32 v5, v5, v11, s0
	v_cndmask_b32_sdwa v9, v9, v5, vcc dst_sel:DWORD dst_unused:UNUSED_PAD src0_sel:DWORD src1_sel:WORD_1
.LBB224_1628:
	s_mov_b64 s[0:1], 0
.LBB224_1629:
	s_andn2_b64 vcc, exec, s[0:1]
	s_cbranch_vccnz .LBB224_1631
; %bb.1630:
	global_load_ushort v5, v[7:8], off
	s_movk_i32 s0, 0x7fff
	v_mov_b32_e32 v11, 0x7fc0
	s_waitcnt vmcnt(0)
	v_cvt_f32_f16_e32 v9, v5
	v_cmp_o_f16_e32 vcc, v5, v5
	v_bfe_u32 v5, v9, 16, 1
	v_add3_u32 v5, v9, v5, s0
	v_cndmask_b32_sdwa v9, v11, v5, vcc dst_sel:DWORD dst_unused:UNUSED_PAD src0_sel:DWORD src1_sel:WORD_1
.LBB224_1631:
	s_mov_b64 s[0:1], 0
.LBB224_1632:
	s_andn2_b64 vcc, exec, s[0:1]
	s_cbranch_vccnz .LBB224_1652
; %bb.1633:
	s_cmp_lt_i32 s16, 2
	s_cbranch_scc1 .LBB224_1637
; %bb.1634:
	s_cmp_lt_i32 s16, 3
	s_cbranch_scc1 .LBB224_1638
; %bb.1635:
	s_cmp_gt_i32 s16, 3
	s_cbranch_scc0 .LBB224_1639
; %bb.1636:
	global_load_dwordx2 v[11:12], v[7:8], off
	s_movk_i32 s0, 0x7fff
	s_waitcnt vmcnt(0)
	v_xor_b32_e32 v9, v11, v12
	v_ffbh_i32_e32 v5, v12
	v_ashrrev_i32_e32 v9, 31, v9
	v_add_u32_e32 v5, -1, v5
	v_add_u32_e32 v9, 32, v9
	v_min_u32_e32 v5, v5, v9
	v_lshlrev_b64 v[11:12], v5, v[11:12]
	v_sub_u32_e32 v5, 32, v5
	v_min_u32_e32 v9, 1, v11
	v_or_b32_e32 v9, v12, v9
	v_cvt_f32_i32_e32 v9, v9
	v_ldexp_f32 v5, v9, v5
	v_bfe_u32 v9, v5, 16, 1
	v_add3_u32 v5, v5, v9, s0
	v_lshrrev_b32_e32 v9, 16, v5
	s_mov_b64 s[0:1], 0
	s_branch .LBB224_1640
.LBB224_1637:
	s_mov_b64 s[0:1], -1
                                        ; implicit-def: $vgpr9
	s_branch .LBB224_1646
.LBB224_1638:
	s_mov_b64 s[0:1], -1
                                        ; implicit-def: $vgpr9
	s_branch .LBB224_1643
.LBB224_1639:
	s_mov_b64 s[0:1], -1
                                        ; implicit-def: $vgpr9
.LBB224_1640:
	s_andn2_b64 vcc, exec, s[0:1]
	s_cbranch_vccnz .LBB224_1642
; %bb.1641:
	global_load_dword v5, v[7:8], off
	s_movk_i32 s0, 0x7fff
	s_waitcnt vmcnt(0)
	v_cvt_f32_i32_e32 v5, v5
	v_bfe_u32 v9, v5, 16, 1
	v_add3_u32 v5, v5, v9, s0
	v_lshrrev_b32_e32 v9, 16, v5
.LBB224_1642:
	s_mov_b64 s[0:1], 0
.LBB224_1643:
	s_andn2_b64 vcc, exec, s[0:1]
	s_cbranch_vccnz .LBB224_1645
; %bb.1644:
	global_load_sshort v5, v[7:8], off
	s_movk_i32 s0, 0x7fff
	s_waitcnt vmcnt(0)
	v_cvt_f32_i32_e32 v5, v5
	v_bfe_u32 v9, v5, 16, 1
	v_add3_u32 v5, v5, v9, s0
	v_lshrrev_b32_e32 v9, 16, v5
.LBB224_1645:
	s_mov_b64 s[0:1], 0
.LBB224_1646:
	s_andn2_b64 vcc, exec, s[0:1]
	s_cbranch_vccnz .LBB224_1652
; %bb.1647:
	s_cmp_gt_i32 s16, 0
	s_cbranch_scc0 .LBB224_1649
; %bb.1648:
	global_load_sbyte v5, v[7:8], off
	s_movk_i32 s0, 0x7fff
	s_waitcnt vmcnt(0)
	v_cvt_f32_i32_e32 v5, v5
	v_bfe_u32 v9, v5, 16, 1
	v_add3_u32 v5, v5, v9, s0
	v_lshrrev_b32_e32 v9, 16, v5
	s_mov_b64 s[0:1], 0
	s_branch .LBB224_1650
.LBB224_1649:
	s_mov_b64 s[0:1], -1
                                        ; implicit-def: $vgpr9
.LBB224_1650:
	s_andn2_b64 vcc, exec, s[0:1]
	s_cbranch_vccnz .LBB224_1652
; %bb.1651:
	global_load_ubyte v5, v[7:8], off
	s_movk_i32 s0, 0x7fff
	s_waitcnt vmcnt(0)
	v_cvt_f32_ubyte0_e32 v5, v5
	v_bfe_u32 v7, v5, 16, 1
	v_add3_u32 v5, v5, v7, s0
	v_lshrrev_b32_e32 v9, 16, v5
.LBB224_1652:
	s_mov_b64 s[6:7], -1
.LBB224_1653:
	s_andn2_b64 vcc, exec, s[6:7]
	v_readfirstlane_b32 s12, v0
	s_cbranch_vccnz .LBB224_2087
; %bb.1654:
	s_load_dwordx2 s[6:7], s[34:35], 0x158
	s_waitcnt lgkmcnt(0)
	s_lshl_b32 s0, s6, 16
	s_lshr_b32 s18, s6, 16
	s_lshl_b32 s1, s7, 16
	v_mov_b32_e32 v5, s0
	v_mov_b32_e32 v7, s18
	v_cmp_le_f32_e64 s[0:1], s1, v5
	s_bfe_u32 s6, s7, 0x80010
	v_cndmask_b32_e64 v1, v1, v7, s[0:1]
	v_mov_b32_e32 v7, s9
	v_add_co_u32_e32 v5, vcc, s8, v6
	s_cmp_lt_i32 s6, 11
	v_addc_co_u32_e32 v6, vcc, 0, v7, vcc
	s_cbranch_scc1 .LBB224_1732
; %bb.1655:
	s_and_b32 s19, 0xffff, s6
	s_mov_b64 s[14:15], -1
	s_mov_b64 s[10:11], 0
	s_cmp_gt_i32 s19, 25
	s_mov_b64 s[12:13], 0
	s_mov_b64 s[2:3], 0
	s_cbranch_scc0 .LBB224_1688
; %bb.1656:
	s_cmp_gt_i32 s19, 28
	s_cbranch_scc0 .LBB224_1671
; %bb.1657:
	s_cmp_gt_i32 s19, 43
	;; [unrolled: 3-line block ×3, first 2 shown]
	s_cbranch_scc0 .LBB224_1661
; %bb.1659:
	s_mov_b64 s[2:3], -1
	s_mov_b64 s[14:15], 0
	s_cmp_eq_u32 s19, 46
	s_cbranch_scc0 .LBB224_1661
; %bb.1660:
	v_and_b32_e32 v7, 0xffff, v1
	global_store_dword v[5:6], v7, off
	s_mov_b64 s[2:3], 0
	s_mov_b64 s[12:13], -1
.LBB224_1661:
	s_and_b64 vcc, exec, s[14:15]
	s_cbranch_vccz .LBB224_1666
; %bb.1662:
	s_cmp_eq_u32 s19, 44
	s_mov_b64 s[2:3], -1
	s_cbranch_scc0 .LBB224_1666
; %bb.1663:
	v_and_b32_e32 v8, 0xffff, v1
	v_bfe_u32 v7, v8, 7, 8
	s_movk_i32 s2, 0xff
	v_cmp_ne_u32_e32 vcc, s2, v7
	v_mov_b32_e32 v11, 0xff
	s_and_saveexec_b64 s[12:13], vcc
	s_cbranch_execz .LBB224_1665
; %bb.1664:
	v_lshlrev_b32_e32 v12, 16, v8
	s_mov_b32 s2, 0x3f0000
	v_lshrrev_b32_e32 v11, 7, v8
	v_and_b32_e32 v8, 64, v8
	v_and_or_b32 v7, v12, s2, v7
	v_cmp_ne_u32_e32 vcc, 0, v8
	v_cmp_ne_u32_e64 s[2:3], 0, v7
	s_and_b64 s[2:3], vcc, s[2:3]
	v_cndmask_b32_e64 v7, 0, 1, s[2:3]
	v_add_u32_e32 v11, v11, v7
.LBB224_1665:
	s_or_b64 exec, exec, s[12:13]
	s_mov_b64 s[2:3], 0
	s_mov_b64 s[12:13], -1
	global_store_byte v[5:6], v11, off
.LBB224_1666:
	s_mov_b64 s[14:15], 0
.LBB224_1667:
	s_and_b64 vcc, exec, s[14:15]
	s_cbranch_vccz .LBB224_1670
; %bb.1668:
	s_cmp_eq_u32 s19, 29
	s_mov_b64 s[2:3], -1
	s_cbranch_scc0 .LBB224_1670
; %bb.1669:
	v_lshlrev_b32_e32 v7, 16, v1
	v_trunc_f32_e32 v7, v7
	v_mul_f32_e32 v8, 0x2f800000, v7
	v_floor_f32_e32 v11, v8
	v_fmac_f32_e32 v7, 0xcf800000, v11
	v_cvt_u32_f32_e32 v8, v11
	v_cvt_u32_f32_e32 v7, v7
	s_mov_b64 s[2:3], 0
	s_mov_b64 s[12:13], -1
	global_store_dwordx2 v[5:6], v[7:8], off
.LBB224_1670:
	s_mov_b64 s[14:15], 0
.LBB224_1671:
	s_and_b64 vcc, exec, s[14:15]
	s_cbranch_vccz .LBB224_1687
; %bb.1672:
	s_cmp_lt_i32 s19, 27
	s_mov_b64 s[12:13], -1
	s_cbranch_scc1 .LBB224_1678
; %bb.1673:
	s_cmp_gt_i32 s19, 27
	s_cbranch_scc0 .LBB224_1675
; %bb.1674:
	v_lshlrev_b32_e32 v7, 16, v1
	v_cvt_u32_f32_e32 v7, v7
	s_mov_b64 s[12:13], 0
	global_store_dword v[5:6], v7, off
.LBB224_1675:
	s_andn2_b64 vcc, exec, s[12:13]
	s_cbranch_vccnz .LBB224_1677
; %bb.1676:
	v_lshlrev_b32_e32 v7, 16, v1
	v_cvt_u32_f32_e32 v7, v7
	global_store_short v[5:6], v7, off
.LBB224_1677:
	s_mov_b64 s[12:13], 0
.LBB224_1678:
	s_andn2_b64 vcc, exec, s[12:13]
	s_cbranch_vccnz .LBB224_1686
; %bb.1679:
	v_lshlrev_b32_e32 v11, 16, v1
	v_and_b32_e32 v8, 0x7fffffff, v11
	s_mov_b32 s12, 0x43800000
	v_cmp_gt_u32_e32 vcc, s12, v8
	v_mov_b32_e32 v12, 0x80
	s_and_saveexec_b64 s[12:13], vcc
	s_cbranch_execz .LBB224_1685
; %bb.1680:
	s_mov_b32 s14, 0x3bffffff
	v_and_b32_e32 v7, 0xffff, v1
	v_cmp_lt_u32_e32 vcc, s14, v8
	s_mov_b64 s[14:15], 0
                                        ; implicit-def: $vgpr8
	s_and_saveexec_b64 s[16:17], vcc
	s_xor_b64 s[16:17], exec, s[16:17]
	s_cbranch_execz .LBB224_2134
; %bb.1681:
	v_bfe_u32 v8, v7, 4, 1
	s_mov_b32 s20, 0x487ffff
	v_add3_u32 v8, v11, v8, s20
	s_mov_b64 s[14:15], exec
	v_lshrrev_b32_e32 v8, 20, v8
                                        ; implicit-def: $vgpr11
	s_andn2_saveexec_b64 s[16:17], s[16:17]
	s_cbranch_execnz .LBB224_2135
.LBB224_1682:
	s_or_b64 exec, exec, s[16:17]
	v_mov_b32_e32 v12, 0
	s_and_saveexec_b64 s[16:17], s[14:15]
.LBB224_1683:
	v_lshrrev_b32_e32 v7, 8, v7
	s_movk_i32 s14, 0x80
	v_and_or_b32 v12, v7, s14, v8
.LBB224_1684:
	s_or_b64 exec, exec, s[16:17]
.LBB224_1685:
	s_or_b64 exec, exec, s[12:13]
	global_store_byte v[5:6], v12, off
.LBB224_1686:
	s_mov_b64 s[12:13], -1
.LBB224_1687:
	s_mov_b64 s[14:15], 0
.LBB224_1688:
	s_and_b64 vcc, exec, s[14:15]
	s_cbranch_vccz .LBB224_1728
; %bb.1689:
	s_cmp_gt_i32 s19, 22
	s_mov_b64 s[10:11], -1
	s_cbranch_scc0 .LBB224_1721
; %bb.1690:
	s_cmp_lt_i32 s19, 24
	s_cbranch_scc1 .LBB224_1710
; %bb.1691:
	s_cmp_gt_i32 s19, 24
	s_cbranch_scc0 .LBB224_1699
; %bb.1692:
	v_lshlrev_b32_e32 v11, 16, v1
	v_and_b32_e32 v8, 0x7fffffff, v11
	s_mov_b32 s10, 0x47800000
	v_cmp_gt_u32_e32 vcc, s10, v8
	v_mov_b32_e32 v12, 0x80
	s_and_saveexec_b64 s[10:11], vcc
	s_cbranch_execz .LBB224_1698
; %bb.1693:
	s_mov_b32 s12, 0x37ffffff
	v_and_b32_e32 v7, 0xffff, v1
	v_cmp_lt_u32_e32 vcc, s12, v8
	s_mov_b64 s[12:13], 0
                                        ; implicit-def: $vgpr8
	s_and_saveexec_b64 s[14:15], vcc
	s_xor_b64 s[14:15], exec, s[14:15]
	s_cbranch_execz .LBB224_2137
; %bb.1694:
	v_bfe_u32 v8, v7, 5, 1
	s_mov_b32 s16, 0x88fffff
	v_add3_u32 v8, v11, v8, s16
	s_mov_b64 s[12:13], exec
	v_lshrrev_b32_e32 v8, 21, v8
                                        ; implicit-def: $vgpr11
	s_andn2_saveexec_b64 s[14:15], s[14:15]
	s_cbranch_execnz .LBB224_2138
.LBB224_1695:
	s_or_b64 exec, exec, s[14:15]
	v_mov_b32_e32 v12, 0
	s_and_saveexec_b64 s[14:15], s[12:13]
.LBB224_1696:
	v_lshrrev_b32_e32 v7, 8, v7
	s_movk_i32 s12, 0x80
	v_and_or_b32 v12, v7, s12, v8
.LBB224_1697:
	s_or_b64 exec, exec, s[14:15]
.LBB224_1698:
	s_or_b64 exec, exec, s[10:11]
	s_mov_b64 s[10:11], 0
	global_store_byte v[5:6], v12, off
.LBB224_1699:
	s_and_b64 vcc, exec, s[10:11]
	s_cbranch_vccz .LBB224_1709
; %bb.1700:
	v_lshlrev_b32_e32 v11, 16, v1
	v_and_b32_e32 v12, 0x7fffffff, v11
	s_mov_b32 s10, 0x43f00000
	v_and_b32_e32 v7, 0xffff, v1
	v_cmp_gt_u32_e32 vcc, s10, v12
                                        ; implicit-def: $vgpr8
	s_and_saveexec_b64 s[10:11], vcc
	s_xor_b64 s[10:11], exec, s[10:11]
	s_cbranch_execz .LBB224_1706
; %bb.1701:
	s_mov_b32 s12, 0x3c7fffff
	v_cmp_lt_u32_e32 vcc, s12, v12
                                        ; implicit-def: $vgpr8
	s_and_saveexec_b64 s[12:13], vcc
	s_xor_b64 s[12:13], exec, s[12:13]
; %bb.1702:
	v_bfe_u32 v8, v7, 4, 1
	s_mov_b32 s14, 0x407ffff
	v_add3_u32 v8, v11, v8, s14
	v_lshrrev_b32_e32 v11, 20, v8
	v_and_b32_e32 v8, 0xff00000, v8
	s_mov_b32 s14, 0x7f00000
	v_mov_b32_e32 v12, 0x7e
	v_cmp_ne_u32_e32 vcc, s14, v8
	v_cndmask_b32_e32 v8, v12, v11, vcc
                                        ; implicit-def: $vgpr11
; %bb.1703:
	s_andn2_saveexec_b64 s[12:13], s[12:13]
; %bb.1704:
	s_mov_b32 s14, 0x46800000
	v_add_f32_e64 v8, |v11|, s14
; %bb.1705:
	s_or_b64 exec, exec, s[12:13]
                                        ; implicit-def: $vgpr12
.LBB224_1706:
	s_andn2_saveexec_b64 s[10:11], s[10:11]
; %bb.1707:
	s_mov_b32 s12, 0x7f800000
	v_mov_b32_e32 v8, 0x7e
	v_mov_b32_e32 v11, 0x7f
	v_cmp_lt_u32_e32 vcc, s12, v12
	v_cndmask_b32_e32 v8, v8, v11, vcc
; %bb.1708:
	s_or_b64 exec, exec, s[10:11]
	v_lshrrev_b32_e32 v7, 8, v7
	s_movk_i32 s10, 0x80
	v_and_or_b32 v7, v7, s10, v8
	global_store_byte v[5:6], v7, off
.LBB224_1709:
	s_mov_b64 s[10:11], 0
.LBB224_1710:
	s_andn2_b64 vcc, exec, s[10:11]
	s_cbranch_vccnz .LBB224_1720
; %bb.1711:
	v_lshlrev_b32_e32 v11, 16, v1
	v_and_b32_e32 v12, 0x7fffffff, v11
	s_mov_b32 s10, 0x47800000
	v_and_b32_e32 v7, 0xffff, v1
	v_cmp_gt_u32_e32 vcc, s10, v12
                                        ; implicit-def: $vgpr8
	s_and_saveexec_b64 s[10:11], vcc
	s_xor_b64 s[10:11], exec, s[10:11]
	s_cbranch_execz .LBB224_1717
; %bb.1712:
	s_mov_b32 s12, 0x387fffff
	v_cmp_lt_u32_e32 vcc, s12, v12
                                        ; implicit-def: $vgpr8
	s_and_saveexec_b64 s[12:13], vcc
	s_xor_b64 s[12:13], exec, s[12:13]
; %bb.1713:
	v_bfe_u32 v8, v7, 5, 1
	s_mov_b32 s14, 0x80fffff
	v_add3_u32 v8, v11, v8, s14
	v_lshrrev_b32_e32 v8, 21, v8
                                        ; implicit-def: $vgpr11
; %bb.1714:
	s_andn2_saveexec_b64 s[12:13], s[12:13]
; %bb.1715:
	s_mov_b32 s14, 0x43000000
	v_add_f32_e64 v8, |v11|, s14
; %bb.1716:
	s_or_b64 exec, exec, s[12:13]
                                        ; implicit-def: $vgpr12
.LBB224_1717:
	s_andn2_saveexec_b64 s[10:11], s[10:11]
; %bb.1718:
	s_mov_b32 s12, 0x7f800000
	v_mov_b32_e32 v8, 0x7c
	v_mov_b32_e32 v11, 0x7f
	v_cmp_lt_u32_e32 vcc, s12, v12
	v_cndmask_b32_e32 v8, v8, v11, vcc
; %bb.1719:
	s_or_b64 exec, exec, s[10:11]
	v_lshrrev_b32_e32 v7, 8, v7
	s_movk_i32 s10, 0x80
	v_and_or_b32 v7, v7, s10, v8
	global_store_byte v[5:6], v7, off
.LBB224_1720:
	s_mov_b64 s[10:11], 0
	s_mov_b64 s[12:13], -1
.LBB224_1721:
	s_andn2_b64 vcc, exec, s[10:11]
	s_mov_b64 s[10:11], 0
	s_cbranch_vccnz .LBB224_1728
; %bb.1722:
	s_cmp_gt_i32 s19, 14
	s_mov_b64 s[14:15], -1
	s_cbranch_scc0 .LBB224_1726
; %bb.1723:
	s_cmp_eq_u32 s19, 15
	s_mov_b64 s[2:3], -1
	s_cbranch_scc0 .LBB224_1725
; %bb.1724:
	global_store_short v[5:6], v1, off
	s_mov_b64 s[2:3], 0
	s_mov_b64 s[12:13], -1
.LBB224_1725:
	s_mov_b64 s[14:15], 0
.LBB224_1726:
	s_and_b64 vcc, exec, s[14:15]
	s_cbranch_vccz .LBB224_1728
; %bb.1727:
	s_cmp_lg_u32 s19, 11
	s_mov_b64 s[10:11], -1
	s_cselect_b64 s[2:3], -1, 0
.LBB224_1728:
	s_and_b64 vcc, exec, s[2:3]
	s_cbranch_vccnz .LBB224_2136
; %bb.1729:
	s_andn2_b64 vcc, exec, s[10:11]
	s_cbranch_vccnz .LBB224_1731
.LBB224_1730:
	v_and_b32_e32 v7, 0x7fff, v1
	v_cmp_ne_u16_e32 vcc, 0, v7
	v_cndmask_b32_e64 v7, 0, 1, vcc
	s_mov_b64 s[12:13], -1
	global_store_byte v[5:6], v7, off
.LBB224_1731:
	s_mov_b64 s[2:3], 0
	s_branch .LBB224_1733
.LBB224_1732:
	s_mov_b64 s[2:3], -1
	s_mov_b64 s[12:13], 0
.LBB224_1733:
	s_and_b64 vcc, exec, s[2:3]
	s_cbranch_vccz .LBB224_1772
; %bb.1734:
	s_and_b32 s6, 0xffff, s6
	s_cmp_lt_i32 s6, 5
	s_mov_b64 s[2:3], -1
	s_cbranch_scc1 .LBB224_1755
; %bb.1735:
	s_cmp_lt_i32 s6, 8
	s_cbranch_scc1 .LBB224_1745
; %bb.1736:
	s_cmp_lt_i32 s6, 9
	s_cbranch_scc1 .LBB224_1742
; %bb.1737:
	s_cmp_gt_i32 s6, 9
	s_cbranch_scc0 .LBB224_1739
; %bb.1738:
	v_lshlrev_b32_e32 v7, 16, v1
	v_cvt_f64_f32_e32 v[11:12], v7
	v_mov_b32_e32 v13, 0
	v_mov_b32_e32 v14, v13
	s_mov_b64 s[2:3], 0
	global_store_dwordx4 v[5:6], v[11:14], off
.LBB224_1739:
	s_andn2_b64 vcc, exec, s[2:3]
	s_cbranch_vccnz .LBB224_1741
; %bb.1740:
	v_lshlrev_b32_e32 v7, 16, v1
	v_mov_b32_e32 v8, 0
	global_store_dwordx2 v[5:6], v[7:8], off
.LBB224_1741:
	s_mov_b64 s[2:3], 0
.LBB224_1742:
	s_andn2_b64 vcc, exec, s[2:3]
	s_cbranch_vccnz .LBB224_1744
; %bb.1743:
	v_lshlrev_b32_e32 v7, 16, v1
	v_cvt_f16_f32_e32 v7, v7
	global_store_dword v[5:6], v7, off
.LBB224_1744:
	s_mov_b64 s[2:3], 0
.LBB224_1745:
	s_andn2_b64 vcc, exec, s[2:3]
	s_cbranch_vccnz .LBB224_1754
; %bb.1746:
	s_cmp_lt_i32 s6, 6
	s_mov_b64 s[2:3], -1
	s_cbranch_scc1 .LBB224_1752
; %bb.1747:
	s_cmp_gt_i32 s6, 6
	s_cbranch_scc0 .LBB224_1749
; %bb.1748:
	v_lshlrev_b32_e32 v7, 16, v1
	v_cvt_f64_f32_e32 v[7:8], v7
	s_mov_b64 s[2:3], 0
	global_store_dwordx2 v[5:6], v[7:8], off
.LBB224_1749:
	s_andn2_b64 vcc, exec, s[2:3]
	s_cbranch_vccnz .LBB224_1751
; %bb.1750:
	v_lshlrev_b32_e32 v7, 16, v1
	global_store_dword v[5:6], v7, off
.LBB224_1751:
	s_mov_b64 s[2:3], 0
.LBB224_1752:
	s_andn2_b64 vcc, exec, s[2:3]
	s_cbranch_vccnz .LBB224_1754
; %bb.1753:
	v_lshlrev_b32_e32 v7, 16, v1
	v_cvt_f16_f32_e32 v7, v7
	global_store_short v[5:6], v7, off
.LBB224_1754:
	s_mov_b64 s[2:3], 0
.LBB224_1755:
	s_andn2_b64 vcc, exec, s[2:3]
	s_cbranch_vccnz .LBB224_1771
; %bb.1756:
	s_cmp_lt_i32 s6, 2
	s_mov_b64 s[2:3], -1
	s_cbranch_scc1 .LBB224_1766
; %bb.1757:
	s_cmp_lt_i32 s6, 3
	s_cbranch_scc1 .LBB224_1763
; %bb.1758:
	s_cmp_gt_i32 s6, 3
	s_cbranch_scc0 .LBB224_1760
; %bb.1759:
	v_lshlrev_b32_e32 v7, 16, v1
	v_trunc_f32_e32 v7, v7
	s_mov_b32 s2, 0x2f800000
	v_mul_f32_e64 v8, |v7|, s2
	v_floor_f32_e32 v8, v8
	s_mov_b32 s2, 0xcf800000
	v_cvt_u32_f32_e32 v11, v8
	v_fma_f32 v8, v8, s2, |v7|
	v_cvt_u32_f32_e32 v8, v8
	v_ashrrev_i32_e32 v12, 31, v7
	v_xor_b32_e32 v11, v11, v12
	s_mov_b64 s[2:3], 0
	v_xor_b32_e32 v7, v8, v12
	v_sub_co_u32_e32 v7, vcc, v7, v12
	v_subb_co_u32_e32 v8, vcc, v11, v12, vcc
	global_store_dwordx2 v[5:6], v[7:8], off
.LBB224_1760:
	s_andn2_b64 vcc, exec, s[2:3]
	s_cbranch_vccnz .LBB224_1762
; %bb.1761:
	v_lshlrev_b32_e32 v7, 16, v1
	v_cvt_i32_f32_e32 v7, v7
	global_store_dword v[5:6], v7, off
.LBB224_1762:
	s_mov_b64 s[2:3], 0
.LBB224_1763:
	s_andn2_b64 vcc, exec, s[2:3]
	s_cbranch_vccnz .LBB224_1765
; %bb.1764:
	v_lshlrev_b32_e32 v7, 16, v1
	v_cvt_i32_f32_e32 v7, v7
	global_store_short v[5:6], v7, off
.LBB224_1765:
	s_mov_b64 s[2:3], 0
.LBB224_1766:
	s_andn2_b64 vcc, exec, s[2:3]
	s_cbranch_vccnz .LBB224_1771
; %bb.1767:
	s_mov_b64 s[2:3], -1
	s_cmp_gt_i32 s6, 0
	v_lshlrev_b32_e32 v1, 16, v1
	s_cbranch_scc0 .LBB224_1769
; %bb.1768:
	v_cvt_i32_f32_e32 v7, v1
	s_mov_b64 s[2:3], 0
	global_store_byte v[5:6], v7, off
.LBB224_1769:
	s_andn2_b64 vcc, exec, s[2:3]
	s_cbranch_vccnz .LBB224_1771
; %bb.1770:
	v_trunc_f32_e32 v1, v1
	s_mov_b32 s2, 0x2f800000
	v_mul_f32_e64 v7, |v1|, s2
	v_floor_f32_e32 v7, v7
	s_mov_b32 s2, 0xcf800000
	v_fma_f32 v7, v7, s2, |v1|
	v_cvt_u32_f32_e32 v7, v7
	v_ashrrev_i32_e32 v1, 31, v1
	v_xor_b32_e32 v7, v7, v1
	v_sub_u32_e32 v1, v7, v1
	global_store_byte v[5:6], v1, off
.LBB224_1771:
	s_mov_b64 s[12:13], -1
.LBB224_1772:
	s_andn2_b64 vcc, exec, s[12:13]
	v_readfirstlane_b32 s12, v0
	s_cbranch_vccnz .LBB224_2087
; %bb.1773:
	s_lshr_b32 s2, s7, 16
	v_mov_b32_e32 v1, s18
	s_and_b32 s16, s2, 0xff
	s_waitcnt vmcnt(0)
	v_cndmask_b32_e64 v1, v3, v1, s[0:1]
	v_mov_b32_e32 v5, s9
	v_add_co_u32_e32 v3, vcc, s8, v4
	s_cmp_lt_i32 s16, 11
	v_addc_co_u32_e32 v4, vcc, 0, v5, vcc
	s_cbranch_scc1 .LBB224_1851
; %bb.1774:
	s_and_b32 s17, 0xffff, s16
	s_mov_b64 s[12:13], -1
	s_mov_b64 s[6:7], 0
	s_cmp_gt_i32 s17, 25
	s_mov_b64 s[10:11], 0
	s_mov_b64 s[2:3], 0
	s_cbranch_scc0 .LBB224_1807
; %bb.1775:
	s_cmp_gt_i32 s17, 28
	s_cbranch_scc0 .LBB224_1790
; %bb.1776:
	s_cmp_gt_i32 s17, 43
	;; [unrolled: 3-line block ×3, first 2 shown]
	s_cbranch_scc0 .LBB224_1780
; %bb.1778:
	s_mov_b64 s[2:3], -1
	s_mov_b64 s[12:13], 0
	s_cmp_eq_u32 s17, 46
	s_cbranch_scc0 .LBB224_1780
; %bb.1779:
	v_and_b32_e32 v5, 0xffff, v1
	global_store_dword v[3:4], v5, off
	s_mov_b64 s[2:3], 0
	s_mov_b64 s[10:11], -1
.LBB224_1780:
	s_and_b64 vcc, exec, s[12:13]
	s_cbranch_vccz .LBB224_1785
; %bb.1781:
	s_cmp_eq_u32 s17, 44
	s_mov_b64 s[2:3], -1
	s_cbranch_scc0 .LBB224_1785
; %bb.1782:
	v_and_b32_e32 v6, 0xffff, v1
	v_bfe_u32 v5, v6, 7, 8
	s_movk_i32 s2, 0xff
	v_cmp_ne_u32_e32 vcc, s2, v5
	v_mov_b32_e32 v7, 0xff
	s_and_saveexec_b64 s[10:11], vcc
	s_cbranch_execz .LBB224_1784
; %bb.1783:
	v_lshlrev_b32_e32 v8, 16, v6
	s_mov_b32 s2, 0x3f0000
	v_lshrrev_b32_e32 v7, 7, v6
	v_and_b32_e32 v6, 64, v6
	v_and_or_b32 v5, v8, s2, v5
	v_cmp_ne_u32_e32 vcc, 0, v6
	v_cmp_ne_u32_e64 s[2:3], 0, v5
	s_and_b64 s[2:3], vcc, s[2:3]
	v_cndmask_b32_e64 v5, 0, 1, s[2:3]
	v_add_u32_e32 v7, v7, v5
.LBB224_1784:
	s_or_b64 exec, exec, s[10:11]
	s_mov_b64 s[2:3], 0
	s_mov_b64 s[10:11], -1
	global_store_byte v[3:4], v7, off
.LBB224_1785:
	s_mov_b64 s[12:13], 0
.LBB224_1786:
	s_and_b64 vcc, exec, s[12:13]
	s_cbranch_vccz .LBB224_1789
; %bb.1787:
	s_cmp_eq_u32 s17, 29
	s_mov_b64 s[2:3], -1
	s_cbranch_scc0 .LBB224_1789
; %bb.1788:
	v_lshlrev_b32_e32 v5, 16, v1
	v_trunc_f32_e32 v5, v5
	v_mul_f32_e32 v6, 0x2f800000, v5
	v_floor_f32_e32 v7, v6
	v_fmac_f32_e32 v5, 0xcf800000, v7
	v_cvt_u32_f32_e32 v6, v7
	v_cvt_u32_f32_e32 v5, v5
	s_mov_b64 s[2:3], 0
	s_mov_b64 s[10:11], -1
	global_store_dwordx2 v[3:4], v[5:6], off
.LBB224_1789:
	s_mov_b64 s[12:13], 0
.LBB224_1790:
	s_and_b64 vcc, exec, s[12:13]
	s_cbranch_vccz .LBB224_1806
; %bb.1791:
	s_cmp_lt_i32 s17, 27
	s_mov_b64 s[10:11], -1
	s_cbranch_scc1 .LBB224_1797
; %bb.1792:
	s_cmp_gt_i32 s17, 27
	s_cbranch_scc0 .LBB224_1794
; %bb.1793:
	v_lshlrev_b32_e32 v5, 16, v1
	v_cvt_u32_f32_e32 v5, v5
	s_mov_b64 s[10:11], 0
	global_store_dword v[3:4], v5, off
.LBB224_1794:
	s_andn2_b64 vcc, exec, s[10:11]
	s_cbranch_vccnz .LBB224_1796
; %bb.1795:
	v_lshlrev_b32_e32 v5, 16, v1
	v_cvt_u32_f32_e32 v5, v5
	global_store_short v[3:4], v5, off
.LBB224_1796:
	s_mov_b64 s[10:11], 0
.LBB224_1797:
	s_andn2_b64 vcc, exec, s[10:11]
	s_cbranch_vccnz .LBB224_1805
; %bb.1798:
	v_lshlrev_b32_e32 v7, 16, v1
	v_and_b32_e32 v6, 0x7fffffff, v7
	s_mov_b32 s10, 0x43800000
	v_cmp_gt_u32_e32 vcc, s10, v6
	v_mov_b32_e32 v8, 0x80
	s_and_saveexec_b64 s[10:11], vcc
	s_cbranch_execz .LBB224_1804
; %bb.1799:
	s_mov_b32 s12, 0x3bffffff
	v_and_b32_e32 v5, 0xffff, v1
	v_cmp_lt_u32_e32 vcc, s12, v6
	s_mov_b64 s[12:13], 0
                                        ; implicit-def: $vgpr6
	s_and_saveexec_b64 s[14:15], vcc
	s_xor_b64 s[14:15], exec, s[14:15]
	s_cbranch_execz .LBB224_2139
; %bb.1800:
	v_bfe_u32 v6, v5, 4, 1
	s_mov_b32 s19, 0x487ffff
	v_add3_u32 v6, v7, v6, s19
	s_mov_b64 s[12:13], exec
	v_lshrrev_b32_e32 v6, 20, v6
                                        ; implicit-def: $vgpr7
	s_andn2_saveexec_b64 s[14:15], s[14:15]
	s_cbranch_execnz .LBB224_2140
.LBB224_1801:
	s_or_b64 exec, exec, s[14:15]
	v_mov_b32_e32 v8, 0
	s_and_saveexec_b64 s[14:15], s[12:13]
.LBB224_1802:
	v_lshrrev_b32_e32 v5, 8, v5
	s_movk_i32 s12, 0x80
	v_and_or_b32 v8, v5, s12, v6
.LBB224_1803:
	s_or_b64 exec, exec, s[14:15]
.LBB224_1804:
	s_or_b64 exec, exec, s[10:11]
	global_store_byte v[3:4], v8, off
.LBB224_1805:
	s_mov_b64 s[10:11], -1
.LBB224_1806:
	s_mov_b64 s[12:13], 0
.LBB224_1807:
	s_and_b64 vcc, exec, s[12:13]
	s_cbranch_vccz .LBB224_1847
; %bb.1808:
	s_cmp_gt_i32 s17, 22
	s_mov_b64 s[6:7], -1
	s_cbranch_scc0 .LBB224_1840
; %bb.1809:
	s_cmp_lt_i32 s17, 24
	s_cbranch_scc1 .LBB224_1829
; %bb.1810:
	s_cmp_gt_i32 s17, 24
	s_cbranch_scc0 .LBB224_1818
; %bb.1811:
	v_lshlrev_b32_e32 v7, 16, v1
	v_and_b32_e32 v6, 0x7fffffff, v7
	s_mov_b32 s6, 0x47800000
	v_cmp_gt_u32_e32 vcc, s6, v6
	v_mov_b32_e32 v8, 0x80
	s_and_saveexec_b64 s[6:7], vcc
	s_cbranch_execz .LBB224_1817
; %bb.1812:
	s_mov_b32 s10, 0x37ffffff
	v_and_b32_e32 v5, 0xffff, v1
	v_cmp_lt_u32_e32 vcc, s10, v6
	s_mov_b64 s[10:11], 0
                                        ; implicit-def: $vgpr6
	s_and_saveexec_b64 s[12:13], vcc
	s_xor_b64 s[12:13], exec, s[12:13]
	s_cbranch_execz .LBB224_2142
; %bb.1813:
	v_bfe_u32 v6, v5, 5, 1
	s_mov_b32 s14, 0x88fffff
	v_add3_u32 v6, v7, v6, s14
	s_mov_b64 s[10:11], exec
	v_lshrrev_b32_e32 v6, 21, v6
                                        ; implicit-def: $vgpr7
	s_andn2_saveexec_b64 s[12:13], s[12:13]
	s_cbranch_execnz .LBB224_2143
.LBB224_1814:
	s_or_b64 exec, exec, s[12:13]
	v_mov_b32_e32 v8, 0
	s_and_saveexec_b64 s[12:13], s[10:11]
.LBB224_1815:
	v_lshrrev_b32_e32 v5, 8, v5
	s_movk_i32 s10, 0x80
	v_and_or_b32 v8, v5, s10, v6
.LBB224_1816:
	s_or_b64 exec, exec, s[12:13]
.LBB224_1817:
	s_or_b64 exec, exec, s[6:7]
	s_mov_b64 s[6:7], 0
	global_store_byte v[3:4], v8, off
.LBB224_1818:
	s_and_b64 vcc, exec, s[6:7]
	s_cbranch_vccz .LBB224_1828
; %bb.1819:
	v_lshlrev_b32_e32 v7, 16, v1
	v_and_b32_e32 v8, 0x7fffffff, v7
	s_mov_b32 s6, 0x43f00000
	v_and_b32_e32 v5, 0xffff, v1
	v_cmp_gt_u32_e32 vcc, s6, v8
                                        ; implicit-def: $vgpr6
	s_and_saveexec_b64 s[6:7], vcc
	s_xor_b64 s[6:7], exec, s[6:7]
	s_cbranch_execz .LBB224_1825
; %bb.1820:
	s_mov_b32 s10, 0x3c7fffff
	v_cmp_lt_u32_e32 vcc, s10, v8
                                        ; implicit-def: $vgpr6
	s_and_saveexec_b64 s[10:11], vcc
	s_xor_b64 s[10:11], exec, s[10:11]
; %bb.1821:
	v_bfe_u32 v6, v5, 4, 1
	s_mov_b32 s12, 0x407ffff
	v_add3_u32 v6, v7, v6, s12
	v_lshrrev_b32_e32 v7, 20, v6
	v_and_b32_e32 v6, 0xff00000, v6
	s_mov_b32 s12, 0x7f00000
	v_mov_b32_e32 v8, 0x7e
	v_cmp_ne_u32_e32 vcc, s12, v6
	v_cndmask_b32_e32 v6, v8, v7, vcc
                                        ; implicit-def: $vgpr7
; %bb.1822:
	s_andn2_saveexec_b64 s[10:11], s[10:11]
; %bb.1823:
	s_mov_b32 s12, 0x46800000
	v_add_f32_e64 v6, |v7|, s12
; %bb.1824:
	s_or_b64 exec, exec, s[10:11]
                                        ; implicit-def: $vgpr8
.LBB224_1825:
	s_andn2_saveexec_b64 s[6:7], s[6:7]
; %bb.1826:
	s_mov_b32 s10, 0x7f800000
	v_mov_b32_e32 v6, 0x7e
	v_mov_b32_e32 v7, 0x7f
	v_cmp_lt_u32_e32 vcc, s10, v8
	v_cndmask_b32_e32 v6, v6, v7, vcc
; %bb.1827:
	s_or_b64 exec, exec, s[6:7]
	v_lshrrev_b32_e32 v5, 8, v5
	s_movk_i32 s6, 0x80
	v_and_or_b32 v5, v5, s6, v6
	global_store_byte v[3:4], v5, off
.LBB224_1828:
	s_mov_b64 s[6:7], 0
.LBB224_1829:
	s_andn2_b64 vcc, exec, s[6:7]
	s_cbranch_vccnz .LBB224_1839
; %bb.1830:
	v_lshlrev_b32_e32 v7, 16, v1
	v_and_b32_e32 v8, 0x7fffffff, v7
	s_mov_b32 s6, 0x47800000
	v_and_b32_e32 v5, 0xffff, v1
	v_cmp_gt_u32_e32 vcc, s6, v8
                                        ; implicit-def: $vgpr6
	s_and_saveexec_b64 s[6:7], vcc
	s_xor_b64 s[6:7], exec, s[6:7]
	s_cbranch_execz .LBB224_1836
; %bb.1831:
	s_mov_b32 s10, 0x387fffff
	v_cmp_lt_u32_e32 vcc, s10, v8
                                        ; implicit-def: $vgpr6
	s_and_saveexec_b64 s[10:11], vcc
	s_xor_b64 s[10:11], exec, s[10:11]
; %bb.1832:
	v_bfe_u32 v6, v5, 5, 1
	s_mov_b32 s12, 0x80fffff
	v_add3_u32 v6, v7, v6, s12
	v_lshrrev_b32_e32 v6, 21, v6
                                        ; implicit-def: $vgpr7
; %bb.1833:
	s_andn2_saveexec_b64 s[10:11], s[10:11]
; %bb.1834:
	s_mov_b32 s12, 0x43000000
	v_add_f32_e64 v6, |v7|, s12
; %bb.1835:
	s_or_b64 exec, exec, s[10:11]
                                        ; implicit-def: $vgpr8
.LBB224_1836:
	s_andn2_saveexec_b64 s[6:7], s[6:7]
; %bb.1837:
	s_mov_b32 s10, 0x7f800000
	v_mov_b32_e32 v6, 0x7c
	v_mov_b32_e32 v7, 0x7f
	v_cmp_lt_u32_e32 vcc, s10, v8
	v_cndmask_b32_e32 v6, v6, v7, vcc
; %bb.1838:
	s_or_b64 exec, exec, s[6:7]
	v_lshrrev_b32_e32 v5, 8, v5
	s_movk_i32 s6, 0x80
	v_and_or_b32 v5, v5, s6, v6
	global_store_byte v[3:4], v5, off
.LBB224_1839:
	s_mov_b64 s[6:7], 0
	s_mov_b64 s[10:11], -1
.LBB224_1840:
	s_andn2_b64 vcc, exec, s[6:7]
	s_mov_b64 s[6:7], 0
	s_cbranch_vccnz .LBB224_1847
; %bb.1841:
	s_cmp_gt_i32 s17, 14
	s_mov_b64 s[12:13], -1
	s_cbranch_scc0 .LBB224_1845
; %bb.1842:
	s_cmp_eq_u32 s17, 15
	s_mov_b64 s[2:3], -1
	s_cbranch_scc0 .LBB224_1844
; %bb.1843:
	global_store_short v[3:4], v1, off
	s_mov_b64 s[2:3], 0
	s_mov_b64 s[10:11], -1
.LBB224_1844:
	s_mov_b64 s[12:13], 0
.LBB224_1845:
	s_and_b64 vcc, exec, s[12:13]
	s_cbranch_vccz .LBB224_1847
; %bb.1846:
	s_cmp_lg_u32 s17, 11
	s_mov_b64 s[6:7], -1
	s_cselect_b64 s[2:3], -1, 0
.LBB224_1847:
	s_and_b64 vcc, exec, s[2:3]
	s_cbranch_vccnz .LBB224_2141
; %bb.1848:
	s_andn2_b64 vcc, exec, s[6:7]
	s_cbranch_vccnz .LBB224_1850
.LBB224_1849:
	v_and_b32_e32 v5, 0x7fff, v1
	v_cmp_ne_u16_e32 vcc, 0, v5
	v_cndmask_b32_e64 v5, 0, 1, vcc
	s_mov_b64 s[10:11], -1
	global_store_byte v[3:4], v5, off
.LBB224_1850:
	s_mov_b64 s[2:3], 0
	s_branch .LBB224_1852
.LBB224_1851:
	s_mov_b64 s[2:3], -1
	s_mov_b64 s[10:11], 0
.LBB224_1852:
	s_and_b64 vcc, exec, s[2:3]
	s_cbranch_vccz .LBB224_1891
; %bb.1853:
	s_and_b32 s6, 0xffff, s16
	s_cmp_lt_i32 s6, 5
	s_mov_b64 s[2:3], -1
	s_cbranch_scc1 .LBB224_1874
; %bb.1854:
	s_cmp_lt_i32 s6, 8
	s_cbranch_scc1 .LBB224_1864
; %bb.1855:
	s_cmp_lt_i32 s6, 9
	s_cbranch_scc1 .LBB224_1861
; %bb.1856:
	s_cmp_gt_i32 s6, 9
	s_cbranch_scc0 .LBB224_1858
; %bb.1857:
	v_lshlrev_b32_e32 v5, 16, v1
	v_cvt_f64_f32_e32 v[5:6], v5
	v_mov_b32_e32 v7, 0
	v_mov_b32_e32 v8, v7
	s_mov_b64 s[2:3], 0
	global_store_dwordx4 v[3:4], v[5:8], off
.LBB224_1858:
	s_andn2_b64 vcc, exec, s[2:3]
	s_cbranch_vccnz .LBB224_1860
; %bb.1859:
	v_lshlrev_b32_e32 v5, 16, v1
	v_mov_b32_e32 v6, 0
	global_store_dwordx2 v[3:4], v[5:6], off
.LBB224_1860:
	s_mov_b64 s[2:3], 0
.LBB224_1861:
	s_andn2_b64 vcc, exec, s[2:3]
	s_cbranch_vccnz .LBB224_1863
; %bb.1862:
	v_lshlrev_b32_e32 v5, 16, v1
	v_cvt_f16_f32_e32 v5, v5
	global_store_dword v[3:4], v5, off
.LBB224_1863:
	s_mov_b64 s[2:3], 0
.LBB224_1864:
	s_andn2_b64 vcc, exec, s[2:3]
	s_cbranch_vccnz .LBB224_1873
; %bb.1865:
	s_cmp_lt_i32 s6, 6
	s_mov_b64 s[2:3], -1
	s_cbranch_scc1 .LBB224_1871
; %bb.1866:
	s_cmp_gt_i32 s6, 6
	s_cbranch_scc0 .LBB224_1868
; %bb.1867:
	v_lshlrev_b32_e32 v5, 16, v1
	v_cvt_f64_f32_e32 v[5:6], v5
	s_mov_b64 s[2:3], 0
	global_store_dwordx2 v[3:4], v[5:6], off
.LBB224_1868:
	s_andn2_b64 vcc, exec, s[2:3]
	s_cbranch_vccnz .LBB224_1870
; %bb.1869:
	v_lshlrev_b32_e32 v5, 16, v1
	global_store_dword v[3:4], v5, off
.LBB224_1870:
	s_mov_b64 s[2:3], 0
.LBB224_1871:
	s_andn2_b64 vcc, exec, s[2:3]
	s_cbranch_vccnz .LBB224_1873
; %bb.1872:
	v_lshlrev_b32_e32 v5, 16, v1
	v_cvt_f16_f32_e32 v5, v5
	global_store_short v[3:4], v5, off
.LBB224_1873:
	s_mov_b64 s[2:3], 0
.LBB224_1874:
	s_andn2_b64 vcc, exec, s[2:3]
	s_cbranch_vccnz .LBB224_1890
; %bb.1875:
	s_cmp_lt_i32 s6, 2
	s_mov_b64 s[2:3], -1
	s_cbranch_scc1 .LBB224_1885
; %bb.1876:
	s_cmp_lt_i32 s6, 3
	s_cbranch_scc1 .LBB224_1882
; %bb.1877:
	s_cmp_gt_i32 s6, 3
	s_cbranch_scc0 .LBB224_1879
; %bb.1878:
	v_lshlrev_b32_e32 v5, 16, v1
	v_trunc_f32_e32 v5, v5
	s_mov_b32 s2, 0x2f800000
	v_mul_f32_e64 v6, |v5|, s2
	v_floor_f32_e32 v6, v6
	s_mov_b32 s2, 0xcf800000
	v_cvt_u32_f32_e32 v7, v6
	v_fma_f32 v6, v6, s2, |v5|
	v_cvt_u32_f32_e32 v6, v6
	v_ashrrev_i32_e32 v8, 31, v5
	v_xor_b32_e32 v7, v7, v8
	s_mov_b64 s[2:3], 0
	v_xor_b32_e32 v5, v6, v8
	v_sub_co_u32_e32 v5, vcc, v5, v8
	v_subb_co_u32_e32 v6, vcc, v7, v8, vcc
	global_store_dwordx2 v[3:4], v[5:6], off
.LBB224_1879:
	s_andn2_b64 vcc, exec, s[2:3]
	s_cbranch_vccnz .LBB224_1881
; %bb.1880:
	v_lshlrev_b32_e32 v5, 16, v1
	v_cvt_i32_f32_e32 v5, v5
	global_store_dword v[3:4], v5, off
.LBB224_1881:
	s_mov_b64 s[2:3], 0
.LBB224_1882:
	s_andn2_b64 vcc, exec, s[2:3]
	s_cbranch_vccnz .LBB224_1884
; %bb.1883:
	v_lshlrev_b32_e32 v5, 16, v1
	v_cvt_i32_f32_e32 v5, v5
	global_store_short v[3:4], v5, off
.LBB224_1884:
	s_mov_b64 s[2:3], 0
.LBB224_1885:
	s_andn2_b64 vcc, exec, s[2:3]
	s_cbranch_vccnz .LBB224_1890
; %bb.1886:
	s_mov_b64 s[2:3], -1
	s_cmp_gt_i32 s6, 0
	v_lshlrev_b32_e32 v1, 16, v1
	s_cbranch_scc0 .LBB224_1888
; %bb.1887:
	v_cvt_i32_f32_e32 v5, v1
	s_mov_b64 s[2:3], 0
	global_store_byte v[3:4], v5, off
.LBB224_1888:
	s_andn2_b64 vcc, exec, s[2:3]
	s_cbranch_vccnz .LBB224_1890
; %bb.1889:
	v_trunc_f32_e32 v1, v1
	s_mov_b32 s2, 0x2f800000
	v_mul_f32_e64 v5, |v1|, s2
	v_floor_f32_e32 v5, v5
	s_mov_b32 s2, 0xcf800000
	v_fma_f32 v5, v5, s2, |v1|
	v_cvt_u32_f32_e32 v5, v5
	v_ashrrev_i32_e32 v1, 31, v1
	v_xor_b32_e32 v5, v5, v1
	v_sub_u32_e32 v1, v5, v1
	global_store_byte v[3:4], v1, off
.LBB224_1890:
	s_mov_b64 s[10:11], -1
.LBB224_1891:
	s_andn2_b64 vcc, exec, s[10:11]
	v_readfirstlane_b32 s12, v0
	s_cbranch_vccnz .LBB224_2087
; %bb.1892:
	v_mov_b32_e32 v1, s18
	v_cndmask_b32_e64 v3, v10, v1, s[0:1]
	v_mov_b32_e32 v4, s9
	v_add_co_u32_e32 v1, vcc, s8, v2
	s_cmp_lt_i32 s16, 11
	v_addc_co_u32_e32 v2, vcc, 0, v4, vcc
	s_cbranch_scc1 .LBB224_1970
; %bb.1893:
	s_and_b32 s17, 0xffff, s16
	s_mov_b64 s[12:13], -1
	s_mov_b64 s[6:7], 0
	s_cmp_gt_i32 s17, 25
	s_mov_b64 s[10:11], 0
	s_mov_b64 s[2:3], 0
	s_cbranch_scc0 .LBB224_1926
; %bb.1894:
	s_cmp_gt_i32 s17, 28
	s_cbranch_scc0 .LBB224_1909
; %bb.1895:
	s_cmp_gt_i32 s17, 43
	;; [unrolled: 3-line block ×3, first 2 shown]
	s_cbranch_scc0 .LBB224_1899
; %bb.1897:
	s_mov_b64 s[2:3], -1
	s_mov_b64 s[12:13], 0
	s_cmp_eq_u32 s17, 46
	s_cbranch_scc0 .LBB224_1899
; %bb.1898:
	v_and_b32_e32 v4, 0xffff, v3
	global_store_dword v[1:2], v4, off
	s_mov_b64 s[2:3], 0
	s_mov_b64 s[10:11], -1
.LBB224_1899:
	s_and_b64 vcc, exec, s[12:13]
	s_cbranch_vccz .LBB224_1904
; %bb.1900:
	s_cmp_eq_u32 s17, 44
	s_mov_b64 s[2:3], -1
	s_cbranch_scc0 .LBB224_1904
; %bb.1901:
	v_and_b32_e32 v5, 0xffff, v3
	v_bfe_u32 v4, v5, 7, 8
	s_movk_i32 s2, 0xff
	v_cmp_ne_u32_e32 vcc, s2, v4
	v_mov_b32_e32 v6, 0xff
	s_and_saveexec_b64 s[10:11], vcc
	s_cbranch_execz .LBB224_1903
; %bb.1902:
	v_lshlrev_b32_e32 v7, 16, v5
	s_mov_b32 s2, 0x3f0000
	v_lshrrev_b32_e32 v6, 7, v5
	v_and_b32_e32 v5, 64, v5
	v_and_or_b32 v4, v7, s2, v4
	v_cmp_ne_u32_e32 vcc, 0, v5
	v_cmp_ne_u32_e64 s[2:3], 0, v4
	s_and_b64 s[2:3], vcc, s[2:3]
	v_cndmask_b32_e64 v4, 0, 1, s[2:3]
	v_add_u32_e32 v6, v6, v4
.LBB224_1903:
	s_or_b64 exec, exec, s[10:11]
	s_mov_b64 s[2:3], 0
	s_mov_b64 s[10:11], -1
	global_store_byte v[1:2], v6, off
.LBB224_1904:
	s_mov_b64 s[12:13], 0
.LBB224_1905:
	s_and_b64 vcc, exec, s[12:13]
	s_cbranch_vccz .LBB224_1908
; %bb.1906:
	s_cmp_eq_u32 s17, 29
	s_mov_b64 s[2:3], -1
	s_cbranch_scc0 .LBB224_1908
; %bb.1907:
	v_lshlrev_b32_e32 v4, 16, v3
	v_trunc_f32_e32 v4, v4
	v_mul_f32_e32 v5, 0x2f800000, v4
	v_floor_f32_e32 v6, v5
	v_fmac_f32_e32 v4, 0xcf800000, v6
	v_cvt_u32_f32_e32 v5, v6
	v_cvt_u32_f32_e32 v4, v4
	s_mov_b64 s[2:3], 0
	s_mov_b64 s[10:11], -1
	global_store_dwordx2 v[1:2], v[4:5], off
.LBB224_1908:
	s_mov_b64 s[12:13], 0
.LBB224_1909:
	s_and_b64 vcc, exec, s[12:13]
	s_cbranch_vccz .LBB224_1925
; %bb.1910:
	s_cmp_lt_i32 s17, 27
	s_mov_b64 s[10:11], -1
	s_cbranch_scc1 .LBB224_1916
; %bb.1911:
	s_cmp_gt_i32 s17, 27
	s_cbranch_scc0 .LBB224_1913
; %bb.1912:
	v_lshlrev_b32_e32 v4, 16, v3
	v_cvt_u32_f32_e32 v4, v4
	s_mov_b64 s[10:11], 0
	global_store_dword v[1:2], v4, off
.LBB224_1913:
	s_andn2_b64 vcc, exec, s[10:11]
	s_cbranch_vccnz .LBB224_1915
; %bb.1914:
	v_lshlrev_b32_e32 v4, 16, v3
	v_cvt_u32_f32_e32 v4, v4
	global_store_short v[1:2], v4, off
.LBB224_1915:
	s_mov_b64 s[10:11], 0
.LBB224_1916:
	s_andn2_b64 vcc, exec, s[10:11]
	s_cbranch_vccnz .LBB224_1924
; %bb.1917:
	v_lshlrev_b32_e32 v6, 16, v3
	v_and_b32_e32 v5, 0x7fffffff, v6
	s_mov_b32 s10, 0x43800000
	v_cmp_gt_u32_e32 vcc, s10, v5
	v_mov_b32_e32 v7, 0x80
	s_and_saveexec_b64 s[10:11], vcc
	s_cbranch_execz .LBB224_1923
; %bb.1918:
	s_mov_b32 s12, 0x3bffffff
	v_and_b32_e32 v4, 0xffff, v3
	v_cmp_lt_u32_e32 vcc, s12, v5
	s_mov_b64 s[12:13], 0
                                        ; implicit-def: $vgpr5
	s_and_saveexec_b64 s[14:15], vcc
	s_xor_b64 s[14:15], exec, s[14:15]
	s_cbranch_execz .LBB224_2144
; %bb.1919:
	v_bfe_u32 v5, v4, 4, 1
	s_mov_b32 s19, 0x487ffff
	v_add3_u32 v5, v6, v5, s19
	s_mov_b64 s[12:13], exec
	v_lshrrev_b32_e32 v5, 20, v5
                                        ; implicit-def: $vgpr6
	s_andn2_saveexec_b64 s[14:15], s[14:15]
	s_cbranch_execnz .LBB224_2145
.LBB224_1920:
	s_or_b64 exec, exec, s[14:15]
	v_mov_b32_e32 v7, 0
	s_and_saveexec_b64 s[14:15], s[12:13]
.LBB224_1921:
	v_lshrrev_b32_e32 v4, 8, v4
	s_movk_i32 s12, 0x80
	v_and_or_b32 v7, v4, s12, v5
.LBB224_1922:
	s_or_b64 exec, exec, s[14:15]
.LBB224_1923:
	s_or_b64 exec, exec, s[10:11]
	global_store_byte v[1:2], v7, off
.LBB224_1924:
	s_mov_b64 s[10:11], -1
.LBB224_1925:
	s_mov_b64 s[12:13], 0
.LBB224_1926:
	s_and_b64 vcc, exec, s[12:13]
	s_cbranch_vccz .LBB224_1966
; %bb.1927:
	s_cmp_gt_i32 s17, 22
	s_mov_b64 s[6:7], -1
	s_cbranch_scc0 .LBB224_1959
; %bb.1928:
	s_cmp_lt_i32 s17, 24
	s_cbranch_scc1 .LBB224_1948
; %bb.1929:
	s_cmp_gt_i32 s17, 24
	s_cbranch_scc0 .LBB224_1937
; %bb.1930:
	v_lshlrev_b32_e32 v6, 16, v3
	v_and_b32_e32 v5, 0x7fffffff, v6
	s_mov_b32 s6, 0x47800000
	v_cmp_gt_u32_e32 vcc, s6, v5
	v_mov_b32_e32 v7, 0x80
	s_and_saveexec_b64 s[6:7], vcc
	s_cbranch_execz .LBB224_1936
; %bb.1931:
	s_mov_b32 s10, 0x37ffffff
	v_and_b32_e32 v4, 0xffff, v3
	v_cmp_lt_u32_e32 vcc, s10, v5
	s_mov_b64 s[10:11], 0
                                        ; implicit-def: $vgpr5
	s_and_saveexec_b64 s[12:13], vcc
	s_xor_b64 s[12:13], exec, s[12:13]
	s_cbranch_execz .LBB224_2147
; %bb.1932:
	v_bfe_u32 v5, v4, 5, 1
	s_mov_b32 s14, 0x88fffff
	v_add3_u32 v5, v6, v5, s14
	s_mov_b64 s[10:11], exec
	v_lshrrev_b32_e32 v5, 21, v5
                                        ; implicit-def: $vgpr6
	s_andn2_saveexec_b64 s[12:13], s[12:13]
	s_cbranch_execnz .LBB224_2148
.LBB224_1933:
	s_or_b64 exec, exec, s[12:13]
	v_mov_b32_e32 v7, 0
	s_and_saveexec_b64 s[12:13], s[10:11]
.LBB224_1934:
	v_lshrrev_b32_e32 v4, 8, v4
	s_movk_i32 s10, 0x80
	v_and_or_b32 v7, v4, s10, v5
.LBB224_1935:
	s_or_b64 exec, exec, s[12:13]
.LBB224_1936:
	s_or_b64 exec, exec, s[6:7]
	s_mov_b64 s[6:7], 0
	global_store_byte v[1:2], v7, off
.LBB224_1937:
	s_and_b64 vcc, exec, s[6:7]
	s_cbranch_vccz .LBB224_1947
; %bb.1938:
	v_lshlrev_b32_e32 v6, 16, v3
	v_and_b32_e32 v7, 0x7fffffff, v6
	s_mov_b32 s6, 0x43f00000
	v_and_b32_e32 v4, 0xffff, v3
	v_cmp_gt_u32_e32 vcc, s6, v7
                                        ; implicit-def: $vgpr5
	s_and_saveexec_b64 s[6:7], vcc
	s_xor_b64 s[6:7], exec, s[6:7]
	s_cbranch_execz .LBB224_1944
; %bb.1939:
	s_mov_b32 s10, 0x3c7fffff
	v_cmp_lt_u32_e32 vcc, s10, v7
                                        ; implicit-def: $vgpr5
	s_and_saveexec_b64 s[10:11], vcc
	s_xor_b64 s[10:11], exec, s[10:11]
; %bb.1940:
	v_bfe_u32 v5, v4, 4, 1
	s_mov_b32 s12, 0x407ffff
	v_add3_u32 v5, v6, v5, s12
	v_lshrrev_b32_e32 v6, 20, v5
	v_and_b32_e32 v5, 0xff00000, v5
	s_mov_b32 s12, 0x7f00000
	v_mov_b32_e32 v7, 0x7e
	v_cmp_ne_u32_e32 vcc, s12, v5
	v_cndmask_b32_e32 v5, v7, v6, vcc
                                        ; implicit-def: $vgpr6
; %bb.1941:
	s_andn2_saveexec_b64 s[10:11], s[10:11]
; %bb.1942:
	s_mov_b32 s12, 0x46800000
	v_add_f32_e64 v5, |v6|, s12
; %bb.1943:
	s_or_b64 exec, exec, s[10:11]
                                        ; implicit-def: $vgpr7
.LBB224_1944:
	s_andn2_saveexec_b64 s[6:7], s[6:7]
; %bb.1945:
	s_mov_b32 s10, 0x7f800000
	v_mov_b32_e32 v5, 0x7e
	v_mov_b32_e32 v6, 0x7f
	v_cmp_lt_u32_e32 vcc, s10, v7
	v_cndmask_b32_e32 v5, v5, v6, vcc
; %bb.1946:
	s_or_b64 exec, exec, s[6:7]
	v_lshrrev_b32_e32 v4, 8, v4
	s_movk_i32 s6, 0x80
	v_and_or_b32 v4, v4, s6, v5
	global_store_byte v[1:2], v4, off
.LBB224_1947:
	s_mov_b64 s[6:7], 0
.LBB224_1948:
	s_andn2_b64 vcc, exec, s[6:7]
	s_cbranch_vccnz .LBB224_1958
; %bb.1949:
	v_lshlrev_b32_e32 v6, 16, v3
	v_and_b32_e32 v7, 0x7fffffff, v6
	s_mov_b32 s6, 0x47800000
	v_and_b32_e32 v4, 0xffff, v3
	v_cmp_gt_u32_e32 vcc, s6, v7
                                        ; implicit-def: $vgpr5
	s_and_saveexec_b64 s[6:7], vcc
	s_xor_b64 s[6:7], exec, s[6:7]
	s_cbranch_execz .LBB224_1955
; %bb.1950:
	s_mov_b32 s10, 0x387fffff
	v_cmp_lt_u32_e32 vcc, s10, v7
                                        ; implicit-def: $vgpr5
	s_and_saveexec_b64 s[10:11], vcc
	s_xor_b64 s[10:11], exec, s[10:11]
; %bb.1951:
	v_bfe_u32 v5, v4, 5, 1
	s_mov_b32 s12, 0x80fffff
	v_add3_u32 v5, v6, v5, s12
	v_lshrrev_b32_e32 v5, 21, v5
                                        ; implicit-def: $vgpr6
; %bb.1952:
	s_andn2_saveexec_b64 s[10:11], s[10:11]
; %bb.1953:
	s_mov_b32 s12, 0x43000000
	v_add_f32_e64 v5, |v6|, s12
; %bb.1954:
	s_or_b64 exec, exec, s[10:11]
                                        ; implicit-def: $vgpr7
.LBB224_1955:
	s_andn2_saveexec_b64 s[6:7], s[6:7]
; %bb.1956:
	s_mov_b32 s10, 0x7f800000
	v_mov_b32_e32 v5, 0x7c
	v_mov_b32_e32 v6, 0x7f
	v_cmp_lt_u32_e32 vcc, s10, v7
	v_cndmask_b32_e32 v5, v5, v6, vcc
; %bb.1957:
	s_or_b64 exec, exec, s[6:7]
	v_lshrrev_b32_e32 v4, 8, v4
	s_movk_i32 s6, 0x80
	v_and_or_b32 v4, v4, s6, v5
	global_store_byte v[1:2], v4, off
.LBB224_1958:
	s_mov_b64 s[6:7], 0
	s_mov_b64 s[10:11], -1
.LBB224_1959:
	s_andn2_b64 vcc, exec, s[6:7]
	s_mov_b64 s[6:7], 0
	s_cbranch_vccnz .LBB224_1966
; %bb.1960:
	s_cmp_gt_i32 s17, 14
	s_mov_b64 s[12:13], -1
	s_cbranch_scc0 .LBB224_1964
; %bb.1961:
	s_cmp_eq_u32 s17, 15
	s_mov_b64 s[2:3], -1
	s_cbranch_scc0 .LBB224_1963
; %bb.1962:
	global_store_short v[1:2], v3, off
	s_mov_b64 s[2:3], 0
	s_mov_b64 s[10:11], -1
.LBB224_1963:
	s_mov_b64 s[12:13], 0
.LBB224_1964:
	s_and_b64 vcc, exec, s[12:13]
	s_cbranch_vccz .LBB224_1966
; %bb.1965:
	s_cmp_lg_u32 s17, 11
	s_mov_b64 s[6:7], -1
	s_cselect_b64 s[2:3], -1, 0
.LBB224_1966:
	s_and_b64 vcc, exec, s[2:3]
	s_cbranch_vccnz .LBB224_2146
; %bb.1967:
	s_andn2_b64 vcc, exec, s[6:7]
	s_cbranch_vccnz .LBB224_1969
.LBB224_1968:
	v_and_b32_e32 v4, 0x7fff, v3
	v_cmp_ne_u16_e32 vcc, 0, v4
	v_cndmask_b32_e64 v4, 0, 1, vcc
	s_mov_b64 s[10:11], -1
	global_store_byte v[1:2], v4, off
.LBB224_1969:
	s_mov_b64 s[2:3], 0
	s_branch .LBB224_1971
.LBB224_1970:
	s_mov_b64 s[2:3], -1
	s_mov_b64 s[10:11], 0
.LBB224_1971:
	s_and_b64 vcc, exec, s[2:3]
	s_cbranch_vccz .LBB224_2010
; %bb.1972:
	s_and_b32 s6, 0xffff, s16
	s_cmp_lt_i32 s6, 5
	s_mov_b64 s[2:3], -1
	s_cbranch_scc1 .LBB224_1993
; %bb.1973:
	s_cmp_lt_i32 s6, 8
	s_cbranch_scc1 .LBB224_1983
; %bb.1974:
	s_cmp_lt_i32 s6, 9
	s_cbranch_scc1 .LBB224_1980
; %bb.1975:
	s_cmp_gt_i32 s6, 9
	s_cbranch_scc0 .LBB224_1977
; %bb.1976:
	v_lshlrev_b32_e32 v4, 16, v3
	v_cvt_f64_f32_e32 v[4:5], v4
	v_mov_b32_e32 v6, 0
	v_mov_b32_e32 v7, v6
	s_mov_b64 s[2:3], 0
	global_store_dwordx4 v[1:2], v[4:7], off
.LBB224_1977:
	s_andn2_b64 vcc, exec, s[2:3]
	s_cbranch_vccnz .LBB224_1979
; %bb.1978:
	v_lshlrev_b32_e32 v4, 16, v3
	v_mov_b32_e32 v5, 0
	global_store_dwordx2 v[1:2], v[4:5], off
.LBB224_1979:
	s_mov_b64 s[2:3], 0
.LBB224_1980:
	s_andn2_b64 vcc, exec, s[2:3]
	s_cbranch_vccnz .LBB224_1982
; %bb.1981:
	v_lshlrev_b32_e32 v4, 16, v3
	v_cvt_f16_f32_e32 v4, v4
	global_store_dword v[1:2], v4, off
.LBB224_1982:
	s_mov_b64 s[2:3], 0
.LBB224_1983:
	s_andn2_b64 vcc, exec, s[2:3]
	s_cbranch_vccnz .LBB224_1992
; %bb.1984:
	s_cmp_lt_i32 s6, 6
	s_mov_b64 s[2:3], -1
	s_cbranch_scc1 .LBB224_1990
; %bb.1985:
	s_cmp_gt_i32 s6, 6
	s_cbranch_scc0 .LBB224_1987
; %bb.1986:
	v_lshlrev_b32_e32 v4, 16, v3
	v_cvt_f64_f32_e32 v[4:5], v4
	s_mov_b64 s[2:3], 0
	global_store_dwordx2 v[1:2], v[4:5], off
.LBB224_1987:
	s_andn2_b64 vcc, exec, s[2:3]
	s_cbranch_vccnz .LBB224_1989
; %bb.1988:
	v_lshlrev_b32_e32 v4, 16, v3
	global_store_dword v[1:2], v4, off
.LBB224_1989:
	s_mov_b64 s[2:3], 0
.LBB224_1990:
	s_andn2_b64 vcc, exec, s[2:3]
	s_cbranch_vccnz .LBB224_1992
; %bb.1991:
	v_lshlrev_b32_e32 v4, 16, v3
	v_cvt_f16_f32_e32 v4, v4
	global_store_short v[1:2], v4, off
.LBB224_1992:
	s_mov_b64 s[2:3], 0
.LBB224_1993:
	s_andn2_b64 vcc, exec, s[2:3]
	s_cbranch_vccnz .LBB224_2009
; %bb.1994:
	s_cmp_lt_i32 s6, 2
	s_mov_b64 s[2:3], -1
	s_cbranch_scc1 .LBB224_2004
; %bb.1995:
	s_cmp_lt_i32 s6, 3
	s_cbranch_scc1 .LBB224_2001
; %bb.1996:
	s_cmp_gt_i32 s6, 3
	s_cbranch_scc0 .LBB224_1998
; %bb.1997:
	v_lshlrev_b32_e32 v4, 16, v3
	v_trunc_f32_e32 v4, v4
	s_mov_b32 s2, 0x2f800000
	v_mul_f32_e64 v5, |v4|, s2
	v_floor_f32_e32 v5, v5
	s_mov_b32 s2, 0xcf800000
	v_cvt_u32_f32_e32 v6, v5
	v_fma_f32 v5, v5, s2, |v4|
	v_cvt_u32_f32_e32 v5, v5
	v_ashrrev_i32_e32 v7, 31, v4
	v_xor_b32_e32 v6, v6, v7
	s_mov_b64 s[2:3], 0
	v_xor_b32_e32 v4, v5, v7
	v_sub_co_u32_e32 v4, vcc, v4, v7
	v_subb_co_u32_e32 v5, vcc, v6, v7, vcc
	global_store_dwordx2 v[1:2], v[4:5], off
.LBB224_1998:
	s_andn2_b64 vcc, exec, s[2:3]
	s_cbranch_vccnz .LBB224_2000
; %bb.1999:
	v_lshlrev_b32_e32 v4, 16, v3
	v_cvt_i32_f32_e32 v4, v4
	global_store_dword v[1:2], v4, off
.LBB224_2000:
	s_mov_b64 s[2:3], 0
.LBB224_2001:
	s_andn2_b64 vcc, exec, s[2:3]
	s_cbranch_vccnz .LBB224_2003
; %bb.2002:
	v_lshlrev_b32_e32 v4, 16, v3
	v_cvt_i32_f32_e32 v4, v4
	global_store_short v[1:2], v4, off
.LBB224_2003:
	s_mov_b64 s[2:3], 0
.LBB224_2004:
	s_andn2_b64 vcc, exec, s[2:3]
	s_cbranch_vccnz .LBB224_2009
; %bb.2005:
	s_cmp_gt_i32 s6, 0
	s_mov_b64 s[2:3], -1
	s_cbranch_scc0 .LBB224_2007
; %bb.2006:
	v_lshlrev_b32_e32 v4, 16, v3
	v_cvt_i32_f32_e32 v4, v4
	s_mov_b64 s[2:3], 0
	global_store_byte v[1:2], v4, off
.LBB224_2007:
	s_andn2_b64 vcc, exec, s[2:3]
	s_cbranch_vccnz .LBB224_2009
; %bb.2008:
	v_lshlrev_b32_e32 v3, 16, v3
	v_trunc_f32_e32 v3, v3
	s_mov_b32 s2, 0x2f800000
	v_mul_f32_e64 v4, |v3|, s2
	v_floor_f32_e32 v4, v4
	s_mov_b32 s2, 0xcf800000
	v_fma_f32 v4, v4, s2, |v3|
	v_cvt_u32_f32_e32 v4, v4
	v_ashrrev_i32_e32 v3, 31, v3
	v_xor_b32_e32 v4, v4, v3
	v_sub_u32_e32 v3, v4, v3
	global_store_byte v[1:2], v3, off
.LBB224_2009:
	s_mov_b64 s[10:11], -1
.LBB224_2010:
	s_andn2_b64 vcc, exec, s[10:11]
	v_readfirstlane_b32 s12, v0
	s_cbranch_vccnz .LBB224_2087
; %bb.2011:
	v_mov_b32_e32 v1, s18
	v_cndmask_b32_e64 v2, v9, v1, s[0:1]
	v_mov_b32_e32 v1, s9
	v_add_co_u32_e32 v0, vcc, s8, v0
	s_cmp_lt_i32 s16, 11
	v_addc_co_u32_e32 v1, vcc, 0, v1, vcc
	s_cbranch_scc1 .LBB224_2132
; %bb.2012:
	s_and_b32 s12, 0xffff, s16
	s_mov_b64 s[6:7], -1
	s_mov_b64 s[2:3], 0
	s_cmp_gt_i32 s12, 25
	s_mov_b64 s[0:1], 0
	s_cbranch_scc0 .LBB224_2045
; %bb.2013:
	s_cmp_gt_i32 s12, 28
	s_cbranch_scc0 .LBB224_2029
; %bb.2014:
	s_cmp_gt_i32 s12, 43
	;; [unrolled: 3-line block ×3, first 2 shown]
	s_cbranch_scc0 .LBB224_2019
; %bb.2016:
	s_cmp_eq_u32 s12, 46
	s_mov_b64 s[0:1], -1
	s_cbranch_scc0 .LBB224_2018
; %bb.2017:
	v_and_b32_e32 v3, 0xffff, v2
	global_store_dword v[0:1], v3, off
	s_mov_b64 s[0:1], 0
.LBB224_2018:
	s_mov_b64 s[6:7], 0
.LBB224_2019:
	s_and_b64 vcc, exec, s[6:7]
	s_cbranch_vccz .LBB224_2024
; %bb.2020:
	s_cmp_eq_u32 s12, 44
	s_mov_b64 s[0:1], -1
	s_cbranch_scc0 .LBB224_2024
; %bb.2021:
	v_and_b32_e32 v4, 0xffff, v2
	v_bfe_u32 v3, v4, 7, 8
	s_movk_i32 s0, 0xff
	v_cmp_ne_u32_e32 vcc, s0, v3
	v_mov_b32_e32 v5, 0xff
	s_and_saveexec_b64 s[6:7], vcc
	s_cbranch_execz .LBB224_2023
; %bb.2022:
	v_lshlrev_b32_e32 v6, 16, v4
	s_mov_b32 s0, 0x3f0000
	v_lshrrev_b32_e32 v5, 7, v4
	v_and_b32_e32 v4, 64, v4
	v_and_or_b32 v3, v6, s0, v3
	v_cmp_ne_u32_e32 vcc, 0, v4
	v_cmp_ne_u32_e64 s[0:1], 0, v3
	s_and_b64 s[0:1], vcc, s[0:1]
	v_cndmask_b32_e64 v3, 0, 1, s[0:1]
	v_add_u32_e32 v5, v5, v3
.LBB224_2023:
	s_or_b64 exec, exec, s[6:7]
	s_mov_b64 s[0:1], 0
	global_store_byte v[0:1], v5, off
.LBB224_2024:
	s_mov_b64 s[6:7], 0
.LBB224_2025:
	s_and_b64 vcc, exec, s[6:7]
	s_cbranch_vccz .LBB224_2028
; %bb.2026:
	s_cmp_eq_u32 s12, 29
	s_mov_b64 s[0:1], -1
	s_cbranch_scc0 .LBB224_2028
; %bb.2027:
	v_lshlrev_b32_e32 v3, 16, v2
	v_trunc_f32_e32 v3, v3
	v_mul_f32_e32 v4, 0x2f800000, v3
	v_floor_f32_e32 v5, v4
	v_fmac_f32_e32 v3, 0xcf800000, v5
	v_cvt_u32_f32_e32 v4, v5
	v_cvt_u32_f32_e32 v3, v3
	s_mov_b64 s[0:1], 0
	global_store_dwordx2 v[0:1], v[3:4], off
.LBB224_2028:
	s_mov_b64 s[6:7], 0
.LBB224_2029:
	s_and_b64 vcc, exec, s[6:7]
	s_cbranch_vccz .LBB224_2044
; %bb.2030:
	s_cmp_lt_i32 s12, 27
	s_mov_b64 s[6:7], -1
	s_cbranch_scc1 .LBB224_2036
; %bb.2031:
	s_cmp_gt_i32 s12, 27
	s_cbranch_scc0 .LBB224_2033
; %bb.2032:
	v_lshlrev_b32_e32 v3, 16, v2
	v_cvt_u32_f32_e32 v3, v3
	s_mov_b64 s[6:7], 0
	global_store_dword v[0:1], v3, off
.LBB224_2033:
	s_andn2_b64 vcc, exec, s[6:7]
	s_cbranch_vccnz .LBB224_2035
; %bb.2034:
	v_lshlrev_b32_e32 v3, 16, v2
	v_cvt_u32_f32_e32 v3, v3
	global_store_short v[0:1], v3, off
.LBB224_2035:
	s_mov_b64 s[6:7], 0
.LBB224_2036:
	s_andn2_b64 vcc, exec, s[6:7]
	s_cbranch_vccnz .LBB224_2044
; %bb.2037:
	v_lshlrev_b32_e32 v5, 16, v2
	v_and_b32_e32 v4, 0x7fffffff, v5
	s_mov_b32 s6, 0x43800000
	v_cmp_gt_u32_e32 vcc, s6, v4
	v_mov_b32_e32 v6, 0x80
	s_and_saveexec_b64 s[6:7], vcc
	s_cbranch_execz .LBB224_2043
; %bb.2038:
	s_mov_b32 s8, 0x3bffffff
	v_and_b32_e32 v3, 0xffff, v2
	v_cmp_lt_u32_e32 vcc, s8, v4
	s_mov_b64 s[8:9], 0
                                        ; implicit-def: $vgpr4
	s_and_saveexec_b64 s[10:11], vcc
	s_xor_b64 s[10:11], exec, s[10:11]
	s_cbranch_execz .LBB224_2149
; %bb.2039:
	v_bfe_u32 v4, v3, 4, 1
	s_mov_b32 s13, 0x487ffff
	v_add3_u32 v4, v5, v4, s13
	s_mov_b64 s[8:9], exec
	v_lshrrev_b32_e32 v4, 20, v4
                                        ; implicit-def: $vgpr5
	s_andn2_saveexec_b64 s[10:11], s[10:11]
	s_cbranch_execnz .LBB224_2150
.LBB224_2040:
	s_or_b64 exec, exec, s[10:11]
	v_mov_b32_e32 v6, 0
	s_and_saveexec_b64 s[10:11], s[8:9]
.LBB224_2041:
	v_lshrrev_b32_e32 v3, 8, v3
	s_movk_i32 s8, 0x80
	v_and_or_b32 v6, v3, s8, v4
.LBB224_2042:
	s_or_b64 exec, exec, s[10:11]
.LBB224_2043:
	s_or_b64 exec, exec, s[6:7]
	global_store_byte v[0:1], v6, off
.LBB224_2044:
	s_mov_b64 s[6:7], 0
.LBB224_2045:
	s_and_b64 vcc, exec, s[6:7]
	s_cbranch_vccz .LBB224_2085
; %bb.2046:
	s_cmp_gt_i32 s12, 22
	s_mov_b64 s[2:3], -1
	s_cbranch_scc0 .LBB224_2078
; %bb.2047:
	s_cmp_lt_i32 s12, 24
	s_cbranch_scc1 .LBB224_2067
; %bb.2048:
	s_cmp_gt_i32 s12, 24
	s_cbranch_scc0 .LBB224_2056
; %bb.2049:
	v_lshlrev_b32_e32 v5, 16, v2
	v_and_b32_e32 v4, 0x7fffffff, v5
	s_mov_b32 s2, 0x47800000
	v_cmp_gt_u32_e32 vcc, s2, v4
	v_mov_b32_e32 v6, 0x80
	s_and_saveexec_b64 s[2:3], vcc
	s_cbranch_execz .LBB224_2055
; %bb.2050:
	s_mov_b32 s6, 0x37ffffff
	v_and_b32_e32 v3, 0xffff, v2
	v_cmp_lt_u32_e32 vcc, s6, v4
	s_mov_b64 s[6:7], 0
                                        ; implicit-def: $vgpr4
	s_and_saveexec_b64 s[8:9], vcc
	s_xor_b64 s[8:9], exec, s[8:9]
	s_cbranch_execz .LBB224_2152
; %bb.2051:
	v_bfe_u32 v4, v3, 5, 1
	s_mov_b32 s10, 0x88fffff
	v_add3_u32 v4, v5, v4, s10
	s_mov_b64 s[6:7], exec
	v_lshrrev_b32_e32 v4, 21, v4
                                        ; implicit-def: $vgpr5
	s_andn2_saveexec_b64 s[8:9], s[8:9]
	s_cbranch_execnz .LBB224_2153
.LBB224_2052:
	s_or_b64 exec, exec, s[8:9]
	v_mov_b32_e32 v6, 0
	s_and_saveexec_b64 s[8:9], s[6:7]
.LBB224_2053:
	v_lshrrev_b32_e32 v3, 8, v3
	s_movk_i32 s6, 0x80
	v_and_or_b32 v6, v3, s6, v4
.LBB224_2054:
	s_or_b64 exec, exec, s[8:9]
.LBB224_2055:
	s_or_b64 exec, exec, s[2:3]
	s_mov_b64 s[2:3], 0
	global_store_byte v[0:1], v6, off
.LBB224_2056:
	s_and_b64 vcc, exec, s[2:3]
	s_cbranch_vccz .LBB224_2066
; %bb.2057:
	v_lshlrev_b32_e32 v5, 16, v2
	v_and_b32_e32 v6, 0x7fffffff, v5
	s_mov_b32 s2, 0x43f00000
	v_and_b32_e32 v3, 0xffff, v2
	v_cmp_gt_u32_e32 vcc, s2, v6
                                        ; implicit-def: $vgpr4
	s_and_saveexec_b64 s[2:3], vcc
	s_xor_b64 s[2:3], exec, s[2:3]
	s_cbranch_execz .LBB224_2063
; %bb.2058:
	s_mov_b32 s6, 0x3c7fffff
	v_cmp_lt_u32_e32 vcc, s6, v6
                                        ; implicit-def: $vgpr4
	s_and_saveexec_b64 s[6:7], vcc
	s_xor_b64 s[6:7], exec, s[6:7]
; %bb.2059:
	v_bfe_u32 v4, v3, 4, 1
	s_mov_b32 s8, 0x407ffff
	v_add3_u32 v4, v5, v4, s8
	v_lshrrev_b32_e32 v5, 20, v4
	v_and_b32_e32 v4, 0xff00000, v4
	s_mov_b32 s8, 0x7f00000
	v_mov_b32_e32 v6, 0x7e
	v_cmp_ne_u32_e32 vcc, s8, v4
	v_cndmask_b32_e32 v4, v6, v5, vcc
                                        ; implicit-def: $vgpr5
; %bb.2060:
	s_andn2_saveexec_b64 s[6:7], s[6:7]
; %bb.2061:
	s_mov_b32 s8, 0x46800000
	v_add_f32_e64 v4, |v5|, s8
; %bb.2062:
	s_or_b64 exec, exec, s[6:7]
                                        ; implicit-def: $vgpr6
.LBB224_2063:
	s_andn2_saveexec_b64 s[2:3], s[2:3]
; %bb.2064:
	s_mov_b32 s6, 0x7f800000
	v_mov_b32_e32 v4, 0x7e
	v_mov_b32_e32 v5, 0x7f
	v_cmp_lt_u32_e32 vcc, s6, v6
	v_cndmask_b32_e32 v4, v4, v5, vcc
; %bb.2065:
	s_or_b64 exec, exec, s[2:3]
	v_lshrrev_b32_e32 v3, 8, v3
	s_movk_i32 s2, 0x80
	v_and_or_b32 v3, v3, s2, v4
	global_store_byte v[0:1], v3, off
.LBB224_2066:
	s_mov_b64 s[2:3], 0
.LBB224_2067:
	s_andn2_b64 vcc, exec, s[2:3]
	s_cbranch_vccnz .LBB224_2077
; %bb.2068:
	v_lshlrev_b32_e32 v5, 16, v2
	v_and_b32_e32 v6, 0x7fffffff, v5
	s_mov_b32 s2, 0x47800000
	v_and_b32_e32 v3, 0xffff, v2
	v_cmp_gt_u32_e32 vcc, s2, v6
                                        ; implicit-def: $vgpr4
	s_and_saveexec_b64 s[2:3], vcc
	s_xor_b64 s[2:3], exec, s[2:3]
	s_cbranch_execz .LBB224_2074
; %bb.2069:
	s_mov_b32 s6, 0x387fffff
	v_cmp_lt_u32_e32 vcc, s6, v6
                                        ; implicit-def: $vgpr4
	s_and_saveexec_b64 s[6:7], vcc
	s_xor_b64 s[6:7], exec, s[6:7]
; %bb.2070:
	v_bfe_u32 v4, v3, 5, 1
	s_mov_b32 s8, 0x80fffff
	v_add3_u32 v4, v5, v4, s8
	v_lshrrev_b32_e32 v4, 21, v4
                                        ; implicit-def: $vgpr5
; %bb.2071:
	s_andn2_saveexec_b64 s[6:7], s[6:7]
; %bb.2072:
	s_mov_b32 s8, 0x43000000
	v_add_f32_e64 v4, |v5|, s8
; %bb.2073:
	s_or_b64 exec, exec, s[6:7]
                                        ; implicit-def: $vgpr6
.LBB224_2074:
	s_andn2_saveexec_b64 s[2:3], s[2:3]
; %bb.2075:
	s_mov_b32 s6, 0x7f800000
	v_mov_b32_e32 v4, 0x7c
	v_mov_b32_e32 v5, 0x7f
	v_cmp_lt_u32_e32 vcc, s6, v6
	v_cndmask_b32_e32 v4, v4, v5, vcc
; %bb.2076:
	s_or_b64 exec, exec, s[2:3]
	v_lshrrev_b32_e32 v3, 8, v3
	s_movk_i32 s2, 0x80
	v_and_or_b32 v3, v3, s2, v4
	global_store_byte v[0:1], v3, off
.LBB224_2077:
	s_mov_b64 s[2:3], 0
.LBB224_2078:
	s_andn2_b64 vcc, exec, s[2:3]
	s_mov_b64 s[2:3], 0
	s_cbranch_vccnz .LBB224_2085
; %bb.2079:
	s_cmp_gt_i32 s12, 14
	s_mov_b64 s[6:7], -1
	s_cbranch_scc0 .LBB224_2083
; %bb.2080:
	s_cmp_eq_u32 s12, 15
	s_mov_b64 s[0:1], -1
	s_cbranch_scc0 .LBB224_2082
; %bb.2081:
	global_store_short v[0:1], v2, off
	s_mov_b64 s[0:1], 0
.LBB224_2082:
	s_mov_b64 s[6:7], 0
.LBB224_2083:
	s_and_b64 vcc, exec, s[6:7]
	s_cbranch_vccz .LBB224_2085
; %bb.2084:
	s_cmp_lg_u32 s12, 11
	s_mov_b64 s[2:3], -1
	s_cselect_b64 s[0:1], -1, 0
.LBB224_2085:
	s_and_b64 vcc, exec, s[0:1]
	s_cbranch_vccnz .LBB224_2151
.LBB224_2086:
	s_mov_b64 s[0:1], 0
	s_mov_b32 s12, s16
	s_branch .LBB224_2088
.LBB224_2087:
	s_mov_b64 s[0:1], 0
	s_mov_b64 s[2:3], 0
                                        ; implicit-def: $vgpr0_vgpr1
                                        ; implicit-def: $vgpr2
.LBB224_2088:
	s_and_b64 s[6:7], s[2:3], exec
	s_andn2_b64 s[2:3], s[28:29], exec
	s_and_b64 s[4:5], s[4:5], exec
	s_and_b64 s[0:1], s[0:1], exec
	s_or_b64 s[28:29], s[2:3], s[4:5]
.LBB224_2089:
	s_or_b64 exec, exec, s[30:31]
	s_and_saveexec_b64 s[2:3], s[28:29]
	s_cbranch_execz .LBB224_2092
; %bb.2090:
	; divergent unreachable
	s_or_b64 exec, exec, s[2:3]
	s_and_saveexec_b64 s[2:3], s[6:7]
	s_xor_b64 s[2:3], exec, s[2:3]
	s_cbranch_execnz .LBB224_2093
.LBB224_2091:
	s_or_b64 exec, exec, s[2:3]
	s_and_saveexec_b64 s[2:3], s[0:1]
	s_cbranch_execnz .LBB224_2094
	s_branch .LBB224_2131
.LBB224_2092:
	s_or_b64 exec, exec, s[2:3]
	s_and_saveexec_b64 s[2:3], s[6:7]
	s_xor_b64 s[2:3], exec, s[2:3]
	s_cbranch_execz .LBB224_2091
.LBB224_2093:
	s_waitcnt vmcnt(0)
	v_and_b32_e32 v3, 0x7fff, v2
	v_cmp_ne_u16_e32 vcc, 0, v3
	v_cndmask_b32_e64 v3, 0, 1, vcc
	global_store_byte v[0:1], v3, off
	s_or_b64 exec, exec, s[2:3]
	s_and_saveexec_b64 s[2:3], s[0:1]
	s_cbranch_execz .LBB224_2131
.LBB224_2094:
	s_sext_i32_i16 s2, s12
	s_cmp_lt_i32 s2, 5
	s_mov_b64 s[0:1], -1
	s_cbranch_scc1 .LBB224_2115
; %bb.2095:
	s_cmp_lt_i32 s2, 8
	s_cbranch_scc1 .LBB224_2105
; %bb.2096:
	s_cmp_lt_i32 s2, 9
	s_cbranch_scc1 .LBB224_2102
; %bb.2097:
	s_cmp_gt_i32 s2, 9
	s_cbranch_scc0 .LBB224_2099
; %bb.2098:
	s_waitcnt vmcnt(0)
	v_lshlrev_b32_e32 v3, 16, v2
	v_cvt_f64_f32_e32 v[3:4], v3
	v_mov_b32_e32 v5, 0
	v_mov_b32_e32 v6, v5
	s_mov_b64 s[0:1], 0
	global_store_dwordx4 v[0:1], v[3:6], off
.LBB224_2099:
	s_andn2_b64 vcc, exec, s[0:1]
	s_cbranch_vccnz .LBB224_2101
; %bb.2100:
	s_waitcnt vmcnt(0)
	v_lshlrev_b32_e32 v3, 16, v2
	v_mov_b32_e32 v4, 0
	global_store_dwordx2 v[0:1], v[3:4], off
.LBB224_2101:
	s_mov_b64 s[0:1], 0
.LBB224_2102:
	s_andn2_b64 vcc, exec, s[0:1]
	s_cbranch_vccnz .LBB224_2104
; %bb.2103:
	s_waitcnt vmcnt(0)
	v_lshlrev_b32_e32 v3, 16, v2
	v_cvt_f16_f32_e32 v3, v3
	global_store_dword v[0:1], v3, off
.LBB224_2104:
	s_mov_b64 s[0:1], 0
.LBB224_2105:
	s_andn2_b64 vcc, exec, s[0:1]
	s_cbranch_vccnz .LBB224_2114
; %bb.2106:
	s_sext_i32_i16 s2, s12
	s_cmp_lt_i32 s2, 6
	s_mov_b64 s[0:1], -1
	s_cbranch_scc1 .LBB224_2112
; %bb.2107:
	s_cmp_gt_i32 s2, 6
	s_cbranch_scc0 .LBB224_2109
; %bb.2108:
	s_waitcnt vmcnt(0)
	v_lshlrev_b32_e32 v3, 16, v2
	v_cvt_f64_f32_e32 v[3:4], v3
	s_mov_b64 s[0:1], 0
	global_store_dwordx2 v[0:1], v[3:4], off
.LBB224_2109:
	s_andn2_b64 vcc, exec, s[0:1]
	s_cbranch_vccnz .LBB224_2111
; %bb.2110:
	s_waitcnt vmcnt(0)
	v_lshlrev_b32_e32 v3, 16, v2
	global_store_dword v[0:1], v3, off
.LBB224_2111:
	s_mov_b64 s[0:1], 0
.LBB224_2112:
	s_andn2_b64 vcc, exec, s[0:1]
	s_cbranch_vccnz .LBB224_2114
; %bb.2113:
	s_waitcnt vmcnt(0)
	v_lshlrev_b32_e32 v3, 16, v2
	v_cvt_f16_f32_e32 v3, v3
	global_store_short v[0:1], v3, off
.LBB224_2114:
	s_mov_b64 s[0:1], 0
.LBB224_2115:
	s_andn2_b64 vcc, exec, s[0:1]
	s_cbranch_vccnz .LBB224_2131
; %bb.2116:
	s_sext_i32_i16 s2, s12
	s_cmp_lt_i32 s2, 2
	s_mov_b64 s[0:1], -1
	s_cbranch_scc1 .LBB224_2126
; %bb.2117:
	s_cmp_lt_i32 s2, 3
	s_cbranch_scc1 .LBB224_2123
; %bb.2118:
	s_cmp_gt_i32 s2, 3
	s_cbranch_scc0 .LBB224_2120
; %bb.2119:
	s_waitcnt vmcnt(0)
	v_lshlrev_b32_e32 v3, 16, v2
	v_trunc_f32_e32 v3, v3
	s_mov_b32 s0, 0x2f800000
	v_mul_f32_e64 v4, |v3|, s0
	v_floor_f32_e32 v4, v4
	s_mov_b32 s0, 0xcf800000
	v_cvt_u32_f32_e32 v5, v4
	v_fma_f32 v4, v4, s0, |v3|
	v_cvt_u32_f32_e32 v4, v4
	v_ashrrev_i32_e32 v6, 31, v3
	v_xor_b32_e32 v5, v5, v6
	s_mov_b64 s[0:1], 0
	v_xor_b32_e32 v3, v4, v6
	v_sub_co_u32_e32 v3, vcc, v3, v6
	v_subb_co_u32_e32 v4, vcc, v5, v6, vcc
	global_store_dwordx2 v[0:1], v[3:4], off
.LBB224_2120:
	s_andn2_b64 vcc, exec, s[0:1]
	s_cbranch_vccnz .LBB224_2122
; %bb.2121:
	s_waitcnt vmcnt(0)
	v_lshlrev_b32_e32 v3, 16, v2
	v_cvt_i32_f32_e32 v3, v3
	global_store_dword v[0:1], v3, off
.LBB224_2122:
	s_mov_b64 s[0:1], 0
.LBB224_2123:
	s_andn2_b64 vcc, exec, s[0:1]
	s_cbranch_vccnz .LBB224_2125
; %bb.2124:
	s_waitcnt vmcnt(0)
	v_lshlrev_b32_e32 v3, 16, v2
	v_cvt_i32_f32_e32 v3, v3
	global_store_short v[0:1], v3, off
.LBB224_2125:
	s_mov_b64 s[0:1], 0
.LBB224_2126:
	s_andn2_b64 vcc, exec, s[0:1]
	s_cbranch_vccnz .LBB224_2131
; %bb.2127:
	s_sext_i32_i16 s0, s12
	s_cmp_gt_i32 s0, 0
	s_mov_b64 s[0:1], -1
	s_cbranch_scc0 .LBB224_2129
; %bb.2128:
	s_waitcnt vmcnt(0)
	v_lshlrev_b32_e32 v3, 16, v2
	v_cvt_i32_f32_e32 v3, v3
	s_mov_b64 s[0:1], 0
	global_store_byte v[0:1], v3, off
.LBB224_2129:
	s_andn2_b64 vcc, exec, s[0:1]
	s_cbranch_vccnz .LBB224_2131
; %bb.2130:
	v_lshlrev_b32_e32 v2, 16, v2
	v_trunc_f32_e32 v2, v2
	s_mov_b32 s0, 0x2f800000
	s_waitcnt vmcnt(0)
	v_mul_f32_e64 v3, |v2|, s0
	v_floor_f32_e32 v3, v3
	s_mov_b32 s0, 0xcf800000
	v_fma_f32 v3, v3, s0, |v2|
	v_cvt_u32_f32_e32 v3, v3
	v_ashrrev_i32_e32 v2, 31, v2
	v_xor_b32_e32 v3, v3, v2
	v_sub_u32_e32 v2, v3, v2
	global_store_byte v[0:1], v2, off
	s_endpgm
.LBB224_2131:
	s_endpgm
.LBB224_2132:
	s_mov_b64 s[2:3], 0
	s_mov_b64 s[0:1], -1
	s_mov_b32 s12, s16
	s_branch .LBB224_2088
.LBB224_2133:
	s_trap 2
	s_or_b64 s[4:5], s[4:5], exec
	s_cbranch_execz .LBB224_1602
	s_branch .LBB224_1603
.LBB224_2134:
	s_andn2_saveexec_b64 s[16:17], s[16:17]
	s_cbranch_execz .LBB224_1682
.LBB224_2135:
	s_mov_b32 s20, 0x46000000
	v_add_f32_e64 v8, |v11|, s20
	v_and_b32_e32 v8, 0xff, v8
	v_cmp_ne_u32_e32 vcc, 0, v8
	s_andn2_b64 s[14:15], s[14:15], exec
	s_and_b64 s[20:21], vcc, exec
	s_or_b64 s[14:15], s[14:15], s[20:21]
	s_or_b64 exec, exec, s[16:17]
	v_mov_b32_e32 v12, 0
	s_and_saveexec_b64 s[16:17], s[14:15]
	s_cbranch_execnz .LBB224_1683
	s_branch .LBB224_1684
.LBB224_2136:
	s_trap 2
	s_or_b64 s[4:5], s[4:5], exec
	s_cbranch_execz .LBB224_1730
	s_branch .LBB224_1731
.LBB224_2137:
	s_andn2_saveexec_b64 s[14:15], s[14:15]
	s_cbranch_execz .LBB224_1695
.LBB224_2138:
	s_mov_b32 s16, 0x42800000
	v_add_f32_e64 v8, |v11|, s16
	v_and_b32_e32 v8, 0xff, v8
	v_cmp_ne_u32_e32 vcc, 0, v8
	s_andn2_b64 s[12:13], s[12:13], exec
	s_and_b64 s[16:17], vcc, exec
	s_or_b64 s[12:13], s[12:13], s[16:17]
	s_or_b64 exec, exec, s[14:15]
	v_mov_b32_e32 v12, 0
	s_and_saveexec_b64 s[14:15], s[12:13]
	s_cbranch_execnz .LBB224_1696
	s_branch .LBB224_1697
.LBB224_2139:
	s_andn2_saveexec_b64 s[14:15], s[14:15]
	s_cbranch_execz .LBB224_1801
.LBB224_2140:
	s_mov_b32 s19, 0x46000000
	v_add_f32_e64 v6, |v7|, s19
	v_and_b32_e32 v6, 0xff, v6
	v_cmp_ne_u32_e32 vcc, 0, v6
	s_andn2_b64 s[12:13], s[12:13], exec
	s_and_b64 s[20:21], vcc, exec
	s_or_b64 s[12:13], s[12:13], s[20:21]
	s_or_b64 exec, exec, s[14:15]
	v_mov_b32_e32 v8, 0
	s_and_saveexec_b64 s[14:15], s[12:13]
	s_cbranch_execnz .LBB224_1802
	s_branch .LBB224_1803
.LBB224_2141:
	s_trap 2
	s_or_b64 s[4:5], s[4:5], exec
	s_cbranch_execz .LBB224_1849
	s_branch .LBB224_1850
.LBB224_2142:
	s_andn2_saveexec_b64 s[12:13], s[12:13]
	s_cbranch_execz .LBB224_1814
.LBB224_2143:
	s_mov_b32 s14, 0x42800000
	v_add_f32_e64 v6, |v7|, s14
	v_and_b32_e32 v6, 0xff, v6
	v_cmp_ne_u32_e32 vcc, 0, v6
	s_andn2_b64 s[10:11], s[10:11], exec
	s_and_b64 s[14:15], vcc, exec
	s_or_b64 s[10:11], s[10:11], s[14:15]
	s_or_b64 exec, exec, s[12:13]
	v_mov_b32_e32 v8, 0
	s_and_saveexec_b64 s[12:13], s[10:11]
	s_cbranch_execnz .LBB224_1815
	s_branch .LBB224_1816
.LBB224_2144:
	s_andn2_saveexec_b64 s[14:15], s[14:15]
	s_cbranch_execz .LBB224_1920
.LBB224_2145:
	s_mov_b32 s19, 0x46000000
	v_add_f32_e64 v5, |v6|, s19
	v_and_b32_e32 v5, 0xff, v5
	v_cmp_ne_u32_e32 vcc, 0, v5
	s_andn2_b64 s[12:13], s[12:13], exec
	s_and_b64 s[20:21], vcc, exec
	s_or_b64 s[12:13], s[12:13], s[20:21]
	s_or_b64 exec, exec, s[14:15]
	v_mov_b32_e32 v7, 0
	s_and_saveexec_b64 s[14:15], s[12:13]
	s_cbranch_execnz .LBB224_1921
	s_branch .LBB224_1922
.LBB224_2146:
	s_trap 2
	s_or_b64 s[4:5], s[4:5], exec
	s_cbranch_execz .LBB224_1968
	s_branch .LBB224_1969
.LBB224_2147:
	s_andn2_saveexec_b64 s[12:13], s[12:13]
	s_cbranch_execz .LBB224_1933
.LBB224_2148:
	s_mov_b32 s14, 0x42800000
	v_add_f32_e64 v5, |v6|, s14
	v_and_b32_e32 v5, 0xff, v5
	v_cmp_ne_u32_e32 vcc, 0, v5
	s_andn2_b64 s[10:11], s[10:11], exec
	s_and_b64 s[14:15], vcc, exec
	s_or_b64 s[10:11], s[10:11], s[14:15]
	s_or_b64 exec, exec, s[12:13]
	v_mov_b32_e32 v7, 0
	s_and_saveexec_b64 s[12:13], s[10:11]
	s_cbranch_execnz .LBB224_1934
	s_branch .LBB224_1935
.LBB224_2149:
	s_andn2_saveexec_b64 s[10:11], s[10:11]
	s_cbranch_execz .LBB224_2040
.LBB224_2150:
	s_mov_b32 s13, 0x46000000
	v_add_f32_e64 v4, |v5|, s13
	v_and_b32_e32 v4, 0xff, v4
	v_cmp_ne_u32_e32 vcc, 0, v4
	s_andn2_b64 s[8:9], s[8:9], exec
	s_and_b64 s[14:15], vcc, exec
	s_or_b64 s[8:9], s[8:9], s[14:15]
	s_or_b64 exec, exec, s[10:11]
	v_mov_b32_e32 v6, 0
	s_and_saveexec_b64 s[10:11], s[8:9]
	s_cbranch_execnz .LBB224_2041
	s_branch .LBB224_2042
.LBB224_2151:
	s_mov_b64 s[2:3], 0
	s_or_b64 s[4:5], s[4:5], exec
	s_trap 2
	s_branch .LBB224_2086
.LBB224_2152:
	s_andn2_saveexec_b64 s[8:9], s[8:9]
	s_cbranch_execz .LBB224_2052
.LBB224_2153:
	s_mov_b32 s10, 0x42800000
	v_add_f32_e64 v4, |v5|, s10
	v_and_b32_e32 v4, 0xff, v4
	v_cmp_ne_u32_e32 vcc, 0, v4
	s_andn2_b64 s[6:7], s[6:7], exec
	s_and_b64 s[10:11], vcc, exec
	s_or_b64 s[6:7], s[6:7], s[10:11]
	s_or_b64 exec, exec, s[8:9]
	v_mov_b32_e32 v6, 0
	s_and_saveexec_b64 s[8:9], s[6:7]
	s_cbranch_execnz .LBB224_2053
	s_branch .LBB224_2054
	.section	.rodata,"a",@progbits
	.p2align	6, 0x0
	.amdhsa_kernel _ZN2at6native32elementwise_kernel_manual_unrollILi128ELi4EZNS0_15gpu_kernel_implINS0_13AUnaryFunctorIN3c108BFloat16ES5_S5_ZNS0_12_GLOBAL__N_121threshold_kernel_implIS5_EEvRNS_18TensorIteratorBaseET_SA_EUlS5_S5_E_EEEEvS9_RKSA_EUlibE0_EEviT1_
		.amdhsa_group_segment_fixed_size 0
		.amdhsa_private_segment_fixed_size 0
		.amdhsa_kernarg_size 360
		.amdhsa_user_sgpr_count 6
		.amdhsa_user_sgpr_private_segment_buffer 1
		.amdhsa_user_sgpr_dispatch_ptr 0
		.amdhsa_user_sgpr_queue_ptr 0
		.amdhsa_user_sgpr_kernarg_segment_ptr 1
		.amdhsa_user_sgpr_dispatch_id 0
		.amdhsa_user_sgpr_flat_scratch_init 0
		.amdhsa_user_sgpr_private_segment_size 0
		.amdhsa_uses_dynamic_stack 0
		.amdhsa_system_sgpr_private_segment_wavefront_offset 0
		.amdhsa_system_sgpr_workgroup_id_x 1
		.amdhsa_system_sgpr_workgroup_id_y 0
		.amdhsa_system_sgpr_workgroup_id_z 0
		.amdhsa_system_sgpr_workgroup_info 0
		.amdhsa_system_vgpr_workitem_id 0
		.amdhsa_next_free_vgpr 18
		.amdhsa_next_free_sgpr 81
		.amdhsa_reserve_vcc 1
		.amdhsa_reserve_flat_scratch 0
		.amdhsa_float_round_mode_32 0
		.amdhsa_float_round_mode_16_64 0
		.amdhsa_float_denorm_mode_32 3
		.amdhsa_float_denorm_mode_16_64 3
		.amdhsa_dx10_clamp 1
		.amdhsa_ieee_mode 1
		.amdhsa_fp16_overflow 0
		.amdhsa_exception_fp_ieee_invalid_op 0
		.amdhsa_exception_fp_denorm_src 0
		.amdhsa_exception_fp_ieee_div_zero 0
		.amdhsa_exception_fp_ieee_overflow 0
		.amdhsa_exception_fp_ieee_underflow 0
		.amdhsa_exception_fp_ieee_inexact 0
		.amdhsa_exception_int_div_zero 0
	.end_amdhsa_kernel
	.section	.text._ZN2at6native32elementwise_kernel_manual_unrollILi128ELi4EZNS0_15gpu_kernel_implINS0_13AUnaryFunctorIN3c108BFloat16ES5_S5_ZNS0_12_GLOBAL__N_121threshold_kernel_implIS5_EEvRNS_18TensorIteratorBaseET_SA_EUlS5_S5_E_EEEEvS9_RKSA_EUlibE0_EEviT1_,"axG",@progbits,_ZN2at6native32elementwise_kernel_manual_unrollILi128ELi4EZNS0_15gpu_kernel_implINS0_13AUnaryFunctorIN3c108BFloat16ES5_S5_ZNS0_12_GLOBAL__N_121threshold_kernel_implIS5_EEvRNS_18TensorIteratorBaseET_SA_EUlS5_S5_E_EEEEvS9_RKSA_EUlibE0_EEviT1_,comdat
.Lfunc_end224:
	.size	_ZN2at6native32elementwise_kernel_manual_unrollILi128ELi4EZNS0_15gpu_kernel_implINS0_13AUnaryFunctorIN3c108BFloat16ES5_S5_ZNS0_12_GLOBAL__N_121threshold_kernel_implIS5_EEvRNS_18TensorIteratorBaseET_SA_EUlS5_S5_E_EEEEvS9_RKSA_EUlibE0_EEviT1_, .Lfunc_end224-_ZN2at6native32elementwise_kernel_manual_unrollILi128ELi4EZNS0_15gpu_kernel_implINS0_13AUnaryFunctorIN3c108BFloat16ES5_S5_ZNS0_12_GLOBAL__N_121threshold_kernel_implIS5_EEvRNS_18TensorIteratorBaseET_SA_EUlS5_S5_E_EEEEvS9_RKSA_EUlibE0_EEviT1_
                                        ; -- End function
	.set _ZN2at6native32elementwise_kernel_manual_unrollILi128ELi4EZNS0_15gpu_kernel_implINS0_13AUnaryFunctorIN3c108BFloat16ES5_S5_ZNS0_12_GLOBAL__N_121threshold_kernel_implIS5_EEvRNS_18TensorIteratorBaseET_SA_EUlS5_S5_E_EEEEvS9_RKSA_EUlibE0_EEviT1_.num_vgpr, 18
	.set _ZN2at6native32elementwise_kernel_manual_unrollILi128ELi4EZNS0_15gpu_kernel_implINS0_13AUnaryFunctorIN3c108BFloat16ES5_S5_ZNS0_12_GLOBAL__N_121threshold_kernel_implIS5_EEvRNS_18TensorIteratorBaseET_SA_EUlS5_S5_E_EEEEvS9_RKSA_EUlibE0_EEviT1_.num_agpr, 0
	.set _ZN2at6native32elementwise_kernel_manual_unrollILi128ELi4EZNS0_15gpu_kernel_implINS0_13AUnaryFunctorIN3c108BFloat16ES5_S5_ZNS0_12_GLOBAL__N_121threshold_kernel_implIS5_EEvRNS_18TensorIteratorBaseET_SA_EUlS5_S5_E_EEEEvS9_RKSA_EUlibE0_EEviT1_.numbered_sgpr, 81
	.set _ZN2at6native32elementwise_kernel_manual_unrollILi128ELi4EZNS0_15gpu_kernel_implINS0_13AUnaryFunctorIN3c108BFloat16ES5_S5_ZNS0_12_GLOBAL__N_121threshold_kernel_implIS5_EEvRNS_18TensorIteratorBaseET_SA_EUlS5_S5_E_EEEEvS9_RKSA_EUlibE0_EEviT1_.num_named_barrier, 0
	.set _ZN2at6native32elementwise_kernel_manual_unrollILi128ELi4EZNS0_15gpu_kernel_implINS0_13AUnaryFunctorIN3c108BFloat16ES5_S5_ZNS0_12_GLOBAL__N_121threshold_kernel_implIS5_EEvRNS_18TensorIteratorBaseET_SA_EUlS5_S5_E_EEEEvS9_RKSA_EUlibE0_EEviT1_.private_seg_size, 0
	.set _ZN2at6native32elementwise_kernel_manual_unrollILi128ELi4EZNS0_15gpu_kernel_implINS0_13AUnaryFunctorIN3c108BFloat16ES5_S5_ZNS0_12_GLOBAL__N_121threshold_kernel_implIS5_EEvRNS_18TensorIteratorBaseET_SA_EUlS5_S5_E_EEEEvS9_RKSA_EUlibE0_EEviT1_.uses_vcc, 1
	.set _ZN2at6native32elementwise_kernel_manual_unrollILi128ELi4EZNS0_15gpu_kernel_implINS0_13AUnaryFunctorIN3c108BFloat16ES5_S5_ZNS0_12_GLOBAL__N_121threshold_kernel_implIS5_EEvRNS_18TensorIteratorBaseET_SA_EUlS5_S5_E_EEEEvS9_RKSA_EUlibE0_EEviT1_.uses_flat_scratch, 0
	.set _ZN2at6native32elementwise_kernel_manual_unrollILi128ELi4EZNS0_15gpu_kernel_implINS0_13AUnaryFunctorIN3c108BFloat16ES5_S5_ZNS0_12_GLOBAL__N_121threshold_kernel_implIS5_EEvRNS_18TensorIteratorBaseET_SA_EUlS5_S5_E_EEEEvS9_RKSA_EUlibE0_EEviT1_.has_dyn_sized_stack, 0
	.set _ZN2at6native32elementwise_kernel_manual_unrollILi128ELi4EZNS0_15gpu_kernel_implINS0_13AUnaryFunctorIN3c108BFloat16ES5_S5_ZNS0_12_GLOBAL__N_121threshold_kernel_implIS5_EEvRNS_18TensorIteratorBaseET_SA_EUlS5_S5_E_EEEEvS9_RKSA_EUlibE0_EEviT1_.has_recursion, 0
	.set _ZN2at6native32elementwise_kernel_manual_unrollILi128ELi4EZNS0_15gpu_kernel_implINS0_13AUnaryFunctorIN3c108BFloat16ES5_S5_ZNS0_12_GLOBAL__N_121threshold_kernel_implIS5_EEvRNS_18TensorIteratorBaseET_SA_EUlS5_S5_E_EEEEvS9_RKSA_EUlibE0_EEviT1_.has_indirect_call, 0
	.section	.AMDGPU.csdata,"",@progbits
; Kernel info:
; codeLenInByte = 43072
; TotalNumSgprs: 85
; NumVgprs: 18
; ScratchSize: 0
; MemoryBound: 0
; FloatMode: 240
; IeeeMode: 1
; LDSByteSize: 0 bytes/workgroup (compile time only)
; SGPRBlocks: 10
; VGPRBlocks: 4
; NumSGPRsForWavesPerEU: 85
; NumVGPRsForWavesPerEU: 18
; Occupancy: 9
; WaveLimiterHint : 1
; COMPUTE_PGM_RSRC2:SCRATCH_EN: 0
; COMPUTE_PGM_RSRC2:USER_SGPR: 6
; COMPUTE_PGM_RSRC2:TRAP_HANDLER: 0
; COMPUTE_PGM_RSRC2:TGID_X_EN: 1
; COMPUTE_PGM_RSRC2:TGID_Y_EN: 0
; COMPUTE_PGM_RSRC2:TGID_Z_EN: 0
; COMPUTE_PGM_RSRC2:TIDIG_COMP_CNT: 0
	.section	.text._ZN2at6native29vectorized_elementwise_kernelILi16ENS0_13BUnaryFunctorIN3c108BFloat16ES4_S4_ZNS0_12_GLOBAL__N_121threshold_kernel_implIS4_EEvRNS_18TensorIteratorBaseET_S9_EUlS4_S4_E_EESt5arrayIPcLm2EEEEviT0_T1_,"axG",@progbits,_ZN2at6native29vectorized_elementwise_kernelILi16ENS0_13BUnaryFunctorIN3c108BFloat16ES4_S4_ZNS0_12_GLOBAL__N_121threshold_kernel_implIS4_EEvRNS_18TensorIteratorBaseET_S9_EUlS4_S4_E_EESt5arrayIPcLm2EEEEviT0_T1_,comdat
	.globl	_ZN2at6native29vectorized_elementwise_kernelILi16ENS0_13BUnaryFunctorIN3c108BFloat16ES4_S4_ZNS0_12_GLOBAL__N_121threshold_kernel_implIS4_EEvRNS_18TensorIteratorBaseET_S9_EUlS4_S4_E_EESt5arrayIPcLm2EEEEviT0_T1_ ; -- Begin function _ZN2at6native29vectorized_elementwise_kernelILi16ENS0_13BUnaryFunctorIN3c108BFloat16ES4_S4_ZNS0_12_GLOBAL__N_121threshold_kernel_implIS4_EEvRNS_18TensorIteratorBaseET_S9_EUlS4_S4_E_EESt5arrayIPcLm2EEEEviT0_T1_
	.p2align	8
	.type	_ZN2at6native29vectorized_elementwise_kernelILi16ENS0_13BUnaryFunctorIN3c108BFloat16ES4_S4_ZNS0_12_GLOBAL__N_121threshold_kernel_implIS4_EEvRNS_18TensorIteratorBaseET_S9_EUlS4_S4_E_EESt5arrayIPcLm2EEEEviT0_T1_,@function
_ZN2at6native29vectorized_elementwise_kernelILi16ENS0_13BUnaryFunctorIN3c108BFloat16ES4_S4_ZNS0_12_GLOBAL__N_121threshold_kernel_implIS4_EEvRNS_18TensorIteratorBaseET_S9_EUlS4_S4_E_EESt5arrayIPcLm2EEEEviT0_T1_: ; @_ZN2at6native29vectorized_elementwise_kernelILi16ENS0_13BUnaryFunctorIN3c108BFloat16ES4_S4_ZNS0_12_GLOBAL__N_121threshold_kernel_implIS4_EEvRNS_18TensorIteratorBaseET_S9_EUlS4_S4_E_EESt5arrayIPcLm2EEEEviT0_T1_
; %bb.0:
	s_load_dwordx2 s[12:13], s[4:5], 0x0
	s_load_dword s7, s[4:5], 0x8
	s_load_dwordx4 s[8:11], s[4:5], 0x10
	s_lshl_b32 s2, s6, 11
	s_mov_b64 s[0:1], -1
	s_waitcnt lgkmcnt(0)
	s_sub_i32 s6, s12, s2
	s_cmpk_gt_i32 s6, 0x7ff
	s_cbranch_scc0 .LBB225_2
; %bb.1:
	s_ashr_i32 s3, s2, 31
	s_lshr_b32 s12, s13, 16
	s_lshl_b64 s[0:1], s[2:3], 1
	s_add_u32 s4, s10, s0
	s_addc_u32 s5, s11, s1
	v_lshlrev_b32_e32 v5, 4, v0
	global_load_dwordx4 v[1:4], v5, s[4:5]
	s_lshl_b32 s4, s13, 16
	v_mov_b32_e32 v6, s7
	v_mov_b32_e32 v7, s12
	s_mov_b32 s3, 0x5040100
	s_add_u32 s0, s8, s0
	s_addc_u32 s1, s9, s1
	s_waitcnt vmcnt(0)
	v_and_b32_e32 v8, 0xffff0000, v1
	v_lshlrev_b32_e32 v1, 16, v1
	v_cmp_ge_f32_e32 vcc, s4, v8
	v_and_b32_e32 v9, 0xffff0000, v2
	v_cndmask_b32_e32 v8, v6, v7, vcc
	v_cmp_ge_f32_e32 vcc, s4, v1
	v_lshlrev_b32_e32 v2, 16, v2
	v_cndmask_b32_e32 v1, v6, v7, vcc
	v_cmp_ge_f32_e32 vcc, s4, v9
	v_and_b32_e32 v10, 0xffff0000, v3
	v_cndmask_b32_e32 v9, v6, v7, vcc
	v_cmp_ge_f32_e32 vcc, s4, v2
	v_lshlrev_b32_e32 v3, 16, v3
	v_cndmask_b32_e32 v2, v6, v7, vcc
	;; [unrolled: 6-line block ×3, first 2 shown]
	v_cmp_ge_f32_e32 vcc, s4, v11
	v_cndmask_b32_e32 v11, v6, v7, vcc
	v_cmp_ge_f32_e32 vcc, s4, v4
	v_cndmask_b32_e32 v4, v6, v7, vcc
	v_perm_b32 v4, v11, v4, s3
	v_perm_b32 v3, v10, v3, s3
	;; [unrolled: 1-line block ×4, first 2 shown]
	global_store_dwordx4 v5, v[1:4], s[0:1]
	s_mov_b64 s[0:1], 0
.LBB225_2:
	s_andn2_b64 vcc, exec, s[0:1]
	s_cbranch_vccnz .LBB225_28
; %bb.3:
	v_cmp_gt_i32_e32 vcc, s6, v0
	v_mov_b32_e32 v3, 0
	v_or_b32_e32 v1, s2, v0
	v_mov_b32_e32 v2, 0
	v_mov_b32_e32 v10, v0
	s_and_saveexec_b64 s[4:5], vcc
	s_cbranch_execz .LBB225_5
; %bb.4:
	v_mov_b32_e32 v2, 0
	v_lshlrev_b64 v[4:5], 1, v[1:2]
	v_mov_b32_e32 v2, s11
	v_add_co_u32_e64 v4, s[0:1], s10, v4
	v_addc_co_u32_e64 v5, s[0:1], v2, v5, s[0:1]
	global_load_ushort v2, v[4:5], off
	v_or_b32_e32 v10, 0x100, v0
	s_waitcnt vmcnt(0)
	v_lshlrev_b32_e32 v2, 16, v2
.LBB225_5:
	s_or_b64 exec, exec, s[4:5]
	v_cmp_gt_i32_e64 s[0:1], s6, v10
	s_and_saveexec_b64 s[4:5], s[0:1]
	s_cbranch_execz .LBB225_7
; %bb.6:
	v_add_u32_e32 v3, s2, v10
	v_mov_b32_e32 v4, 0
	v_lshlrev_b64 v[3:4], 1, v[3:4]
	v_mov_b32_e32 v5, s11
	v_add_co_u32_e64 v3, s[0:1], s10, v3
	v_addc_co_u32_e64 v4, s[0:1], v5, v4, s[0:1]
	global_load_ushort v3, v[3:4], off
	v_add_u32_e32 v10, 0x100, v10
	s_waitcnt vmcnt(0)
	v_lshlrev_b32_e32 v3, 16, v3
.LBB225_7:
	s_or_b64 exec, exec, s[4:5]
	v_cmp_gt_i32_e64 s[0:1], s6, v10
	v_mov_b32_e32 v4, 0
	v_mov_b32_e32 v7, 0
	s_and_saveexec_b64 s[4:5], s[0:1]
	s_cbranch_execz .LBB225_9
; %bb.8:
	v_add_u32_e32 v5, s2, v10
	v_mov_b32_e32 v6, 0
	v_lshlrev_b64 v[5:6], 1, v[5:6]
	v_mov_b32_e32 v7, s11
	v_add_co_u32_e64 v5, s[0:1], s10, v5
	v_addc_co_u32_e64 v6, s[0:1], v7, v6, s[0:1]
	global_load_ushort v5, v[5:6], off
	v_add_u32_e32 v10, 0x100, v10
	s_waitcnt vmcnt(0)
	v_lshlrev_b32_e32 v7, 16, v5
.LBB225_9:
	s_or_b64 exec, exec, s[4:5]
	v_cmp_gt_i32_e64 s[0:1], s6, v10
	s_and_saveexec_b64 s[4:5], s[0:1]
	s_cbranch_execz .LBB225_11
; %bb.10:
	v_add_u32_e32 v4, s2, v10
	v_mov_b32_e32 v5, 0
	v_lshlrev_b64 v[4:5], 1, v[4:5]
	v_mov_b32_e32 v6, s11
	v_add_co_u32_e64 v4, s[0:1], s10, v4
	v_addc_co_u32_e64 v5, s[0:1], v6, v5, s[0:1]
	global_load_ushort v4, v[4:5], off
	v_add_u32_e32 v10, 0x100, v10
	s_waitcnt vmcnt(0)
	v_lshlrev_b32_e32 v4, 16, v4
.LBB225_11:
	s_or_b64 exec, exec, s[4:5]
	v_cmp_gt_i32_e64 s[0:1], s6, v10
	v_mov_b32_e32 v5, 0
	v_mov_b32_e32 v8, 0
	s_and_saveexec_b64 s[4:5], s[0:1]
	s_cbranch_execz .LBB225_13
; %bb.12:
	v_add_u32_e32 v8, s2, v10
	v_mov_b32_e32 v9, 0
	v_lshlrev_b64 v[8:9], 1, v[8:9]
	v_mov_b32_e32 v6, s11
	v_add_co_u32_e64 v8, s[0:1], s10, v8
	v_addc_co_u32_e64 v9, s[0:1], v6, v9, s[0:1]
	global_load_ushort v6, v[8:9], off
	v_add_u32_e32 v10, 0x100, v10
	s_waitcnt vmcnt(0)
	v_lshlrev_b32_e32 v8, 16, v6
.LBB225_13:
	;; [unrolled: 34-line block ×3, first 2 shown]
	s_or_b64 exec, exec, s[4:5]
	v_cmp_gt_i32_e64 s[0:1], s6, v10
	s_and_saveexec_b64 s[4:5], s[0:1]
	s_cbranch_execz .LBB225_19
; %bb.18:
	v_add_u32_e32 v10, s2, v10
	v_mov_b32_e32 v11, 0
	v_lshlrev_b64 v[10:11], 1, v[10:11]
	v_mov_b32_e32 v6, s11
	v_add_co_u32_e64 v10, s[0:1], s10, v10
	v_addc_co_u32_e64 v11, s[0:1], v6, v11, s[0:1]
	global_load_ushort v6, v[10:11], off
	s_waitcnt vmcnt(0)
	v_lshlrev_b32_e32 v6, 16, v6
.LBB225_19:
	s_or_b64 exec, exec, s[4:5]
	s_lshr_b32 s3, s13, 16
	s_lshl_b32 s4, s13, 16
	s_and_saveexec_b64 s[0:1], vcc
	s_cbranch_execnz .LBB225_29
; %bb.20:
	s_or_b64 exec, exec, s[0:1]
	v_cmp_gt_i32_e32 vcc, s6, v0
	s_and_saveexec_b64 s[0:1], vcc
	s_cbranch_execnz .LBB225_30
.LBB225_21:
	s_or_b64 exec, exec, s[0:1]
	v_cmp_gt_i32_e32 vcc, s6, v0
	s_and_saveexec_b64 s[0:1], vcc
	s_cbranch_execnz .LBB225_31
.LBB225_22:
	s_or_b64 exec, exec, s[0:1]
	v_cmp_gt_i32_e32 vcc, s6, v0
	s_and_saveexec_b64 s[0:1], vcc
	s_cbranch_execnz .LBB225_32
.LBB225_23:
	s_or_b64 exec, exec, s[0:1]
	v_cmp_gt_i32_e32 vcc, s6, v0
	s_and_saveexec_b64 s[0:1], vcc
	s_cbranch_execnz .LBB225_33
.LBB225_24:
	s_or_b64 exec, exec, s[0:1]
	v_cmp_gt_i32_e32 vcc, s6, v0
	s_and_saveexec_b64 s[0:1], vcc
	s_cbranch_execnz .LBB225_34
.LBB225_25:
	s_or_b64 exec, exec, s[0:1]
	v_cmp_gt_i32_e32 vcc, s6, v0
	s_and_saveexec_b64 s[0:1], vcc
	s_cbranch_execnz .LBB225_35
.LBB225_26:
	s_or_b64 exec, exec, s[0:1]
	v_cmp_gt_i32_e32 vcc, s6, v0
	s_and_saveexec_b64 s[0:1], vcc
	s_cbranch_execz .LBB225_28
.LBB225_27:
	v_mov_b32_e32 v1, s7
	v_mov_b32_e32 v2, s3
	v_cmp_ge_f32_e32 vcc, s4, v6
	v_cndmask_b32_e32 v2, v1, v2, vcc
	v_add_u32_e32 v0, s2, v0
	v_mov_b32_e32 v1, 0
	v_lshlrev_b64 v[0:1], 1, v[0:1]
	v_mov_b32_e32 v3, s9
	v_add_co_u32_e32 v0, vcc, s8, v0
	v_addc_co_u32_e32 v1, vcc, v3, v1, vcc
	global_store_short v[0:1], v2, off
.LBB225_28:
	s_endpgm
.LBB225_29:
	v_cmp_ge_f32_e32 vcc, s4, v2
	v_mov_b32_e32 v2, 0
	v_lshlrev_b64 v[1:2], 1, v[1:2]
	v_mov_b32_e32 v10, s7
	v_mov_b32_e32 v11, s3
	v_cndmask_b32_e32 v10, v10, v11, vcc
	v_mov_b32_e32 v11, s9
	v_add_co_u32_e32 v1, vcc, s8, v1
	v_or_b32_e32 v0, 0x100, v0
	v_addc_co_u32_e32 v2, vcc, v11, v2, vcc
	global_store_short v[1:2], v10, off
	s_or_b64 exec, exec, s[0:1]
	v_cmp_gt_i32_e32 vcc, s6, v0
	s_and_saveexec_b64 s[0:1], vcc
	s_cbranch_execz .LBB225_21
.LBB225_30:
	v_mov_b32_e32 v1, s7
	v_mov_b32_e32 v2, s3
	v_cmp_ge_f32_e32 vcc, s4, v3
	v_cndmask_b32_e32 v3, v1, v2, vcc
	v_add_u32_e32 v1, s2, v0
	v_mov_b32_e32 v2, 0
	v_lshlrev_b64 v[1:2], 1, v[1:2]
	v_mov_b32_e32 v10, s9
	v_add_co_u32_e32 v1, vcc, s8, v1
	v_addc_co_u32_e32 v2, vcc, v10, v2, vcc
	v_add_u32_e32 v0, 0x100, v0
	global_store_short v[1:2], v3, off
	s_or_b64 exec, exec, s[0:1]
	v_cmp_gt_i32_e32 vcc, s6, v0
	s_and_saveexec_b64 s[0:1], vcc
	s_cbranch_execz .LBB225_22
.LBB225_31:
	v_mov_b32_e32 v1, s7
	v_mov_b32_e32 v2, s3
	v_cmp_ge_f32_e32 vcc, s4, v7
	v_cndmask_b32_e32 v3, v1, v2, vcc
	v_add_u32_e32 v1, s2, v0
	v_mov_b32_e32 v2, 0
	v_lshlrev_b64 v[1:2], 1, v[1:2]
	v_mov_b32_e32 v7, s9
	v_add_co_u32_e32 v1, vcc, s8, v1
	v_addc_co_u32_e32 v2, vcc, v7, v2, vcc
	v_add_u32_e32 v0, 0x100, v0
	global_store_short v[1:2], v3, off
	s_or_b64 exec, exec, s[0:1]
	v_cmp_gt_i32_e32 vcc, s6, v0
	s_and_saveexec_b64 s[0:1], vcc
	s_cbranch_execz .LBB225_23
.LBB225_32:
	v_mov_b32_e32 v1, s7
	v_mov_b32_e32 v2, s3
	v_cmp_ge_f32_e32 vcc, s4, v4
	v_cndmask_b32_e32 v3, v1, v2, vcc
	v_add_u32_e32 v1, s2, v0
	v_mov_b32_e32 v2, 0
	v_lshlrev_b64 v[1:2], 1, v[1:2]
	v_mov_b32_e32 v4, s9
	v_add_co_u32_e32 v1, vcc, s8, v1
	v_addc_co_u32_e32 v2, vcc, v4, v2, vcc
	v_add_u32_e32 v0, 0x100, v0
	global_store_short v[1:2], v3, off
	s_or_b64 exec, exec, s[0:1]
	v_cmp_gt_i32_e32 vcc, s6, v0
	s_and_saveexec_b64 s[0:1], vcc
	s_cbranch_execz .LBB225_24
.LBB225_33:
	v_mov_b32_e32 v1, s7
	v_mov_b32_e32 v2, s3
	v_cmp_ge_f32_e32 vcc, s4, v8
	v_cndmask_b32_e32 v3, v1, v2, vcc
	v_add_u32_e32 v1, s2, v0
	v_mov_b32_e32 v2, 0
	v_lshlrev_b64 v[1:2], 1, v[1:2]
	v_mov_b32_e32 v4, s9
	v_add_co_u32_e32 v1, vcc, s8, v1
	v_addc_co_u32_e32 v2, vcc, v4, v2, vcc
	v_add_u32_e32 v0, 0x100, v0
	global_store_short v[1:2], v3, off
	s_or_b64 exec, exec, s[0:1]
	v_cmp_gt_i32_e32 vcc, s6, v0
	s_and_saveexec_b64 s[0:1], vcc
	s_cbranch_execz .LBB225_25
.LBB225_34:
	v_mov_b32_e32 v1, s7
	v_mov_b32_e32 v2, s3
	v_cmp_ge_f32_e32 vcc, s4, v5
	v_cndmask_b32_e32 v3, v1, v2, vcc
	v_add_u32_e32 v1, s2, v0
	v_mov_b32_e32 v2, 0
	v_lshlrev_b64 v[1:2], 1, v[1:2]
	v_mov_b32_e32 v4, s9
	v_add_co_u32_e32 v1, vcc, s8, v1
	v_addc_co_u32_e32 v2, vcc, v4, v2, vcc
	v_add_u32_e32 v0, 0x100, v0
	global_store_short v[1:2], v3, off
	s_or_b64 exec, exec, s[0:1]
	v_cmp_gt_i32_e32 vcc, s6, v0
	s_and_saveexec_b64 s[0:1], vcc
	s_cbranch_execz .LBB225_26
.LBB225_35:
	v_mov_b32_e32 v1, s7
	v_mov_b32_e32 v2, s3
	v_cmp_ge_f32_e32 vcc, s4, v9
	v_cndmask_b32_e32 v3, v1, v2, vcc
	v_add_u32_e32 v1, s2, v0
	v_mov_b32_e32 v2, 0
	v_lshlrev_b64 v[1:2], 1, v[1:2]
	v_mov_b32_e32 v4, s9
	v_add_co_u32_e32 v1, vcc, s8, v1
	v_addc_co_u32_e32 v2, vcc, v4, v2, vcc
	v_add_u32_e32 v0, 0x100, v0
	global_store_short v[1:2], v3, off
	s_or_b64 exec, exec, s[0:1]
	v_cmp_gt_i32_e32 vcc, s6, v0
	s_and_saveexec_b64 s[0:1], vcc
	s_cbranch_execnz .LBB225_27
	s_branch .LBB225_28
	.section	.rodata,"a",@progbits
	.p2align	6, 0x0
	.amdhsa_kernel _ZN2at6native29vectorized_elementwise_kernelILi16ENS0_13BUnaryFunctorIN3c108BFloat16ES4_S4_ZNS0_12_GLOBAL__N_121threshold_kernel_implIS4_EEvRNS_18TensorIteratorBaseET_S9_EUlS4_S4_E_EESt5arrayIPcLm2EEEEviT0_T1_
		.amdhsa_group_segment_fixed_size 0
		.amdhsa_private_segment_fixed_size 0
		.amdhsa_kernarg_size 32
		.amdhsa_user_sgpr_count 6
		.amdhsa_user_sgpr_private_segment_buffer 1
		.amdhsa_user_sgpr_dispatch_ptr 0
		.amdhsa_user_sgpr_queue_ptr 0
		.amdhsa_user_sgpr_kernarg_segment_ptr 1
		.amdhsa_user_sgpr_dispatch_id 0
		.amdhsa_user_sgpr_flat_scratch_init 0
		.amdhsa_user_sgpr_private_segment_size 0
		.amdhsa_uses_dynamic_stack 0
		.amdhsa_system_sgpr_private_segment_wavefront_offset 0
		.amdhsa_system_sgpr_workgroup_id_x 1
		.amdhsa_system_sgpr_workgroup_id_y 0
		.amdhsa_system_sgpr_workgroup_id_z 0
		.amdhsa_system_sgpr_workgroup_info 0
		.amdhsa_system_vgpr_workitem_id 0
		.amdhsa_next_free_vgpr 13
		.amdhsa_next_free_sgpr 14
		.amdhsa_reserve_vcc 1
		.amdhsa_reserve_flat_scratch 0
		.amdhsa_float_round_mode_32 0
		.amdhsa_float_round_mode_16_64 0
		.amdhsa_float_denorm_mode_32 3
		.amdhsa_float_denorm_mode_16_64 3
		.amdhsa_dx10_clamp 1
		.amdhsa_ieee_mode 1
		.amdhsa_fp16_overflow 0
		.amdhsa_exception_fp_ieee_invalid_op 0
		.amdhsa_exception_fp_denorm_src 0
		.amdhsa_exception_fp_ieee_div_zero 0
		.amdhsa_exception_fp_ieee_overflow 0
		.amdhsa_exception_fp_ieee_underflow 0
		.amdhsa_exception_fp_ieee_inexact 0
		.amdhsa_exception_int_div_zero 0
	.end_amdhsa_kernel
	.section	.text._ZN2at6native29vectorized_elementwise_kernelILi16ENS0_13BUnaryFunctorIN3c108BFloat16ES4_S4_ZNS0_12_GLOBAL__N_121threshold_kernel_implIS4_EEvRNS_18TensorIteratorBaseET_S9_EUlS4_S4_E_EESt5arrayIPcLm2EEEEviT0_T1_,"axG",@progbits,_ZN2at6native29vectorized_elementwise_kernelILi16ENS0_13BUnaryFunctorIN3c108BFloat16ES4_S4_ZNS0_12_GLOBAL__N_121threshold_kernel_implIS4_EEvRNS_18TensorIteratorBaseET_S9_EUlS4_S4_E_EESt5arrayIPcLm2EEEEviT0_T1_,comdat
.Lfunc_end225:
	.size	_ZN2at6native29vectorized_elementwise_kernelILi16ENS0_13BUnaryFunctorIN3c108BFloat16ES4_S4_ZNS0_12_GLOBAL__N_121threshold_kernel_implIS4_EEvRNS_18TensorIteratorBaseET_S9_EUlS4_S4_E_EESt5arrayIPcLm2EEEEviT0_T1_, .Lfunc_end225-_ZN2at6native29vectorized_elementwise_kernelILi16ENS0_13BUnaryFunctorIN3c108BFloat16ES4_S4_ZNS0_12_GLOBAL__N_121threshold_kernel_implIS4_EEvRNS_18TensorIteratorBaseET_S9_EUlS4_S4_E_EESt5arrayIPcLm2EEEEviT0_T1_
                                        ; -- End function
	.set _ZN2at6native29vectorized_elementwise_kernelILi16ENS0_13BUnaryFunctorIN3c108BFloat16ES4_S4_ZNS0_12_GLOBAL__N_121threshold_kernel_implIS4_EEvRNS_18TensorIteratorBaseET_S9_EUlS4_S4_E_EESt5arrayIPcLm2EEEEviT0_T1_.num_vgpr, 13
	.set _ZN2at6native29vectorized_elementwise_kernelILi16ENS0_13BUnaryFunctorIN3c108BFloat16ES4_S4_ZNS0_12_GLOBAL__N_121threshold_kernel_implIS4_EEvRNS_18TensorIteratorBaseET_S9_EUlS4_S4_E_EESt5arrayIPcLm2EEEEviT0_T1_.num_agpr, 0
	.set _ZN2at6native29vectorized_elementwise_kernelILi16ENS0_13BUnaryFunctorIN3c108BFloat16ES4_S4_ZNS0_12_GLOBAL__N_121threshold_kernel_implIS4_EEvRNS_18TensorIteratorBaseET_S9_EUlS4_S4_E_EESt5arrayIPcLm2EEEEviT0_T1_.numbered_sgpr, 14
	.set _ZN2at6native29vectorized_elementwise_kernelILi16ENS0_13BUnaryFunctorIN3c108BFloat16ES4_S4_ZNS0_12_GLOBAL__N_121threshold_kernel_implIS4_EEvRNS_18TensorIteratorBaseET_S9_EUlS4_S4_E_EESt5arrayIPcLm2EEEEviT0_T1_.num_named_barrier, 0
	.set _ZN2at6native29vectorized_elementwise_kernelILi16ENS0_13BUnaryFunctorIN3c108BFloat16ES4_S4_ZNS0_12_GLOBAL__N_121threshold_kernel_implIS4_EEvRNS_18TensorIteratorBaseET_S9_EUlS4_S4_E_EESt5arrayIPcLm2EEEEviT0_T1_.private_seg_size, 0
	.set _ZN2at6native29vectorized_elementwise_kernelILi16ENS0_13BUnaryFunctorIN3c108BFloat16ES4_S4_ZNS0_12_GLOBAL__N_121threshold_kernel_implIS4_EEvRNS_18TensorIteratorBaseET_S9_EUlS4_S4_E_EESt5arrayIPcLm2EEEEviT0_T1_.uses_vcc, 1
	.set _ZN2at6native29vectorized_elementwise_kernelILi16ENS0_13BUnaryFunctorIN3c108BFloat16ES4_S4_ZNS0_12_GLOBAL__N_121threshold_kernel_implIS4_EEvRNS_18TensorIteratorBaseET_S9_EUlS4_S4_E_EESt5arrayIPcLm2EEEEviT0_T1_.uses_flat_scratch, 0
	.set _ZN2at6native29vectorized_elementwise_kernelILi16ENS0_13BUnaryFunctorIN3c108BFloat16ES4_S4_ZNS0_12_GLOBAL__N_121threshold_kernel_implIS4_EEvRNS_18TensorIteratorBaseET_S9_EUlS4_S4_E_EESt5arrayIPcLm2EEEEviT0_T1_.has_dyn_sized_stack, 0
	.set _ZN2at6native29vectorized_elementwise_kernelILi16ENS0_13BUnaryFunctorIN3c108BFloat16ES4_S4_ZNS0_12_GLOBAL__N_121threshold_kernel_implIS4_EEvRNS_18TensorIteratorBaseET_S9_EUlS4_S4_E_EESt5arrayIPcLm2EEEEviT0_T1_.has_recursion, 0
	.set _ZN2at6native29vectorized_elementwise_kernelILi16ENS0_13BUnaryFunctorIN3c108BFloat16ES4_S4_ZNS0_12_GLOBAL__N_121threshold_kernel_implIS4_EEvRNS_18TensorIteratorBaseET_S9_EUlS4_S4_E_EESt5arrayIPcLm2EEEEviT0_T1_.has_indirect_call, 0
	.section	.AMDGPU.csdata,"",@progbits
; Kernel info:
; codeLenInByte = 1656
; TotalNumSgprs: 18
; NumVgprs: 13
; ScratchSize: 0
; MemoryBound: 0
; FloatMode: 240
; IeeeMode: 1
; LDSByteSize: 0 bytes/workgroup (compile time only)
; SGPRBlocks: 2
; VGPRBlocks: 3
; NumSGPRsForWavesPerEU: 18
; NumVGPRsForWavesPerEU: 13
; Occupancy: 10
; WaveLimiterHint : 0
; COMPUTE_PGM_RSRC2:SCRATCH_EN: 0
; COMPUTE_PGM_RSRC2:USER_SGPR: 6
; COMPUTE_PGM_RSRC2:TRAP_HANDLER: 0
; COMPUTE_PGM_RSRC2:TGID_X_EN: 1
; COMPUTE_PGM_RSRC2:TGID_Y_EN: 0
; COMPUTE_PGM_RSRC2:TGID_Z_EN: 0
; COMPUTE_PGM_RSRC2:TIDIG_COMP_CNT: 0
	.section	.text._ZN2at6native29vectorized_elementwise_kernelILi8ENS0_13BUnaryFunctorIN3c108BFloat16ES4_S4_ZNS0_12_GLOBAL__N_121threshold_kernel_implIS4_EEvRNS_18TensorIteratorBaseET_S9_EUlS4_S4_E_EESt5arrayIPcLm2EEEEviT0_T1_,"axG",@progbits,_ZN2at6native29vectorized_elementwise_kernelILi8ENS0_13BUnaryFunctorIN3c108BFloat16ES4_S4_ZNS0_12_GLOBAL__N_121threshold_kernel_implIS4_EEvRNS_18TensorIteratorBaseET_S9_EUlS4_S4_E_EESt5arrayIPcLm2EEEEviT0_T1_,comdat
	.globl	_ZN2at6native29vectorized_elementwise_kernelILi8ENS0_13BUnaryFunctorIN3c108BFloat16ES4_S4_ZNS0_12_GLOBAL__N_121threshold_kernel_implIS4_EEvRNS_18TensorIteratorBaseET_S9_EUlS4_S4_E_EESt5arrayIPcLm2EEEEviT0_T1_ ; -- Begin function _ZN2at6native29vectorized_elementwise_kernelILi8ENS0_13BUnaryFunctorIN3c108BFloat16ES4_S4_ZNS0_12_GLOBAL__N_121threshold_kernel_implIS4_EEvRNS_18TensorIteratorBaseET_S9_EUlS4_S4_E_EESt5arrayIPcLm2EEEEviT0_T1_
	.p2align	8
	.type	_ZN2at6native29vectorized_elementwise_kernelILi8ENS0_13BUnaryFunctorIN3c108BFloat16ES4_S4_ZNS0_12_GLOBAL__N_121threshold_kernel_implIS4_EEvRNS_18TensorIteratorBaseET_S9_EUlS4_S4_E_EESt5arrayIPcLm2EEEEviT0_T1_,@function
_ZN2at6native29vectorized_elementwise_kernelILi8ENS0_13BUnaryFunctorIN3c108BFloat16ES4_S4_ZNS0_12_GLOBAL__N_121threshold_kernel_implIS4_EEvRNS_18TensorIteratorBaseET_S9_EUlS4_S4_E_EESt5arrayIPcLm2EEEEviT0_T1_: ; @_ZN2at6native29vectorized_elementwise_kernelILi8ENS0_13BUnaryFunctorIN3c108BFloat16ES4_S4_ZNS0_12_GLOBAL__N_121threshold_kernel_implIS4_EEvRNS_18TensorIteratorBaseET_S9_EUlS4_S4_E_EESt5arrayIPcLm2EEEEviT0_T1_
; %bb.0:
	s_load_dwordx2 s[12:13], s[4:5], 0x0
	s_load_dword s7, s[4:5], 0x8
	s_load_dwordx4 s[8:11], s[4:5], 0x10
	s_lshl_b32 s2, s6, 11
	s_mov_b64 s[0:1], -1
	s_waitcnt lgkmcnt(0)
	s_sub_i32 s6, s12, s2
	s_cmpk_gt_i32 s6, 0x7ff
	s_cbranch_scc0 .LBB226_2
; %bb.1:
	s_ashr_i32 s3, s2, 31
	s_lshr_b32 s12, s13, 16
	s_lshl_b64 s[0:1], s[2:3], 1
	s_add_u32 s4, s10, s0
	s_addc_u32 s5, s11, s1
	v_lshlrev_b32_e32 v5, 4, v0
	global_load_dwordx4 v[1:4], v5, s[4:5]
	s_lshl_b32 s4, s13, 16
	v_mov_b32_e32 v6, s7
	v_mov_b32_e32 v7, s12
	s_mov_b32 s3, 0x5040100
	s_add_u32 s0, s8, s0
	s_addc_u32 s1, s9, s1
	s_waitcnt vmcnt(0)
	v_and_b32_e32 v8, 0xffff0000, v1
	v_lshlrev_b32_e32 v1, 16, v1
	v_cmp_ge_f32_e32 vcc, s4, v8
	v_and_b32_e32 v9, 0xffff0000, v2
	v_cndmask_b32_e32 v8, v6, v7, vcc
	v_cmp_ge_f32_e32 vcc, s4, v1
	v_lshlrev_b32_e32 v2, 16, v2
	v_cndmask_b32_e32 v1, v6, v7, vcc
	v_cmp_ge_f32_e32 vcc, s4, v9
	v_and_b32_e32 v10, 0xffff0000, v3
	v_cndmask_b32_e32 v9, v6, v7, vcc
	v_cmp_ge_f32_e32 vcc, s4, v2
	v_lshlrev_b32_e32 v3, 16, v3
	v_cndmask_b32_e32 v2, v6, v7, vcc
	;; [unrolled: 6-line block ×3, first 2 shown]
	v_cmp_ge_f32_e32 vcc, s4, v11
	v_cndmask_b32_e32 v11, v6, v7, vcc
	v_cmp_ge_f32_e32 vcc, s4, v4
	v_cndmask_b32_e32 v4, v6, v7, vcc
	v_perm_b32 v4, v11, v4, s3
	v_perm_b32 v3, v10, v3, s3
	;; [unrolled: 1-line block ×4, first 2 shown]
	global_store_dwordx4 v5, v[1:4], s[0:1]
	s_mov_b64 s[0:1], 0
.LBB226_2:
	s_andn2_b64 vcc, exec, s[0:1]
	s_cbranch_vccnz .LBB226_28
; %bb.3:
	v_cmp_gt_i32_e32 vcc, s6, v0
	v_mov_b32_e32 v3, 0
	v_or_b32_e32 v1, s2, v0
	v_mov_b32_e32 v2, 0
	v_mov_b32_e32 v10, v0
	s_and_saveexec_b64 s[4:5], vcc
	s_cbranch_execz .LBB226_5
; %bb.4:
	v_mov_b32_e32 v2, 0
	v_lshlrev_b64 v[4:5], 1, v[1:2]
	v_mov_b32_e32 v2, s11
	v_add_co_u32_e64 v4, s[0:1], s10, v4
	v_addc_co_u32_e64 v5, s[0:1], v2, v5, s[0:1]
	global_load_ushort v2, v[4:5], off
	v_or_b32_e32 v10, 0x100, v0
	s_waitcnt vmcnt(0)
	v_lshlrev_b32_e32 v2, 16, v2
.LBB226_5:
	s_or_b64 exec, exec, s[4:5]
	v_cmp_gt_i32_e64 s[0:1], s6, v10
	s_and_saveexec_b64 s[4:5], s[0:1]
	s_cbranch_execz .LBB226_7
; %bb.6:
	v_add_u32_e32 v3, s2, v10
	v_mov_b32_e32 v4, 0
	v_lshlrev_b64 v[3:4], 1, v[3:4]
	v_mov_b32_e32 v5, s11
	v_add_co_u32_e64 v3, s[0:1], s10, v3
	v_addc_co_u32_e64 v4, s[0:1], v5, v4, s[0:1]
	global_load_ushort v3, v[3:4], off
	v_add_u32_e32 v10, 0x100, v10
	s_waitcnt vmcnt(0)
	v_lshlrev_b32_e32 v3, 16, v3
.LBB226_7:
	s_or_b64 exec, exec, s[4:5]
	v_cmp_gt_i32_e64 s[0:1], s6, v10
	v_mov_b32_e32 v4, 0
	v_mov_b32_e32 v7, 0
	s_and_saveexec_b64 s[4:5], s[0:1]
	s_cbranch_execz .LBB226_9
; %bb.8:
	v_add_u32_e32 v5, s2, v10
	v_mov_b32_e32 v6, 0
	v_lshlrev_b64 v[5:6], 1, v[5:6]
	v_mov_b32_e32 v7, s11
	v_add_co_u32_e64 v5, s[0:1], s10, v5
	v_addc_co_u32_e64 v6, s[0:1], v7, v6, s[0:1]
	global_load_ushort v5, v[5:6], off
	v_add_u32_e32 v10, 0x100, v10
	s_waitcnt vmcnt(0)
	v_lshlrev_b32_e32 v7, 16, v5
.LBB226_9:
	s_or_b64 exec, exec, s[4:5]
	v_cmp_gt_i32_e64 s[0:1], s6, v10
	s_and_saveexec_b64 s[4:5], s[0:1]
	s_cbranch_execz .LBB226_11
; %bb.10:
	v_add_u32_e32 v4, s2, v10
	v_mov_b32_e32 v5, 0
	v_lshlrev_b64 v[4:5], 1, v[4:5]
	v_mov_b32_e32 v6, s11
	v_add_co_u32_e64 v4, s[0:1], s10, v4
	v_addc_co_u32_e64 v5, s[0:1], v6, v5, s[0:1]
	global_load_ushort v4, v[4:5], off
	v_add_u32_e32 v10, 0x100, v10
	s_waitcnt vmcnt(0)
	v_lshlrev_b32_e32 v4, 16, v4
.LBB226_11:
	s_or_b64 exec, exec, s[4:5]
	v_cmp_gt_i32_e64 s[0:1], s6, v10
	v_mov_b32_e32 v5, 0
	v_mov_b32_e32 v8, 0
	s_and_saveexec_b64 s[4:5], s[0:1]
	s_cbranch_execz .LBB226_13
; %bb.12:
	v_add_u32_e32 v8, s2, v10
	v_mov_b32_e32 v9, 0
	v_lshlrev_b64 v[8:9], 1, v[8:9]
	v_mov_b32_e32 v6, s11
	v_add_co_u32_e64 v8, s[0:1], s10, v8
	v_addc_co_u32_e64 v9, s[0:1], v6, v9, s[0:1]
	global_load_ushort v6, v[8:9], off
	v_add_u32_e32 v10, 0x100, v10
	s_waitcnt vmcnt(0)
	v_lshlrev_b32_e32 v8, 16, v6
.LBB226_13:
	;; [unrolled: 34-line block ×3, first 2 shown]
	s_or_b64 exec, exec, s[4:5]
	v_cmp_gt_i32_e64 s[0:1], s6, v10
	s_and_saveexec_b64 s[4:5], s[0:1]
	s_cbranch_execz .LBB226_19
; %bb.18:
	v_add_u32_e32 v10, s2, v10
	v_mov_b32_e32 v11, 0
	v_lshlrev_b64 v[10:11], 1, v[10:11]
	v_mov_b32_e32 v6, s11
	v_add_co_u32_e64 v10, s[0:1], s10, v10
	v_addc_co_u32_e64 v11, s[0:1], v6, v11, s[0:1]
	global_load_ushort v6, v[10:11], off
	s_waitcnt vmcnt(0)
	v_lshlrev_b32_e32 v6, 16, v6
.LBB226_19:
	s_or_b64 exec, exec, s[4:5]
	s_lshr_b32 s3, s13, 16
	s_lshl_b32 s4, s13, 16
	s_and_saveexec_b64 s[0:1], vcc
	s_cbranch_execnz .LBB226_29
; %bb.20:
	s_or_b64 exec, exec, s[0:1]
	v_cmp_gt_i32_e32 vcc, s6, v0
	s_and_saveexec_b64 s[0:1], vcc
	s_cbranch_execnz .LBB226_30
.LBB226_21:
	s_or_b64 exec, exec, s[0:1]
	v_cmp_gt_i32_e32 vcc, s6, v0
	s_and_saveexec_b64 s[0:1], vcc
	s_cbranch_execnz .LBB226_31
.LBB226_22:
	s_or_b64 exec, exec, s[0:1]
	v_cmp_gt_i32_e32 vcc, s6, v0
	s_and_saveexec_b64 s[0:1], vcc
	s_cbranch_execnz .LBB226_32
.LBB226_23:
	s_or_b64 exec, exec, s[0:1]
	v_cmp_gt_i32_e32 vcc, s6, v0
	s_and_saveexec_b64 s[0:1], vcc
	s_cbranch_execnz .LBB226_33
.LBB226_24:
	s_or_b64 exec, exec, s[0:1]
	v_cmp_gt_i32_e32 vcc, s6, v0
	s_and_saveexec_b64 s[0:1], vcc
	s_cbranch_execnz .LBB226_34
.LBB226_25:
	s_or_b64 exec, exec, s[0:1]
	v_cmp_gt_i32_e32 vcc, s6, v0
	s_and_saveexec_b64 s[0:1], vcc
	s_cbranch_execnz .LBB226_35
.LBB226_26:
	s_or_b64 exec, exec, s[0:1]
	v_cmp_gt_i32_e32 vcc, s6, v0
	s_and_saveexec_b64 s[0:1], vcc
	s_cbranch_execz .LBB226_28
.LBB226_27:
	v_mov_b32_e32 v1, s7
	v_mov_b32_e32 v2, s3
	v_cmp_ge_f32_e32 vcc, s4, v6
	v_cndmask_b32_e32 v2, v1, v2, vcc
	v_add_u32_e32 v0, s2, v0
	v_mov_b32_e32 v1, 0
	v_lshlrev_b64 v[0:1], 1, v[0:1]
	v_mov_b32_e32 v3, s9
	v_add_co_u32_e32 v0, vcc, s8, v0
	v_addc_co_u32_e32 v1, vcc, v3, v1, vcc
	global_store_short v[0:1], v2, off
.LBB226_28:
	s_endpgm
.LBB226_29:
	v_cmp_ge_f32_e32 vcc, s4, v2
	v_mov_b32_e32 v2, 0
	v_lshlrev_b64 v[1:2], 1, v[1:2]
	v_mov_b32_e32 v10, s7
	v_mov_b32_e32 v11, s3
	v_cndmask_b32_e32 v10, v10, v11, vcc
	v_mov_b32_e32 v11, s9
	v_add_co_u32_e32 v1, vcc, s8, v1
	v_or_b32_e32 v0, 0x100, v0
	v_addc_co_u32_e32 v2, vcc, v11, v2, vcc
	global_store_short v[1:2], v10, off
	s_or_b64 exec, exec, s[0:1]
	v_cmp_gt_i32_e32 vcc, s6, v0
	s_and_saveexec_b64 s[0:1], vcc
	s_cbranch_execz .LBB226_21
.LBB226_30:
	v_mov_b32_e32 v1, s7
	v_mov_b32_e32 v2, s3
	v_cmp_ge_f32_e32 vcc, s4, v3
	v_cndmask_b32_e32 v3, v1, v2, vcc
	v_add_u32_e32 v1, s2, v0
	v_mov_b32_e32 v2, 0
	v_lshlrev_b64 v[1:2], 1, v[1:2]
	v_mov_b32_e32 v10, s9
	v_add_co_u32_e32 v1, vcc, s8, v1
	v_addc_co_u32_e32 v2, vcc, v10, v2, vcc
	v_add_u32_e32 v0, 0x100, v0
	global_store_short v[1:2], v3, off
	s_or_b64 exec, exec, s[0:1]
	v_cmp_gt_i32_e32 vcc, s6, v0
	s_and_saveexec_b64 s[0:1], vcc
	s_cbranch_execz .LBB226_22
.LBB226_31:
	v_mov_b32_e32 v1, s7
	v_mov_b32_e32 v2, s3
	v_cmp_ge_f32_e32 vcc, s4, v7
	v_cndmask_b32_e32 v3, v1, v2, vcc
	v_add_u32_e32 v1, s2, v0
	v_mov_b32_e32 v2, 0
	v_lshlrev_b64 v[1:2], 1, v[1:2]
	v_mov_b32_e32 v7, s9
	v_add_co_u32_e32 v1, vcc, s8, v1
	v_addc_co_u32_e32 v2, vcc, v7, v2, vcc
	v_add_u32_e32 v0, 0x100, v0
	global_store_short v[1:2], v3, off
	s_or_b64 exec, exec, s[0:1]
	v_cmp_gt_i32_e32 vcc, s6, v0
	s_and_saveexec_b64 s[0:1], vcc
	s_cbranch_execz .LBB226_23
.LBB226_32:
	v_mov_b32_e32 v1, s7
	v_mov_b32_e32 v2, s3
	v_cmp_ge_f32_e32 vcc, s4, v4
	v_cndmask_b32_e32 v3, v1, v2, vcc
	v_add_u32_e32 v1, s2, v0
	v_mov_b32_e32 v2, 0
	v_lshlrev_b64 v[1:2], 1, v[1:2]
	v_mov_b32_e32 v4, s9
	v_add_co_u32_e32 v1, vcc, s8, v1
	v_addc_co_u32_e32 v2, vcc, v4, v2, vcc
	v_add_u32_e32 v0, 0x100, v0
	global_store_short v[1:2], v3, off
	s_or_b64 exec, exec, s[0:1]
	v_cmp_gt_i32_e32 vcc, s6, v0
	s_and_saveexec_b64 s[0:1], vcc
	s_cbranch_execz .LBB226_24
.LBB226_33:
	v_mov_b32_e32 v1, s7
	v_mov_b32_e32 v2, s3
	v_cmp_ge_f32_e32 vcc, s4, v8
	v_cndmask_b32_e32 v3, v1, v2, vcc
	v_add_u32_e32 v1, s2, v0
	v_mov_b32_e32 v2, 0
	v_lshlrev_b64 v[1:2], 1, v[1:2]
	v_mov_b32_e32 v4, s9
	v_add_co_u32_e32 v1, vcc, s8, v1
	v_addc_co_u32_e32 v2, vcc, v4, v2, vcc
	v_add_u32_e32 v0, 0x100, v0
	global_store_short v[1:2], v3, off
	s_or_b64 exec, exec, s[0:1]
	v_cmp_gt_i32_e32 vcc, s6, v0
	s_and_saveexec_b64 s[0:1], vcc
	s_cbranch_execz .LBB226_25
.LBB226_34:
	v_mov_b32_e32 v1, s7
	v_mov_b32_e32 v2, s3
	v_cmp_ge_f32_e32 vcc, s4, v5
	v_cndmask_b32_e32 v3, v1, v2, vcc
	v_add_u32_e32 v1, s2, v0
	v_mov_b32_e32 v2, 0
	v_lshlrev_b64 v[1:2], 1, v[1:2]
	v_mov_b32_e32 v4, s9
	v_add_co_u32_e32 v1, vcc, s8, v1
	v_addc_co_u32_e32 v2, vcc, v4, v2, vcc
	v_add_u32_e32 v0, 0x100, v0
	global_store_short v[1:2], v3, off
	s_or_b64 exec, exec, s[0:1]
	v_cmp_gt_i32_e32 vcc, s6, v0
	s_and_saveexec_b64 s[0:1], vcc
	s_cbranch_execz .LBB226_26
.LBB226_35:
	v_mov_b32_e32 v1, s7
	v_mov_b32_e32 v2, s3
	v_cmp_ge_f32_e32 vcc, s4, v9
	v_cndmask_b32_e32 v3, v1, v2, vcc
	v_add_u32_e32 v1, s2, v0
	v_mov_b32_e32 v2, 0
	v_lshlrev_b64 v[1:2], 1, v[1:2]
	v_mov_b32_e32 v4, s9
	v_add_co_u32_e32 v1, vcc, s8, v1
	v_addc_co_u32_e32 v2, vcc, v4, v2, vcc
	v_add_u32_e32 v0, 0x100, v0
	global_store_short v[1:2], v3, off
	s_or_b64 exec, exec, s[0:1]
	v_cmp_gt_i32_e32 vcc, s6, v0
	s_and_saveexec_b64 s[0:1], vcc
	s_cbranch_execnz .LBB226_27
	s_branch .LBB226_28
	.section	.rodata,"a",@progbits
	.p2align	6, 0x0
	.amdhsa_kernel _ZN2at6native29vectorized_elementwise_kernelILi8ENS0_13BUnaryFunctorIN3c108BFloat16ES4_S4_ZNS0_12_GLOBAL__N_121threshold_kernel_implIS4_EEvRNS_18TensorIteratorBaseET_S9_EUlS4_S4_E_EESt5arrayIPcLm2EEEEviT0_T1_
		.amdhsa_group_segment_fixed_size 0
		.amdhsa_private_segment_fixed_size 0
		.amdhsa_kernarg_size 32
		.amdhsa_user_sgpr_count 6
		.amdhsa_user_sgpr_private_segment_buffer 1
		.amdhsa_user_sgpr_dispatch_ptr 0
		.amdhsa_user_sgpr_queue_ptr 0
		.amdhsa_user_sgpr_kernarg_segment_ptr 1
		.amdhsa_user_sgpr_dispatch_id 0
		.amdhsa_user_sgpr_flat_scratch_init 0
		.amdhsa_user_sgpr_private_segment_size 0
		.amdhsa_uses_dynamic_stack 0
		.amdhsa_system_sgpr_private_segment_wavefront_offset 0
		.amdhsa_system_sgpr_workgroup_id_x 1
		.amdhsa_system_sgpr_workgroup_id_y 0
		.amdhsa_system_sgpr_workgroup_id_z 0
		.amdhsa_system_sgpr_workgroup_info 0
		.amdhsa_system_vgpr_workitem_id 0
		.amdhsa_next_free_vgpr 13
		.amdhsa_next_free_sgpr 14
		.amdhsa_reserve_vcc 1
		.amdhsa_reserve_flat_scratch 0
		.amdhsa_float_round_mode_32 0
		.amdhsa_float_round_mode_16_64 0
		.amdhsa_float_denorm_mode_32 3
		.amdhsa_float_denorm_mode_16_64 3
		.amdhsa_dx10_clamp 1
		.amdhsa_ieee_mode 1
		.amdhsa_fp16_overflow 0
		.amdhsa_exception_fp_ieee_invalid_op 0
		.amdhsa_exception_fp_denorm_src 0
		.amdhsa_exception_fp_ieee_div_zero 0
		.amdhsa_exception_fp_ieee_overflow 0
		.amdhsa_exception_fp_ieee_underflow 0
		.amdhsa_exception_fp_ieee_inexact 0
		.amdhsa_exception_int_div_zero 0
	.end_amdhsa_kernel
	.section	.text._ZN2at6native29vectorized_elementwise_kernelILi8ENS0_13BUnaryFunctorIN3c108BFloat16ES4_S4_ZNS0_12_GLOBAL__N_121threshold_kernel_implIS4_EEvRNS_18TensorIteratorBaseET_S9_EUlS4_S4_E_EESt5arrayIPcLm2EEEEviT0_T1_,"axG",@progbits,_ZN2at6native29vectorized_elementwise_kernelILi8ENS0_13BUnaryFunctorIN3c108BFloat16ES4_S4_ZNS0_12_GLOBAL__N_121threshold_kernel_implIS4_EEvRNS_18TensorIteratorBaseET_S9_EUlS4_S4_E_EESt5arrayIPcLm2EEEEviT0_T1_,comdat
.Lfunc_end226:
	.size	_ZN2at6native29vectorized_elementwise_kernelILi8ENS0_13BUnaryFunctorIN3c108BFloat16ES4_S4_ZNS0_12_GLOBAL__N_121threshold_kernel_implIS4_EEvRNS_18TensorIteratorBaseET_S9_EUlS4_S4_E_EESt5arrayIPcLm2EEEEviT0_T1_, .Lfunc_end226-_ZN2at6native29vectorized_elementwise_kernelILi8ENS0_13BUnaryFunctorIN3c108BFloat16ES4_S4_ZNS0_12_GLOBAL__N_121threshold_kernel_implIS4_EEvRNS_18TensorIteratorBaseET_S9_EUlS4_S4_E_EESt5arrayIPcLm2EEEEviT0_T1_
                                        ; -- End function
	.set _ZN2at6native29vectorized_elementwise_kernelILi8ENS0_13BUnaryFunctorIN3c108BFloat16ES4_S4_ZNS0_12_GLOBAL__N_121threshold_kernel_implIS4_EEvRNS_18TensorIteratorBaseET_S9_EUlS4_S4_E_EESt5arrayIPcLm2EEEEviT0_T1_.num_vgpr, 13
	.set _ZN2at6native29vectorized_elementwise_kernelILi8ENS0_13BUnaryFunctorIN3c108BFloat16ES4_S4_ZNS0_12_GLOBAL__N_121threshold_kernel_implIS4_EEvRNS_18TensorIteratorBaseET_S9_EUlS4_S4_E_EESt5arrayIPcLm2EEEEviT0_T1_.num_agpr, 0
	.set _ZN2at6native29vectorized_elementwise_kernelILi8ENS0_13BUnaryFunctorIN3c108BFloat16ES4_S4_ZNS0_12_GLOBAL__N_121threshold_kernel_implIS4_EEvRNS_18TensorIteratorBaseET_S9_EUlS4_S4_E_EESt5arrayIPcLm2EEEEviT0_T1_.numbered_sgpr, 14
	.set _ZN2at6native29vectorized_elementwise_kernelILi8ENS0_13BUnaryFunctorIN3c108BFloat16ES4_S4_ZNS0_12_GLOBAL__N_121threshold_kernel_implIS4_EEvRNS_18TensorIteratorBaseET_S9_EUlS4_S4_E_EESt5arrayIPcLm2EEEEviT0_T1_.num_named_barrier, 0
	.set _ZN2at6native29vectorized_elementwise_kernelILi8ENS0_13BUnaryFunctorIN3c108BFloat16ES4_S4_ZNS0_12_GLOBAL__N_121threshold_kernel_implIS4_EEvRNS_18TensorIteratorBaseET_S9_EUlS4_S4_E_EESt5arrayIPcLm2EEEEviT0_T1_.private_seg_size, 0
	.set _ZN2at6native29vectorized_elementwise_kernelILi8ENS0_13BUnaryFunctorIN3c108BFloat16ES4_S4_ZNS0_12_GLOBAL__N_121threshold_kernel_implIS4_EEvRNS_18TensorIteratorBaseET_S9_EUlS4_S4_E_EESt5arrayIPcLm2EEEEviT0_T1_.uses_vcc, 1
	.set _ZN2at6native29vectorized_elementwise_kernelILi8ENS0_13BUnaryFunctorIN3c108BFloat16ES4_S4_ZNS0_12_GLOBAL__N_121threshold_kernel_implIS4_EEvRNS_18TensorIteratorBaseET_S9_EUlS4_S4_E_EESt5arrayIPcLm2EEEEviT0_T1_.uses_flat_scratch, 0
	.set _ZN2at6native29vectorized_elementwise_kernelILi8ENS0_13BUnaryFunctorIN3c108BFloat16ES4_S4_ZNS0_12_GLOBAL__N_121threshold_kernel_implIS4_EEvRNS_18TensorIteratorBaseET_S9_EUlS4_S4_E_EESt5arrayIPcLm2EEEEviT0_T1_.has_dyn_sized_stack, 0
	.set _ZN2at6native29vectorized_elementwise_kernelILi8ENS0_13BUnaryFunctorIN3c108BFloat16ES4_S4_ZNS0_12_GLOBAL__N_121threshold_kernel_implIS4_EEvRNS_18TensorIteratorBaseET_S9_EUlS4_S4_E_EESt5arrayIPcLm2EEEEviT0_T1_.has_recursion, 0
	.set _ZN2at6native29vectorized_elementwise_kernelILi8ENS0_13BUnaryFunctorIN3c108BFloat16ES4_S4_ZNS0_12_GLOBAL__N_121threshold_kernel_implIS4_EEvRNS_18TensorIteratorBaseET_S9_EUlS4_S4_E_EESt5arrayIPcLm2EEEEviT0_T1_.has_indirect_call, 0
	.section	.AMDGPU.csdata,"",@progbits
; Kernel info:
; codeLenInByte = 1656
; TotalNumSgprs: 18
; NumVgprs: 13
; ScratchSize: 0
; MemoryBound: 0
; FloatMode: 240
; IeeeMode: 1
; LDSByteSize: 0 bytes/workgroup (compile time only)
; SGPRBlocks: 2
; VGPRBlocks: 3
; NumSGPRsForWavesPerEU: 18
; NumVGPRsForWavesPerEU: 13
; Occupancy: 10
; WaveLimiterHint : 0
; COMPUTE_PGM_RSRC2:SCRATCH_EN: 0
; COMPUTE_PGM_RSRC2:USER_SGPR: 6
; COMPUTE_PGM_RSRC2:TRAP_HANDLER: 0
; COMPUTE_PGM_RSRC2:TGID_X_EN: 1
; COMPUTE_PGM_RSRC2:TGID_Y_EN: 0
; COMPUTE_PGM_RSRC2:TGID_Z_EN: 0
; COMPUTE_PGM_RSRC2:TIDIG_COMP_CNT: 0
	.section	.text._ZN2at6native29vectorized_elementwise_kernelILi4ENS0_13BUnaryFunctorIN3c108BFloat16ES4_S4_ZNS0_12_GLOBAL__N_121threshold_kernel_implIS4_EEvRNS_18TensorIteratorBaseET_S9_EUlS4_S4_E_EESt5arrayIPcLm2EEEEviT0_T1_,"axG",@progbits,_ZN2at6native29vectorized_elementwise_kernelILi4ENS0_13BUnaryFunctorIN3c108BFloat16ES4_S4_ZNS0_12_GLOBAL__N_121threshold_kernel_implIS4_EEvRNS_18TensorIteratorBaseET_S9_EUlS4_S4_E_EESt5arrayIPcLm2EEEEviT0_T1_,comdat
	.globl	_ZN2at6native29vectorized_elementwise_kernelILi4ENS0_13BUnaryFunctorIN3c108BFloat16ES4_S4_ZNS0_12_GLOBAL__N_121threshold_kernel_implIS4_EEvRNS_18TensorIteratorBaseET_S9_EUlS4_S4_E_EESt5arrayIPcLm2EEEEviT0_T1_ ; -- Begin function _ZN2at6native29vectorized_elementwise_kernelILi4ENS0_13BUnaryFunctorIN3c108BFloat16ES4_S4_ZNS0_12_GLOBAL__N_121threshold_kernel_implIS4_EEvRNS_18TensorIteratorBaseET_S9_EUlS4_S4_E_EESt5arrayIPcLm2EEEEviT0_T1_
	.p2align	8
	.type	_ZN2at6native29vectorized_elementwise_kernelILi4ENS0_13BUnaryFunctorIN3c108BFloat16ES4_S4_ZNS0_12_GLOBAL__N_121threshold_kernel_implIS4_EEvRNS_18TensorIteratorBaseET_S9_EUlS4_S4_E_EESt5arrayIPcLm2EEEEviT0_T1_,@function
_ZN2at6native29vectorized_elementwise_kernelILi4ENS0_13BUnaryFunctorIN3c108BFloat16ES4_S4_ZNS0_12_GLOBAL__N_121threshold_kernel_implIS4_EEvRNS_18TensorIteratorBaseET_S9_EUlS4_S4_E_EESt5arrayIPcLm2EEEEviT0_T1_: ; @_ZN2at6native29vectorized_elementwise_kernelILi4ENS0_13BUnaryFunctorIN3c108BFloat16ES4_S4_ZNS0_12_GLOBAL__N_121threshold_kernel_implIS4_EEvRNS_18TensorIteratorBaseET_S9_EUlS4_S4_E_EESt5arrayIPcLm2EEEEviT0_T1_
; %bb.0:
	s_load_dword s0, s[4:5], 0x8
	s_load_dwordx2 s[12:13], s[4:5], 0x0
	s_load_dwordx4 s[8:11], s[4:5], 0x10
	s_lshl_b32 s2, s6, 11
	s_waitcnt lgkmcnt(0)
	s_and_b32 s7, s0, 0xffff
	s_sub_i32 s6, s12, s2
	s_cmpk_gt_i32 s6, 0x7ff
	s_mov_b64 s[0:1], -1
	s_cbranch_scc0 .LBB227_2
; %bb.1:
	s_ashr_i32 s3, s2, 31
	s_lshr_b32 s12, s13, 16
	s_lshl_b64 s[0:1], s[2:3], 1
	s_add_u32 s4, s10, s0
	s_addc_u32 s5, s11, s1
	v_lshlrev_b32_e32 v5, 3, v0
	global_load_dwordx2 v[1:2], v5, s[4:5]
	global_load_dwordx2 v[3:4], v5, s[4:5] offset:2048
	s_lshl_b32 s3, s13, 16
	v_mov_b32_e32 v6, s7
	v_mov_b32_e32 v7, s12
	s_add_u32 s0, s8, s0
	s_addc_u32 s1, s9, s1
	s_waitcnt vmcnt(1)
	v_lshlrev_b32_e32 v8, 16, v1
	v_and_b32_e32 v1, 0xffff0000, v1
	v_cmp_ge_f32_e32 vcc, s3, v1
	v_lshlrev_b32_e32 v9, 16, v2
	v_cndmask_b32_e32 v1, v6, v7, vcc
	v_cmp_ge_f32_e32 vcc, s3, v8
	v_and_b32_e32 v2, 0xffff0000, v2
	v_cndmask_b32_e32 v8, v6, v7, vcc
	v_cmp_ge_f32_e32 vcc, s3, v9
	s_waitcnt vmcnt(0)
	v_lshlrev_b32_e32 v10, 16, v3
	v_and_b32_e32 v3, 0xffff0000, v3
	v_cndmask_b32_e32 v9, v6, v7, vcc
	v_cmp_ge_f32_e32 vcc, s3, v2
	v_cndmask_b32_e32 v2, v6, v7, vcc
	v_cmp_ge_f32_e32 vcc, s3, v3
	v_lshlrev_b32_e32 v11, 16, v4
	v_cndmask_b32_e32 v3, v6, v7, vcc
	v_cmp_ge_f32_e32 vcc, s3, v10
	v_and_b32_e32 v4, 0xffff0000, v4
	v_cndmask_b32_e32 v10, v6, v7, vcc
	v_cmp_ge_f32_e32 vcc, s3, v11
	v_cndmask_b32_e32 v11, v6, v7, vcc
	v_cmp_ge_f32_e32 vcc, s3, v4
	v_cndmask_b32_e32 v4, v6, v7, vcc
	v_lshlrev_b32_e32 v2, 16, v2
	v_lshl_or_b32 v1, v1, 16, v8
	v_lshlrev_b32_e32 v4, 16, v4
	v_or_b32_e32 v2, v9, v2
	v_lshl_or_b32 v3, v3, 16, v10
	v_or_b32_e32 v4, v11, v4
	global_store_dwordx2 v5, v[1:2], s[0:1]
	global_store_dwordx2 v5, v[3:4], s[0:1] offset:2048
	s_mov_b64 s[0:1], 0
.LBB227_2:
	s_andn2_b64 vcc, exec, s[0:1]
	s_cbranch_vccnz .LBB227_28
; %bb.3:
	v_cmp_gt_i32_e32 vcc, s6, v0
	v_mov_b32_e32 v3, 0
	v_or_b32_e32 v1, s2, v0
	v_mov_b32_e32 v2, 0
	v_mov_b32_e32 v10, v0
	s_and_saveexec_b64 s[4:5], vcc
	s_cbranch_execz .LBB227_5
; %bb.4:
	v_mov_b32_e32 v2, 0
	v_lshlrev_b64 v[4:5], 1, v[1:2]
	v_mov_b32_e32 v2, s11
	v_add_co_u32_e64 v4, s[0:1], s10, v4
	v_addc_co_u32_e64 v5, s[0:1], v2, v5, s[0:1]
	global_load_ushort v2, v[4:5], off
	v_or_b32_e32 v10, 0x100, v0
	s_waitcnt vmcnt(0)
	v_lshlrev_b32_e32 v2, 16, v2
.LBB227_5:
	s_or_b64 exec, exec, s[4:5]
	v_cmp_gt_i32_e64 s[0:1], s6, v10
	s_and_saveexec_b64 s[4:5], s[0:1]
	s_cbranch_execz .LBB227_7
; %bb.6:
	v_add_u32_e32 v3, s2, v10
	v_mov_b32_e32 v4, 0
	v_lshlrev_b64 v[3:4], 1, v[3:4]
	v_mov_b32_e32 v5, s11
	v_add_co_u32_e64 v3, s[0:1], s10, v3
	v_addc_co_u32_e64 v4, s[0:1], v5, v4, s[0:1]
	global_load_ushort v3, v[3:4], off
	v_add_u32_e32 v10, 0x100, v10
	s_waitcnt vmcnt(0)
	v_lshlrev_b32_e32 v3, 16, v3
.LBB227_7:
	s_or_b64 exec, exec, s[4:5]
	v_cmp_gt_i32_e64 s[0:1], s6, v10
	v_mov_b32_e32 v4, 0
	v_mov_b32_e32 v7, 0
	s_and_saveexec_b64 s[4:5], s[0:1]
	s_cbranch_execz .LBB227_9
; %bb.8:
	v_add_u32_e32 v5, s2, v10
	v_mov_b32_e32 v6, 0
	v_lshlrev_b64 v[5:6], 1, v[5:6]
	v_mov_b32_e32 v7, s11
	v_add_co_u32_e64 v5, s[0:1], s10, v5
	v_addc_co_u32_e64 v6, s[0:1], v7, v6, s[0:1]
	global_load_ushort v5, v[5:6], off
	v_add_u32_e32 v10, 0x100, v10
	s_waitcnt vmcnt(0)
	v_lshlrev_b32_e32 v7, 16, v5
.LBB227_9:
	s_or_b64 exec, exec, s[4:5]
	v_cmp_gt_i32_e64 s[0:1], s6, v10
	s_and_saveexec_b64 s[4:5], s[0:1]
	s_cbranch_execz .LBB227_11
; %bb.10:
	v_add_u32_e32 v4, s2, v10
	v_mov_b32_e32 v5, 0
	v_lshlrev_b64 v[4:5], 1, v[4:5]
	v_mov_b32_e32 v6, s11
	v_add_co_u32_e64 v4, s[0:1], s10, v4
	v_addc_co_u32_e64 v5, s[0:1], v6, v5, s[0:1]
	global_load_ushort v4, v[4:5], off
	v_add_u32_e32 v10, 0x100, v10
	s_waitcnt vmcnt(0)
	v_lshlrev_b32_e32 v4, 16, v4
.LBB227_11:
	s_or_b64 exec, exec, s[4:5]
	v_cmp_gt_i32_e64 s[0:1], s6, v10
	v_mov_b32_e32 v5, 0
	v_mov_b32_e32 v8, 0
	s_and_saveexec_b64 s[4:5], s[0:1]
	s_cbranch_execz .LBB227_13
; %bb.12:
	v_add_u32_e32 v8, s2, v10
	v_mov_b32_e32 v9, 0
	v_lshlrev_b64 v[8:9], 1, v[8:9]
	v_mov_b32_e32 v6, s11
	v_add_co_u32_e64 v8, s[0:1], s10, v8
	v_addc_co_u32_e64 v9, s[0:1], v6, v9, s[0:1]
	global_load_ushort v6, v[8:9], off
	v_add_u32_e32 v10, 0x100, v10
	s_waitcnt vmcnt(0)
	v_lshlrev_b32_e32 v8, 16, v6
.LBB227_13:
	;; [unrolled: 34-line block ×3, first 2 shown]
	s_or_b64 exec, exec, s[4:5]
	v_cmp_gt_i32_e64 s[0:1], s6, v10
	s_and_saveexec_b64 s[4:5], s[0:1]
	s_cbranch_execz .LBB227_19
; %bb.18:
	v_add_u32_e32 v10, s2, v10
	v_mov_b32_e32 v11, 0
	v_lshlrev_b64 v[10:11], 1, v[10:11]
	v_mov_b32_e32 v6, s11
	v_add_co_u32_e64 v10, s[0:1], s10, v10
	v_addc_co_u32_e64 v11, s[0:1], v6, v11, s[0:1]
	global_load_ushort v6, v[10:11], off
	s_waitcnt vmcnt(0)
	v_lshlrev_b32_e32 v6, 16, v6
.LBB227_19:
	s_or_b64 exec, exec, s[4:5]
	s_lshr_b32 s3, s13, 16
	s_lshl_b32 s4, s13, 16
	s_and_saveexec_b64 s[0:1], vcc
	s_cbranch_execnz .LBB227_29
; %bb.20:
	s_or_b64 exec, exec, s[0:1]
	v_cmp_gt_i32_e32 vcc, s6, v0
	s_and_saveexec_b64 s[0:1], vcc
	s_cbranch_execnz .LBB227_30
.LBB227_21:
	s_or_b64 exec, exec, s[0:1]
	v_cmp_gt_i32_e32 vcc, s6, v0
	s_and_saveexec_b64 s[0:1], vcc
	s_cbranch_execnz .LBB227_31
.LBB227_22:
	s_or_b64 exec, exec, s[0:1]
	v_cmp_gt_i32_e32 vcc, s6, v0
	s_and_saveexec_b64 s[0:1], vcc
	s_cbranch_execnz .LBB227_32
.LBB227_23:
	s_or_b64 exec, exec, s[0:1]
	v_cmp_gt_i32_e32 vcc, s6, v0
	s_and_saveexec_b64 s[0:1], vcc
	s_cbranch_execnz .LBB227_33
.LBB227_24:
	s_or_b64 exec, exec, s[0:1]
	v_cmp_gt_i32_e32 vcc, s6, v0
	s_and_saveexec_b64 s[0:1], vcc
	s_cbranch_execnz .LBB227_34
.LBB227_25:
	s_or_b64 exec, exec, s[0:1]
	v_cmp_gt_i32_e32 vcc, s6, v0
	s_and_saveexec_b64 s[0:1], vcc
	s_cbranch_execnz .LBB227_35
.LBB227_26:
	s_or_b64 exec, exec, s[0:1]
	v_cmp_gt_i32_e32 vcc, s6, v0
	s_and_saveexec_b64 s[0:1], vcc
	s_cbranch_execz .LBB227_28
.LBB227_27:
	v_mov_b32_e32 v1, s7
	v_mov_b32_e32 v2, s3
	v_cmp_ge_f32_e32 vcc, s4, v6
	v_cndmask_b32_e32 v2, v1, v2, vcc
	v_add_u32_e32 v0, s2, v0
	v_mov_b32_e32 v1, 0
	v_lshlrev_b64 v[0:1], 1, v[0:1]
	v_mov_b32_e32 v3, s9
	v_add_co_u32_e32 v0, vcc, s8, v0
	v_addc_co_u32_e32 v1, vcc, v3, v1, vcc
	global_store_short v[0:1], v2, off
.LBB227_28:
	s_endpgm
.LBB227_29:
	v_cmp_ge_f32_e32 vcc, s4, v2
	v_mov_b32_e32 v2, 0
	v_lshlrev_b64 v[1:2], 1, v[1:2]
	v_mov_b32_e32 v10, s7
	v_mov_b32_e32 v11, s3
	v_cndmask_b32_e32 v10, v10, v11, vcc
	v_mov_b32_e32 v11, s9
	v_add_co_u32_e32 v1, vcc, s8, v1
	v_or_b32_e32 v0, 0x100, v0
	v_addc_co_u32_e32 v2, vcc, v11, v2, vcc
	global_store_short v[1:2], v10, off
	s_or_b64 exec, exec, s[0:1]
	v_cmp_gt_i32_e32 vcc, s6, v0
	s_and_saveexec_b64 s[0:1], vcc
	s_cbranch_execz .LBB227_21
.LBB227_30:
	v_mov_b32_e32 v1, s7
	v_mov_b32_e32 v2, s3
	v_cmp_ge_f32_e32 vcc, s4, v3
	v_cndmask_b32_e32 v3, v1, v2, vcc
	v_add_u32_e32 v1, s2, v0
	v_mov_b32_e32 v2, 0
	v_lshlrev_b64 v[1:2], 1, v[1:2]
	v_mov_b32_e32 v10, s9
	v_add_co_u32_e32 v1, vcc, s8, v1
	v_addc_co_u32_e32 v2, vcc, v10, v2, vcc
	v_add_u32_e32 v0, 0x100, v0
	global_store_short v[1:2], v3, off
	s_or_b64 exec, exec, s[0:1]
	v_cmp_gt_i32_e32 vcc, s6, v0
	s_and_saveexec_b64 s[0:1], vcc
	s_cbranch_execz .LBB227_22
.LBB227_31:
	v_mov_b32_e32 v1, s7
	v_mov_b32_e32 v2, s3
	v_cmp_ge_f32_e32 vcc, s4, v7
	v_cndmask_b32_e32 v3, v1, v2, vcc
	v_add_u32_e32 v1, s2, v0
	v_mov_b32_e32 v2, 0
	v_lshlrev_b64 v[1:2], 1, v[1:2]
	v_mov_b32_e32 v7, s9
	v_add_co_u32_e32 v1, vcc, s8, v1
	v_addc_co_u32_e32 v2, vcc, v7, v2, vcc
	v_add_u32_e32 v0, 0x100, v0
	global_store_short v[1:2], v3, off
	s_or_b64 exec, exec, s[0:1]
	v_cmp_gt_i32_e32 vcc, s6, v0
	s_and_saveexec_b64 s[0:1], vcc
	s_cbranch_execz .LBB227_23
.LBB227_32:
	v_mov_b32_e32 v1, s7
	v_mov_b32_e32 v2, s3
	v_cmp_ge_f32_e32 vcc, s4, v4
	v_cndmask_b32_e32 v3, v1, v2, vcc
	v_add_u32_e32 v1, s2, v0
	v_mov_b32_e32 v2, 0
	v_lshlrev_b64 v[1:2], 1, v[1:2]
	v_mov_b32_e32 v4, s9
	v_add_co_u32_e32 v1, vcc, s8, v1
	v_addc_co_u32_e32 v2, vcc, v4, v2, vcc
	v_add_u32_e32 v0, 0x100, v0
	global_store_short v[1:2], v3, off
	s_or_b64 exec, exec, s[0:1]
	v_cmp_gt_i32_e32 vcc, s6, v0
	s_and_saveexec_b64 s[0:1], vcc
	s_cbranch_execz .LBB227_24
.LBB227_33:
	v_mov_b32_e32 v1, s7
	v_mov_b32_e32 v2, s3
	v_cmp_ge_f32_e32 vcc, s4, v8
	v_cndmask_b32_e32 v3, v1, v2, vcc
	v_add_u32_e32 v1, s2, v0
	v_mov_b32_e32 v2, 0
	v_lshlrev_b64 v[1:2], 1, v[1:2]
	v_mov_b32_e32 v4, s9
	v_add_co_u32_e32 v1, vcc, s8, v1
	v_addc_co_u32_e32 v2, vcc, v4, v2, vcc
	v_add_u32_e32 v0, 0x100, v0
	global_store_short v[1:2], v3, off
	s_or_b64 exec, exec, s[0:1]
	v_cmp_gt_i32_e32 vcc, s6, v0
	s_and_saveexec_b64 s[0:1], vcc
	s_cbranch_execz .LBB227_25
.LBB227_34:
	v_mov_b32_e32 v1, s7
	v_mov_b32_e32 v2, s3
	v_cmp_ge_f32_e32 vcc, s4, v5
	v_cndmask_b32_e32 v3, v1, v2, vcc
	v_add_u32_e32 v1, s2, v0
	v_mov_b32_e32 v2, 0
	v_lshlrev_b64 v[1:2], 1, v[1:2]
	v_mov_b32_e32 v4, s9
	v_add_co_u32_e32 v1, vcc, s8, v1
	v_addc_co_u32_e32 v2, vcc, v4, v2, vcc
	v_add_u32_e32 v0, 0x100, v0
	global_store_short v[1:2], v3, off
	s_or_b64 exec, exec, s[0:1]
	v_cmp_gt_i32_e32 vcc, s6, v0
	s_and_saveexec_b64 s[0:1], vcc
	s_cbranch_execz .LBB227_26
.LBB227_35:
	v_mov_b32_e32 v1, s7
	v_mov_b32_e32 v2, s3
	v_cmp_ge_f32_e32 vcc, s4, v9
	v_cndmask_b32_e32 v3, v1, v2, vcc
	v_add_u32_e32 v1, s2, v0
	v_mov_b32_e32 v2, 0
	v_lshlrev_b64 v[1:2], 1, v[1:2]
	v_mov_b32_e32 v4, s9
	v_add_co_u32_e32 v1, vcc, s8, v1
	v_addc_co_u32_e32 v2, vcc, v4, v2, vcc
	v_add_u32_e32 v0, 0x100, v0
	global_store_short v[1:2], v3, off
	s_or_b64 exec, exec, s[0:1]
	v_cmp_gt_i32_e32 vcc, s6, v0
	s_and_saveexec_b64 s[0:1], vcc
	s_cbranch_execnz .LBB227_27
	s_branch .LBB227_28
	.section	.rodata,"a",@progbits
	.p2align	6, 0x0
	.amdhsa_kernel _ZN2at6native29vectorized_elementwise_kernelILi4ENS0_13BUnaryFunctorIN3c108BFloat16ES4_S4_ZNS0_12_GLOBAL__N_121threshold_kernel_implIS4_EEvRNS_18TensorIteratorBaseET_S9_EUlS4_S4_E_EESt5arrayIPcLm2EEEEviT0_T1_
		.amdhsa_group_segment_fixed_size 0
		.amdhsa_private_segment_fixed_size 0
		.amdhsa_kernarg_size 32
		.amdhsa_user_sgpr_count 6
		.amdhsa_user_sgpr_private_segment_buffer 1
		.amdhsa_user_sgpr_dispatch_ptr 0
		.amdhsa_user_sgpr_queue_ptr 0
		.amdhsa_user_sgpr_kernarg_segment_ptr 1
		.amdhsa_user_sgpr_dispatch_id 0
		.amdhsa_user_sgpr_flat_scratch_init 0
		.amdhsa_user_sgpr_private_segment_size 0
		.amdhsa_uses_dynamic_stack 0
		.amdhsa_system_sgpr_private_segment_wavefront_offset 0
		.amdhsa_system_sgpr_workgroup_id_x 1
		.amdhsa_system_sgpr_workgroup_id_y 0
		.amdhsa_system_sgpr_workgroup_id_z 0
		.amdhsa_system_sgpr_workgroup_info 0
		.amdhsa_system_vgpr_workitem_id 0
		.amdhsa_next_free_vgpr 13
		.amdhsa_next_free_sgpr 14
		.amdhsa_reserve_vcc 1
		.amdhsa_reserve_flat_scratch 0
		.amdhsa_float_round_mode_32 0
		.amdhsa_float_round_mode_16_64 0
		.amdhsa_float_denorm_mode_32 3
		.amdhsa_float_denorm_mode_16_64 3
		.amdhsa_dx10_clamp 1
		.amdhsa_ieee_mode 1
		.amdhsa_fp16_overflow 0
		.amdhsa_exception_fp_ieee_invalid_op 0
		.amdhsa_exception_fp_denorm_src 0
		.amdhsa_exception_fp_ieee_div_zero 0
		.amdhsa_exception_fp_ieee_overflow 0
		.amdhsa_exception_fp_ieee_underflow 0
		.amdhsa_exception_fp_ieee_inexact 0
		.amdhsa_exception_int_div_zero 0
	.end_amdhsa_kernel
	.section	.text._ZN2at6native29vectorized_elementwise_kernelILi4ENS0_13BUnaryFunctorIN3c108BFloat16ES4_S4_ZNS0_12_GLOBAL__N_121threshold_kernel_implIS4_EEvRNS_18TensorIteratorBaseET_S9_EUlS4_S4_E_EESt5arrayIPcLm2EEEEviT0_T1_,"axG",@progbits,_ZN2at6native29vectorized_elementwise_kernelILi4ENS0_13BUnaryFunctorIN3c108BFloat16ES4_S4_ZNS0_12_GLOBAL__N_121threshold_kernel_implIS4_EEvRNS_18TensorIteratorBaseET_S9_EUlS4_S4_E_EESt5arrayIPcLm2EEEEviT0_T1_,comdat
.Lfunc_end227:
	.size	_ZN2at6native29vectorized_elementwise_kernelILi4ENS0_13BUnaryFunctorIN3c108BFloat16ES4_S4_ZNS0_12_GLOBAL__N_121threshold_kernel_implIS4_EEvRNS_18TensorIteratorBaseET_S9_EUlS4_S4_E_EESt5arrayIPcLm2EEEEviT0_T1_, .Lfunc_end227-_ZN2at6native29vectorized_elementwise_kernelILi4ENS0_13BUnaryFunctorIN3c108BFloat16ES4_S4_ZNS0_12_GLOBAL__N_121threshold_kernel_implIS4_EEvRNS_18TensorIteratorBaseET_S9_EUlS4_S4_E_EESt5arrayIPcLm2EEEEviT0_T1_
                                        ; -- End function
	.set _ZN2at6native29vectorized_elementwise_kernelILi4ENS0_13BUnaryFunctorIN3c108BFloat16ES4_S4_ZNS0_12_GLOBAL__N_121threshold_kernel_implIS4_EEvRNS_18TensorIteratorBaseET_S9_EUlS4_S4_E_EESt5arrayIPcLm2EEEEviT0_T1_.num_vgpr, 13
	.set _ZN2at6native29vectorized_elementwise_kernelILi4ENS0_13BUnaryFunctorIN3c108BFloat16ES4_S4_ZNS0_12_GLOBAL__N_121threshold_kernel_implIS4_EEvRNS_18TensorIteratorBaseET_S9_EUlS4_S4_E_EESt5arrayIPcLm2EEEEviT0_T1_.num_agpr, 0
	.set _ZN2at6native29vectorized_elementwise_kernelILi4ENS0_13BUnaryFunctorIN3c108BFloat16ES4_S4_ZNS0_12_GLOBAL__N_121threshold_kernel_implIS4_EEvRNS_18TensorIteratorBaseET_S9_EUlS4_S4_E_EESt5arrayIPcLm2EEEEviT0_T1_.numbered_sgpr, 14
	.set _ZN2at6native29vectorized_elementwise_kernelILi4ENS0_13BUnaryFunctorIN3c108BFloat16ES4_S4_ZNS0_12_GLOBAL__N_121threshold_kernel_implIS4_EEvRNS_18TensorIteratorBaseET_S9_EUlS4_S4_E_EESt5arrayIPcLm2EEEEviT0_T1_.num_named_barrier, 0
	.set _ZN2at6native29vectorized_elementwise_kernelILi4ENS0_13BUnaryFunctorIN3c108BFloat16ES4_S4_ZNS0_12_GLOBAL__N_121threshold_kernel_implIS4_EEvRNS_18TensorIteratorBaseET_S9_EUlS4_S4_E_EESt5arrayIPcLm2EEEEviT0_T1_.private_seg_size, 0
	.set _ZN2at6native29vectorized_elementwise_kernelILi4ENS0_13BUnaryFunctorIN3c108BFloat16ES4_S4_ZNS0_12_GLOBAL__N_121threshold_kernel_implIS4_EEvRNS_18TensorIteratorBaseET_S9_EUlS4_S4_E_EESt5arrayIPcLm2EEEEviT0_T1_.uses_vcc, 1
	.set _ZN2at6native29vectorized_elementwise_kernelILi4ENS0_13BUnaryFunctorIN3c108BFloat16ES4_S4_ZNS0_12_GLOBAL__N_121threshold_kernel_implIS4_EEvRNS_18TensorIteratorBaseET_S9_EUlS4_S4_E_EESt5arrayIPcLm2EEEEviT0_T1_.uses_flat_scratch, 0
	.set _ZN2at6native29vectorized_elementwise_kernelILi4ENS0_13BUnaryFunctorIN3c108BFloat16ES4_S4_ZNS0_12_GLOBAL__N_121threshold_kernel_implIS4_EEvRNS_18TensorIteratorBaseET_S9_EUlS4_S4_E_EESt5arrayIPcLm2EEEEviT0_T1_.has_dyn_sized_stack, 0
	.set _ZN2at6native29vectorized_elementwise_kernelILi4ENS0_13BUnaryFunctorIN3c108BFloat16ES4_S4_ZNS0_12_GLOBAL__N_121threshold_kernel_implIS4_EEvRNS_18TensorIteratorBaseET_S9_EUlS4_S4_E_EESt5arrayIPcLm2EEEEviT0_T1_.has_recursion, 0
	.set _ZN2at6native29vectorized_elementwise_kernelILi4ENS0_13BUnaryFunctorIN3c108BFloat16ES4_S4_ZNS0_12_GLOBAL__N_121threshold_kernel_implIS4_EEvRNS_18TensorIteratorBaseET_S9_EUlS4_S4_E_EESt5arrayIPcLm2EEEEviT0_T1_.has_indirect_call, 0
	.section	.AMDGPU.csdata,"",@progbits
; Kernel info:
; codeLenInByte = 1676
; TotalNumSgprs: 18
; NumVgprs: 13
; ScratchSize: 0
; MemoryBound: 0
; FloatMode: 240
; IeeeMode: 1
; LDSByteSize: 0 bytes/workgroup (compile time only)
; SGPRBlocks: 2
; VGPRBlocks: 3
; NumSGPRsForWavesPerEU: 18
; NumVGPRsForWavesPerEU: 13
; Occupancy: 10
; WaveLimiterHint : 1
; COMPUTE_PGM_RSRC2:SCRATCH_EN: 0
; COMPUTE_PGM_RSRC2:USER_SGPR: 6
; COMPUTE_PGM_RSRC2:TRAP_HANDLER: 0
; COMPUTE_PGM_RSRC2:TGID_X_EN: 1
; COMPUTE_PGM_RSRC2:TGID_Y_EN: 0
; COMPUTE_PGM_RSRC2:TGID_Z_EN: 0
; COMPUTE_PGM_RSRC2:TIDIG_COMP_CNT: 0
	.section	.text._ZN2at6native29vectorized_elementwise_kernelILi2ENS0_13BUnaryFunctorIN3c108BFloat16ES4_S4_ZNS0_12_GLOBAL__N_121threshold_kernel_implIS4_EEvRNS_18TensorIteratorBaseET_S9_EUlS4_S4_E_EESt5arrayIPcLm2EEEEviT0_T1_,"axG",@progbits,_ZN2at6native29vectorized_elementwise_kernelILi2ENS0_13BUnaryFunctorIN3c108BFloat16ES4_S4_ZNS0_12_GLOBAL__N_121threshold_kernel_implIS4_EEvRNS_18TensorIteratorBaseET_S9_EUlS4_S4_E_EESt5arrayIPcLm2EEEEviT0_T1_,comdat
	.globl	_ZN2at6native29vectorized_elementwise_kernelILi2ENS0_13BUnaryFunctorIN3c108BFloat16ES4_S4_ZNS0_12_GLOBAL__N_121threshold_kernel_implIS4_EEvRNS_18TensorIteratorBaseET_S9_EUlS4_S4_E_EESt5arrayIPcLm2EEEEviT0_T1_ ; -- Begin function _ZN2at6native29vectorized_elementwise_kernelILi2ENS0_13BUnaryFunctorIN3c108BFloat16ES4_S4_ZNS0_12_GLOBAL__N_121threshold_kernel_implIS4_EEvRNS_18TensorIteratorBaseET_S9_EUlS4_S4_E_EESt5arrayIPcLm2EEEEviT0_T1_
	.p2align	8
	.type	_ZN2at6native29vectorized_elementwise_kernelILi2ENS0_13BUnaryFunctorIN3c108BFloat16ES4_S4_ZNS0_12_GLOBAL__N_121threshold_kernel_implIS4_EEvRNS_18TensorIteratorBaseET_S9_EUlS4_S4_E_EESt5arrayIPcLm2EEEEviT0_T1_,@function
_ZN2at6native29vectorized_elementwise_kernelILi2ENS0_13BUnaryFunctorIN3c108BFloat16ES4_S4_ZNS0_12_GLOBAL__N_121threshold_kernel_implIS4_EEvRNS_18TensorIteratorBaseET_S9_EUlS4_S4_E_EESt5arrayIPcLm2EEEEviT0_T1_: ; @_ZN2at6native29vectorized_elementwise_kernelILi2ENS0_13BUnaryFunctorIN3c108BFloat16ES4_S4_ZNS0_12_GLOBAL__N_121threshold_kernel_implIS4_EEvRNS_18TensorIteratorBaseET_S9_EUlS4_S4_E_EESt5arrayIPcLm2EEEEviT0_T1_
; %bb.0:
	s_load_dword s0, s[4:5], 0x8
	s_load_dwordx2 s[12:13], s[4:5], 0x0
	s_load_dwordx4 s[8:11], s[4:5], 0x10
	s_lshl_b32 s2, s6, 11
	s_waitcnt lgkmcnt(0)
	s_and_b32 s7, s0, 0xffff
	s_sub_i32 s6, s12, s2
	s_cmpk_gt_i32 s6, 0x7ff
	s_mov_b64 s[0:1], -1
	s_cbranch_scc0 .LBB228_2
; %bb.1:
	s_ashr_i32 s3, s2, 31
	s_lshr_b32 s12, s13, 16
	s_lshl_b64 s[0:1], s[2:3], 1
	s_add_u32 s4, s10, s0
	s_addc_u32 s5, s11, s1
	v_lshlrev_b32_e32 v1, 2, v0
	global_load_dword v2, v1, s[4:5]
	global_load_dword v3, v1, s[4:5] offset:1024
	global_load_dword v4, v1, s[4:5] offset:2048
	;; [unrolled: 1-line block ×3, first 2 shown]
	s_lshl_b32 s3, s13, 16
	v_mov_b32_e32 v6, s7
	v_mov_b32_e32 v7, s12
	s_add_u32 s0, s8, s0
	s_addc_u32 s1, s9, s1
	s_waitcnt vmcnt(3)
	v_lshlrev_b32_e32 v8, 16, v2
	v_and_b32_e32 v2, 0xffff0000, v2
	v_cmp_ge_f32_e32 vcc, s3, v8
	s_waitcnt vmcnt(2)
	v_lshlrev_b32_e32 v9, 16, v3
	v_cndmask_b32_e32 v8, v6, v7, vcc
	v_cmp_ge_f32_e32 vcc, s3, v2
	v_and_b32_e32 v3, 0xffff0000, v3
	v_cndmask_b32_e32 v2, v6, v7, vcc
	v_cmp_ge_f32_e32 vcc, s3, v9
	s_waitcnt vmcnt(1)
	v_lshlrev_b32_e32 v10, 16, v4
	v_cndmask_b32_e32 v9, v6, v7, vcc
	v_cmp_ge_f32_e32 vcc, s3, v3
	v_and_b32_e32 v4, 0xffff0000, v4
	v_cndmask_b32_e32 v3, v6, v7, vcc
	;; [unrolled: 7-line block ×3, first 2 shown]
	v_cmp_ge_f32_e32 vcc, s3, v11
	v_cndmask_b32_e32 v11, v6, v7, vcc
	v_cmp_ge_f32_e32 vcc, s3, v5
	v_cndmask_b32_e32 v5, v6, v7, vcc
	v_lshl_or_b32 v2, v2, 16, v8
	v_lshl_or_b32 v3, v3, 16, v9
	;; [unrolled: 1-line block ×4, first 2 shown]
	global_store_dword v1, v2, s[0:1]
	global_store_dword v1, v3, s[0:1] offset:1024
	global_store_dword v1, v4, s[0:1] offset:2048
	;; [unrolled: 1-line block ×3, first 2 shown]
	s_mov_b64 s[0:1], 0
.LBB228_2:
	s_andn2_b64 vcc, exec, s[0:1]
	s_cbranch_vccnz .LBB228_28
; %bb.3:
	v_cmp_gt_i32_e32 vcc, s6, v0
	v_mov_b32_e32 v3, 0
	v_or_b32_e32 v1, s2, v0
	v_mov_b32_e32 v2, 0
	v_mov_b32_e32 v10, v0
	s_and_saveexec_b64 s[4:5], vcc
	s_cbranch_execz .LBB228_5
; %bb.4:
	v_mov_b32_e32 v2, 0
	v_lshlrev_b64 v[4:5], 1, v[1:2]
	v_mov_b32_e32 v2, s11
	v_add_co_u32_e64 v4, s[0:1], s10, v4
	v_addc_co_u32_e64 v5, s[0:1], v2, v5, s[0:1]
	global_load_ushort v2, v[4:5], off
	v_or_b32_e32 v10, 0x100, v0
	s_waitcnt vmcnt(0)
	v_lshlrev_b32_e32 v2, 16, v2
.LBB228_5:
	s_or_b64 exec, exec, s[4:5]
	v_cmp_gt_i32_e64 s[0:1], s6, v10
	s_and_saveexec_b64 s[4:5], s[0:1]
	s_cbranch_execz .LBB228_7
; %bb.6:
	v_add_u32_e32 v3, s2, v10
	v_mov_b32_e32 v4, 0
	v_lshlrev_b64 v[3:4], 1, v[3:4]
	v_mov_b32_e32 v5, s11
	v_add_co_u32_e64 v3, s[0:1], s10, v3
	v_addc_co_u32_e64 v4, s[0:1], v5, v4, s[0:1]
	global_load_ushort v3, v[3:4], off
	v_add_u32_e32 v10, 0x100, v10
	s_waitcnt vmcnt(0)
	v_lshlrev_b32_e32 v3, 16, v3
.LBB228_7:
	s_or_b64 exec, exec, s[4:5]
	v_cmp_gt_i32_e64 s[0:1], s6, v10
	v_mov_b32_e32 v4, 0
	v_mov_b32_e32 v7, 0
	s_and_saveexec_b64 s[4:5], s[0:1]
	s_cbranch_execz .LBB228_9
; %bb.8:
	v_add_u32_e32 v5, s2, v10
	v_mov_b32_e32 v6, 0
	v_lshlrev_b64 v[5:6], 1, v[5:6]
	v_mov_b32_e32 v7, s11
	v_add_co_u32_e64 v5, s[0:1], s10, v5
	v_addc_co_u32_e64 v6, s[0:1], v7, v6, s[0:1]
	global_load_ushort v5, v[5:6], off
	v_add_u32_e32 v10, 0x100, v10
	s_waitcnt vmcnt(0)
	v_lshlrev_b32_e32 v7, 16, v5
.LBB228_9:
	s_or_b64 exec, exec, s[4:5]
	v_cmp_gt_i32_e64 s[0:1], s6, v10
	s_and_saveexec_b64 s[4:5], s[0:1]
	s_cbranch_execz .LBB228_11
; %bb.10:
	v_add_u32_e32 v4, s2, v10
	v_mov_b32_e32 v5, 0
	v_lshlrev_b64 v[4:5], 1, v[4:5]
	v_mov_b32_e32 v6, s11
	v_add_co_u32_e64 v4, s[0:1], s10, v4
	v_addc_co_u32_e64 v5, s[0:1], v6, v5, s[0:1]
	global_load_ushort v4, v[4:5], off
	v_add_u32_e32 v10, 0x100, v10
	s_waitcnt vmcnt(0)
	v_lshlrev_b32_e32 v4, 16, v4
.LBB228_11:
	s_or_b64 exec, exec, s[4:5]
	v_cmp_gt_i32_e64 s[0:1], s6, v10
	v_mov_b32_e32 v5, 0
	v_mov_b32_e32 v8, 0
	s_and_saveexec_b64 s[4:5], s[0:1]
	s_cbranch_execz .LBB228_13
; %bb.12:
	v_add_u32_e32 v8, s2, v10
	v_mov_b32_e32 v9, 0
	v_lshlrev_b64 v[8:9], 1, v[8:9]
	v_mov_b32_e32 v6, s11
	v_add_co_u32_e64 v8, s[0:1], s10, v8
	v_addc_co_u32_e64 v9, s[0:1], v6, v9, s[0:1]
	global_load_ushort v6, v[8:9], off
	v_add_u32_e32 v10, 0x100, v10
	s_waitcnt vmcnt(0)
	v_lshlrev_b32_e32 v8, 16, v6
.LBB228_13:
	;; [unrolled: 34-line block ×3, first 2 shown]
	s_or_b64 exec, exec, s[4:5]
	v_cmp_gt_i32_e64 s[0:1], s6, v10
	s_and_saveexec_b64 s[4:5], s[0:1]
	s_cbranch_execz .LBB228_19
; %bb.18:
	v_add_u32_e32 v10, s2, v10
	v_mov_b32_e32 v11, 0
	v_lshlrev_b64 v[10:11], 1, v[10:11]
	v_mov_b32_e32 v6, s11
	v_add_co_u32_e64 v10, s[0:1], s10, v10
	v_addc_co_u32_e64 v11, s[0:1], v6, v11, s[0:1]
	global_load_ushort v6, v[10:11], off
	s_waitcnt vmcnt(0)
	v_lshlrev_b32_e32 v6, 16, v6
.LBB228_19:
	s_or_b64 exec, exec, s[4:5]
	s_lshr_b32 s3, s13, 16
	s_lshl_b32 s4, s13, 16
	s_and_saveexec_b64 s[0:1], vcc
	s_cbranch_execnz .LBB228_29
; %bb.20:
	s_or_b64 exec, exec, s[0:1]
	v_cmp_gt_i32_e32 vcc, s6, v0
	s_and_saveexec_b64 s[0:1], vcc
	s_cbranch_execnz .LBB228_30
.LBB228_21:
	s_or_b64 exec, exec, s[0:1]
	v_cmp_gt_i32_e32 vcc, s6, v0
	s_and_saveexec_b64 s[0:1], vcc
	s_cbranch_execnz .LBB228_31
.LBB228_22:
	s_or_b64 exec, exec, s[0:1]
	v_cmp_gt_i32_e32 vcc, s6, v0
	s_and_saveexec_b64 s[0:1], vcc
	s_cbranch_execnz .LBB228_32
.LBB228_23:
	s_or_b64 exec, exec, s[0:1]
	v_cmp_gt_i32_e32 vcc, s6, v0
	s_and_saveexec_b64 s[0:1], vcc
	s_cbranch_execnz .LBB228_33
.LBB228_24:
	s_or_b64 exec, exec, s[0:1]
	v_cmp_gt_i32_e32 vcc, s6, v0
	s_and_saveexec_b64 s[0:1], vcc
	s_cbranch_execnz .LBB228_34
.LBB228_25:
	s_or_b64 exec, exec, s[0:1]
	v_cmp_gt_i32_e32 vcc, s6, v0
	s_and_saveexec_b64 s[0:1], vcc
	s_cbranch_execnz .LBB228_35
.LBB228_26:
	s_or_b64 exec, exec, s[0:1]
	v_cmp_gt_i32_e32 vcc, s6, v0
	s_and_saveexec_b64 s[0:1], vcc
	s_cbranch_execz .LBB228_28
.LBB228_27:
	v_mov_b32_e32 v1, s7
	v_mov_b32_e32 v2, s3
	v_cmp_ge_f32_e32 vcc, s4, v6
	v_cndmask_b32_e32 v2, v1, v2, vcc
	v_add_u32_e32 v0, s2, v0
	v_mov_b32_e32 v1, 0
	v_lshlrev_b64 v[0:1], 1, v[0:1]
	v_mov_b32_e32 v3, s9
	v_add_co_u32_e32 v0, vcc, s8, v0
	v_addc_co_u32_e32 v1, vcc, v3, v1, vcc
	global_store_short v[0:1], v2, off
.LBB228_28:
	s_endpgm
.LBB228_29:
	v_cmp_ge_f32_e32 vcc, s4, v2
	v_mov_b32_e32 v2, 0
	v_lshlrev_b64 v[1:2], 1, v[1:2]
	v_mov_b32_e32 v10, s7
	v_mov_b32_e32 v11, s3
	v_cndmask_b32_e32 v10, v10, v11, vcc
	v_mov_b32_e32 v11, s9
	v_add_co_u32_e32 v1, vcc, s8, v1
	v_or_b32_e32 v0, 0x100, v0
	v_addc_co_u32_e32 v2, vcc, v11, v2, vcc
	global_store_short v[1:2], v10, off
	s_or_b64 exec, exec, s[0:1]
	v_cmp_gt_i32_e32 vcc, s6, v0
	s_and_saveexec_b64 s[0:1], vcc
	s_cbranch_execz .LBB228_21
.LBB228_30:
	v_mov_b32_e32 v1, s7
	v_mov_b32_e32 v2, s3
	v_cmp_ge_f32_e32 vcc, s4, v3
	v_cndmask_b32_e32 v3, v1, v2, vcc
	v_add_u32_e32 v1, s2, v0
	v_mov_b32_e32 v2, 0
	v_lshlrev_b64 v[1:2], 1, v[1:2]
	v_mov_b32_e32 v10, s9
	v_add_co_u32_e32 v1, vcc, s8, v1
	v_addc_co_u32_e32 v2, vcc, v10, v2, vcc
	v_add_u32_e32 v0, 0x100, v0
	global_store_short v[1:2], v3, off
	s_or_b64 exec, exec, s[0:1]
	v_cmp_gt_i32_e32 vcc, s6, v0
	s_and_saveexec_b64 s[0:1], vcc
	s_cbranch_execz .LBB228_22
.LBB228_31:
	v_mov_b32_e32 v1, s7
	v_mov_b32_e32 v2, s3
	v_cmp_ge_f32_e32 vcc, s4, v7
	v_cndmask_b32_e32 v3, v1, v2, vcc
	v_add_u32_e32 v1, s2, v0
	v_mov_b32_e32 v2, 0
	v_lshlrev_b64 v[1:2], 1, v[1:2]
	v_mov_b32_e32 v7, s9
	v_add_co_u32_e32 v1, vcc, s8, v1
	v_addc_co_u32_e32 v2, vcc, v7, v2, vcc
	v_add_u32_e32 v0, 0x100, v0
	global_store_short v[1:2], v3, off
	s_or_b64 exec, exec, s[0:1]
	v_cmp_gt_i32_e32 vcc, s6, v0
	s_and_saveexec_b64 s[0:1], vcc
	s_cbranch_execz .LBB228_23
.LBB228_32:
	v_mov_b32_e32 v1, s7
	v_mov_b32_e32 v2, s3
	v_cmp_ge_f32_e32 vcc, s4, v4
	v_cndmask_b32_e32 v3, v1, v2, vcc
	v_add_u32_e32 v1, s2, v0
	v_mov_b32_e32 v2, 0
	v_lshlrev_b64 v[1:2], 1, v[1:2]
	v_mov_b32_e32 v4, s9
	v_add_co_u32_e32 v1, vcc, s8, v1
	v_addc_co_u32_e32 v2, vcc, v4, v2, vcc
	v_add_u32_e32 v0, 0x100, v0
	global_store_short v[1:2], v3, off
	s_or_b64 exec, exec, s[0:1]
	v_cmp_gt_i32_e32 vcc, s6, v0
	s_and_saveexec_b64 s[0:1], vcc
	s_cbranch_execz .LBB228_24
.LBB228_33:
	v_mov_b32_e32 v1, s7
	v_mov_b32_e32 v2, s3
	v_cmp_ge_f32_e32 vcc, s4, v8
	v_cndmask_b32_e32 v3, v1, v2, vcc
	v_add_u32_e32 v1, s2, v0
	v_mov_b32_e32 v2, 0
	v_lshlrev_b64 v[1:2], 1, v[1:2]
	v_mov_b32_e32 v4, s9
	v_add_co_u32_e32 v1, vcc, s8, v1
	v_addc_co_u32_e32 v2, vcc, v4, v2, vcc
	v_add_u32_e32 v0, 0x100, v0
	global_store_short v[1:2], v3, off
	s_or_b64 exec, exec, s[0:1]
	v_cmp_gt_i32_e32 vcc, s6, v0
	s_and_saveexec_b64 s[0:1], vcc
	s_cbranch_execz .LBB228_25
.LBB228_34:
	v_mov_b32_e32 v1, s7
	v_mov_b32_e32 v2, s3
	v_cmp_ge_f32_e32 vcc, s4, v5
	v_cndmask_b32_e32 v3, v1, v2, vcc
	v_add_u32_e32 v1, s2, v0
	v_mov_b32_e32 v2, 0
	v_lshlrev_b64 v[1:2], 1, v[1:2]
	v_mov_b32_e32 v4, s9
	v_add_co_u32_e32 v1, vcc, s8, v1
	v_addc_co_u32_e32 v2, vcc, v4, v2, vcc
	v_add_u32_e32 v0, 0x100, v0
	global_store_short v[1:2], v3, off
	s_or_b64 exec, exec, s[0:1]
	v_cmp_gt_i32_e32 vcc, s6, v0
	s_and_saveexec_b64 s[0:1], vcc
	s_cbranch_execz .LBB228_26
.LBB228_35:
	v_mov_b32_e32 v1, s7
	v_mov_b32_e32 v2, s3
	v_cmp_ge_f32_e32 vcc, s4, v9
	v_cndmask_b32_e32 v3, v1, v2, vcc
	v_add_u32_e32 v1, s2, v0
	v_mov_b32_e32 v2, 0
	v_lshlrev_b64 v[1:2], 1, v[1:2]
	v_mov_b32_e32 v4, s9
	v_add_co_u32_e32 v1, vcc, s8, v1
	v_addc_co_u32_e32 v2, vcc, v4, v2, vcc
	v_add_u32_e32 v0, 0x100, v0
	global_store_short v[1:2], v3, off
	s_or_b64 exec, exec, s[0:1]
	v_cmp_gt_i32_e32 vcc, s6, v0
	s_and_saveexec_b64 s[0:1], vcc
	s_cbranch_execnz .LBB228_27
	s_branch .LBB228_28
	.section	.rodata,"a",@progbits
	.p2align	6, 0x0
	.amdhsa_kernel _ZN2at6native29vectorized_elementwise_kernelILi2ENS0_13BUnaryFunctorIN3c108BFloat16ES4_S4_ZNS0_12_GLOBAL__N_121threshold_kernel_implIS4_EEvRNS_18TensorIteratorBaseET_S9_EUlS4_S4_E_EESt5arrayIPcLm2EEEEviT0_T1_
		.amdhsa_group_segment_fixed_size 0
		.amdhsa_private_segment_fixed_size 0
		.amdhsa_kernarg_size 32
		.amdhsa_user_sgpr_count 6
		.amdhsa_user_sgpr_private_segment_buffer 1
		.amdhsa_user_sgpr_dispatch_ptr 0
		.amdhsa_user_sgpr_queue_ptr 0
		.amdhsa_user_sgpr_kernarg_segment_ptr 1
		.amdhsa_user_sgpr_dispatch_id 0
		.amdhsa_user_sgpr_flat_scratch_init 0
		.amdhsa_user_sgpr_private_segment_size 0
		.amdhsa_uses_dynamic_stack 0
		.amdhsa_system_sgpr_private_segment_wavefront_offset 0
		.amdhsa_system_sgpr_workgroup_id_x 1
		.amdhsa_system_sgpr_workgroup_id_y 0
		.amdhsa_system_sgpr_workgroup_id_z 0
		.amdhsa_system_sgpr_workgroup_info 0
		.amdhsa_system_vgpr_workitem_id 0
		.amdhsa_next_free_vgpr 13
		.amdhsa_next_free_sgpr 14
		.amdhsa_reserve_vcc 1
		.amdhsa_reserve_flat_scratch 0
		.amdhsa_float_round_mode_32 0
		.amdhsa_float_round_mode_16_64 0
		.amdhsa_float_denorm_mode_32 3
		.amdhsa_float_denorm_mode_16_64 3
		.amdhsa_dx10_clamp 1
		.amdhsa_ieee_mode 1
		.amdhsa_fp16_overflow 0
		.amdhsa_exception_fp_ieee_invalid_op 0
		.amdhsa_exception_fp_denorm_src 0
		.amdhsa_exception_fp_ieee_div_zero 0
		.amdhsa_exception_fp_ieee_overflow 0
		.amdhsa_exception_fp_ieee_underflow 0
		.amdhsa_exception_fp_ieee_inexact 0
		.amdhsa_exception_int_div_zero 0
	.end_amdhsa_kernel
	.section	.text._ZN2at6native29vectorized_elementwise_kernelILi2ENS0_13BUnaryFunctorIN3c108BFloat16ES4_S4_ZNS0_12_GLOBAL__N_121threshold_kernel_implIS4_EEvRNS_18TensorIteratorBaseET_S9_EUlS4_S4_E_EESt5arrayIPcLm2EEEEviT0_T1_,"axG",@progbits,_ZN2at6native29vectorized_elementwise_kernelILi2ENS0_13BUnaryFunctorIN3c108BFloat16ES4_S4_ZNS0_12_GLOBAL__N_121threshold_kernel_implIS4_EEvRNS_18TensorIteratorBaseET_S9_EUlS4_S4_E_EESt5arrayIPcLm2EEEEviT0_T1_,comdat
.Lfunc_end228:
	.size	_ZN2at6native29vectorized_elementwise_kernelILi2ENS0_13BUnaryFunctorIN3c108BFloat16ES4_S4_ZNS0_12_GLOBAL__N_121threshold_kernel_implIS4_EEvRNS_18TensorIteratorBaseET_S9_EUlS4_S4_E_EESt5arrayIPcLm2EEEEviT0_T1_, .Lfunc_end228-_ZN2at6native29vectorized_elementwise_kernelILi2ENS0_13BUnaryFunctorIN3c108BFloat16ES4_S4_ZNS0_12_GLOBAL__N_121threshold_kernel_implIS4_EEvRNS_18TensorIteratorBaseET_S9_EUlS4_S4_E_EESt5arrayIPcLm2EEEEviT0_T1_
                                        ; -- End function
	.set _ZN2at6native29vectorized_elementwise_kernelILi2ENS0_13BUnaryFunctorIN3c108BFloat16ES4_S4_ZNS0_12_GLOBAL__N_121threshold_kernel_implIS4_EEvRNS_18TensorIteratorBaseET_S9_EUlS4_S4_E_EESt5arrayIPcLm2EEEEviT0_T1_.num_vgpr, 13
	.set _ZN2at6native29vectorized_elementwise_kernelILi2ENS0_13BUnaryFunctorIN3c108BFloat16ES4_S4_ZNS0_12_GLOBAL__N_121threshold_kernel_implIS4_EEvRNS_18TensorIteratorBaseET_S9_EUlS4_S4_E_EESt5arrayIPcLm2EEEEviT0_T1_.num_agpr, 0
	.set _ZN2at6native29vectorized_elementwise_kernelILi2ENS0_13BUnaryFunctorIN3c108BFloat16ES4_S4_ZNS0_12_GLOBAL__N_121threshold_kernel_implIS4_EEvRNS_18TensorIteratorBaseET_S9_EUlS4_S4_E_EESt5arrayIPcLm2EEEEviT0_T1_.numbered_sgpr, 14
	.set _ZN2at6native29vectorized_elementwise_kernelILi2ENS0_13BUnaryFunctorIN3c108BFloat16ES4_S4_ZNS0_12_GLOBAL__N_121threshold_kernel_implIS4_EEvRNS_18TensorIteratorBaseET_S9_EUlS4_S4_E_EESt5arrayIPcLm2EEEEviT0_T1_.num_named_barrier, 0
	.set _ZN2at6native29vectorized_elementwise_kernelILi2ENS0_13BUnaryFunctorIN3c108BFloat16ES4_S4_ZNS0_12_GLOBAL__N_121threshold_kernel_implIS4_EEvRNS_18TensorIteratorBaseET_S9_EUlS4_S4_E_EESt5arrayIPcLm2EEEEviT0_T1_.private_seg_size, 0
	.set _ZN2at6native29vectorized_elementwise_kernelILi2ENS0_13BUnaryFunctorIN3c108BFloat16ES4_S4_ZNS0_12_GLOBAL__N_121threshold_kernel_implIS4_EEvRNS_18TensorIteratorBaseET_S9_EUlS4_S4_E_EESt5arrayIPcLm2EEEEviT0_T1_.uses_vcc, 1
	.set _ZN2at6native29vectorized_elementwise_kernelILi2ENS0_13BUnaryFunctorIN3c108BFloat16ES4_S4_ZNS0_12_GLOBAL__N_121threshold_kernel_implIS4_EEvRNS_18TensorIteratorBaseET_S9_EUlS4_S4_E_EESt5arrayIPcLm2EEEEviT0_T1_.uses_flat_scratch, 0
	.set _ZN2at6native29vectorized_elementwise_kernelILi2ENS0_13BUnaryFunctorIN3c108BFloat16ES4_S4_ZNS0_12_GLOBAL__N_121threshold_kernel_implIS4_EEvRNS_18TensorIteratorBaseET_S9_EUlS4_S4_E_EESt5arrayIPcLm2EEEEviT0_T1_.has_dyn_sized_stack, 0
	.set _ZN2at6native29vectorized_elementwise_kernelILi2ENS0_13BUnaryFunctorIN3c108BFloat16ES4_S4_ZNS0_12_GLOBAL__N_121threshold_kernel_implIS4_EEvRNS_18TensorIteratorBaseET_S9_EUlS4_S4_E_EESt5arrayIPcLm2EEEEviT0_T1_.has_recursion, 0
	.set _ZN2at6native29vectorized_elementwise_kernelILi2ENS0_13BUnaryFunctorIN3c108BFloat16ES4_S4_ZNS0_12_GLOBAL__N_121threshold_kernel_implIS4_EEvRNS_18TensorIteratorBaseET_S9_EUlS4_S4_E_EESt5arrayIPcLm2EEEEviT0_T1_.has_indirect_call, 0
	.section	.AMDGPU.csdata,"",@progbits
; Kernel info:
; codeLenInByte = 1716
; TotalNumSgprs: 18
; NumVgprs: 13
; ScratchSize: 0
; MemoryBound: 0
; FloatMode: 240
; IeeeMode: 1
; LDSByteSize: 0 bytes/workgroup (compile time only)
; SGPRBlocks: 2
; VGPRBlocks: 3
; NumSGPRsForWavesPerEU: 18
; NumVGPRsForWavesPerEU: 13
; Occupancy: 10
; WaveLimiterHint : 1
; COMPUTE_PGM_RSRC2:SCRATCH_EN: 0
; COMPUTE_PGM_RSRC2:USER_SGPR: 6
; COMPUTE_PGM_RSRC2:TRAP_HANDLER: 0
; COMPUTE_PGM_RSRC2:TGID_X_EN: 1
; COMPUTE_PGM_RSRC2:TGID_Y_EN: 0
; COMPUTE_PGM_RSRC2:TGID_Z_EN: 0
; COMPUTE_PGM_RSRC2:TIDIG_COMP_CNT: 0
	.section	.text._ZN2at6native27unrolled_elementwise_kernelINS0_13BUnaryFunctorIN3c108BFloat16ES4_S4_ZNS0_12_GLOBAL__N_121threshold_kernel_implIS4_EEvRNS_18TensorIteratorBaseET_S9_EUlS4_S4_E_EESt5arrayIPcLm2EELi4E23TrivialOffsetCalculatorILi1EjESG_NS0_6memory15LoadWithoutCastENSH_16StoreWithoutCastEEEviS9_T0_T2_T3_T4_T5_,"axG",@progbits,_ZN2at6native27unrolled_elementwise_kernelINS0_13BUnaryFunctorIN3c108BFloat16ES4_S4_ZNS0_12_GLOBAL__N_121threshold_kernel_implIS4_EEvRNS_18TensorIteratorBaseET_S9_EUlS4_S4_E_EESt5arrayIPcLm2EELi4E23TrivialOffsetCalculatorILi1EjESG_NS0_6memory15LoadWithoutCastENSH_16StoreWithoutCastEEEviS9_T0_T2_T3_T4_T5_,comdat
	.globl	_ZN2at6native27unrolled_elementwise_kernelINS0_13BUnaryFunctorIN3c108BFloat16ES4_S4_ZNS0_12_GLOBAL__N_121threshold_kernel_implIS4_EEvRNS_18TensorIteratorBaseET_S9_EUlS4_S4_E_EESt5arrayIPcLm2EELi4E23TrivialOffsetCalculatorILi1EjESG_NS0_6memory15LoadWithoutCastENSH_16StoreWithoutCastEEEviS9_T0_T2_T3_T4_T5_ ; -- Begin function _ZN2at6native27unrolled_elementwise_kernelINS0_13BUnaryFunctorIN3c108BFloat16ES4_S4_ZNS0_12_GLOBAL__N_121threshold_kernel_implIS4_EEvRNS_18TensorIteratorBaseET_S9_EUlS4_S4_E_EESt5arrayIPcLm2EELi4E23TrivialOffsetCalculatorILi1EjESG_NS0_6memory15LoadWithoutCastENSH_16StoreWithoutCastEEEviS9_T0_T2_T3_T4_T5_
	.p2align	8
	.type	_ZN2at6native27unrolled_elementwise_kernelINS0_13BUnaryFunctorIN3c108BFloat16ES4_S4_ZNS0_12_GLOBAL__N_121threshold_kernel_implIS4_EEvRNS_18TensorIteratorBaseET_S9_EUlS4_S4_E_EESt5arrayIPcLm2EELi4E23TrivialOffsetCalculatorILi1EjESG_NS0_6memory15LoadWithoutCastENSH_16StoreWithoutCastEEEviS9_T0_T2_T3_T4_T5_,@function
_ZN2at6native27unrolled_elementwise_kernelINS0_13BUnaryFunctorIN3c108BFloat16ES4_S4_ZNS0_12_GLOBAL__N_121threshold_kernel_implIS4_EEvRNS_18TensorIteratorBaseET_S9_EUlS4_S4_E_EESt5arrayIPcLm2EELi4E23TrivialOffsetCalculatorILi1EjESG_NS0_6memory15LoadWithoutCastENSH_16StoreWithoutCastEEEviS9_T0_T2_T3_T4_T5_: ; @_ZN2at6native27unrolled_elementwise_kernelINS0_13BUnaryFunctorIN3c108BFloat16ES4_S4_ZNS0_12_GLOBAL__N_121threshold_kernel_implIS4_EEvRNS_18TensorIteratorBaseET_S9_EUlS4_S4_E_EESt5arrayIPcLm2EELi4E23TrivialOffsetCalculatorILi1EjESG_NS0_6memory15LoadWithoutCastENSH_16StoreWithoutCastEEEviS9_T0_T2_T3_T4_T5_
; %bb.0:
	s_load_dwordx2 s[2:3], s[4:5], 0x0
	s_load_dwordx4 s[8:11], s[4:5], 0x10
	s_lshl_b32 s12, s6, 10
	v_mov_b32_e32 v3, 0
	v_or_b32_e32 v1, s12, v0
	s_waitcnt lgkmcnt(0)
	s_sub_i32 s2, s2, s12
	v_cmp_gt_i32_e32 vcc, s2, v0
	v_mov_b32_e32 v5, 0
	v_mov_b32_e32 v2, v0
	s_and_saveexec_b64 s[6:7], vcc
	s_cbranch_execz .LBB229_2
; %bb.1:
	v_mov_b32_e32 v2, 0
	v_lshlrev_b64 v[4:5], 1, v[1:2]
	v_mov_b32_e32 v2, s11
	v_add_co_u32_e64 v4, s[0:1], s10, v4
	v_addc_co_u32_e64 v5, s[0:1], v2, v5, s[0:1]
	global_load_ushort v4, v[4:5], off
	v_or_b32_e32 v2, 0x100, v0
	s_waitcnt vmcnt(0)
	v_lshlrev_b32_e32 v5, 16, v4
.LBB229_2:
	s_or_b64 exec, exec, s[6:7]
	v_cmp_gt_i32_e64 s[0:1], s2, v2
	s_and_saveexec_b64 s[6:7], s[0:1]
	s_cbranch_execz .LBB229_4
; %bb.3:
	v_add_u32_e32 v3, s12, v2
	v_mov_b32_e32 v4, 0
	v_lshlrev_b64 v[3:4], 1, v[3:4]
	v_mov_b32_e32 v6, s11
	v_add_co_u32_e64 v3, s[0:1], s10, v3
	v_addc_co_u32_e64 v4, s[0:1], v6, v4, s[0:1]
	global_load_ushort v3, v[3:4], off
	v_add_u32_e32 v2, 0x100, v2
	s_waitcnt vmcnt(0)
	v_lshlrev_b32_e32 v3, 16, v3
.LBB229_4:
	s_or_b64 exec, exec, s[6:7]
	v_cmp_gt_i32_e64 s[0:1], s2, v2
	v_mov_b32_e32 v4, 0
	v_mov_b32_e32 v6, 0
	s_and_saveexec_b64 s[6:7], s[0:1]
	s_cbranch_execz .LBB229_6
; %bb.5:
	v_add_u32_e32 v6, s12, v2
	v_mov_b32_e32 v7, 0
	v_lshlrev_b64 v[6:7], 1, v[6:7]
	v_mov_b32_e32 v8, s11
	v_add_co_u32_e64 v6, s[0:1], s10, v6
	v_addc_co_u32_e64 v7, s[0:1], v8, v7, s[0:1]
	global_load_ushort v6, v[6:7], off
	v_add_u32_e32 v2, 0x100, v2
	s_waitcnt vmcnt(0)
	v_lshlrev_b32_e32 v6, 16, v6
.LBB229_6:
	s_or_b64 exec, exec, s[6:7]
	s_load_dword s6, s[4:5], 0x8
	v_cmp_gt_i32_e64 s[0:1], s2, v2
	s_and_saveexec_b64 s[4:5], s[0:1]
	s_cbranch_execz .LBB229_8
; %bb.7:
	v_add_u32_e32 v7, s12, v2
	v_mov_b32_e32 v8, 0
	v_lshlrev_b64 v[7:8], 1, v[7:8]
	v_mov_b32_e32 v2, s11
	v_add_co_u32_e64 v7, s[0:1], s10, v7
	v_addc_co_u32_e64 v8, s[0:1], v2, v8, s[0:1]
	global_load_ushort v2, v[7:8], off
	s_waitcnt vmcnt(0)
	v_lshlrev_b32_e32 v4, 16, v2
.LBB229_8:
	s_or_b64 exec, exec, s[4:5]
	s_lshr_b32 s4, s3, 16
	s_lshl_b32 s3, s3, 16
	s_and_saveexec_b64 s[0:1], vcc
	s_cbranch_execnz .LBB229_13
; %bb.9:
	s_or_b64 exec, exec, s[0:1]
	v_cmp_gt_i32_e32 vcc, s2, v0
	s_and_saveexec_b64 s[0:1], vcc
	s_cbranch_execnz .LBB229_14
.LBB229_10:
	s_or_b64 exec, exec, s[0:1]
	v_cmp_gt_i32_e32 vcc, s2, v0
	s_and_saveexec_b64 s[0:1], vcc
	s_cbranch_execnz .LBB229_15
.LBB229_11:
	s_or_b64 exec, exec, s[0:1]
	v_cmp_gt_i32_e32 vcc, s2, v0
	s_and_saveexec_b64 s[0:1], vcc
	s_cbranch_execnz .LBB229_16
.LBB229_12:
	s_endpgm
.LBB229_13:
	v_mov_b32_e32 v2, 0
	v_lshlrev_b64 v[1:2], 1, v[1:2]
	v_mov_b32_e32 v7, s9
	v_add_co_u32_e32 v1, vcc, s8, v1
	v_addc_co_u32_e32 v2, vcc, v7, v2, vcc
	s_waitcnt lgkmcnt(0)
	v_mov_b32_e32 v7, s6
	v_mov_b32_e32 v8, s4
	v_cmp_ge_f32_e32 vcc, s3, v5
	v_or_b32_e32 v0, 0x100, v0
	v_cndmask_b32_e32 v5, v7, v8, vcc
	global_store_short v[1:2], v5, off
	s_or_b64 exec, exec, s[0:1]
	v_cmp_gt_i32_e32 vcc, s2, v0
	s_and_saveexec_b64 s[0:1], vcc
	s_cbranch_execz .LBB229_10
.LBB229_14:
	s_waitcnt lgkmcnt(0)
	v_mov_b32_e32 v1, s6
	v_mov_b32_e32 v2, s4
	v_cmp_ge_f32_e32 vcc, s3, v3
	v_cndmask_b32_e32 v2, v1, v2, vcc
	v_add_u32_e32 v3, 0x100, v0
	v_add_u32_e32 v0, s12, v0
	v_mov_b32_e32 v1, 0
	v_lshlrev_b64 v[0:1], 1, v[0:1]
	v_mov_b32_e32 v5, s9
	v_add_co_u32_e32 v0, vcc, s8, v0
	v_addc_co_u32_e32 v1, vcc, v5, v1, vcc
	global_store_short v[0:1], v2, off
	v_mov_b32_e32 v0, v3
	s_or_b64 exec, exec, s[0:1]
	v_cmp_gt_i32_e32 vcc, s2, v0
	s_and_saveexec_b64 s[0:1], vcc
	s_cbranch_execz .LBB229_11
.LBB229_15:
	s_waitcnt lgkmcnt(0)
	v_mov_b32_e32 v1, s6
	v_mov_b32_e32 v2, s4
	v_cmp_ge_f32_e32 vcc, s3, v6
	v_cndmask_b32_e32 v2, v1, v2, vcc
	v_add_u32_e32 v3, 0x100, v0
	v_add_u32_e32 v0, s12, v0
	v_mov_b32_e32 v1, 0
	v_lshlrev_b64 v[0:1], 1, v[0:1]
	v_mov_b32_e32 v5, s9
	v_add_co_u32_e32 v0, vcc, s8, v0
	v_addc_co_u32_e32 v1, vcc, v5, v1, vcc
	global_store_short v[0:1], v2, off
	v_mov_b32_e32 v0, v3
	s_or_b64 exec, exec, s[0:1]
	v_cmp_gt_i32_e32 vcc, s2, v0
	s_and_saveexec_b64 s[0:1], vcc
	s_cbranch_execz .LBB229_12
.LBB229_16:
	s_waitcnt lgkmcnt(0)
	v_mov_b32_e32 v1, s6
	v_mov_b32_e32 v2, s4
	v_cmp_ge_f32_e32 vcc, s3, v4
	v_cndmask_b32_e32 v2, v1, v2, vcc
	v_add_u32_e32 v0, s12, v0
	v_mov_b32_e32 v1, 0
	v_lshlrev_b64 v[0:1], 1, v[0:1]
	v_mov_b32_e32 v3, s9
	v_add_co_u32_e32 v0, vcc, s8, v0
	v_addc_co_u32_e32 v1, vcc, v3, v1, vcc
	global_store_short v[0:1], v2, off
	s_endpgm
	.section	.rodata,"a",@progbits
	.p2align	6, 0x0
	.amdhsa_kernel _ZN2at6native27unrolled_elementwise_kernelINS0_13BUnaryFunctorIN3c108BFloat16ES4_S4_ZNS0_12_GLOBAL__N_121threshold_kernel_implIS4_EEvRNS_18TensorIteratorBaseET_S9_EUlS4_S4_E_EESt5arrayIPcLm2EELi4E23TrivialOffsetCalculatorILi1EjESG_NS0_6memory15LoadWithoutCastENSH_16StoreWithoutCastEEEviS9_T0_T2_T3_T4_T5_
		.amdhsa_group_segment_fixed_size 0
		.amdhsa_private_segment_fixed_size 0
		.amdhsa_kernarg_size 36
		.amdhsa_user_sgpr_count 6
		.amdhsa_user_sgpr_private_segment_buffer 1
		.amdhsa_user_sgpr_dispatch_ptr 0
		.amdhsa_user_sgpr_queue_ptr 0
		.amdhsa_user_sgpr_kernarg_segment_ptr 1
		.amdhsa_user_sgpr_dispatch_id 0
		.amdhsa_user_sgpr_flat_scratch_init 0
		.amdhsa_user_sgpr_private_segment_size 0
		.amdhsa_uses_dynamic_stack 0
		.amdhsa_system_sgpr_private_segment_wavefront_offset 0
		.amdhsa_system_sgpr_workgroup_id_x 1
		.amdhsa_system_sgpr_workgroup_id_y 0
		.amdhsa_system_sgpr_workgroup_id_z 0
		.amdhsa_system_sgpr_workgroup_info 0
		.amdhsa_system_vgpr_workitem_id 0
		.amdhsa_next_free_vgpr 9
		.amdhsa_next_free_sgpr 13
		.amdhsa_reserve_vcc 1
		.amdhsa_reserve_flat_scratch 0
		.amdhsa_float_round_mode_32 0
		.amdhsa_float_round_mode_16_64 0
		.amdhsa_float_denorm_mode_32 3
		.amdhsa_float_denorm_mode_16_64 3
		.amdhsa_dx10_clamp 1
		.amdhsa_ieee_mode 1
		.amdhsa_fp16_overflow 0
		.amdhsa_exception_fp_ieee_invalid_op 0
		.amdhsa_exception_fp_denorm_src 0
		.amdhsa_exception_fp_ieee_div_zero 0
		.amdhsa_exception_fp_ieee_overflow 0
		.amdhsa_exception_fp_ieee_underflow 0
		.amdhsa_exception_fp_ieee_inexact 0
		.amdhsa_exception_int_div_zero 0
	.end_amdhsa_kernel
	.section	.text._ZN2at6native27unrolled_elementwise_kernelINS0_13BUnaryFunctorIN3c108BFloat16ES4_S4_ZNS0_12_GLOBAL__N_121threshold_kernel_implIS4_EEvRNS_18TensorIteratorBaseET_S9_EUlS4_S4_E_EESt5arrayIPcLm2EELi4E23TrivialOffsetCalculatorILi1EjESG_NS0_6memory15LoadWithoutCastENSH_16StoreWithoutCastEEEviS9_T0_T2_T3_T4_T5_,"axG",@progbits,_ZN2at6native27unrolled_elementwise_kernelINS0_13BUnaryFunctorIN3c108BFloat16ES4_S4_ZNS0_12_GLOBAL__N_121threshold_kernel_implIS4_EEvRNS_18TensorIteratorBaseET_S9_EUlS4_S4_E_EESt5arrayIPcLm2EELi4E23TrivialOffsetCalculatorILi1EjESG_NS0_6memory15LoadWithoutCastENSH_16StoreWithoutCastEEEviS9_T0_T2_T3_T4_T5_,comdat
.Lfunc_end229:
	.size	_ZN2at6native27unrolled_elementwise_kernelINS0_13BUnaryFunctorIN3c108BFloat16ES4_S4_ZNS0_12_GLOBAL__N_121threshold_kernel_implIS4_EEvRNS_18TensorIteratorBaseET_S9_EUlS4_S4_E_EESt5arrayIPcLm2EELi4E23TrivialOffsetCalculatorILi1EjESG_NS0_6memory15LoadWithoutCastENSH_16StoreWithoutCastEEEviS9_T0_T2_T3_T4_T5_, .Lfunc_end229-_ZN2at6native27unrolled_elementwise_kernelINS0_13BUnaryFunctorIN3c108BFloat16ES4_S4_ZNS0_12_GLOBAL__N_121threshold_kernel_implIS4_EEvRNS_18TensorIteratorBaseET_S9_EUlS4_S4_E_EESt5arrayIPcLm2EELi4E23TrivialOffsetCalculatorILi1EjESG_NS0_6memory15LoadWithoutCastENSH_16StoreWithoutCastEEEviS9_T0_T2_T3_T4_T5_
                                        ; -- End function
	.set _ZN2at6native27unrolled_elementwise_kernelINS0_13BUnaryFunctorIN3c108BFloat16ES4_S4_ZNS0_12_GLOBAL__N_121threshold_kernel_implIS4_EEvRNS_18TensorIteratorBaseET_S9_EUlS4_S4_E_EESt5arrayIPcLm2EELi4E23TrivialOffsetCalculatorILi1EjESG_NS0_6memory15LoadWithoutCastENSH_16StoreWithoutCastEEEviS9_T0_T2_T3_T4_T5_.num_vgpr, 9
	.set _ZN2at6native27unrolled_elementwise_kernelINS0_13BUnaryFunctorIN3c108BFloat16ES4_S4_ZNS0_12_GLOBAL__N_121threshold_kernel_implIS4_EEvRNS_18TensorIteratorBaseET_S9_EUlS4_S4_E_EESt5arrayIPcLm2EELi4E23TrivialOffsetCalculatorILi1EjESG_NS0_6memory15LoadWithoutCastENSH_16StoreWithoutCastEEEviS9_T0_T2_T3_T4_T5_.num_agpr, 0
	.set _ZN2at6native27unrolled_elementwise_kernelINS0_13BUnaryFunctorIN3c108BFloat16ES4_S4_ZNS0_12_GLOBAL__N_121threshold_kernel_implIS4_EEvRNS_18TensorIteratorBaseET_S9_EUlS4_S4_E_EESt5arrayIPcLm2EELi4E23TrivialOffsetCalculatorILi1EjESG_NS0_6memory15LoadWithoutCastENSH_16StoreWithoutCastEEEviS9_T0_T2_T3_T4_T5_.numbered_sgpr, 13
	.set _ZN2at6native27unrolled_elementwise_kernelINS0_13BUnaryFunctorIN3c108BFloat16ES4_S4_ZNS0_12_GLOBAL__N_121threshold_kernel_implIS4_EEvRNS_18TensorIteratorBaseET_S9_EUlS4_S4_E_EESt5arrayIPcLm2EELi4E23TrivialOffsetCalculatorILi1EjESG_NS0_6memory15LoadWithoutCastENSH_16StoreWithoutCastEEEviS9_T0_T2_T3_T4_T5_.num_named_barrier, 0
	.set _ZN2at6native27unrolled_elementwise_kernelINS0_13BUnaryFunctorIN3c108BFloat16ES4_S4_ZNS0_12_GLOBAL__N_121threshold_kernel_implIS4_EEvRNS_18TensorIteratorBaseET_S9_EUlS4_S4_E_EESt5arrayIPcLm2EELi4E23TrivialOffsetCalculatorILi1EjESG_NS0_6memory15LoadWithoutCastENSH_16StoreWithoutCastEEEviS9_T0_T2_T3_T4_T5_.private_seg_size, 0
	.set _ZN2at6native27unrolled_elementwise_kernelINS0_13BUnaryFunctorIN3c108BFloat16ES4_S4_ZNS0_12_GLOBAL__N_121threshold_kernel_implIS4_EEvRNS_18TensorIteratorBaseET_S9_EUlS4_S4_E_EESt5arrayIPcLm2EELi4E23TrivialOffsetCalculatorILi1EjESG_NS0_6memory15LoadWithoutCastENSH_16StoreWithoutCastEEEviS9_T0_T2_T3_T4_T5_.uses_vcc, 1
	.set _ZN2at6native27unrolled_elementwise_kernelINS0_13BUnaryFunctorIN3c108BFloat16ES4_S4_ZNS0_12_GLOBAL__N_121threshold_kernel_implIS4_EEvRNS_18TensorIteratorBaseET_S9_EUlS4_S4_E_EESt5arrayIPcLm2EELi4E23TrivialOffsetCalculatorILi1EjESG_NS0_6memory15LoadWithoutCastENSH_16StoreWithoutCastEEEviS9_T0_T2_T3_T4_T5_.uses_flat_scratch, 0
	.set _ZN2at6native27unrolled_elementwise_kernelINS0_13BUnaryFunctorIN3c108BFloat16ES4_S4_ZNS0_12_GLOBAL__N_121threshold_kernel_implIS4_EEvRNS_18TensorIteratorBaseET_S9_EUlS4_S4_E_EESt5arrayIPcLm2EELi4E23TrivialOffsetCalculatorILi1EjESG_NS0_6memory15LoadWithoutCastENSH_16StoreWithoutCastEEEviS9_T0_T2_T3_T4_T5_.has_dyn_sized_stack, 0
	.set _ZN2at6native27unrolled_elementwise_kernelINS0_13BUnaryFunctorIN3c108BFloat16ES4_S4_ZNS0_12_GLOBAL__N_121threshold_kernel_implIS4_EEvRNS_18TensorIteratorBaseET_S9_EUlS4_S4_E_EESt5arrayIPcLm2EELi4E23TrivialOffsetCalculatorILi1EjESG_NS0_6memory15LoadWithoutCastENSH_16StoreWithoutCastEEEviS9_T0_T2_T3_T4_T5_.has_recursion, 0
	.set _ZN2at6native27unrolled_elementwise_kernelINS0_13BUnaryFunctorIN3c108BFloat16ES4_S4_ZNS0_12_GLOBAL__N_121threshold_kernel_implIS4_EEvRNS_18TensorIteratorBaseET_S9_EUlS4_S4_E_EESt5arrayIPcLm2EELi4E23TrivialOffsetCalculatorILi1EjESG_NS0_6memory15LoadWithoutCastENSH_16StoreWithoutCastEEEviS9_T0_T2_T3_T4_T5_.has_indirect_call, 0
	.section	.AMDGPU.csdata,"",@progbits
; Kernel info:
; codeLenInByte = 736
; TotalNumSgprs: 17
; NumVgprs: 9
; ScratchSize: 0
; MemoryBound: 0
; FloatMode: 240
; IeeeMode: 1
; LDSByteSize: 0 bytes/workgroup (compile time only)
; SGPRBlocks: 2
; VGPRBlocks: 2
; NumSGPRsForWavesPerEU: 17
; NumVGPRsForWavesPerEU: 9
; Occupancy: 10
; WaveLimiterHint : 0
; COMPUTE_PGM_RSRC2:SCRATCH_EN: 0
; COMPUTE_PGM_RSRC2:USER_SGPR: 6
; COMPUTE_PGM_RSRC2:TRAP_HANDLER: 0
; COMPUTE_PGM_RSRC2:TGID_X_EN: 1
; COMPUTE_PGM_RSRC2:TGID_Y_EN: 0
; COMPUTE_PGM_RSRC2:TGID_Z_EN: 0
; COMPUTE_PGM_RSRC2:TIDIG_COMP_CNT: 0
	.section	.text._ZN2at6native32elementwise_kernel_manual_unrollILi128ELi8EZNS0_22gpu_kernel_impl_nocastINS0_13BUnaryFunctorIN3c108BFloat16ES5_S5_ZNS0_12_GLOBAL__N_121threshold_kernel_implIS5_EEvRNS_18TensorIteratorBaseET_SA_EUlS5_S5_E_EEEEvS9_RKSA_EUlibE_EEviT1_,"axG",@progbits,_ZN2at6native32elementwise_kernel_manual_unrollILi128ELi8EZNS0_22gpu_kernel_impl_nocastINS0_13BUnaryFunctorIN3c108BFloat16ES5_S5_ZNS0_12_GLOBAL__N_121threshold_kernel_implIS5_EEvRNS_18TensorIteratorBaseET_SA_EUlS5_S5_E_EEEEvS9_RKSA_EUlibE_EEviT1_,comdat
	.globl	_ZN2at6native32elementwise_kernel_manual_unrollILi128ELi8EZNS0_22gpu_kernel_impl_nocastINS0_13BUnaryFunctorIN3c108BFloat16ES5_S5_ZNS0_12_GLOBAL__N_121threshold_kernel_implIS5_EEvRNS_18TensorIteratorBaseET_SA_EUlS5_S5_E_EEEEvS9_RKSA_EUlibE_EEviT1_ ; -- Begin function _ZN2at6native32elementwise_kernel_manual_unrollILi128ELi8EZNS0_22gpu_kernel_impl_nocastINS0_13BUnaryFunctorIN3c108BFloat16ES5_S5_ZNS0_12_GLOBAL__N_121threshold_kernel_implIS5_EEvRNS_18TensorIteratorBaseET_SA_EUlS5_S5_E_EEEEvS9_RKSA_EUlibE_EEviT1_
	.p2align	8
	.type	_ZN2at6native32elementwise_kernel_manual_unrollILi128ELi8EZNS0_22gpu_kernel_impl_nocastINS0_13BUnaryFunctorIN3c108BFloat16ES5_S5_ZNS0_12_GLOBAL__N_121threshold_kernel_implIS5_EEvRNS_18TensorIteratorBaseET_SA_EUlS5_S5_E_EEEEvS9_RKSA_EUlibE_EEviT1_,@function
_ZN2at6native32elementwise_kernel_manual_unrollILi128ELi8EZNS0_22gpu_kernel_impl_nocastINS0_13BUnaryFunctorIN3c108BFloat16ES5_S5_ZNS0_12_GLOBAL__N_121threshold_kernel_implIS5_EEvRNS_18TensorIteratorBaseET_SA_EUlS5_S5_E_EEEEvS9_RKSA_EUlibE_EEviT1_: ; @_ZN2at6native32elementwise_kernel_manual_unrollILi128ELi8EZNS0_22gpu_kernel_impl_nocastINS0_13BUnaryFunctorIN3c108BFloat16ES5_S5_ZNS0_12_GLOBAL__N_121threshold_kernel_implIS5_EEvRNS_18TensorIteratorBaseET_SA_EUlS5_S5_E_EEEEvS9_RKSA_EUlibE_EEviT1_
; %bb.0:
	s_load_dword s58, s[4:5], 0x0
	s_load_dword s33, s[4:5], 0x8
	s_add_u32 s34, s4, 8
	s_addc_u32 s35, s5, 0
	v_lshl_or_b32 v19, s6, 10, v0
	v_or_b32_e32 v25, 0x380, v19
	s_waitcnt lgkmcnt(0)
	s_add_i32 s56, s33, -1
	s_cmp_gt_u32 s56, 1
	v_cmp_le_i32_e32 vcc, s58, v25
	s_cselect_b64 s[36:37], -1, 0
	s_and_saveexec_b64 s[0:1], vcc
	s_xor_b64 s[38:39], exec, s[0:1]
	s_cbranch_execz .LBB230_7
; %bb.1:
	s_load_dwordx4 s[20:23], s[34:35], 0x4
	s_load_dwordx2 s[42:43], s[34:35], 0x14
	s_load_dwordx2 s[40:41], s[34:35], 0x158
	s_cmp_lg_u32 s33, 0
	s_load_dwordx4 s[24:27], s[34:35], 0xc4
	s_load_dwordx4 s[16:19], s[34:35], 0x148
	s_cselect_b64 s[48:49], -1, 0
	s_add_u32 s46, s34, 0xc4
	s_addc_u32 s47, s35, 0
	s_min_u32 s59, s56, 15
	s_cmp_gt_u32 s33, 1
	s_cselect_b64 s[44:45], -1, 0
	s_waitcnt lgkmcnt(0)
	s_lshr_b32 s57, s40, 16
	s_lshl_b32 s40, s40, 16
	v_cmp_gt_i32_e32 vcc, s58, v19
	s_and_saveexec_b64 s[50:51], vcc
	s_cbranch_execz .LBB230_14
; %bb.2:
	s_andn2_b64 vcc, exec, s[36:37]
	s_cbranch_vccnz .LBB230_21
; %bb.3:
	s_andn2_b64 vcc, exec, s[48:49]
	s_cbranch_vccnz .LBB230_129
; %bb.4:
	s_add_i32 s61, s59, 1
	s_cmp_eq_u32 s56, 2
	s_cbranch_scc1 .LBB230_131
; %bb.5:
	s_and_b32 s60, s61, 28
	v_mov_b32_e32 v2, 0
	s_mov_b32 s62, 0
	s_mov_b64 s[52:53], s[34:35]
	s_mov_b64 s[54:55], s[46:47]
	v_mov_b32_e32 v0, 0
	v_mov_b32_e32 v1, v19
.LBB230_6:                              ; =>This Inner Loop Header: Depth=1
	s_load_dwordx8 s[8:15], s[52:53], 0x4
	s_load_dwordx4 s[28:31], s[52:53], 0x24
	s_load_dwordx8 s[0:7], s[54:55], 0x0
	s_add_u32 s52, s52, 48
	s_addc_u32 s53, s53, 0
	s_waitcnt lgkmcnt(0)
	v_mul_hi_u32 v3, s9, v1
	s_add_i32 s62, s62, 4
	s_add_u32 s54, s54, 32
	s_addc_u32 s55, s55, 0
	v_add_u32_e32 v3, v1, v3
	v_lshrrev_b32_e32 v3, s10, v3
	v_mul_lo_u32 v4, v3, s8
	v_mul_hi_u32 v5, s12, v3
	s_cmp_lg_u32 s60, s62
	v_sub_u32_e32 v1, v1, v4
	v_add_u32_e32 v4, v3, v5
	v_mul_lo_u32 v5, v1, s0
	v_mul_lo_u32 v6, v1, s1
	v_lshrrev_b32_e32 v1, s13, v4
	v_mul_lo_u32 v4, v1, s11
	v_mul_hi_u32 v7, s15, v1
	v_sub_u32_e32 v3, v3, v4
	v_add_u32_e32 v4, v1, v7
	v_lshrrev_b32_e32 v4, s28, v4
	v_mul_hi_u32 v8, s30, v4
	v_mul_lo_u32 v9, v4, s14
	v_mul_lo_u32 v7, v3, s2
	;; [unrolled: 1-line block ×3, first 2 shown]
	v_sub_u32_e32 v9, v1, v9
	v_add_u32_e32 v1, v4, v8
	v_lshrrev_b32_e32 v1, s31, v1
	v_mul_lo_u32 v8, v1, s29
	v_mul_lo_u32 v10, v9, s4
	;; [unrolled: 1-line block ×3, first 2 shown]
	v_add3_u32 v0, v5, v0, v7
	v_sub_u32_e32 v4, v4, v8
	v_mul_lo_u32 v8, v4, s6
	v_mul_lo_u32 v4, v4, s7
	v_add3_u32 v2, v6, v2, v3
	v_add3_u32 v0, v10, v0, v8
	;; [unrolled: 1-line block ×3, first 2 shown]
	s_cbranch_scc1 .LBB230_6
	s_branch .LBB230_132
.LBB230_7:
	s_andn2_saveexec_b64 s[0:1], s[38:39]
	s_cbranch_execz .LBB230_221
.LBB230_8:
	v_cndmask_b32_e64 v0, 0, 1, s[36:37]
	v_cmp_ne_u32_e64 s[0:1], 1, v0
	s_andn2_b64 vcc, exec, s[36:37]
	s_cbranch_vccnz .LBB230_20
; %bb.9:
	s_cmp_lg_u32 s33, 0
	s_mov_b32 s26, 0
	s_cbranch_scc0 .LBB230_23
; %bb.10:
	s_min_u32 s27, s56, 15
	s_add_i32 s27, s27, 1
	s_cmp_eq_u32 s56, 2
	s_cbranch_scc1 .LBB230_24
; %bb.11:
	s_and_b32 s26, s27, 28
	s_add_u32 s2, s34, 0xc4
	s_addc_u32 s3, s35, 0
	v_mov_b32_e32 v2, 0
	s_mov_b32 s28, 0
	s_mov_b64 s[24:25], s[34:35]
	v_mov_b32_e32 v0, 0
	v_mov_b32_e32 v1, v19
.LBB230_12:                             ; =>This Inner Loop Header: Depth=1
	s_load_dwordx8 s[12:19], s[24:25], 0x4
	s_load_dwordx4 s[20:23], s[24:25], 0x24
	s_load_dwordx8 s[4:11], s[2:3], 0x0
	s_add_u32 s24, s24, 48
	s_addc_u32 s25, s25, 0
	s_waitcnt lgkmcnt(0)
	v_mul_hi_u32 v3, s13, v1
	s_add_i32 s28, s28, 4
	s_add_u32 s2, s2, 32
	s_addc_u32 s3, s3, 0
	v_add_u32_e32 v3, v1, v3
	v_lshrrev_b32_e32 v3, s14, v3
	v_mul_lo_u32 v4, v3, s12
	v_mul_hi_u32 v5, s16, v3
	s_cmp_lg_u32 s26, s28
	v_sub_u32_e32 v1, v1, v4
	v_add_u32_e32 v4, v3, v5
	v_mul_lo_u32 v5, v1, s4
	v_mul_lo_u32 v6, v1, s5
	v_lshrrev_b32_e32 v1, s17, v4
	v_mul_lo_u32 v4, v1, s15
	v_mul_hi_u32 v7, s19, v1
	v_sub_u32_e32 v3, v3, v4
	v_add_u32_e32 v4, v1, v7
	v_lshrrev_b32_e32 v4, s20, v4
	v_mul_hi_u32 v8, s22, v4
	v_mul_lo_u32 v9, v4, s18
	v_mul_lo_u32 v7, v3, s6
	;; [unrolled: 1-line block ×3, first 2 shown]
	v_sub_u32_e32 v9, v1, v9
	v_add_u32_e32 v1, v4, v8
	v_lshrrev_b32_e32 v1, s23, v1
	v_mul_lo_u32 v8, v1, s21
	v_mul_lo_u32 v10, v9, s8
	;; [unrolled: 1-line block ×3, first 2 shown]
	v_add3_u32 v0, v5, v0, v7
	v_sub_u32_e32 v4, v4, v8
	v_mul_lo_u32 v8, v4, s10
	v_mul_lo_u32 v4, v4, s11
	v_add3_u32 v2, v6, v2, v3
	v_add3_u32 v0, v10, v0, v8
	;; [unrolled: 1-line block ×3, first 2 shown]
	s_cbranch_scc1 .LBB230_12
; %bb.13:
	s_and_b32 s6, s27, 3
	s_cmp_eq_u32 s6, 0
	s_cbranch_scc0 .LBB230_25
	s_branch .LBB230_27
.LBB230_14:
	s_or_b64 exec, exec, s[50:51]
	v_cmp_gt_i32_e32 vcc, s58, v19
	s_and_saveexec_b64 s[50:51], vcc
	s_cbranch_execz .LBB230_139
.LBB230_15:
	s_andn2_b64 vcc, exec, s[36:37]
	s_cbranch_vccnz .LBB230_22
; %bb.16:
	s_andn2_b64 vcc, exec, s[48:49]
	s_cbranch_vccnz .LBB230_130
; %bb.17:
	s_add_i32 s61, s59, 1
	s_cmp_eq_u32 s56, 2
	s_cbranch_scc1 .LBB230_147
; %bb.18:
	s_and_b32 s60, s61, 28
	v_mov_b32_e32 v2, 0
	s_mov_b32 s62, 0
	s_mov_b64 s[52:53], s[34:35]
	s_mov_b64 s[54:55], s[46:47]
	v_mov_b32_e32 v0, 0
	v_mov_b32_e32 v1, v19
.LBB230_19:                             ; =>This Inner Loop Header: Depth=1
	s_load_dwordx8 s[8:15], s[52:53], 0x4
	s_load_dwordx4 s[28:31], s[52:53], 0x24
	s_load_dwordx8 s[0:7], s[54:55], 0x0
	s_add_u32 s52, s52, 48
	s_addc_u32 s53, s53, 0
	s_waitcnt lgkmcnt(0)
	v_mul_hi_u32 v3, s9, v1
	s_add_i32 s62, s62, 4
	s_add_u32 s54, s54, 32
	s_addc_u32 s55, s55, 0
	v_add_u32_e32 v3, v1, v3
	v_lshrrev_b32_e32 v3, s10, v3
	v_mul_lo_u32 v4, v3, s8
	v_mul_hi_u32 v5, s12, v3
	s_cmp_eq_u32 s60, s62
	v_sub_u32_e32 v1, v1, v4
	v_add_u32_e32 v4, v3, v5
	v_mul_lo_u32 v5, v1, s0
	v_mul_lo_u32 v6, v1, s1
	v_lshrrev_b32_e32 v1, s13, v4
	v_mul_lo_u32 v4, v1, s11
	v_mul_hi_u32 v7, s15, v1
	v_sub_u32_e32 v3, v3, v4
	v_add_u32_e32 v4, v1, v7
	v_lshrrev_b32_e32 v4, s28, v4
	v_mul_hi_u32 v8, s30, v4
	v_mul_lo_u32 v9, v4, s14
	v_mul_lo_u32 v7, v3, s2
	;; [unrolled: 1-line block ×3, first 2 shown]
	v_sub_u32_e32 v9, v1, v9
	v_add_u32_e32 v1, v4, v8
	v_lshrrev_b32_e32 v1, s31, v1
	v_mul_lo_u32 v8, v1, s29
	v_mul_lo_u32 v10, v9, s4
	;; [unrolled: 1-line block ×3, first 2 shown]
	v_add3_u32 v0, v5, v0, v7
	v_sub_u32_e32 v4, v4, v8
	v_mul_lo_u32 v8, v4, s6
	v_mul_lo_u32 v4, v4, s7
	v_add3_u32 v2, v6, v2, v3
	v_add3_u32 v0, v10, v0, v8
	;; [unrolled: 1-line block ×3, first 2 shown]
	s_cbranch_scc0 .LBB230_19
	s_branch .LBB230_148
.LBB230_20:
                                        ; implicit-def: $vgpr0
                                        ; implicit-def: $vgpr2
	s_branch .LBB230_28
.LBB230_21:
                                        ; implicit-def: $vgpr0
                                        ; implicit-def: $vgpr2
	s_branch .LBB230_136
.LBB230_22:
                                        ; implicit-def: $vgpr0
                                        ; implicit-def: $vgpr2
	s_branch .LBB230_152
.LBB230_23:
	v_mov_b32_e32 v0, 0
	v_mov_b32_e32 v2, 0
	s_branch .LBB230_27
.LBB230_24:
	v_mov_b32_e32 v0, 0
	v_mov_b32_e32 v2, 0
	v_mov_b32_e32 v1, v19
	s_and_b32 s6, s27, 3
	s_cmp_eq_u32 s6, 0
	s_cbranch_scc1 .LBB230_27
.LBB230_25:
	s_lshl_b32 s2, s26, 3
	s_add_u32 s2, s34, s2
	s_addc_u32 s3, s35, 0
	s_add_u32 s2, s2, 0xc4
	s_addc_u32 s3, s3, 0
	s_mul_i32 s4, s26, 12
	s_add_u32 s4, s34, s4
	s_addc_u32 s5, s35, 0
.LBB230_26:                             ; =>This Inner Loop Header: Depth=1
	s_load_dwordx2 s[8:9], s[4:5], 0x4
	s_load_dword s7, s[4:5], 0xc
	s_load_dwordx2 s[10:11], s[2:3], 0x0
	s_add_u32 s4, s4, 12
	s_addc_u32 s5, s5, 0
	s_waitcnt lgkmcnt(0)
	v_mul_hi_u32 v4, s9, v1
	s_add_u32 s2, s2, 8
	s_addc_u32 s3, s3, 0
	s_add_i32 s6, s6, -1
	v_add_u32_e32 v4, v1, v4
	v_lshrrev_b32_e32 v4, s7, v4
	v_mul_lo_u32 v5, v4, s8
	s_cmp_lg_u32 s6, 0
	v_sub_u32_e32 v5, v1, v5
	v_mad_u64_u32 v[0:1], s[8:9], v5, s10, v[0:1]
	v_mad_u64_u32 v[2:3], s[8:9], v5, s11, v[2:3]
	v_mov_b32_e32 v1, v4
	s_cbranch_scc1 .LBB230_26
.LBB230_27:
	s_cbranch_execnz .LBB230_30
.LBB230_28:
	s_load_dwordx4 s[4:7], s[34:35], 0x4
	s_load_dwordx2 s[2:3], s[34:35], 0xc4
	s_cmp_lt_u32 s33, 2
	s_waitcnt lgkmcnt(0)
	v_mul_hi_u32 v0, s5, v19
	v_add_u32_e32 v0, v19, v0
	v_lshrrev_b32_e32 v1, s6, v0
	v_mul_lo_u32 v0, v1, s4
	v_sub_u32_e32 v2, v19, v0
	v_mul_lo_u32 v0, v2, s2
	v_mul_lo_u32 v2, v2, s3
	s_cbranch_scc1 .LBB230_30
; %bb.29:
	s_load_dwordx4 s[4:7], s[34:35], 0x10
	s_load_dwordx2 s[2:3], s[34:35], 0xcc
	s_waitcnt lgkmcnt(0)
	v_mul_hi_u32 v3, s5, v1
	v_add_u32_e32 v3, v1, v3
	v_lshrrev_b32_e32 v3, s6, v3
	v_mul_lo_u32 v3, v3, s4
	v_sub_u32_e32 v3, v1, v3
	v_mad_u64_u32 v[0:1], s[4:5], v3, s2, v[0:1]
	v_mad_u64_u32 v[2:3], s[2:3], v3, s3, v[2:3]
.LBB230_30:
	s_and_b64 vcc, exec, s[0:1]
	v_add_u32_e32 v1, 0x80, v19
	s_cbranch_vccnz .LBB230_36
; %bb.31:
	s_cmp_lg_u32 s33, 0
	s_mov_b32 s26, 0
	s_cbranch_scc0 .LBB230_37
; %bb.32:
	s_min_u32 s27, s56, 15
	s_add_i32 s27, s27, 1
	s_cmp_eq_u32 s56, 2
	s_cbranch_scc1 .LBB230_38
; %bb.33:
	s_and_b32 s26, s27, 28
	s_add_u32 s2, s34, 0xc4
	s_addc_u32 s3, s35, 0
	v_mov_b32_e32 v5, 0
	s_mov_b32 s28, 0
	s_mov_b64 s[24:25], s[34:35]
	v_mov_b32_e32 v3, 0
	v_mov_b32_e32 v4, v1
.LBB230_34:                             ; =>This Inner Loop Header: Depth=1
	s_load_dwordx8 s[12:19], s[24:25], 0x4
	s_load_dwordx4 s[20:23], s[24:25], 0x24
	s_load_dwordx8 s[4:11], s[2:3], 0x0
	s_add_u32 s24, s24, 48
	s_addc_u32 s25, s25, 0
	s_waitcnt lgkmcnt(0)
	v_mul_hi_u32 v6, s13, v4
	s_add_i32 s28, s28, 4
	s_add_u32 s2, s2, 32
	s_addc_u32 s3, s3, 0
	v_add_u32_e32 v6, v4, v6
	v_lshrrev_b32_e32 v6, s14, v6
	v_mul_lo_u32 v7, v6, s12
	v_mul_hi_u32 v8, s16, v6
	s_cmp_lg_u32 s26, s28
	v_sub_u32_e32 v4, v4, v7
	v_add_u32_e32 v7, v6, v8
	v_mul_lo_u32 v8, v4, s4
	v_mul_lo_u32 v9, v4, s5
	v_lshrrev_b32_e32 v4, s17, v7
	v_mul_lo_u32 v7, v4, s15
	v_mul_hi_u32 v10, s19, v4
	v_sub_u32_e32 v6, v6, v7
	v_add_u32_e32 v7, v4, v10
	v_lshrrev_b32_e32 v7, s20, v7
	v_mul_hi_u32 v11, s22, v7
	v_mul_lo_u32 v12, v7, s18
	v_mul_lo_u32 v10, v6, s6
	;; [unrolled: 1-line block ×3, first 2 shown]
	v_sub_u32_e32 v12, v4, v12
	v_add_u32_e32 v4, v7, v11
	v_lshrrev_b32_e32 v4, s23, v4
	v_mul_lo_u32 v11, v4, s21
	v_mul_lo_u32 v13, v12, s8
	v_mul_lo_u32 v12, v12, s9
	v_add3_u32 v3, v8, v3, v10
	v_sub_u32_e32 v7, v7, v11
	v_mul_lo_u32 v11, v7, s10
	v_mul_lo_u32 v7, v7, s11
	v_add3_u32 v5, v9, v5, v6
	v_add3_u32 v3, v13, v3, v11
	v_add3_u32 v5, v12, v5, v7
	s_cbranch_scc1 .LBB230_34
; %bb.35:
	s_and_b32 s6, s27, 3
	s_cmp_eq_u32 s6, 0
	s_cbranch_scc0 .LBB230_39
	s_branch .LBB230_41
.LBB230_36:
                                        ; implicit-def: $vgpr3
                                        ; implicit-def: $vgpr5
	s_branch .LBB230_42
.LBB230_37:
	v_mov_b32_e32 v3, 0
	v_mov_b32_e32 v5, 0
	s_branch .LBB230_41
.LBB230_38:
	v_mov_b32_e32 v3, 0
	v_mov_b32_e32 v5, 0
	;; [unrolled: 1-line block ×3, first 2 shown]
	s_and_b32 s6, s27, 3
	s_cmp_eq_u32 s6, 0
	s_cbranch_scc1 .LBB230_41
.LBB230_39:
	s_lshl_b32 s2, s26, 3
	s_add_u32 s2, s34, s2
	s_addc_u32 s3, s35, 0
	s_add_u32 s2, s2, 0xc4
	s_addc_u32 s3, s3, 0
	s_mul_i32 s4, s26, 12
	s_add_u32 s4, s34, s4
	s_addc_u32 s5, s35, 0
.LBB230_40:                             ; =>This Inner Loop Header: Depth=1
	s_load_dwordx2 s[8:9], s[4:5], 0x4
	s_load_dword s7, s[4:5], 0xc
	s_load_dwordx2 s[10:11], s[2:3], 0x0
	s_add_u32 s4, s4, 12
	s_addc_u32 s5, s5, 0
	s_waitcnt lgkmcnt(0)
	v_mul_hi_u32 v7, s9, v4
	s_add_u32 s2, s2, 8
	s_addc_u32 s3, s3, 0
	s_add_i32 s6, s6, -1
	v_add_u32_e32 v7, v4, v7
	v_lshrrev_b32_e32 v7, s7, v7
	v_mul_lo_u32 v8, v7, s8
	s_cmp_lg_u32 s6, 0
	v_sub_u32_e32 v8, v4, v8
	v_mad_u64_u32 v[3:4], s[8:9], v8, s10, v[3:4]
	v_mad_u64_u32 v[5:6], s[8:9], v8, s11, v[5:6]
	v_mov_b32_e32 v4, v7
	s_cbranch_scc1 .LBB230_40
.LBB230_41:
	s_cbranch_execnz .LBB230_44
.LBB230_42:
	s_load_dwordx4 s[4:7], s[34:35], 0x4
	s_load_dwordx2 s[2:3], s[34:35], 0xc4
	s_cmp_lt_u32 s33, 2
	s_waitcnt lgkmcnt(0)
	v_mul_hi_u32 v3, s5, v1
	v_add_u32_e32 v3, v1, v3
	v_lshrrev_b32_e32 v4, s6, v3
	v_mul_lo_u32 v3, v4, s4
	v_sub_u32_e32 v1, v1, v3
	v_mul_lo_u32 v3, v1, s2
	v_mul_lo_u32 v5, v1, s3
	s_cbranch_scc1 .LBB230_44
; %bb.43:
	s_load_dwordx4 s[4:7], s[34:35], 0x10
	s_load_dwordx2 s[2:3], s[34:35], 0xcc
	s_waitcnt lgkmcnt(0)
	v_mul_hi_u32 v1, s5, v4
	v_add_u32_e32 v1, v4, v1
	v_lshrrev_b32_e32 v1, s6, v1
	v_mul_lo_u32 v1, v1, s4
	v_sub_u32_e32 v1, v4, v1
	v_mad_u64_u32 v[3:4], s[4:5], v1, s2, v[3:4]
	v_mad_u64_u32 v[5:6], s[2:3], v1, s3, v[5:6]
.LBB230_44:
	s_and_b64 vcc, exec, s[0:1]
	v_add_u32_e32 v1, 0x100, v19
	s_cbranch_vccnz .LBB230_50
; %bb.45:
	s_cmp_lg_u32 s33, 0
	s_mov_b32 s26, 0
	s_cbranch_scc0 .LBB230_51
; %bb.46:
	s_min_u32 s27, s56, 15
	s_add_i32 s27, s27, 1
	s_cmp_eq_u32 s56, 2
	s_cbranch_scc1 .LBB230_52
; %bb.47:
	s_and_b32 s26, s27, 28
	s_add_u32 s2, s34, 0xc4
	s_addc_u32 s3, s35, 0
	v_mov_b32_e32 v8, 0
	s_mov_b32 s28, 0
	s_mov_b64 s[24:25], s[34:35]
	v_mov_b32_e32 v6, 0
	v_mov_b32_e32 v4, v1
.LBB230_48:                             ; =>This Inner Loop Header: Depth=1
	s_load_dwordx8 s[12:19], s[24:25], 0x4
	s_load_dwordx4 s[20:23], s[24:25], 0x24
	s_load_dwordx8 s[4:11], s[2:3], 0x0
	s_add_u32 s24, s24, 48
	s_addc_u32 s25, s25, 0
	s_waitcnt lgkmcnt(0)
	v_mul_hi_u32 v7, s13, v4
	s_add_i32 s28, s28, 4
	s_add_u32 s2, s2, 32
	s_addc_u32 s3, s3, 0
	v_add_u32_e32 v7, v4, v7
	v_lshrrev_b32_e32 v7, s14, v7
	v_mul_lo_u32 v9, v7, s12
	v_mul_hi_u32 v10, s16, v7
	s_cmp_lg_u32 s26, s28
	v_sub_u32_e32 v4, v4, v9
	v_add_u32_e32 v9, v7, v10
	v_mul_lo_u32 v10, v4, s4
	v_mul_lo_u32 v11, v4, s5
	v_lshrrev_b32_e32 v4, s17, v9
	v_mul_lo_u32 v9, v4, s15
	v_mul_hi_u32 v12, s19, v4
	v_sub_u32_e32 v7, v7, v9
	v_add_u32_e32 v9, v4, v12
	v_lshrrev_b32_e32 v9, s20, v9
	v_mul_hi_u32 v13, s22, v9
	v_mul_lo_u32 v14, v9, s18
	v_mul_lo_u32 v12, v7, s6
	;; [unrolled: 1-line block ×3, first 2 shown]
	v_sub_u32_e32 v14, v4, v14
	v_add_u32_e32 v4, v9, v13
	v_lshrrev_b32_e32 v4, s23, v4
	v_mul_lo_u32 v13, v4, s21
	v_mul_lo_u32 v15, v14, s8
	;; [unrolled: 1-line block ×3, first 2 shown]
	v_add3_u32 v6, v10, v6, v12
	v_sub_u32_e32 v9, v9, v13
	v_mul_lo_u32 v13, v9, s10
	v_mul_lo_u32 v9, v9, s11
	v_add3_u32 v7, v11, v8, v7
	v_add3_u32 v6, v15, v6, v13
	v_add3_u32 v8, v14, v7, v9
	s_cbranch_scc1 .LBB230_48
; %bb.49:
	s_and_b32 s6, s27, 3
	s_cmp_eq_u32 s6, 0
	s_cbranch_scc0 .LBB230_53
	s_branch .LBB230_55
.LBB230_50:
                                        ; implicit-def: $vgpr6
                                        ; implicit-def: $vgpr8
	s_branch .LBB230_56
.LBB230_51:
	v_mov_b32_e32 v6, 0
	v_mov_b32_e32 v8, 0
	s_branch .LBB230_55
.LBB230_52:
	v_mov_b32_e32 v6, 0
	v_mov_b32_e32 v8, 0
	;; [unrolled: 1-line block ×3, first 2 shown]
	s_and_b32 s6, s27, 3
	s_cmp_eq_u32 s6, 0
	s_cbranch_scc1 .LBB230_55
.LBB230_53:
	s_lshl_b32 s2, s26, 3
	s_add_u32 s2, s34, s2
	s_addc_u32 s3, s35, 0
	s_add_u32 s2, s2, 0xc4
	s_addc_u32 s3, s3, 0
	s_mul_i32 s4, s26, 12
	s_add_u32 s4, s34, s4
	s_addc_u32 s5, s35, 0
.LBB230_54:                             ; =>This Inner Loop Header: Depth=1
	s_load_dwordx2 s[8:9], s[4:5], 0x4
	s_load_dword s7, s[4:5], 0xc
	s_load_dwordx2 s[10:11], s[2:3], 0x0
	s_add_u32 s4, s4, 12
	s_addc_u32 s5, s5, 0
	s_waitcnt lgkmcnt(0)
	v_mul_hi_u32 v7, s9, v4
	s_add_u32 s2, s2, 8
	s_addc_u32 s3, s3, 0
	s_add_i32 s6, s6, -1
	v_add_u32_e32 v7, v4, v7
	v_lshrrev_b32_e32 v10, s7, v7
	v_mul_lo_u32 v7, v10, s8
	s_cmp_lg_u32 s6, 0
	v_sub_u32_e32 v4, v4, v7
	v_mad_u64_u32 v[6:7], s[8:9], v4, s10, v[6:7]
	v_mad_u64_u32 v[8:9], s[8:9], v4, s11, v[8:9]
	v_mov_b32_e32 v4, v10
	s_cbranch_scc1 .LBB230_54
.LBB230_55:
	s_cbranch_execnz .LBB230_58
.LBB230_56:
	s_load_dwordx4 s[4:7], s[34:35], 0x4
	s_load_dwordx2 s[2:3], s[34:35], 0xc4
	s_cmp_lt_u32 s33, 2
	s_waitcnt lgkmcnt(0)
	v_mul_hi_u32 v4, s5, v1
	v_add_u32_e32 v4, v1, v4
	v_lshrrev_b32_e32 v4, s6, v4
	v_mul_lo_u32 v6, v4, s4
	v_sub_u32_e32 v1, v1, v6
	v_mul_lo_u32 v6, v1, s2
	v_mul_lo_u32 v8, v1, s3
	s_cbranch_scc1 .LBB230_58
; %bb.57:
	s_load_dwordx4 s[4:7], s[34:35], 0x10
	s_load_dwordx2 s[2:3], s[34:35], 0xcc
	s_waitcnt lgkmcnt(0)
	v_mul_hi_u32 v1, s5, v4
	v_add_u32_e32 v1, v4, v1
	v_lshrrev_b32_e32 v1, s6, v1
	v_mul_lo_u32 v1, v1, s4
	v_sub_u32_e32 v1, v4, v1
	v_mad_u64_u32 v[6:7], s[4:5], v1, s2, v[6:7]
	v_mad_u64_u32 v[8:9], s[2:3], v1, s3, v[8:9]
.LBB230_58:
	s_and_b64 vcc, exec, s[0:1]
	v_add_u32_e32 v1, 0x180, v19
	s_cbranch_vccnz .LBB230_64
; %bb.59:
	s_cmp_lg_u32 s33, 0
	s_mov_b32 s26, 0
	s_cbranch_scc0 .LBB230_65
; %bb.60:
	s_min_u32 s27, s56, 15
	s_add_i32 s27, s27, 1
	s_cmp_eq_u32 s56, 2
	s_cbranch_scc1 .LBB230_66
; %bb.61:
	s_and_b32 s26, s27, 28
	s_add_u32 s2, s34, 0xc4
	s_addc_u32 s3, s35, 0
	v_mov_b32_e32 v11, 0
	s_mov_b32 s28, 0
	s_mov_b64 s[24:25], s[34:35]
	v_mov_b32_e32 v9, 0
	v_mov_b32_e32 v4, v1
.LBB230_62:                             ; =>This Inner Loop Header: Depth=1
	s_load_dwordx8 s[12:19], s[24:25], 0x4
	s_load_dwordx4 s[20:23], s[24:25], 0x24
	s_load_dwordx8 s[4:11], s[2:3], 0x0
	s_add_u32 s24, s24, 48
	s_addc_u32 s25, s25, 0
	s_waitcnt lgkmcnt(0)
	v_mul_hi_u32 v7, s13, v4
	s_add_i32 s28, s28, 4
	s_add_u32 s2, s2, 32
	s_addc_u32 s3, s3, 0
	v_add_u32_e32 v7, v4, v7
	v_lshrrev_b32_e32 v7, s14, v7
	v_mul_lo_u32 v10, v7, s12
	v_mul_hi_u32 v12, s16, v7
	s_cmp_lg_u32 s26, s28
	v_sub_u32_e32 v4, v4, v10
	v_add_u32_e32 v10, v7, v12
	v_mul_lo_u32 v12, v4, s4
	v_mul_lo_u32 v13, v4, s5
	v_lshrrev_b32_e32 v4, s17, v10
	v_mul_lo_u32 v10, v4, s15
	v_mul_hi_u32 v14, s19, v4
	v_sub_u32_e32 v7, v7, v10
	v_add_u32_e32 v10, v4, v14
	v_lshrrev_b32_e32 v10, s20, v10
	v_mul_hi_u32 v15, s22, v10
	v_mul_lo_u32 v16, v10, s18
	v_mul_lo_u32 v14, v7, s6
	;; [unrolled: 1-line block ×3, first 2 shown]
	v_sub_u32_e32 v16, v4, v16
	v_add_u32_e32 v4, v10, v15
	v_lshrrev_b32_e32 v4, s23, v4
	v_mul_lo_u32 v15, v4, s21
	v_mul_lo_u32 v17, v16, s8
	;; [unrolled: 1-line block ×3, first 2 shown]
	v_add3_u32 v9, v12, v9, v14
	v_sub_u32_e32 v10, v10, v15
	v_mul_lo_u32 v15, v10, s10
	v_mul_lo_u32 v10, v10, s11
	v_add3_u32 v7, v13, v11, v7
	v_add3_u32 v9, v17, v9, v15
	;; [unrolled: 1-line block ×3, first 2 shown]
	s_cbranch_scc1 .LBB230_62
; %bb.63:
	s_and_b32 s6, s27, 3
	s_cmp_eq_u32 s6, 0
	s_cbranch_scc0 .LBB230_67
	s_branch .LBB230_69
.LBB230_64:
                                        ; implicit-def: $vgpr9
                                        ; implicit-def: $vgpr11
	s_branch .LBB230_70
.LBB230_65:
	v_mov_b32_e32 v9, 0
	v_mov_b32_e32 v11, 0
	s_branch .LBB230_69
.LBB230_66:
	v_mov_b32_e32 v9, 0
	v_mov_b32_e32 v11, 0
	;; [unrolled: 1-line block ×3, first 2 shown]
	s_and_b32 s6, s27, 3
	s_cmp_eq_u32 s6, 0
	s_cbranch_scc1 .LBB230_69
.LBB230_67:
	s_lshl_b32 s2, s26, 3
	s_add_u32 s2, s34, s2
	s_addc_u32 s3, s35, 0
	s_add_u32 s2, s2, 0xc4
	s_addc_u32 s3, s3, 0
	s_mul_i32 s4, s26, 12
	s_add_u32 s4, s34, s4
	s_addc_u32 s5, s35, 0
.LBB230_68:                             ; =>This Inner Loop Header: Depth=1
	s_load_dwordx2 s[8:9], s[4:5], 0x4
	s_load_dword s7, s[4:5], 0xc
	s_load_dwordx2 s[10:11], s[2:3], 0x0
	s_add_u32 s4, s4, 12
	s_addc_u32 s5, s5, 0
	s_waitcnt lgkmcnt(0)
	v_mul_hi_u32 v7, s9, v4
	s_add_u32 s2, s2, 8
	s_addc_u32 s3, s3, 0
	s_add_i32 s6, s6, -1
	v_add_u32_e32 v7, v4, v7
	v_lshrrev_b32_e32 v7, s7, v7
	v_mul_lo_u32 v10, v7, s8
	s_cmp_lg_u32 s6, 0
	v_sub_u32_e32 v4, v4, v10
	v_mad_u64_u32 v[9:10], s[8:9], v4, s10, v[9:10]
	v_mad_u64_u32 v[11:12], s[8:9], v4, s11, v[11:12]
	v_mov_b32_e32 v4, v7
	s_cbranch_scc1 .LBB230_68
.LBB230_69:
	s_cbranch_execnz .LBB230_72
.LBB230_70:
	s_load_dwordx4 s[4:7], s[34:35], 0x4
	s_load_dwordx2 s[2:3], s[34:35], 0xc4
	s_cmp_lt_u32 s33, 2
	s_waitcnt lgkmcnt(0)
	v_mul_hi_u32 v4, s5, v1
	v_add_u32_e32 v4, v1, v4
	v_lshrrev_b32_e32 v4, s6, v4
	v_mul_lo_u32 v7, v4, s4
	v_sub_u32_e32 v1, v1, v7
	v_mul_lo_u32 v9, v1, s2
	v_mul_lo_u32 v11, v1, s3
	s_cbranch_scc1 .LBB230_72
; %bb.71:
	s_load_dwordx4 s[4:7], s[34:35], 0x10
	s_load_dwordx2 s[2:3], s[34:35], 0xcc
	s_waitcnt lgkmcnt(0)
	v_mul_hi_u32 v1, s5, v4
	v_add_u32_e32 v1, v4, v1
	v_lshrrev_b32_e32 v1, s6, v1
	v_mul_lo_u32 v1, v1, s4
	v_sub_u32_e32 v1, v4, v1
	v_mad_u64_u32 v[9:10], s[4:5], v1, s2, v[9:10]
	v_mad_u64_u32 v[11:12], s[2:3], v1, s3, v[11:12]
.LBB230_72:
	s_and_b64 vcc, exec, s[0:1]
	v_add_u32_e32 v1, 0x200, v19
	s_cbranch_vccnz .LBB230_78
; %bb.73:
	s_cmp_lg_u32 s33, 0
	s_mov_b32 s26, 0
	s_cbranch_scc0 .LBB230_79
; %bb.74:
	s_min_u32 s27, s56, 15
	s_add_i32 s27, s27, 1
	s_cmp_eq_u32 s56, 2
	s_cbranch_scc1 .LBB230_80
; %bb.75:
	s_and_b32 s26, s27, 28
	s_add_u32 s2, s34, 0xc4
	s_addc_u32 s3, s35, 0
	v_mov_b32_e32 v14, 0
	s_mov_b32 s28, 0
	s_mov_b64 s[24:25], s[34:35]
	v_mov_b32_e32 v12, 0
	v_mov_b32_e32 v4, v1
.LBB230_76:                             ; =>This Inner Loop Header: Depth=1
	s_load_dwordx8 s[12:19], s[24:25], 0x4
	s_load_dwordx4 s[20:23], s[24:25], 0x24
	s_load_dwordx8 s[4:11], s[2:3], 0x0
	s_add_u32 s24, s24, 48
	s_addc_u32 s25, s25, 0
	s_waitcnt lgkmcnt(0)
	v_mul_hi_u32 v7, s13, v4
	s_add_i32 s28, s28, 4
	s_add_u32 s2, s2, 32
	s_addc_u32 s3, s3, 0
	v_add_u32_e32 v7, v4, v7
	v_lshrrev_b32_e32 v7, s14, v7
	v_mul_lo_u32 v10, v7, s12
	v_mul_hi_u32 v13, s16, v7
	s_cmp_lg_u32 s26, s28
	v_sub_u32_e32 v4, v4, v10
	v_add_u32_e32 v10, v7, v13
	v_mul_lo_u32 v13, v4, s4
	v_mul_lo_u32 v15, v4, s5
	v_lshrrev_b32_e32 v4, s17, v10
	v_mul_lo_u32 v10, v4, s15
	v_mul_hi_u32 v16, s19, v4
	v_sub_u32_e32 v7, v7, v10
	v_add_u32_e32 v10, v4, v16
	v_lshrrev_b32_e32 v10, s20, v10
	v_mul_hi_u32 v17, s22, v10
	v_mul_lo_u32 v18, v10, s18
	v_mul_lo_u32 v16, v7, s6
	;; [unrolled: 1-line block ×3, first 2 shown]
	v_sub_u32_e32 v18, v4, v18
	v_add_u32_e32 v4, v10, v17
	v_lshrrev_b32_e32 v4, s23, v4
	v_mul_lo_u32 v17, v4, s21
	v_mul_lo_u32 v20, v18, s8
	;; [unrolled: 1-line block ×3, first 2 shown]
	v_add3_u32 v12, v13, v12, v16
	v_sub_u32_e32 v10, v10, v17
	v_mul_lo_u32 v17, v10, s10
	v_mul_lo_u32 v10, v10, s11
	v_add3_u32 v7, v15, v14, v7
	v_add3_u32 v12, v20, v12, v17
	;; [unrolled: 1-line block ×3, first 2 shown]
	s_cbranch_scc1 .LBB230_76
; %bb.77:
	s_and_b32 s6, s27, 3
	s_cmp_eq_u32 s6, 0
	s_cbranch_scc0 .LBB230_81
	s_branch .LBB230_83
.LBB230_78:
                                        ; implicit-def: $vgpr12
                                        ; implicit-def: $vgpr14
	s_branch .LBB230_84
.LBB230_79:
	v_mov_b32_e32 v12, 0
	v_mov_b32_e32 v14, 0
	s_branch .LBB230_83
.LBB230_80:
	v_mov_b32_e32 v12, 0
	v_mov_b32_e32 v14, 0
	;; [unrolled: 1-line block ×3, first 2 shown]
	s_and_b32 s6, s27, 3
	s_cmp_eq_u32 s6, 0
	s_cbranch_scc1 .LBB230_83
.LBB230_81:
	s_lshl_b32 s2, s26, 3
	s_add_u32 s2, s34, s2
	s_addc_u32 s3, s35, 0
	s_add_u32 s2, s2, 0xc4
	s_addc_u32 s3, s3, 0
	s_mul_i32 s4, s26, 12
	s_add_u32 s4, s34, s4
	s_addc_u32 s5, s35, 0
.LBB230_82:                             ; =>This Inner Loop Header: Depth=1
	s_load_dwordx2 s[8:9], s[4:5], 0x4
	s_load_dword s7, s[4:5], 0xc
	s_load_dwordx2 s[10:11], s[2:3], 0x0
	s_add_u32 s4, s4, 12
	s_addc_u32 s5, s5, 0
	s_waitcnt lgkmcnt(0)
	v_mul_hi_u32 v7, s9, v4
	s_add_u32 s2, s2, 8
	s_addc_u32 s3, s3, 0
	s_add_i32 s6, s6, -1
	v_add_u32_e32 v7, v4, v7
	v_lshrrev_b32_e32 v7, s7, v7
	v_mul_lo_u32 v10, v7, s8
	s_cmp_lg_u32 s6, 0
	v_sub_u32_e32 v4, v4, v10
	v_mad_u64_u32 v[12:13], s[8:9], v4, s10, v[12:13]
	v_mad_u64_u32 v[14:15], s[8:9], v4, s11, v[14:15]
	v_mov_b32_e32 v4, v7
	s_cbranch_scc1 .LBB230_82
.LBB230_83:
	s_cbranch_execnz .LBB230_86
.LBB230_84:
	s_load_dwordx4 s[4:7], s[34:35], 0x4
	s_load_dwordx2 s[2:3], s[34:35], 0xc4
	s_cmp_lt_u32 s33, 2
	s_waitcnt lgkmcnt(0)
	v_mul_hi_u32 v4, s5, v1
	v_add_u32_e32 v4, v1, v4
	v_lshrrev_b32_e32 v4, s6, v4
	v_mul_lo_u32 v7, v4, s4
	v_sub_u32_e32 v1, v1, v7
	v_mul_lo_u32 v12, v1, s2
	v_mul_lo_u32 v14, v1, s3
	s_cbranch_scc1 .LBB230_86
; %bb.85:
	s_load_dwordx4 s[4:7], s[34:35], 0x10
	s_load_dwordx2 s[2:3], s[34:35], 0xcc
	s_waitcnt lgkmcnt(0)
	v_mul_hi_u32 v1, s5, v4
	v_add_u32_e32 v1, v4, v1
	v_lshrrev_b32_e32 v1, s6, v1
	v_mul_lo_u32 v1, v1, s4
	v_sub_u32_e32 v1, v4, v1
	v_mad_u64_u32 v[12:13], s[4:5], v1, s2, v[12:13]
	v_mad_u64_u32 v[14:15], s[2:3], v1, s3, v[14:15]
.LBB230_86:
	s_and_b64 vcc, exec, s[0:1]
	v_add_u32_e32 v1, 0x280, v19
	s_cbranch_vccnz .LBB230_92
; %bb.87:
	s_cmp_lg_u32 s33, 0
	s_mov_b32 s26, 0
	s_cbranch_scc0 .LBB230_93
; %bb.88:
	s_min_u32 s27, s56, 15
	s_add_i32 s27, s27, 1
	s_cmp_eq_u32 s56, 2
	s_cbranch_scc1 .LBB230_94
; %bb.89:
	s_and_b32 s26, s27, 28
	s_add_u32 s2, s34, 0xc4
	s_addc_u32 s3, s35, 0
	v_mov_b32_e32 v17, 0
	s_mov_b32 s28, 0
	s_mov_b64 s[24:25], s[34:35]
	v_mov_b32_e32 v15, 0
	v_mov_b32_e32 v4, v1
.LBB230_90:                             ; =>This Inner Loop Header: Depth=1
	s_load_dwordx8 s[12:19], s[24:25], 0x4
	s_load_dwordx4 s[20:23], s[24:25], 0x24
	s_load_dwordx8 s[4:11], s[2:3], 0x0
	s_add_u32 s24, s24, 48
	s_addc_u32 s25, s25, 0
	s_waitcnt lgkmcnt(0)
	v_mul_hi_u32 v7, s13, v4
	s_add_i32 s28, s28, 4
	s_add_u32 s2, s2, 32
	s_addc_u32 s3, s3, 0
	v_add_u32_e32 v7, v4, v7
	v_lshrrev_b32_e32 v7, s14, v7
	v_mul_lo_u32 v10, v7, s12
	v_mul_hi_u32 v13, s16, v7
	s_cmp_lg_u32 s26, s28
	v_sub_u32_e32 v4, v4, v10
	v_add_u32_e32 v10, v7, v13
	v_mul_lo_u32 v13, v4, s4
	v_mul_lo_u32 v16, v4, s5
	v_lshrrev_b32_e32 v4, s17, v10
	v_mul_lo_u32 v10, v4, s15
	v_mul_hi_u32 v18, s19, v4
	v_sub_u32_e32 v7, v7, v10
	v_add_u32_e32 v10, v4, v18
	v_lshrrev_b32_e32 v10, s20, v10
	v_mul_hi_u32 v20, s22, v10
	v_mul_lo_u32 v21, v10, s18
	v_mul_lo_u32 v18, v7, s6
	;; [unrolled: 1-line block ×3, first 2 shown]
	v_sub_u32_e32 v21, v4, v21
	v_add_u32_e32 v4, v10, v20
	v_lshrrev_b32_e32 v4, s23, v4
	v_mul_lo_u32 v20, v4, s21
	v_mul_lo_u32 v22, v21, s8
	;; [unrolled: 1-line block ×3, first 2 shown]
	v_add3_u32 v13, v13, v15, v18
	v_sub_u32_e32 v10, v10, v20
	v_mul_lo_u32 v20, v10, s10
	v_mul_lo_u32 v10, v10, s11
	v_add3_u32 v7, v16, v17, v7
	v_add3_u32 v15, v22, v13, v20
	;; [unrolled: 1-line block ×3, first 2 shown]
	s_cbranch_scc1 .LBB230_90
; %bb.91:
	s_and_b32 s6, s27, 3
	s_cmp_eq_u32 s6, 0
	s_cbranch_scc0 .LBB230_95
	s_branch .LBB230_97
.LBB230_92:
                                        ; implicit-def: $vgpr15
                                        ; implicit-def: $vgpr17
	s_branch .LBB230_98
.LBB230_93:
	v_mov_b32_e32 v15, 0
	v_mov_b32_e32 v17, 0
	s_branch .LBB230_97
.LBB230_94:
	v_mov_b32_e32 v15, 0
	v_mov_b32_e32 v17, 0
	;; [unrolled: 1-line block ×3, first 2 shown]
	s_and_b32 s6, s27, 3
	s_cmp_eq_u32 s6, 0
	s_cbranch_scc1 .LBB230_97
.LBB230_95:
	s_lshl_b32 s2, s26, 3
	s_add_u32 s2, s34, s2
	s_addc_u32 s3, s35, 0
	s_add_u32 s2, s2, 0xc4
	s_addc_u32 s3, s3, 0
	s_mul_i32 s4, s26, 12
	s_add_u32 s4, s34, s4
	s_addc_u32 s5, s35, 0
.LBB230_96:                             ; =>This Inner Loop Header: Depth=1
	s_load_dwordx2 s[8:9], s[4:5], 0x4
	s_load_dword s7, s[4:5], 0xc
	s_load_dwordx2 s[10:11], s[2:3], 0x0
	s_add_u32 s4, s4, 12
	s_addc_u32 s5, s5, 0
	s_waitcnt lgkmcnt(0)
	v_mul_hi_u32 v7, s9, v4
	s_add_u32 s2, s2, 8
	s_addc_u32 s3, s3, 0
	s_add_i32 s6, s6, -1
	v_add_u32_e32 v7, v4, v7
	v_lshrrev_b32_e32 v7, s7, v7
	v_mul_lo_u32 v10, v7, s8
	s_cmp_lg_u32 s6, 0
	v_sub_u32_e32 v4, v4, v10
	v_mad_u64_u32 v[15:16], s[8:9], v4, s10, v[15:16]
	v_mad_u64_u32 v[17:18], s[8:9], v4, s11, v[17:18]
	v_mov_b32_e32 v4, v7
	s_cbranch_scc1 .LBB230_96
.LBB230_97:
	s_cbranch_execnz .LBB230_100
.LBB230_98:
	s_load_dwordx4 s[4:7], s[34:35], 0x4
	s_load_dwordx2 s[2:3], s[34:35], 0xc4
	s_cmp_lt_u32 s33, 2
	s_waitcnt lgkmcnt(0)
	v_mul_hi_u32 v4, s5, v1
	v_add_u32_e32 v4, v1, v4
	v_lshrrev_b32_e32 v4, s6, v4
	v_mul_lo_u32 v7, v4, s4
	v_sub_u32_e32 v1, v1, v7
	v_mul_lo_u32 v15, v1, s2
	v_mul_lo_u32 v17, v1, s3
	s_cbranch_scc1 .LBB230_100
; %bb.99:
	s_load_dwordx4 s[4:7], s[34:35], 0x10
	s_load_dwordx2 s[2:3], s[34:35], 0xcc
	s_waitcnt lgkmcnt(0)
	v_mul_hi_u32 v1, s5, v4
	v_add_u32_e32 v1, v4, v1
	v_lshrrev_b32_e32 v1, s6, v1
	v_mul_lo_u32 v1, v1, s4
	v_sub_u32_e32 v1, v4, v1
	v_mad_u64_u32 v[15:16], s[4:5], v1, s2, v[15:16]
	v_mad_u64_u32 v[17:18], s[2:3], v1, s3, v[17:18]
.LBB230_100:
	s_and_b64 vcc, exec, s[0:1]
	v_add_u32_e32 v1, 0x300, v19
	s_cbranch_vccnz .LBB230_106
; %bb.101:
	s_cmp_lg_u32 s33, 0
	s_mov_b32 s26, 0
	s_cbranch_scc0 .LBB230_107
; %bb.102:
	s_min_u32 s27, s56, 15
	s_add_i32 s27, s27, 1
	s_cmp_eq_u32 s56, 2
	s_cbranch_scc1 .LBB230_108
; %bb.103:
	s_and_b32 s26, s27, 28
	s_add_u32 s2, s34, 0xc4
	s_addc_u32 s3, s35, 0
	v_mov_b32_e32 v20, 0
	s_mov_b32 s28, 0
	s_mov_b64 s[24:25], s[34:35]
	v_mov_b32_e32 v18, 0
	v_mov_b32_e32 v4, v1
.LBB230_104:                            ; =>This Inner Loop Header: Depth=1
	s_load_dwordx8 s[12:19], s[24:25], 0x4
	s_load_dwordx4 s[20:23], s[24:25], 0x24
	s_load_dwordx8 s[4:11], s[2:3], 0x0
	s_add_u32 s24, s24, 48
	s_addc_u32 s25, s25, 0
	s_waitcnt lgkmcnt(0)
	v_mul_hi_u32 v7, s13, v4
	s_add_i32 s28, s28, 4
	s_add_u32 s2, s2, 32
	s_addc_u32 s3, s3, 0
	v_add_u32_e32 v7, v4, v7
	v_lshrrev_b32_e32 v7, s14, v7
	v_mul_lo_u32 v10, v7, s12
	v_mul_hi_u32 v13, s16, v7
	s_cmp_lg_u32 s26, s28
	v_sub_u32_e32 v4, v4, v10
	v_add_u32_e32 v10, v7, v13
	v_mul_lo_u32 v13, v4, s4
	v_mul_lo_u32 v16, v4, s5
	v_lshrrev_b32_e32 v4, s17, v10
	v_mul_lo_u32 v10, v4, s15
	v_mul_hi_u32 v19, s19, v4
	v_sub_u32_e32 v7, v7, v10
	v_add_u32_e32 v10, v4, v19
	v_lshrrev_b32_e32 v10, s20, v10
	v_mul_hi_u32 v21, s22, v10
	v_mul_lo_u32 v22, v10, s18
	v_mul_lo_u32 v19, v7, s6
	;; [unrolled: 1-line block ×3, first 2 shown]
	v_sub_u32_e32 v22, v4, v22
	v_add_u32_e32 v4, v10, v21
	v_lshrrev_b32_e32 v4, s23, v4
	v_mul_lo_u32 v21, v4, s21
	v_mul_lo_u32 v23, v22, s8
	;; [unrolled: 1-line block ×3, first 2 shown]
	v_add3_u32 v13, v13, v18, v19
	v_sub_u32_e32 v10, v10, v21
	v_mul_lo_u32 v21, v10, s10
	v_mul_lo_u32 v10, v10, s11
	v_add3_u32 v7, v16, v20, v7
	v_add3_u32 v18, v23, v13, v21
	;; [unrolled: 1-line block ×3, first 2 shown]
	s_cbranch_scc1 .LBB230_104
; %bb.105:
	s_and_b32 s6, s27, 3
	s_cmp_eq_u32 s6, 0
	s_cbranch_scc0 .LBB230_109
	s_branch .LBB230_111
.LBB230_106:
                                        ; implicit-def: $vgpr18
                                        ; implicit-def: $vgpr20
	s_branch .LBB230_112
.LBB230_107:
	v_mov_b32_e32 v18, 0
	v_mov_b32_e32 v20, 0
	s_branch .LBB230_111
.LBB230_108:
	v_mov_b32_e32 v18, 0
	v_mov_b32_e32 v20, 0
	;; [unrolled: 1-line block ×3, first 2 shown]
	s_and_b32 s6, s27, 3
	s_cmp_eq_u32 s6, 0
	s_cbranch_scc1 .LBB230_111
.LBB230_109:
	s_lshl_b32 s2, s26, 3
	s_add_u32 s2, s34, s2
	s_addc_u32 s3, s35, 0
	s_add_u32 s2, s2, 0xc4
	s_addc_u32 s3, s3, 0
	s_mul_i32 s4, s26, 12
	s_add_u32 s4, s34, s4
	s_addc_u32 s5, s35, 0
.LBB230_110:                            ; =>This Inner Loop Header: Depth=1
	s_load_dwordx2 s[8:9], s[4:5], 0x4
	s_load_dword s7, s[4:5], 0xc
	s_load_dwordx2 s[10:11], s[2:3], 0x0
	s_add_u32 s4, s4, 12
	s_addc_u32 s5, s5, 0
	s_waitcnt lgkmcnt(0)
	v_mul_hi_u32 v7, s9, v4
	s_add_u32 s2, s2, 8
	s_addc_u32 s3, s3, 0
	s_add_i32 s6, s6, -1
	v_add_u32_e32 v7, v4, v7
	v_lshrrev_b32_e32 v7, s7, v7
	v_mul_lo_u32 v10, v7, s8
	s_cmp_lg_u32 s6, 0
	v_sub_u32_e32 v4, v4, v10
	v_mad_u64_u32 v[18:19], s[8:9], v4, s10, v[18:19]
	v_mad_u64_u32 v[20:21], s[8:9], v4, s11, v[20:21]
	v_mov_b32_e32 v4, v7
	s_cbranch_scc1 .LBB230_110
.LBB230_111:
	s_cbranch_execnz .LBB230_114
.LBB230_112:
	s_load_dwordx4 s[4:7], s[34:35], 0x4
	s_load_dwordx2 s[2:3], s[34:35], 0xc4
	s_cmp_lt_u32 s33, 2
	s_waitcnt lgkmcnt(0)
	v_mul_hi_u32 v4, s5, v1
	v_add_u32_e32 v4, v1, v4
	v_lshrrev_b32_e32 v4, s6, v4
	v_mul_lo_u32 v7, v4, s4
	v_sub_u32_e32 v1, v1, v7
	v_mul_lo_u32 v18, v1, s2
	v_mul_lo_u32 v20, v1, s3
	s_cbranch_scc1 .LBB230_114
; %bb.113:
	s_load_dwordx4 s[4:7], s[34:35], 0x10
	s_load_dwordx2 s[2:3], s[34:35], 0xcc
	s_waitcnt lgkmcnt(0)
	v_mul_hi_u32 v1, s5, v4
	v_add_u32_e32 v1, v4, v1
	v_lshrrev_b32_e32 v1, s6, v1
	v_mul_lo_u32 v1, v1, s4
	v_sub_u32_e32 v1, v4, v1
	v_mad_u64_u32 v[18:19], s[4:5], v1, s2, v[18:19]
	v_mad_u64_u32 v[20:21], s[2:3], v1, s3, v[20:21]
.LBB230_114:
	s_and_b64 vcc, exec, s[0:1]
	s_cbranch_vccnz .LBB230_120
; %bb.115:
	s_cmp_lg_u32 s33, 0
	s_mov_b32 s24, 0
	s_cbranch_scc0 .LBB230_121
; %bb.116:
	s_min_u32 s25, s56, 15
	s_add_i32 s25, s25, 1
	s_cmp_eq_u32 s56, 2
	s_cbranch_scc1 .LBB230_122
; %bb.117:
	s_and_b32 s24, s25, 28
	s_add_u32 s20, s34, 0xc4
	s_addc_u32 s21, s35, 0
	v_mov_b32_e32 v23, 0
	s_mov_b32 s26, 0
	s_mov_b64 s[22:23], s[34:35]
	v_mov_b32_e32 v21, 0
	v_mov_b32_e32 v1, v25
.LBB230_118:                            ; =>This Inner Loop Header: Depth=1
	s_load_dwordx8 s[8:15], s[22:23], 0x4
	s_load_dwordx4 s[16:19], s[22:23], 0x24
	s_load_dwordx8 s[0:7], s[20:21], 0x0
	s_add_u32 s22, s22, 48
	s_addc_u32 s23, s23, 0
	s_waitcnt lgkmcnt(0)
	v_mul_hi_u32 v4, s9, v1
	s_add_i32 s26, s26, 4
	s_add_u32 s20, s20, 32
	s_addc_u32 s21, s21, 0
	v_add_u32_e32 v4, v1, v4
	v_lshrrev_b32_e32 v4, s10, v4
	v_mul_lo_u32 v7, v4, s8
	v_mul_hi_u32 v10, s12, v4
	s_cmp_lg_u32 s24, s26
	v_sub_u32_e32 v1, v1, v7
	v_add_u32_e32 v7, v4, v10
	v_mul_lo_u32 v10, v1, s0
	v_mul_lo_u32 v13, v1, s1
	v_lshrrev_b32_e32 v1, s13, v7
	v_mul_lo_u32 v7, v1, s11
	v_mul_hi_u32 v16, s15, v1
	v_sub_u32_e32 v4, v4, v7
	v_add_u32_e32 v7, v1, v16
	v_lshrrev_b32_e32 v7, s16, v7
	v_mul_hi_u32 v19, s18, v7
	v_mul_lo_u32 v22, v7, s14
	v_mul_lo_u32 v16, v4, s2
	;; [unrolled: 1-line block ×3, first 2 shown]
	v_sub_u32_e32 v22, v1, v22
	v_add_u32_e32 v1, v7, v19
	v_lshrrev_b32_e32 v1, s19, v1
	v_mul_lo_u32 v19, v1, s17
	v_mul_lo_u32 v24, v22, s4
	;; [unrolled: 1-line block ×3, first 2 shown]
	v_add3_u32 v10, v10, v21, v16
	v_sub_u32_e32 v7, v7, v19
	v_mul_lo_u32 v19, v7, s6
	v_mul_lo_u32 v7, v7, s7
	v_add3_u32 v4, v13, v23, v4
	v_add3_u32 v21, v24, v10, v19
	v_add3_u32 v23, v22, v4, v7
	s_cbranch_scc1 .LBB230_118
; %bb.119:
	s_and_b32 s4, s25, 3
	s_cmp_eq_u32 s4, 0
	s_cbranch_scc0 .LBB230_123
	s_branch .LBB230_125
.LBB230_120:
                                        ; implicit-def: $vgpr21
                                        ; implicit-def: $vgpr23
	s_branch .LBB230_126
.LBB230_121:
	v_mov_b32_e32 v21, 0
	v_mov_b32_e32 v23, 0
	s_branch .LBB230_125
.LBB230_122:
	v_mov_b32_e32 v21, 0
	v_mov_b32_e32 v23, 0
	v_mov_b32_e32 v1, v25
	s_and_b32 s4, s25, 3
	s_cmp_eq_u32 s4, 0
	s_cbranch_scc1 .LBB230_125
.LBB230_123:
	s_lshl_b32 s0, s24, 3
	s_add_u32 s0, s34, s0
	s_addc_u32 s1, s35, 0
	s_add_u32 s0, s0, 0xc4
	s_addc_u32 s1, s1, 0
	s_mul_i32 s2, s24, 12
	s_add_u32 s2, s34, s2
	s_addc_u32 s3, s35, 0
.LBB230_124:                            ; =>This Inner Loop Header: Depth=1
	s_load_dwordx2 s[6:7], s[2:3], 0x4
	s_load_dword s5, s[2:3], 0xc
	s_load_dwordx2 s[8:9], s[0:1], 0x0
	s_add_u32 s2, s2, 12
	s_addc_u32 s3, s3, 0
	s_waitcnt lgkmcnt(0)
	v_mul_hi_u32 v4, s7, v1
	s_add_u32 s0, s0, 8
	s_addc_u32 s1, s1, 0
	s_add_i32 s4, s4, -1
	v_add_u32_e32 v4, v1, v4
	v_lshrrev_b32_e32 v4, s5, v4
	v_mul_lo_u32 v7, v4, s6
	s_cmp_lg_u32 s4, 0
	v_sub_u32_e32 v1, v1, v7
	v_mad_u64_u32 v[21:22], s[6:7], v1, s8, v[21:22]
	v_mad_u64_u32 v[23:24], s[6:7], v1, s9, v[23:24]
	v_mov_b32_e32 v1, v4
	s_cbranch_scc1 .LBB230_124
.LBB230_125:
	s_cbranch_execnz .LBB230_128
.LBB230_126:
	s_load_dwordx4 s[0:3], s[34:35], 0x4
	s_load_dwordx2 s[4:5], s[34:35], 0xc4
	s_cmp_lt_u32 s33, 2
	s_waitcnt lgkmcnt(0)
	v_mul_hi_u32 v1, s1, v25
	v_add_u32_e32 v1, v25, v1
	v_lshrrev_b32_e32 v1, s2, v1
	v_mul_lo_u32 v4, v1, s0
	v_sub_u32_e32 v4, v25, v4
	v_mul_lo_u32 v21, v4, s4
	v_mul_lo_u32 v23, v4, s5
	s_cbranch_scc1 .LBB230_128
; %bb.127:
	s_load_dwordx4 s[0:3], s[34:35], 0x10
	s_load_dwordx2 s[4:5], s[34:35], 0xcc
	s_waitcnt lgkmcnt(0)
	v_mul_hi_u32 v4, s1, v1
	v_add_u32_e32 v4, v1, v4
	v_lshrrev_b32_e32 v4, s2, v4
	v_mul_lo_u32 v4, v4, s0
	v_sub_u32_e32 v1, v1, v4
	v_mad_u64_u32 v[21:22], s[0:1], v1, s4, v[21:22]
	v_mad_u64_u32 v[23:24], s[0:1], v1, s5, v[23:24]
.LBB230_128:
	s_load_dwordx4 s[4:7], s[34:35], 0x148
	s_load_dwordx2 s[0:1], s[34:35], 0x158
	s_waitcnt lgkmcnt(0)
	global_load_ushort v1, v20, s[6:7]
	global_load_ushort v4, v17, s[6:7]
	;; [unrolled: 1-line block ×8, first 2 shown]
	s_lshl_b32 s6, s0, 16
	s_lshr_b32 s2, s0, 16
	v_mov_b32_e32 v2, s1
	v_mov_b32_e32 v5, s2
	s_waitcnt vmcnt(7)
	v_lshlrev_b32_e32 v1, 16, v1
	v_cmp_ge_f32_e32 vcc, s6, v1
	s_waitcnt vmcnt(5)
	v_lshlrev_b32_e32 v1, 16, v7
	v_cmp_ge_f32_e64 s[0:1], s6, v1
	s_waitcnt vmcnt(4)
	v_lshlrev_b32_e32 v1, 16, v10
	s_waitcnt vmcnt(3)
	v_lshlrev_b32_e32 v7, 16, v13
	v_cmp_ge_f32_e64 s[2:3], s6, v1
	s_waitcnt vmcnt(2)
	v_lshlrev_b32_e32 v8, 16, v16
	v_cndmask_b32_e64 v1, v2, v5, s[2:3]
	v_cmp_ge_f32_e64 s[2:3], s6, v7
	s_waitcnt vmcnt(1)
	v_lshlrev_b32_e32 v10, 16, v19
	v_cndmask_b32_e64 v7, v2, v5, s[2:3]
	;; [unrolled: 4-line block ×3, first 2 shown]
	v_cmp_ge_f32_e64 s[2:3], s6, v10
	v_lshlrev_b32_e32 v4, 16, v4
	v_cndmask_b32_e64 v10, v2, v5, s[2:3]
	v_cmp_ge_f32_e64 s[2:3], s6, v11
	v_cndmask_b32_e64 v11, v2, v5, s[2:3]
	v_cmp_ge_f32_e64 s[2:3], s6, v4
	v_cndmask_b32_e64 v4, v2, v5, s[2:3]
	v_cndmask_b32_e32 v13, v2, v5, vcc
	v_cndmask_b32_e64 v2, v2, v5, s[0:1]
	global_store_short v0, v1, s[4:5]
	global_store_short v3, v7, s[4:5]
	;; [unrolled: 1-line block ×8, first 2 shown]
	s_endpgm
.LBB230_129:
	v_mov_b32_e32 v0, 0
	v_mov_b32_e32 v2, 0
	s_branch .LBB230_135
.LBB230_130:
	v_mov_b32_e32 v0, 0
	v_mov_b32_e32 v2, 0
	s_branch .LBB230_151
.LBB230_131:
	s_mov_b32 s60, 0
	v_mov_b32_e32 v0, 0
	v_mov_b32_e32 v2, 0
	;; [unrolled: 1-line block ×3, first 2 shown]
.LBB230_132:
	s_and_b32 s4, s61, 3
	s_cmp_eq_u32 s4, 0
	s_cbranch_scc1 .LBB230_135
; %bb.133:
	s_lshl_b32 s0, s60, 3
	s_add_u32 s0, s34, s0
	s_addc_u32 s1, s35, 0
	s_add_u32 s0, s0, 0xc4
	s_addc_u32 s1, s1, 0
	s_mul_i32 s2, s60, 12
	s_add_u32 s2, s34, s2
	s_addc_u32 s3, s35, 0
.LBB230_134:                            ; =>This Inner Loop Header: Depth=1
	s_load_dwordx2 s[6:7], s[2:3], 0x4
	s_load_dword s5, s[2:3], 0xc
	s_load_dwordx2 s[8:9], s[0:1], 0x0
	s_add_u32 s2, s2, 12
	s_addc_u32 s3, s3, 0
	s_waitcnt lgkmcnt(0)
	v_mul_hi_u32 v3, s7, v1
	s_add_u32 s0, s0, 8
	s_addc_u32 s1, s1, 0
	s_add_i32 s4, s4, -1
	v_add_u32_e32 v3, v1, v3
	v_lshrrev_b32_e32 v4, s5, v3
	v_mul_lo_u32 v3, v4, s6
	s_cmp_lg_u32 s4, 0
	v_sub_u32_e32 v3, v1, v3
	v_mad_u64_u32 v[0:1], s[6:7], v3, s8, v[0:1]
	v_mad_u64_u32 v[2:3], s[6:7], v3, s9, v[2:3]
	v_mov_b32_e32 v1, v4
	s_cbranch_scc1 .LBB230_134
.LBB230_135:
	s_cbranch_execnz .LBB230_138
.LBB230_136:
	v_mul_hi_u32 v0, s21, v19
	s_andn2_b64 vcc, exec, s[44:45]
	v_add_u32_e32 v0, v19, v0
	v_lshrrev_b32_e32 v1, s22, v0
	v_mul_lo_u32 v0, v1, s20
	v_sub_u32_e32 v2, v19, v0
	v_mul_lo_u32 v0, v2, s24
	v_mul_lo_u32 v2, v2, s25
	s_cbranch_vccnz .LBB230_138
; %bb.137:
	v_mul_hi_u32 v3, s42, v1
	v_add_u32_e32 v3, v1, v3
	v_lshrrev_b32_e32 v3, s43, v3
	v_mul_lo_u32 v3, v3, s23
	v_sub_u32_e32 v3, v1, v3
	v_mad_u64_u32 v[0:1], s[0:1], v3, s26, v[0:1]
	v_mad_u64_u32 v[2:3], s[0:1], v3, s27, v[2:3]
.LBB230_138:
	global_load_ushort v1, v2, s[18:19]
	v_mov_b32_e32 v2, s41
	v_mov_b32_e32 v3, s57
	v_add_u32_e32 v19, 0x80, v19
	s_waitcnt vmcnt(0)
	v_lshlrev_b32_e32 v1, 16, v1
	v_cmp_ge_f32_e32 vcc, s40, v1
	v_cndmask_b32_e32 v1, v2, v3, vcc
	global_store_short v0, v1, s[16:17]
	s_or_b64 exec, exec, s[50:51]
	v_cmp_gt_i32_e32 vcc, s58, v19
	s_and_saveexec_b64 s[50:51], vcc
	s_cbranch_execnz .LBB230_15
.LBB230_139:
	s_or_b64 exec, exec, s[50:51]
	v_cmp_gt_i32_e32 vcc, s58, v19
	s_and_saveexec_b64 s[50:51], vcc
	s_cbranch_execz .LBB230_155
.LBB230_140:
	s_andn2_b64 vcc, exec, s[36:37]
	s_cbranch_vccnz .LBB230_145
; %bb.141:
	s_andn2_b64 vcc, exec, s[48:49]
	s_cbranch_vccnz .LBB230_146
; %bb.142:
	s_add_i32 s61, s59, 1
	s_cmp_eq_u32 s56, 2
	s_cbranch_scc1 .LBB230_163
; %bb.143:
	s_and_b32 s60, s61, 28
	v_mov_b32_e32 v2, 0
	s_mov_b32 s62, 0
	s_mov_b64 s[52:53], s[34:35]
	s_mov_b64 s[54:55], s[46:47]
	v_mov_b32_e32 v0, 0
	v_mov_b32_e32 v1, v19
.LBB230_144:                            ; =>This Inner Loop Header: Depth=1
	s_load_dwordx8 s[8:15], s[52:53], 0x4
	s_load_dwordx4 s[28:31], s[52:53], 0x24
	s_load_dwordx8 s[0:7], s[54:55], 0x0
	s_add_u32 s52, s52, 48
	s_addc_u32 s53, s53, 0
	s_waitcnt lgkmcnt(0)
	v_mul_hi_u32 v3, s9, v1
	s_add_i32 s62, s62, 4
	s_add_u32 s54, s54, 32
	s_addc_u32 s55, s55, 0
	v_add_u32_e32 v3, v1, v3
	v_lshrrev_b32_e32 v3, s10, v3
	v_mul_lo_u32 v4, v3, s8
	v_mul_hi_u32 v5, s12, v3
	s_cmp_eq_u32 s60, s62
	v_sub_u32_e32 v1, v1, v4
	v_add_u32_e32 v4, v3, v5
	v_mul_lo_u32 v5, v1, s0
	v_mul_lo_u32 v6, v1, s1
	v_lshrrev_b32_e32 v1, s13, v4
	v_mul_lo_u32 v4, v1, s11
	v_mul_hi_u32 v7, s15, v1
	v_sub_u32_e32 v3, v3, v4
	v_add_u32_e32 v4, v1, v7
	v_lshrrev_b32_e32 v4, s28, v4
	v_mul_hi_u32 v8, s30, v4
	v_mul_lo_u32 v9, v4, s14
	v_mul_lo_u32 v7, v3, s2
	;; [unrolled: 1-line block ×3, first 2 shown]
	v_sub_u32_e32 v9, v1, v9
	v_add_u32_e32 v1, v4, v8
	v_lshrrev_b32_e32 v1, s31, v1
	v_mul_lo_u32 v8, v1, s29
	v_mul_lo_u32 v10, v9, s4
	;; [unrolled: 1-line block ×3, first 2 shown]
	v_add3_u32 v0, v5, v0, v7
	v_sub_u32_e32 v4, v4, v8
	v_mul_lo_u32 v8, v4, s6
	v_mul_lo_u32 v4, v4, s7
	v_add3_u32 v2, v6, v2, v3
	v_add3_u32 v0, v10, v0, v8
	;; [unrolled: 1-line block ×3, first 2 shown]
	s_cbranch_scc0 .LBB230_144
	s_branch .LBB230_164
.LBB230_145:
                                        ; implicit-def: $vgpr0
                                        ; implicit-def: $vgpr2
	s_branch .LBB230_168
.LBB230_146:
	v_mov_b32_e32 v0, 0
	v_mov_b32_e32 v2, 0
	s_branch .LBB230_167
.LBB230_147:
	s_mov_b32 s60, 0
	v_mov_b32_e32 v0, 0
	v_mov_b32_e32 v2, 0
	;; [unrolled: 1-line block ×3, first 2 shown]
.LBB230_148:
	s_and_b32 s4, s61, 3
	s_cmp_eq_u32 s4, 0
	s_cbranch_scc1 .LBB230_151
; %bb.149:
	s_lshl_b32 s0, s60, 3
	s_add_u32 s0, s34, s0
	s_addc_u32 s1, s35, 0
	s_add_u32 s0, s0, 0xc4
	s_addc_u32 s1, s1, 0
	s_mul_i32 s2, s60, 12
	s_add_u32 s2, s34, s2
	s_addc_u32 s3, s35, 0
.LBB230_150:                            ; =>This Inner Loop Header: Depth=1
	s_load_dwordx2 s[6:7], s[2:3], 0x4
	s_load_dword s5, s[2:3], 0xc
	s_load_dwordx2 s[8:9], s[0:1], 0x0
	s_add_u32 s2, s2, 12
	s_addc_u32 s3, s3, 0
	s_waitcnt lgkmcnt(0)
	v_mul_hi_u32 v3, s7, v1
	s_add_u32 s0, s0, 8
	s_addc_u32 s1, s1, 0
	s_add_i32 s4, s4, -1
	v_add_u32_e32 v3, v1, v3
	v_lshrrev_b32_e32 v4, s5, v3
	v_mul_lo_u32 v3, v4, s6
	s_cmp_lg_u32 s4, 0
	v_sub_u32_e32 v3, v1, v3
	v_mad_u64_u32 v[0:1], s[6:7], v3, s8, v[0:1]
	v_mad_u64_u32 v[2:3], s[6:7], v3, s9, v[2:3]
	v_mov_b32_e32 v1, v4
	s_cbranch_scc1 .LBB230_150
.LBB230_151:
	s_cbranch_execnz .LBB230_154
.LBB230_152:
	v_mul_hi_u32 v0, s21, v19
	s_andn2_b64 vcc, exec, s[44:45]
	v_add_u32_e32 v0, v19, v0
	v_lshrrev_b32_e32 v1, s22, v0
	v_mul_lo_u32 v0, v1, s20
	v_sub_u32_e32 v2, v19, v0
	v_mul_lo_u32 v0, v2, s24
	v_mul_lo_u32 v2, v2, s25
	s_cbranch_vccnz .LBB230_154
; %bb.153:
	v_mul_hi_u32 v3, s42, v1
	v_add_u32_e32 v3, v1, v3
	v_lshrrev_b32_e32 v3, s43, v3
	v_mul_lo_u32 v3, v3, s23
	v_sub_u32_e32 v3, v1, v3
	v_mad_u64_u32 v[0:1], s[0:1], v3, s26, v[0:1]
	v_mad_u64_u32 v[2:3], s[0:1], v3, s27, v[2:3]
.LBB230_154:
	global_load_ushort v1, v2, s[18:19]
	v_mov_b32_e32 v2, s41
	v_mov_b32_e32 v3, s57
	v_add_u32_e32 v19, 0x80, v19
	s_waitcnt vmcnt(0)
	v_lshlrev_b32_e32 v1, 16, v1
	v_cmp_ge_f32_e32 vcc, s40, v1
	v_cndmask_b32_e32 v1, v2, v3, vcc
	global_store_short v0, v1, s[16:17]
	s_or_b64 exec, exec, s[50:51]
	v_cmp_gt_i32_e32 vcc, s58, v19
	s_and_saveexec_b64 s[50:51], vcc
	s_cbranch_execnz .LBB230_140
.LBB230_155:
	s_or_b64 exec, exec, s[50:51]
	v_cmp_gt_i32_e32 vcc, s58, v19
	s_and_saveexec_b64 s[50:51], vcc
	s_cbranch_execz .LBB230_171
.LBB230_156:
	s_andn2_b64 vcc, exec, s[36:37]
	s_cbranch_vccnz .LBB230_161
; %bb.157:
	s_andn2_b64 vcc, exec, s[48:49]
	s_cbranch_vccnz .LBB230_162
; %bb.158:
	s_add_i32 s61, s59, 1
	s_cmp_eq_u32 s56, 2
	s_cbranch_scc1 .LBB230_179
; %bb.159:
	s_and_b32 s60, s61, 28
	v_mov_b32_e32 v2, 0
	s_mov_b32 s62, 0
	s_mov_b64 s[52:53], s[34:35]
	s_mov_b64 s[54:55], s[46:47]
	v_mov_b32_e32 v0, 0
	v_mov_b32_e32 v1, v19
.LBB230_160:                            ; =>This Inner Loop Header: Depth=1
	s_load_dwordx8 s[8:15], s[52:53], 0x4
	s_load_dwordx4 s[28:31], s[52:53], 0x24
	s_load_dwordx8 s[0:7], s[54:55], 0x0
	s_add_u32 s52, s52, 48
	s_addc_u32 s53, s53, 0
	s_waitcnt lgkmcnt(0)
	v_mul_hi_u32 v3, s9, v1
	s_add_i32 s62, s62, 4
	s_add_u32 s54, s54, 32
	s_addc_u32 s55, s55, 0
	v_add_u32_e32 v3, v1, v3
	v_lshrrev_b32_e32 v3, s10, v3
	v_mul_lo_u32 v4, v3, s8
	v_mul_hi_u32 v5, s12, v3
	s_cmp_eq_u32 s60, s62
	v_sub_u32_e32 v1, v1, v4
	v_add_u32_e32 v4, v3, v5
	v_mul_lo_u32 v5, v1, s0
	v_mul_lo_u32 v6, v1, s1
	v_lshrrev_b32_e32 v1, s13, v4
	v_mul_lo_u32 v4, v1, s11
	v_mul_hi_u32 v7, s15, v1
	v_sub_u32_e32 v3, v3, v4
	v_add_u32_e32 v4, v1, v7
	v_lshrrev_b32_e32 v4, s28, v4
	v_mul_hi_u32 v8, s30, v4
	v_mul_lo_u32 v9, v4, s14
	v_mul_lo_u32 v7, v3, s2
	v_mul_lo_u32 v3, v3, s3
	v_sub_u32_e32 v9, v1, v9
	v_add_u32_e32 v1, v4, v8
	v_lshrrev_b32_e32 v1, s31, v1
	v_mul_lo_u32 v8, v1, s29
	v_mul_lo_u32 v10, v9, s4
	;; [unrolled: 1-line block ×3, first 2 shown]
	v_add3_u32 v0, v5, v0, v7
	v_sub_u32_e32 v4, v4, v8
	v_mul_lo_u32 v8, v4, s6
	v_mul_lo_u32 v4, v4, s7
	v_add3_u32 v2, v6, v2, v3
	v_add3_u32 v0, v10, v0, v8
	;; [unrolled: 1-line block ×3, first 2 shown]
	s_cbranch_scc0 .LBB230_160
	s_branch .LBB230_180
.LBB230_161:
                                        ; implicit-def: $vgpr0
                                        ; implicit-def: $vgpr2
	s_branch .LBB230_184
.LBB230_162:
	v_mov_b32_e32 v0, 0
	v_mov_b32_e32 v2, 0
	s_branch .LBB230_183
.LBB230_163:
	s_mov_b32 s60, 0
	v_mov_b32_e32 v0, 0
	v_mov_b32_e32 v2, 0
	;; [unrolled: 1-line block ×3, first 2 shown]
.LBB230_164:
	s_and_b32 s4, s61, 3
	s_cmp_eq_u32 s4, 0
	s_cbranch_scc1 .LBB230_167
; %bb.165:
	s_lshl_b32 s0, s60, 3
	s_add_u32 s0, s34, s0
	s_addc_u32 s1, s35, 0
	s_add_u32 s0, s0, 0xc4
	s_addc_u32 s1, s1, 0
	s_mul_i32 s2, s60, 12
	s_add_u32 s2, s34, s2
	s_addc_u32 s3, s35, 0
.LBB230_166:                            ; =>This Inner Loop Header: Depth=1
	s_load_dwordx2 s[6:7], s[2:3], 0x4
	s_load_dword s5, s[2:3], 0xc
	s_load_dwordx2 s[8:9], s[0:1], 0x0
	s_add_u32 s2, s2, 12
	s_addc_u32 s3, s3, 0
	s_waitcnt lgkmcnt(0)
	v_mul_hi_u32 v3, s7, v1
	s_add_u32 s0, s0, 8
	s_addc_u32 s1, s1, 0
	s_add_i32 s4, s4, -1
	v_add_u32_e32 v3, v1, v3
	v_lshrrev_b32_e32 v4, s5, v3
	v_mul_lo_u32 v3, v4, s6
	s_cmp_lg_u32 s4, 0
	v_sub_u32_e32 v3, v1, v3
	v_mad_u64_u32 v[0:1], s[6:7], v3, s8, v[0:1]
	v_mad_u64_u32 v[2:3], s[6:7], v3, s9, v[2:3]
	v_mov_b32_e32 v1, v4
	s_cbranch_scc1 .LBB230_166
.LBB230_167:
	s_cbranch_execnz .LBB230_170
.LBB230_168:
	v_mul_hi_u32 v0, s21, v19
	s_andn2_b64 vcc, exec, s[44:45]
	v_add_u32_e32 v0, v19, v0
	v_lshrrev_b32_e32 v1, s22, v0
	v_mul_lo_u32 v0, v1, s20
	v_sub_u32_e32 v2, v19, v0
	v_mul_lo_u32 v0, v2, s24
	v_mul_lo_u32 v2, v2, s25
	s_cbranch_vccnz .LBB230_170
; %bb.169:
	v_mul_hi_u32 v3, s42, v1
	v_add_u32_e32 v3, v1, v3
	v_lshrrev_b32_e32 v3, s43, v3
	v_mul_lo_u32 v3, v3, s23
	v_sub_u32_e32 v3, v1, v3
	v_mad_u64_u32 v[0:1], s[0:1], v3, s26, v[0:1]
	v_mad_u64_u32 v[2:3], s[0:1], v3, s27, v[2:3]
.LBB230_170:
	global_load_ushort v1, v2, s[18:19]
	v_mov_b32_e32 v2, s41
	v_mov_b32_e32 v3, s57
	v_add_u32_e32 v19, 0x80, v19
	s_waitcnt vmcnt(0)
	v_lshlrev_b32_e32 v1, 16, v1
	v_cmp_ge_f32_e32 vcc, s40, v1
	v_cndmask_b32_e32 v1, v2, v3, vcc
	global_store_short v0, v1, s[16:17]
	s_or_b64 exec, exec, s[50:51]
	v_cmp_gt_i32_e32 vcc, s58, v19
	s_and_saveexec_b64 s[50:51], vcc
	s_cbranch_execnz .LBB230_156
.LBB230_171:
	s_or_b64 exec, exec, s[50:51]
	v_cmp_gt_i32_e32 vcc, s58, v19
	s_and_saveexec_b64 s[50:51], vcc
	s_cbranch_execz .LBB230_187
.LBB230_172:
	s_andn2_b64 vcc, exec, s[36:37]
	s_cbranch_vccnz .LBB230_177
; %bb.173:
	s_andn2_b64 vcc, exec, s[48:49]
	s_cbranch_vccnz .LBB230_178
; %bb.174:
	s_add_i32 s61, s59, 1
	s_cmp_eq_u32 s56, 2
	s_cbranch_scc1 .LBB230_195
; %bb.175:
	s_and_b32 s60, s61, 28
	v_mov_b32_e32 v2, 0
	s_mov_b32 s62, 0
	s_mov_b64 s[52:53], s[34:35]
	s_mov_b64 s[54:55], s[46:47]
	v_mov_b32_e32 v0, 0
	v_mov_b32_e32 v1, v19
.LBB230_176:                            ; =>This Inner Loop Header: Depth=1
	s_load_dwordx8 s[8:15], s[52:53], 0x4
	s_load_dwordx4 s[28:31], s[52:53], 0x24
	s_load_dwordx8 s[0:7], s[54:55], 0x0
	s_add_u32 s52, s52, 48
	s_addc_u32 s53, s53, 0
	s_waitcnt lgkmcnt(0)
	v_mul_hi_u32 v3, s9, v1
	s_add_i32 s62, s62, 4
	s_add_u32 s54, s54, 32
	s_addc_u32 s55, s55, 0
	v_add_u32_e32 v3, v1, v3
	v_lshrrev_b32_e32 v3, s10, v3
	v_mul_lo_u32 v4, v3, s8
	v_mul_hi_u32 v5, s12, v3
	s_cmp_eq_u32 s60, s62
	v_sub_u32_e32 v1, v1, v4
	v_add_u32_e32 v4, v3, v5
	v_mul_lo_u32 v5, v1, s0
	v_mul_lo_u32 v6, v1, s1
	v_lshrrev_b32_e32 v1, s13, v4
	v_mul_lo_u32 v4, v1, s11
	v_mul_hi_u32 v7, s15, v1
	v_sub_u32_e32 v3, v3, v4
	v_add_u32_e32 v4, v1, v7
	v_lshrrev_b32_e32 v4, s28, v4
	v_mul_hi_u32 v8, s30, v4
	v_mul_lo_u32 v9, v4, s14
	v_mul_lo_u32 v7, v3, s2
	;; [unrolled: 1-line block ×3, first 2 shown]
	v_sub_u32_e32 v9, v1, v9
	v_add_u32_e32 v1, v4, v8
	v_lshrrev_b32_e32 v1, s31, v1
	v_mul_lo_u32 v8, v1, s29
	v_mul_lo_u32 v10, v9, s4
	;; [unrolled: 1-line block ×3, first 2 shown]
	v_add3_u32 v0, v5, v0, v7
	v_sub_u32_e32 v4, v4, v8
	v_mul_lo_u32 v8, v4, s6
	v_mul_lo_u32 v4, v4, s7
	v_add3_u32 v2, v6, v2, v3
	v_add3_u32 v0, v10, v0, v8
	;; [unrolled: 1-line block ×3, first 2 shown]
	s_cbranch_scc0 .LBB230_176
	s_branch .LBB230_196
.LBB230_177:
                                        ; implicit-def: $vgpr0
                                        ; implicit-def: $vgpr2
	s_branch .LBB230_200
.LBB230_178:
	v_mov_b32_e32 v0, 0
	v_mov_b32_e32 v2, 0
	s_branch .LBB230_199
.LBB230_179:
	s_mov_b32 s60, 0
	v_mov_b32_e32 v0, 0
	v_mov_b32_e32 v2, 0
	;; [unrolled: 1-line block ×3, first 2 shown]
.LBB230_180:
	s_and_b32 s4, s61, 3
	s_cmp_eq_u32 s4, 0
	s_cbranch_scc1 .LBB230_183
; %bb.181:
	s_lshl_b32 s0, s60, 3
	s_add_u32 s0, s34, s0
	s_addc_u32 s1, s35, 0
	s_add_u32 s0, s0, 0xc4
	s_addc_u32 s1, s1, 0
	s_mul_i32 s2, s60, 12
	s_add_u32 s2, s34, s2
	s_addc_u32 s3, s35, 0
.LBB230_182:                            ; =>This Inner Loop Header: Depth=1
	s_load_dwordx2 s[6:7], s[2:3], 0x4
	s_load_dword s5, s[2:3], 0xc
	s_load_dwordx2 s[8:9], s[0:1], 0x0
	s_add_u32 s2, s2, 12
	s_addc_u32 s3, s3, 0
	s_waitcnt lgkmcnt(0)
	v_mul_hi_u32 v3, s7, v1
	s_add_u32 s0, s0, 8
	s_addc_u32 s1, s1, 0
	s_add_i32 s4, s4, -1
	v_add_u32_e32 v3, v1, v3
	v_lshrrev_b32_e32 v4, s5, v3
	v_mul_lo_u32 v3, v4, s6
	s_cmp_lg_u32 s4, 0
	v_sub_u32_e32 v3, v1, v3
	v_mad_u64_u32 v[0:1], s[6:7], v3, s8, v[0:1]
	v_mad_u64_u32 v[2:3], s[6:7], v3, s9, v[2:3]
	v_mov_b32_e32 v1, v4
	s_cbranch_scc1 .LBB230_182
.LBB230_183:
	s_cbranch_execnz .LBB230_186
.LBB230_184:
	v_mul_hi_u32 v0, s21, v19
	s_andn2_b64 vcc, exec, s[44:45]
	v_add_u32_e32 v0, v19, v0
	v_lshrrev_b32_e32 v1, s22, v0
	v_mul_lo_u32 v0, v1, s20
	v_sub_u32_e32 v2, v19, v0
	v_mul_lo_u32 v0, v2, s24
	v_mul_lo_u32 v2, v2, s25
	s_cbranch_vccnz .LBB230_186
; %bb.185:
	v_mul_hi_u32 v3, s42, v1
	v_add_u32_e32 v3, v1, v3
	v_lshrrev_b32_e32 v3, s43, v3
	v_mul_lo_u32 v3, v3, s23
	v_sub_u32_e32 v3, v1, v3
	v_mad_u64_u32 v[0:1], s[0:1], v3, s26, v[0:1]
	v_mad_u64_u32 v[2:3], s[0:1], v3, s27, v[2:3]
.LBB230_186:
	global_load_ushort v1, v2, s[18:19]
	v_mov_b32_e32 v2, s41
	v_mov_b32_e32 v3, s57
	v_add_u32_e32 v19, 0x80, v19
	s_waitcnt vmcnt(0)
	v_lshlrev_b32_e32 v1, 16, v1
	v_cmp_ge_f32_e32 vcc, s40, v1
	v_cndmask_b32_e32 v1, v2, v3, vcc
	global_store_short v0, v1, s[16:17]
	s_or_b64 exec, exec, s[50:51]
	v_cmp_gt_i32_e32 vcc, s58, v19
	s_and_saveexec_b64 s[50:51], vcc
	s_cbranch_execnz .LBB230_172
.LBB230_187:
	s_or_b64 exec, exec, s[50:51]
	v_cmp_gt_i32_e32 vcc, s58, v19
	s_and_saveexec_b64 s[50:51], vcc
	s_cbranch_execz .LBB230_203
.LBB230_188:
	s_andn2_b64 vcc, exec, s[36:37]
	s_cbranch_vccnz .LBB230_193
; %bb.189:
	s_andn2_b64 vcc, exec, s[48:49]
	s_cbranch_vccnz .LBB230_194
; %bb.190:
	s_add_i32 s61, s59, 1
	s_cmp_eq_u32 s56, 2
	s_cbranch_scc1 .LBB230_211
; %bb.191:
	s_and_b32 s60, s61, 28
	v_mov_b32_e32 v2, 0
	s_mov_b32 s62, 0
	s_mov_b64 s[52:53], s[34:35]
	s_mov_b64 s[54:55], s[46:47]
	v_mov_b32_e32 v0, 0
	v_mov_b32_e32 v1, v19
.LBB230_192:                            ; =>This Inner Loop Header: Depth=1
	s_load_dwordx8 s[8:15], s[52:53], 0x4
	s_load_dwordx4 s[28:31], s[52:53], 0x24
	s_load_dwordx8 s[0:7], s[54:55], 0x0
	s_add_u32 s52, s52, 48
	s_addc_u32 s53, s53, 0
	s_waitcnt lgkmcnt(0)
	v_mul_hi_u32 v3, s9, v1
	s_add_i32 s62, s62, 4
	s_add_u32 s54, s54, 32
	s_addc_u32 s55, s55, 0
	v_add_u32_e32 v3, v1, v3
	v_lshrrev_b32_e32 v3, s10, v3
	v_mul_lo_u32 v4, v3, s8
	v_mul_hi_u32 v5, s12, v3
	s_cmp_eq_u32 s60, s62
	v_sub_u32_e32 v1, v1, v4
	v_add_u32_e32 v4, v3, v5
	v_mul_lo_u32 v5, v1, s0
	v_mul_lo_u32 v6, v1, s1
	v_lshrrev_b32_e32 v1, s13, v4
	v_mul_lo_u32 v4, v1, s11
	v_mul_hi_u32 v7, s15, v1
	v_sub_u32_e32 v3, v3, v4
	v_add_u32_e32 v4, v1, v7
	v_lshrrev_b32_e32 v4, s28, v4
	v_mul_hi_u32 v8, s30, v4
	v_mul_lo_u32 v9, v4, s14
	v_mul_lo_u32 v7, v3, s2
	;; [unrolled: 1-line block ×3, first 2 shown]
	v_sub_u32_e32 v9, v1, v9
	v_add_u32_e32 v1, v4, v8
	v_lshrrev_b32_e32 v1, s31, v1
	v_mul_lo_u32 v8, v1, s29
	v_mul_lo_u32 v10, v9, s4
	;; [unrolled: 1-line block ×3, first 2 shown]
	v_add3_u32 v0, v5, v0, v7
	v_sub_u32_e32 v4, v4, v8
	v_mul_lo_u32 v8, v4, s6
	v_mul_lo_u32 v4, v4, s7
	v_add3_u32 v2, v6, v2, v3
	v_add3_u32 v0, v10, v0, v8
	;; [unrolled: 1-line block ×3, first 2 shown]
	s_cbranch_scc0 .LBB230_192
	s_branch .LBB230_212
.LBB230_193:
                                        ; implicit-def: $vgpr0
                                        ; implicit-def: $vgpr2
	s_branch .LBB230_216
.LBB230_194:
	v_mov_b32_e32 v0, 0
	v_mov_b32_e32 v2, 0
	s_branch .LBB230_215
.LBB230_195:
	s_mov_b32 s60, 0
	v_mov_b32_e32 v0, 0
	v_mov_b32_e32 v2, 0
	;; [unrolled: 1-line block ×3, first 2 shown]
.LBB230_196:
	s_and_b32 s4, s61, 3
	s_cmp_eq_u32 s4, 0
	s_cbranch_scc1 .LBB230_199
; %bb.197:
	s_lshl_b32 s0, s60, 3
	s_add_u32 s0, s34, s0
	s_addc_u32 s1, s35, 0
	s_add_u32 s0, s0, 0xc4
	s_addc_u32 s1, s1, 0
	s_mul_i32 s2, s60, 12
	s_add_u32 s2, s34, s2
	s_addc_u32 s3, s35, 0
.LBB230_198:                            ; =>This Inner Loop Header: Depth=1
	s_load_dwordx2 s[6:7], s[2:3], 0x4
	s_load_dword s5, s[2:3], 0xc
	s_load_dwordx2 s[8:9], s[0:1], 0x0
	s_add_u32 s2, s2, 12
	s_addc_u32 s3, s3, 0
	s_waitcnt lgkmcnt(0)
	v_mul_hi_u32 v3, s7, v1
	s_add_u32 s0, s0, 8
	s_addc_u32 s1, s1, 0
	s_add_i32 s4, s4, -1
	v_add_u32_e32 v3, v1, v3
	v_lshrrev_b32_e32 v4, s5, v3
	v_mul_lo_u32 v3, v4, s6
	s_cmp_lg_u32 s4, 0
	v_sub_u32_e32 v3, v1, v3
	v_mad_u64_u32 v[0:1], s[6:7], v3, s8, v[0:1]
	v_mad_u64_u32 v[2:3], s[6:7], v3, s9, v[2:3]
	v_mov_b32_e32 v1, v4
	s_cbranch_scc1 .LBB230_198
.LBB230_199:
	s_cbranch_execnz .LBB230_202
.LBB230_200:
	v_mul_hi_u32 v0, s21, v19
	s_andn2_b64 vcc, exec, s[44:45]
	v_add_u32_e32 v0, v19, v0
	v_lshrrev_b32_e32 v1, s22, v0
	v_mul_lo_u32 v0, v1, s20
	v_sub_u32_e32 v2, v19, v0
	v_mul_lo_u32 v0, v2, s24
	v_mul_lo_u32 v2, v2, s25
	s_cbranch_vccnz .LBB230_202
; %bb.201:
	v_mul_hi_u32 v3, s42, v1
	v_add_u32_e32 v3, v1, v3
	v_lshrrev_b32_e32 v3, s43, v3
	v_mul_lo_u32 v3, v3, s23
	v_sub_u32_e32 v3, v1, v3
	v_mad_u64_u32 v[0:1], s[0:1], v3, s26, v[0:1]
	v_mad_u64_u32 v[2:3], s[0:1], v3, s27, v[2:3]
.LBB230_202:
	global_load_ushort v1, v2, s[18:19]
	v_mov_b32_e32 v2, s41
	v_mov_b32_e32 v3, s57
	v_add_u32_e32 v19, 0x80, v19
	s_waitcnt vmcnt(0)
	v_lshlrev_b32_e32 v1, 16, v1
	v_cmp_ge_f32_e32 vcc, s40, v1
	v_cndmask_b32_e32 v1, v2, v3, vcc
	global_store_short v0, v1, s[16:17]
	s_or_b64 exec, exec, s[50:51]
	v_cmp_gt_i32_e32 vcc, s58, v19
	s_and_saveexec_b64 s[50:51], vcc
	s_cbranch_execnz .LBB230_188
.LBB230_203:
	s_or_b64 exec, exec, s[50:51]
	v_cmp_gt_i32_e32 vcc, s58, v19
	s_and_saveexec_b64 s[50:51], vcc
	s_cbranch_execz .LBB230_219
.LBB230_204:
	s_andn2_b64 vcc, exec, s[36:37]
	s_cbranch_vccnz .LBB230_209
; %bb.205:
	s_andn2_b64 vcc, exec, s[48:49]
	s_cbranch_vccnz .LBB230_210
; %bb.206:
	s_add_i32 s61, s59, 1
	s_cmp_eq_u32 s56, 2
	s_cbranch_scc1 .LBB230_222
; %bb.207:
	s_and_b32 s60, s61, 28
	v_mov_b32_e32 v2, 0
	s_mov_b32 s62, 0
	s_mov_b64 s[52:53], s[34:35]
	s_mov_b64 s[54:55], s[46:47]
	v_mov_b32_e32 v0, 0
	v_mov_b32_e32 v1, v19
.LBB230_208:                            ; =>This Inner Loop Header: Depth=1
	s_load_dwordx8 s[8:15], s[52:53], 0x4
	s_load_dwordx4 s[28:31], s[52:53], 0x24
	s_load_dwordx8 s[0:7], s[54:55], 0x0
	s_add_u32 s52, s52, 48
	s_addc_u32 s53, s53, 0
	s_waitcnt lgkmcnt(0)
	v_mul_hi_u32 v3, s9, v1
	s_add_i32 s62, s62, 4
	s_add_u32 s54, s54, 32
	s_addc_u32 s55, s55, 0
	v_add_u32_e32 v3, v1, v3
	v_lshrrev_b32_e32 v3, s10, v3
	v_mul_lo_u32 v4, v3, s8
	v_mul_hi_u32 v5, s12, v3
	s_cmp_eq_u32 s60, s62
	v_sub_u32_e32 v1, v1, v4
	v_add_u32_e32 v4, v3, v5
	v_mul_lo_u32 v5, v1, s0
	v_mul_lo_u32 v6, v1, s1
	v_lshrrev_b32_e32 v1, s13, v4
	v_mul_lo_u32 v4, v1, s11
	v_mul_hi_u32 v7, s15, v1
	v_sub_u32_e32 v3, v3, v4
	v_add_u32_e32 v4, v1, v7
	v_lshrrev_b32_e32 v4, s28, v4
	v_mul_hi_u32 v8, s30, v4
	v_mul_lo_u32 v9, v4, s14
	v_mul_lo_u32 v7, v3, s2
	;; [unrolled: 1-line block ×3, first 2 shown]
	v_sub_u32_e32 v9, v1, v9
	v_add_u32_e32 v1, v4, v8
	v_lshrrev_b32_e32 v1, s31, v1
	v_mul_lo_u32 v8, v1, s29
	v_mul_lo_u32 v10, v9, s4
	;; [unrolled: 1-line block ×3, first 2 shown]
	v_add3_u32 v0, v5, v0, v7
	v_sub_u32_e32 v4, v4, v8
	v_mul_lo_u32 v8, v4, s6
	v_mul_lo_u32 v4, v4, s7
	v_add3_u32 v2, v6, v2, v3
	v_add3_u32 v0, v10, v0, v8
	;; [unrolled: 1-line block ×3, first 2 shown]
	s_cbranch_scc0 .LBB230_208
	s_branch .LBB230_223
.LBB230_209:
                                        ; implicit-def: $vgpr0
                                        ; implicit-def: $vgpr2
	s_branch .LBB230_227
.LBB230_210:
	v_mov_b32_e32 v0, 0
	v_mov_b32_e32 v2, 0
	s_branch .LBB230_226
.LBB230_211:
	s_mov_b32 s60, 0
	v_mov_b32_e32 v0, 0
	v_mov_b32_e32 v2, 0
	;; [unrolled: 1-line block ×3, first 2 shown]
.LBB230_212:
	s_and_b32 s4, s61, 3
	s_cmp_eq_u32 s4, 0
	s_cbranch_scc1 .LBB230_215
; %bb.213:
	s_lshl_b32 s0, s60, 3
	s_add_u32 s0, s34, s0
	s_addc_u32 s1, s35, 0
	s_add_u32 s0, s0, 0xc4
	s_addc_u32 s1, s1, 0
	s_mul_i32 s2, s60, 12
	s_add_u32 s2, s34, s2
	s_addc_u32 s3, s35, 0
.LBB230_214:                            ; =>This Inner Loop Header: Depth=1
	s_load_dwordx2 s[6:7], s[2:3], 0x4
	s_load_dword s5, s[2:3], 0xc
	s_load_dwordx2 s[8:9], s[0:1], 0x0
	s_add_u32 s2, s2, 12
	s_addc_u32 s3, s3, 0
	s_waitcnt lgkmcnt(0)
	v_mul_hi_u32 v3, s7, v1
	s_add_u32 s0, s0, 8
	s_addc_u32 s1, s1, 0
	s_add_i32 s4, s4, -1
	v_add_u32_e32 v3, v1, v3
	v_lshrrev_b32_e32 v4, s5, v3
	v_mul_lo_u32 v3, v4, s6
	s_cmp_lg_u32 s4, 0
	v_sub_u32_e32 v3, v1, v3
	v_mad_u64_u32 v[0:1], s[6:7], v3, s8, v[0:1]
	v_mad_u64_u32 v[2:3], s[6:7], v3, s9, v[2:3]
	v_mov_b32_e32 v1, v4
	s_cbranch_scc1 .LBB230_214
.LBB230_215:
	s_cbranch_execnz .LBB230_218
.LBB230_216:
	v_mul_hi_u32 v0, s21, v19
	s_andn2_b64 vcc, exec, s[44:45]
	v_add_u32_e32 v0, v19, v0
	v_lshrrev_b32_e32 v1, s22, v0
	v_mul_lo_u32 v0, v1, s20
	v_sub_u32_e32 v2, v19, v0
	v_mul_lo_u32 v0, v2, s24
	v_mul_lo_u32 v2, v2, s25
	s_cbranch_vccnz .LBB230_218
; %bb.217:
	v_mul_hi_u32 v3, s42, v1
	v_add_u32_e32 v3, v1, v3
	v_lshrrev_b32_e32 v3, s43, v3
	v_mul_lo_u32 v3, v3, s23
	v_sub_u32_e32 v3, v1, v3
	v_mad_u64_u32 v[0:1], s[0:1], v3, s26, v[0:1]
	v_mad_u64_u32 v[2:3], s[0:1], v3, s27, v[2:3]
.LBB230_218:
	global_load_ushort v1, v2, s[18:19]
	v_mov_b32_e32 v2, s41
	v_mov_b32_e32 v3, s57
	v_add_u32_e32 v19, 0x80, v19
	s_waitcnt vmcnt(0)
	v_lshlrev_b32_e32 v1, 16, v1
	v_cmp_ge_f32_e32 vcc, s40, v1
	v_cndmask_b32_e32 v1, v2, v3, vcc
	global_store_short v0, v1, s[16:17]
	s_or_b64 exec, exec, s[50:51]
	v_cmp_gt_i32_e32 vcc, s58, v19
	s_and_saveexec_b64 s[50:51], vcc
	s_cbranch_execnz .LBB230_204
.LBB230_219:
	s_or_b64 exec, exec, s[50:51]
	v_cmp_gt_i32_e32 vcc, s58, v19
	s_and_saveexec_b64 s[50:51], vcc
	s_cbranch_execnz .LBB230_230
.LBB230_220:
	s_or_b64 exec, exec, s[50:51]
                                        ; implicit-def: $vgpr25
                                        ; implicit-def: $vgpr19
	s_andn2_saveexec_b64 s[0:1], s[38:39]
	s_cbranch_execnz .LBB230_8
.LBB230_221:
	s_endpgm
.LBB230_222:
	s_mov_b32 s60, 0
	v_mov_b32_e32 v0, 0
	v_mov_b32_e32 v2, 0
	;; [unrolled: 1-line block ×3, first 2 shown]
.LBB230_223:
	s_and_b32 s4, s61, 3
	s_cmp_eq_u32 s4, 0
	s_cbranch_scc1 .LBB230_226
; %bb.224:
	s_lshl_b32 s0, s60, 3
	s_add_u32 s0, s34, s0
	s_addc_u32 s1, s35, 0
	s_add_u32 s0, s0, 0xc4
	s_addc_u32 s1, s1, 0
	s_mul_i32 s2, s60, 12
	s_add_u32 s2, s34, s2
	s_addc_u32 s3, s35, 0
.LBB230_225:                            ; =>This Inner Loop Header: Depth=1
	s_load_dwordx2 s[6:7], s[2:3], 0x4
	s_load_dword s5, s[2:3], 0xc
	s_load_dwordx2 s[8:9], s[0:1], 0x0
	s_add_u32 s2, s2, 12
	s_addc_u32 s3, s3, 0
	s_waitcnt lgkmcnt(0)
	v_mul_hi_u32 v3, s7, v1
	s_add_u32 s0, s0, 8
	s_addc_u32 s1, s1, 0
	s_add_i32 s4, s4, -1
	v_add_u32_e32 v3, v1, v3
	v_lshrrev_b32_e32 v4, s5, v3
	v_mul_lo_u32 v3, v4, s6
	s_cmp_lg_u32 s4, 0
	v_sub_u32_e32 v3, v1, v3
	v_mad_u64_u32 v[0:1], s[6:7], v3, s8, v[0:1]
	v_mad_u64_u32 v[2:3], s[6:7], v3, s9, v[2:3]
	v_mov_b32_e32 v1, v4
	s_cbranch_scc1 .LBB230_225
.LBB230_226:
	s_cbranch_execnz .LBB230_229
.LBB230_227:
	v_mul_hi_u32 v0, s21, v19
	s_andn2_b64 vcc, exec, s[44:45]
	v_add_u32_e32 v0, v19, v0
	v_lshrrev_b32_e32 v1, s22, v0
	v_mul_lo_u32 v0, v1, s20
	v_sub_u32_e32 v2, v19, v0
	v_mul_lo_u32 v0, v2, s24
	v_mul_lo_u32 v2, v2, s25
	s_cbranch_vccnz .LBB230_229
; %bb.228:
	v_mul_hi_u32 v3, s42, v1
	v_add_u32_e32 v3, v1, v3
	v_lshrrev_b32_e32 v3, s43, v3
	v_mul_lo_u32 v3, v3, s23
	v_sub_u32_e32 v3, v1, v3
	v_mad_u64_u32 v[0:1], s[0:1], v3, s26, v[0:1]
	v_mad_u64_u32 v[2:3], s[0:1], v3, s27, v[2:3]
.LBB230_229:
	global_load_ushort v1, v2, s[18:19]
	v_mov_b32_e32 v2, s41
	v_mov_b32_e32 v3, s57
	v_add_u32_e32 v19, 0x80, v19
	s_waitcnt vmcnt(0)
	v_lshlrev_b32_e32 v1, 16, v1
	v_cmp_ge_f32_e32 vcc, s40, v1
	v_cndmask_b32_e32 v1, v2, v3, vcc
	global_store_short v0, v1, s[16:17]
	s_or_b64 exec, exec, s[50:51]
	v_cmp_gt_i32_e32 vcc, s58, v19
	s_and_saveexec_b64 s[50:51], vcc
	s_cbranch_execz .LBB230_220
.LBB230_230:
	s_andn2_b64 vcc, exec, s[36:37]
	s_cbranch_vccnz .LBB230_235
; %bb.231:
	s_andn2_b64 vcc, exec, s[48:49]
	s_cbranch_vccnz .LBB230_236
; %bb.232:
	s_add_i32 s59, s59, 1
	s_cmp_eq_u32 s56, 2
	s_cbranch_scc1 .LBB230_237
; %bb.233:
	s_and_b32 s52, s59, 28
	v_mov_b32_e32 v2, 0
	s_mov_b32 s53, 0
	s_mov_b64 s[48:49], s[34:35]
	v_mov_b32_e32 v0, 0
	v_mov_b32_e32 v1, v19
.LBB230_234:                            ; =>This Inner Loop Header: Depth=1
	s_load_dwordx8 s[8:15], s[48:49], 0x4
	s_load_dwordx4 s[28:31], s[48:49], 0x24
	s_load_dwordx8 s[0:7], s[46:47], 0x0
	s_add_u32 s48, s48, 48
	s_addc_u32 s49, s49, 0
	s_waitcnt lgkmcnt(0)
	v_mul_hi_u32 v3, s9, v1
	s_add_i32 s53, s53, 4
	s_add_u32 s46, s46, 32
	s_addc_u32 s47, s47, 0
	v_add_u32_e32 v3, v1, v3
	v_lshrrev_b32_e32 v3, s10, v3
	v_mul_lo_u32 v4, v3, s8
	v_mul_hi_u32 v5, s12, v3
	s_cmp_eq_u32 s52, s53
	v_sub_u32_e32 v1, v1, v4
	v_add_u32_e32 v4, v3, v5
	v_mul_lo_u32 v5, v1, s0
	v_mul_lo_u32 v6, v1, s1
	v_lshrrev_b32_e32 v1, s13, v4
	v_mul_lo_u32 v4, v1, s11
	v_mul_hi_u32 v7, s15, v1
	v_sub_u32_e32 v3, v3, v4
	v_add_u32_e32 v4, v1, v7
	v_lshrrev_b32_e32 v4, s28, v4
	v_mul_hi_u32 v8, s30, v4
	v_mul_lo_u32 v9, v4, s14
	v_mul_lo_u32 v7, v3, s2
	;; [unrolled: 1-line block ×3, first 2 shown]
	v_sub_u32_e32 v9, v1, v9
	v_add_u32_e32 v1, v4, v8
	v_lshrrev_b32_e32 v1, s31, v1
	v_mul_lo_u32 v8, v1, s29
	v_mul_lo_u32 v10, v9, s4
	;; [unrolled: 1-line block ×3, first 2 shown]
	v_add3_u32 v0, v5, v0, v7
	v_sub_u32_e32 v4, v4, v8
	v_mul_lo_u32 v8, v4, s6
	v_mul_lo_u32 v4, v4, s7
	v_add3_u32 v2, v6, v2, v3
	v_add3_u32 v0, v10, v0, v8
	;; [unrolled: 1-line block ×3, first 2 shown]
	s_cbranch_scc0 .LBB230_234
	s_branch .LBB230_238
.LBB230_235:
                                        ; implicit-def: $vgpr0
                                        ; implicit-def: $vgpr2
	s_branch .LBB230_242
.LBB230_236:
	v_mov_b32_e32 v0, 0
	v_mov_b32_e32 v2, 0
	s_branch .LBB230_241
.LBB230_237:
	s_mov_b32 s52, 0
	v_mov_b32_e32 v0, 0
	v_mov_b32_e32 v2, 0
	;; [unrolled: 1-line block ×3, first 2 shown]
.LBB230_238:
	s_and_b32 s4, s59, 3
	s_cmp_eq_u32 s4, 0
	s_cbranch_scc1 .LBB230_241
; %bb.239:
	s_lshl_b32 s0, s52, 3
	s_add_u32 s0, s34, s0
	s_addc_u32 s1, s35, 0
	s_add_u32 s0, s0, 0xc4
	s_addc_u32 s1, s1, 0
	s_mul_i32 s2, s52, 12
	s_add_u32 s2, s34, s2
	s_addc_u32 s3, s35, 0
.LBB230_240:                            ; =>This Inner Loop Header: Depth=1
	s_load_dwordx2 s[6:7], s[2:3], 0x4
	s_load_dword s5, s[2:3], 0xc
	s_load_dwordx2 s[8:9], s[0:1], 0x0
	s_add_u32 s2, s2, 12
	s_addc_u32 s3, s3, 0
	s_waitcnt lgkmcnt(0)
	v_mul_hi_u32 v3, s7, v1
	s_add_u32 s0, s0, 8
	s_addc_u32 s1, s1, 0
	s_add_i32 s4, s4, -1
	v_add_u32_e32 v3, v1, v3
	v_lshrrev_b32_e32 v4, s5, v3
	v_mul_lo_u32 v3, v4, s6
	s_cmp_lg_u32 s4, 0
	v_sub_u32_e32 v3, v1, v3
	v_mad_u64_u32 v[0:1], s[6:7], v3, s8, v[0:1]
	v_mad_u64_u32 v[2:3], s[6:7], v3, s9, v[2:3]
	v_mov_b32_e32 v1, v4
	s_cbranch_scc1 .LBB230_240
.LBB230_241:
	s_cbranch_execnz .LBB230_244
.LBB230_242:
	v_mul_hi_u32 v0, s21, v19
	s_andn2_b64 vcc, exec, s[44:45]
	v_add_u32_e32 v0, v19, v0
	v_lshrrev_b32_e32 v1, s22, v0
	v_mul_lo_u32 v0, v1, s20
	v_sub_u32_e32 v2, v19, v0
	v_mul_lo_u32 v0, v2, s24
	v_mul_lo_u32 v2, v2, s25
	s_cbranch_vccnz .LBB230_244
; %bb.243:
	v_mul_hi_u32 v3, s42, v1
	v_add_u32_e32 v3, v1, v3
	v_lshrrev_b32_e32 v3, s43, v3
	v_mul_lo_u32 v3, v3, s23
	v_sub_u32_e32 v3, v1, v3
	v_mad_u64_u32 v[0:1], s[0:1], v3, s26, v[0:1]
	v_mad_u64_u32 v[2:3], s[0:1], v3, s27, v[2:3]
.LBB230_244:
	global_load_ushort v1, v2, s[18:19]
	v_mov_b32_e32 v2, s41
	v_mov_b32_e32 v3, s57
	s_waitcnt vmcnt(0)
	v_lshlrev_b32_e32 v1, 16, v1
	v_cmp_ge_f32_e32 vcc, s40, v1
	v_cndmask_b32_e32 v1, v2, v3, vcc
	global_store_short v0, v1, s[16:17]
	s_or_b64 exec, exec, s[50:51]
                                        ; implicit-def: $vgpr25
                                        ; implicit-def: $vgpr19
	s_andn2_saveexec_b64 s[0:1], s[38:39]
	s_cbranch_execz .LBB230_221
	s_branch .LBB230_8
	.section	.rodata,"a",@progbits
	.p2align	6, 0x0
	.amdhsa_kernel _ZN2at6native32elementwise_kernel_manual_unrollILi128ELi8EZNS0_22gpu_kernel_impl_nocastINS0_13BUnaryFunctorIN3c108BFloat16ES5_S5_ZNS0_12_GLOBAL__N_121threshold_kernel_implIS5_EEvRNS_18TensorIteratorBaseET_SA_EUlS5_S5_E_EEEEvS9_RKSA_EUlibE_EEviT1_
		.amdhsa_group_segment_fixed_size 0
		.amdhsa_private_segment_fixed_size 0
		.amdhsa_kernarg_size 360
		.amdhsa_user_sgpr_count 6
		.amdhsa_user_sgpr_private_segment_buffer 1
		.amdhsa_user_sgpr_dispatch_ptr 0
		.amdhsa_user_sgpr_queue_ptr 0
		.amdhsa_user_sgpr_kernarg_segment_ptr 1
		.amdhsa_user_sgpr_dispatch_id 0
		.amdhsa_user_sgpr_flat_scratch_init 0
		.amdhsa_user_sgpr_private_segment_size 0
		.amdhsa_uses_dynamic_stack 0
		.amdhsa_system_sgpr_private_segment_wavefront_offset 0
		.amdhsa_system_sgpr_workgroup_id_x 1
		.amdhsa_system_sgpr_workgroup_id_y 0
		.amdhsa_system_sgpr_workgroup_id_z 0
		.amdhsa_system_sgpr_workgroup_info 0
		.amdhsa_system_vgpr_workitem_id 0
		.amdhsa_next_free_vgpr 26
		.amdhsa_next_free_sgpr 63
		.amdhsa_reserve_vcc 1
		.amdhsa_reserve_flat_scratch 0
		.amdhsa_float_round_mode_32 0
		.amdhsa_float_round_mode_16_64 0
		.amdhsa_float_denorm_mode_32 3
		.amdhsa_float_denorm_mode_16_64 3
		.amdhsa_dx10_clamp 1
		.amdhsa_ieee_mode 1
		.amdhsa_fp16_overflow 0
		.amdhsa_exception_fp_ieee_invalid_op 0
		.amdhsa_exception_fp_denorm_src 0
		.amdhsa_exception_fp_ieee_div_zero 0
		.amdhsa_exception_fp_ieee_overflow 0
		.amdhsa_exception_fp_ieee_underflow 0
		.amdhsa_exception_fp_ieee_inexact 0
		.amdhsa_exception_int_div_zero 0
	.end_amdhsa_kernel
	.section	.text._ZN2at6native32elementwise_kernel_manual_unrollILi128ELi8EZNS0_22gpu_kernel_impl_nocastINS0_13BUnaryFunctorIN3c108BFloat16ES5_S5_ZNS0_12_GLOBAL__N_121threshold_kernel_implIS5_EEvRNS_18TensorIteratorBaseET_SA_EUlS5_S5_E_EEEEvS9_RKSA_EUlibE_EEviT1_,"axG",@progbits,_ZN2at6native32elementwise_kernel_manual_unrollILi128ELi8EZNS0_22gpu_kernel_impl_nocastINS0_13BUnaryFunctorIN3c108BFloat16ES5_S5_ZNS0_12_GLOBAL__N_121threshold_kernel_implIS5_EEvRNS_18TensorIteratorBaseET_SA_EUlS5_S5_E_EEEEvS9_RKSA_EUlibE_EEviT1_,comdat
.Lfunc_end230:
	.size	_ZN2at6native32elementwise_kernel_manual_unrollILi128ELi8EZNS0_22gpu_kernel_impl_nocastINS0_13BUnaryFunctorIN3c108BFloat16ES5_S5_ZNS0_12_GLOBAL__N_121threshold_kernel_implIS5_EEvRNS_18TensorIteratorBaseET_SA_EUlS5_S5_E_EEEEvS9_RKSA_EUlibE_EEviT1_, .Lfunc_end230-_ZN2at6native32elementwise_kernel_manual_unrollILi128ELi8EZNS0_22gpu_kernel_impl_nocastINS0_13BUnaryFunctorIN3c108BFloat16ES5_S5_ZNS0_12_GLOBAL__N_121threshold_kernel_implIS5_EEvRNS_18TensorIteratorBaseET_SA_EUlS5_S5_E_EEEEvS9_RKSA_EUlibE_EEviT1_
                                        ; -- End function
	.set _ZN2at6native32elementwise_kernel_manual_unrollILi128ELi8EZNS0_22gpu_kernel_impl_nocastINS0_13BUnaryFunctorIN3c108BFloat16ES5_S5_ZNS0_12_GLOBAL__N_121threshold_kernel_implIS5_EEvRNS_18TensorIteratorBaseET_SA_EUlS5_S5_E_EEEEvS9_RKSA_EUlibE_EEviT1_.num_vgpr, 26
	.set _ZN2at6native32elementwise_kernel_manual_unrollILi128ELi8EZNS0_22gpu_kernel_impl_nocastINS0_13BUnaryFunctorIN3c108BFloat16ES5_S5_ZNS0_12_GLOBAL__N_121threshold_kernel_implIS5_EEvRNS_18TensorIteratorBaseET_SA_EUlS5_S5_E_EEEEvS9_RKSA_EUlibE_EEviT1_.num_agpr, 0
	.set _ZN2at6native32elementwise_kernel_manual_unrollILi128ELi8EZNS0_22gpu_kernel_impl_nocastINS0_13BUnaryFunctorIN3c108BFloat16ES5_S5_ZNS0_12_GLOBAL__N_121threshold_kernel_implIS5_EEvRNS_18TensorIteratorBaseET_SA_EUlS5_S5_E_EEEEvS9_RKSA_EUlibE_EEviT1_.numbered_sgpr, 63
	.set _ZN2at6native32elementwise_kernel_manual_unrollILi128ELi8EZNS0_22gpu_kernel_impl_nocastINS0_13BUnaryFunctorIN3c108BFloat16ES5_S5_ZNS0_12_GLOBAL__N_121threshold_kernel_implIS5_EEvRNS_18TensorIteratorBaseET_SA_EUlS5_S5_E_EEEEvS9_RKSA_EUlibE_EEviT1_.num_named_barrier, 0
	.set _ZN2at6native32elementwise_kernel_manual_unrollILi128ELi8EZNS0_22gpu_kernel_impl_nocastINS0_13BUnaryFunctorIN3c108BFloat16ES5_S5_ZNS0_12_GLOBAL__N_121threshold_kernel_implIS5_EEvRNS_18TensorIteratorBaseET_SA_EUlS5_S5_E_EEEEvS9_RKSA_EUlibE_EEviT1_.private_seg_size, 0
	.set _ZN2at6native32elementwise_kernel_manual_unrollILi128ELi8EZNS0_22gpu_kernel_impl_nocastINS0_13BUnaryFunctorIN3c108BFloat16ES5_S5_ZNS0_12_GLOBAL__N_121threshold_kernel_implIS5_EEvRNS_18TensorIteratorBaseET_SA_EUlS5_S5_E_EEEEvS9_RKSA_EUlibE_EEviT1_.uses_vcc, 1
	.set _ZN2at6native32elementwise_kernel_manual_unrollILi128ELi8EZNS0_22gpu_kernel_impl_nocastINS0_13BUnaryFunctorIN3c108BFloat16ES5_S5_ZNS0_12_GLOBAL__N_121threshold_kernel_implIS5_EEvRNS_18TensorIteratorBaseET_SA_EUlS5_S5_E_EEEEvS9_RKSA_EUlibE_EEviT1_.uses_flat_scratch, 0
	.set _ZN2at6native32elementwise_kernel_manual_unrollILi128ELi8EZNS0_22gpu_kernel_impl_nocastINS0_13BUnaryFunctorIN3c108BFloat16ES5_S5_ZNS0_12_GLOBAL__N_121threshold_kernel_implIS5_EEvRNS_18TensorIteratorBaseET_SA_EUlS5_S5_E_EEEEvS9_RKSA_EUlibE_EEviT1_.has_dyn_sized_stack, 0
	.set _ZN2at6native32elementwise_kernel_manual_unrollILi128ELi8EZNS0_22gpu_kernel_impl_nocastINS0_13BUnaryFunctorIN3c108BFloat16ES5_S5_ZNS0_12_GLOBAL__N_121threshold_kernel_implIS5_EEvRNS_18TensorIteratorBaseET_SA_EUlS5_S5_E_EEEEvS9_RKSA_EUlibE_EEviT1_.has_recursion, 0
	.set _ZN2at6native32elementwise_kernel_manual_unrollILi128ELi8EZNS0_22gpu_kernel_impl_nocastINS0_13BUnaryFunctorIN3c108BFloat16ES5_S5_ZNS0_12_GLOBAL__N_121threshold_kernel_implIS5_EEvRNS_18TensorIteratorBaseET_SA_EUlS5_S5_E_EEEEvS9_RKSA_EUlibE_EEviT1_.has_indirect_call, 0
	.section	.AMDGPU.csdata,"",@progbits
; Kernel info:
; codeLenInByte = 11456
; TotalNumSgprs: 67
; NumVgprs: 26
; ScratchSize: 0
; MemoryBound: 0
; FloatMode: 240
; IeeeMode: 1
; LDSByteSize: 0 bytes/workgroup (compile time only)
; SGPRBlocks: 8
; VGPRBlocks: 6
; NumSGPRsForWavesPerEU: 67
; NumVGPRsForWavesPerEU: 26
; Occupancy: 9
; WaveLimiterHint : 1
; COMPUTE_PGM_RSRC2:SCRATCH_EN: 0
; COMPUTE_PGM_RSRC2:USER_SGPR: 6
; COMPUTE_PGM_RSRC2:TRAP_HANDLER: 0
; COMPUTE_PGM_RSRC2:TGID_X_EN: 1
; COMPUTE_PGM_RSRC2:TGID_Y_EN: 0
; COMPUTE_PGM_RSRC2:TGID_Z_EN: 0
; COMPUTE_PGM_RSRC2:TIDIG_COMP_CNT: 0
	.section	.text._ZN2at6native32elementwise_kernel_manual_unrollILi128ELi4EZNS0_15gpu_kernel_implINS0_13BUnaryFunctorIN3c108BFloat16ES5_S5_ZNS0_12_GLOBAL__N_121threshold_kernel_implIS5_EEvRNS_18TensorIteratorBaseET_SA_EUlS5_S5_E_EEEEvS9_RKSA_EUlibE_EEviT1_,"axG",@progbits,_ZN2at6native32elementwise_kernel_manual_unrollILi128ELi4EZNS0_15gpu_kernel_implINS0_13BUnaryFunctorIN3c108BFloat16ES5_S5_ZNS0_12_GLOBAL__N_121threshold_kernel_implIS5_EEvRNS_18TensorIteratorBaseET_SA_EUlS5_S5_E_EEEEvS9_RKSA_EUlibE_EEviT1_,comdat
	.globl	_ZN2at6native32elementwise_kernel_manual_unrollILi128ELi4EZNS0_15gpu_kernel_implINS0_13BUnaryFunctorIN3c108BFloat16ES5_S5_ZNS0_12_GLOBAL__N_121threshold_kernel_implIS5_EEvRNS_18TensorIteratorBaseET_SA_EUlS5_S5_E_EEEEvS9_RKSA_EUlibE_EEviT1_ ; -- Begin function _ZN2at6native32elementwise_kernel_manual_unrollILi128ELi4EZNS0_15gpu_kernel_implINS0_13BUnaryFunctorIN3c108BFloat16ES5_S5_ZNS0_12_GLOBAL__N_121threshold_kernel_implIS5_EEvRNS_18TensorIteratorBaseET_SA_EUlS5_S5_E_EEEEvS9_RKSA_EUlibE_EEviT1_
	.p2align	8
	.type	_ZN2at6native32elementwise_kernel_manual_unrollILi128ELi4EZNS0_15gpu_kernel_implINS0_13BUnaryFunctorIN3c108BFloat16ES5_S5_ZNS0_12_GLOBAL__N_121threshold_kernel_implIS5_EEvRNS_18TensorIteratorBaseET_SA_EUlS5_S5_E_EEEEvS9_RKSA_EUlibE_EEviT1_,@function
_ZN2at6native32elementwise_kernel_manual_unrollILi128ELi4EZNS0_15gpu_kernel_implINS0_13BUnaryFunctorIN3c108BFloat16ES5_S5_ZNS0_12_GLOBAL__N_121threshold_kernel_implIS5_EEvRNS_18TensorIteratorBaseET_SA_EUlS5_S5_E_EEEEvS9_RKSA_EUlibE_EEviT1_: ; @_ZN2at6native32elementwise_kernel_manual_unrollILi128ELi4EZNS0_15gpu_kernel_implINS0_13BUnaryFunctorIN3c108BFloat16ES5_S5_ZNS0_12_GLOBAL__N_121threshold_kernel_implIS5_EEvRNS_18TensorIteratorBaseET_SA_EUlS5_S5_E_EEEEvS9_RKSA_EUlibE_EEviT1_
; %bb.0:
	s_load_dwordx8 s[8:15], s[4:5], 0x8
	s_load_dword s0, s[4:5], 0x24
	s_load_dword s40, s[4:5], 0x0
	v_lshl_or_b32 v2, s6, 9, v0
	v_or_b32_e32 v0, 0x180, v2
	s_waitcnt lgkmcnt(0)
	s_lshr_b32 s33, s14, 16
	s_and_b32 s44, s14, 0xffff
	s_lshr_b32 s14, s0, 16
	s_lshr_b32 s45, s0, 24
	v_cmp_le_i32_e32 vcc, s40, v0
	s_mov_b64 s[2:3], 0
	s_mov_b64 s[6:7], 0
	s_and_saveexec_b64 s[0:1], vcc
	s_xor_b64 s[4:5], exec, s[0:1]
	s_cbranch_execz .LBB231_1029
; %bb.1:
	s_lshl_b32 s46, s44, 16
	v_cmp_gt_i32_e32 vcc, s40, v2
	s_mov_b64 s[20:21], -1
	s_mov_b64 s[22:23], 0
	s_mov_b64 s[16:17], 0
	s_and_saveexec_b64 s[18:19], vcc
	s_cbranch_execz .LBB231_252
; %bb.2:
	v_mul_lo_u32 v0, v2, s13
	v_mov_b32_e32 v1, s11
	s_and_b32 s24, 0xffff, s45
	s_cmp_lt_i32 s24, 11
	v_ashrrev_i32_e32 v3, 31, v0
	v_add_co_u32_e32 v0, vcc, s10, v0
	v_addc_co_u32_e32 v1, vcc, v1, v3, vcc
	s_cbranch_scc1 .LBB231_9
; %bb.3:
	s_cmp_gt_i32 s24, 25
	s_cbranch_scc0 .LBB231_18
; %bb.4:
	s_cmp_gt_i32 s24, 28
	s_cbranch_scc0 .LBB231_22
	;; [unrolled: 3-line block ×4, first 2 shown]
; %bb.7:
	s_cmp_eq_u32 s24, 46
	s_cbranch_scc0 .LBB231_28
; %bb.8:
	global_load_dword v3, v[0:1], off
	s_mov_b64 s[0:1], -1
	s_branch .LBB231_30
.LBB231_9:
                                        ; implicit-def: $vgpr3
	s_mov_b64 s[0:1], 0
	s_cbranch_execnz .LBB231_203
.LBB231_10:
	s_andn2_b64 vcc, exec, s[0:1]
	s_cbranch_vccnz .LBB231_250
.LBB231_11:
	v_mul_lo_u32 v4, v2, s12
	s_waitcnt vmcnt(0)
	v_lshlrev_b32_e32 v0, 16, v3
	v_mov_b32_e32 v1, s15
	v_mov_b32_e32 v3, s33
	v_cmp_ge_f32_e32 vcc, s46, v0
	v_cndmask_b32_e32 v3, v1, v3, vcc
	v_ashrrev_i32_e32 v1, 31, v4
	v_mov_b32_e32 v5, s9
	s_and_b32 s26, s14, 0xff
	v_add_co_u32_e32 v0, vcc, s8, v4
	s_cmp_lt_i32 s26, 11
	v_addc_co_u32_e32 v1, vcc, v5, v1, vcc
	s_cbranch_scc1 .LBB231_19
; %bb.12:
	s_and_b32 s27, 0xffff, s26
	s_cmp_gt_i32 s27, 25
	s_cbranch_scc0 .LBB231_23
; %bb.13:
	s_cmp_gt_i32 s27, 28
	s_cbranch_scc0 .LBB231_25
; %bb.14:
	;; [unrolled: 3-line block ×4, first 2 shown]
	s_mov_b64 s[20:21], 0
	s_mov_b64 s[0:1], -1
	s_cmp_eq_u32 s27, 46
	s_mov_b64 s[6:7], 0
	s_cbranch_scc0 .LBB231_34
; %bb.17:
	v_and_b32_e32 v4, 0xffff, v3
	global_store_dword v[0:1], v4, off
	s_mov_b64 s[6:7], -1
	s_mov_b64 s[0:1], 0
	s_branch .LBB231_34
.LBB231_18:
	s_mov_b64 s[0:1], 0
                                        ; implicit-def: $vgpr3
	s_cbranch_execnz .LBB231_168
	s_branch .LBB231_202
.LBB231_19:
	s_mov_b64 s[0:1], 0
	s_mov_b64 s[6:7], 0
	s_cbranch_execnz .LBB231_103
.LBB231_20:
	s_andn2_b64 vcc, exec, s[6:7]
	s_cbranch_vccnz .LBB231_141
.LBB231_21:
	v_add_u32_e32 v2, 0x80, v2
	s_mov_b64 s[20:21], -1
	s_branch .LBB231_251
.LBB231_22:
	s_mov_b64 s[6:7], -1
	s_mov_b64 s[0:1], 0
                                        ; implicit-def: $vgpr3
	s_branch .LBB231_149
.LBB231_23:
	s_mov_b64 s[20:21], -1
	s_mov_b64 s[0:1], 0
	s_mov_b64 s[6:7], 0
	s_branch .LBB231_61
.LBB231_24:
	s_mov_b64 s[6:7], -1
	s_mov_b64 s[0:1], 0
                                        ; implicit-def: $vgpr3
	s_branch .LBB231_144
.LBB231_25:
	s_mov_b64 s[20:21], -1
	s_mov_b64 s[0:1], 0
	s_mov_b64 s[6:7], 0
	s_branch .LBB231_44
.LBB231_26:
	s_mov_b64 s[6:7], -1
	s_branch .LBB231_29
.LBB231_27:
	s_mov_b64 s[20:21], -1
	s_mov_b64 s[0:1], 0
	s_mov_b64 s[6:7], 0
	s_branch .LBB231_40
.LBB231_28:
	s_mov_b64 s[16:17], -1
.LBB231_29:
	s_mov_b64 s[0:1], 0
                                        ; implicit-def: $vgpr3
.LBB231_30:
	s_and_b64 vcc, exec, s[6:7]
	s_cbranch_vccz .LBB231_143
; %bb.31:
	s_cmp_eq_u32 s24, 44
	s_cbranch_scc0 .LBB231_142
; %bb.32:
	global_load_ubyte v3, v[0:1], off
	s_movk_i32 s6, 0xff
	v_mov_b32_e32 v4, 0x7f800001
	v_mov_b32_e32 v5, 0x400000
	;; [unrolled: 1-line block ×3, first 2 shown]
	s_mov_b64 s[0:1], -1
	s_mov_b64 s[16:17], 0
	s_waitcnt vmcnt(0)
	v_lshlrev_b32_e32 v7, 23, v3
	v_cmp_ne_u32_e32 vcc, s6, v3
	v_cndmask_b32_e32 v4, v4, v7, vcc
	v_cmp_ne_u32_e32 vcc, 0, v3
	v_cndmask_b32_e32 v3, v5, v4, vcc
	v_add_u32_e32 v4, 0x7fff, v3
	v_cmp_o_f32_e32 vcc, v3, v3
	v_cndmask_b32_sdwa v3, v6, v4, vcc dst_sel:DWORD dst_unused:UNUSED_PAD src0_sel:DWORD src1_sel:WORD_1
	s_branch .LBB231_143
.LBB231_33:
	s_mov_b64 s[20:21], -1
	s_mov_b64 s[0:1], 0
	s_mov_b64 s[6:7], 0
.LBB231_34:
	s_and_b64 vcc, exec, s[20:21]
	s_cbranch_vccz .LBB231_39
; %bb.35:
	s_cmp_eq_u32 s27, 44
	s_mov_b64 s[0:1], -1
	s_cbranch_scc0 .LBB231_39
; %bb.36:
	v_and_b32_e32 v5, 0xffff, v3
	v_bfe_u32 v4, v5, 7, 8
	s_movk_i32 s0, 0xff
	v_cmp_ne_u32_e32 vcc, s0, v4
	v_mov_b32_e32 v6, 0xff
	s_and_saveexec_b64 s[6:7], vcc
	s_cbranch_execz .LBB231_38
; %bb.37:
	v_lshlrev_b32_e32 v7, 16, v5
	s_mov_b32 s0, 0x3f0000
	v_lshrrev_b32_e32 v6, 7, v5
	v_and_b32_e32 v5, 64, v5
	v_and_or_b32 v4, v7, s0, v4
	v_cmp_ne_u32_e32 vcc, 0, v5
	v_cmp_ne_u32_e64 s[0:1], 0, v4
	s_and_b64 s[0:1], vcc, s[0:1]
	v_cndmask_b32_e64 v4, 0, 1, s[0:1]
	v_add_u32_e32 v6, v6, v4
.LBB231_38:
	s_or_b64 exec, exec, s[6:7]
	s_mov_b64 s[6:7], -1
	s_mov_b64 s[0:1], 0
	global_store_byte v[0:1], v6, off
.LBB231_39:
	s_mov_b64 s[20:21], 0
.LBB231_40:
	s_and_b64 vcc, exec, s[20:21]
	s_cbranch_vccz .LBB231_43
; %bb.41:
	s_cmp_eq_u32 s27, 29
	s_mov_b64 s[0:1], -1
	s_cbranch_scc0 .LBB231_43
; %bb.42:
	v_lshlrev_b32_e32 v4, 16, v3
	v_trunc_f32_e32 v4, v4
	v_mul_f32_e32 v5, 0x2f800000, v4
	v_floor_f32_e32 v6, v5
	v_fmac_f32_e32 v4, 0xcf800000, v6
	v_cvt_u32_f32_e32 v5, v6
	v_cvt_u32_f32_e32 v4, v4
	s_mov_b64 s[6:7], -1
	s_mov_b64 s[0:1], 0
	s_mov_b64 s[20:21], 0
	global_store_dwordx2 v[0:1], v[4:5], off
	s_branch .LBB231_44
.LBB231_43:
	s_mov_b64 s[20:21], 0
.LBB231_44:
	s_and_b64 vcc, exec, s[20:21]
	s_cbranch_vccz .LBB231_60
; %bb.45:
	s_cmp_lt_i32 s27, 27
	s_mov_b64 s[6:7], -1
	s_cbranch_scc1 .LBB231_51
; %bb.46:
	s_cmp_gt_i32 s27, 27
	s_cbranch_scc0 .LBB231_48
; %bb.47:
	v_lshlrev_b32_e32 v4, 16, v3
	v_cvt_u32_f32_e32 v4, v4
	s_mov_b64 s[6:7], 0
	global_store_dword v[0:1], v4, off
.LBB231_48:
	s_andn2_b64 vcc, exec, s[6:7]
	s_cbranch_vccnz .LBB231_50
; %bb.49:
	v_lshlrev_b32_e32 v4, 16, v3
	v_cvt_u32_f32_e32 v4, v4
	global_store_short v[0:1], v4, off
.LBB231_50:
	s_mov_b64 s[6:7], 0
.LBB231_51:
	s_andn2_b64 vcc, exec, s[6:7]
	s_cbranch_vccnz .LBB231_59
; %bb.52:
	v_lshlrev_b32_e32 v6, 16, v3
	v_and_b32_e32 v5, 0x7fffffff, v6
	s_mov_b32 s6, 0x43800000
	v_cmp_gt_u32_e32 vcc, s6, v5
	v_mov_b32_e32 v7, 0x80
	s_and_saveexec_b64 s[6:7], vcc
	s_cbranch_execz .LBB231_58
; %bb.53:
	s_mov_b32 s20, 0x3bffffff
	v_and_b32_e32 v4, 0xffff, v3
	v_cmp_lt_u32_e32 vcc, s20, v5
	s_mov_b64 s[20:21], 0
                                        ; implicit-def: $vgpr5
	s_and_saveexec_b64 s[24:25], vcc
	s_xor_b64 s[24:25], exec, s[24:25]
	s_cbranch_execz .LBB231_279
; %bb.54:
	v_bfe_u32 v5, v4, 4, 1
	s_mov_b32 s28, 0x487ffff
	v_add3_u32 v5, v6, v5, s28
	s_mov_b64 s[20:21], exec
	v_lshrrev_b32_e32 v5, 20, v5
                                        ; implicit-def: $vgpr6
	s_andn2_saveexec_b64 s[24:25], s[24:25]
	s_cbranch_execnz .LBB231_280
.LBB231_55:
	s_or_b64 exec, exec, s[24:25]
	v_mov_b32_e32 v7, 0
	s_and_saveexec_b64 s[24:25], s[20:21]
.LBB231_56:
	v_lshrrev_b32_e32 v4, 8, v4
	s_movk_i32 s20, 0x80
	v_and_or_b32 v7, v4, s20, v5
.LBB231_57:
	s_or_b64 exec, exec, s[24:25]
.LBB231_58:
	s_or_b64 exec, exec, s[6:7]
	global_store_byte v[0:1], v7, off
.LBB231_59:
	s_mov_b64 s[6:7], -1
.LBB231_60:
	s_mov_b64 s[20:21], 0
.LBB231_61:
	s_and_b64 vcc, exec, s[20:21]
	s_cbranch_vccz .LBB231_102
; %bb.62:
	s_cmp_gt_i32 s27, 22
	s_mov_b64 s[20:21], -1
	s_cbranch_scc0 .LBB231_94
; %bb.63:
	s_cmp_lt_i32 s27, 24
	s_mov_b64 s[6:7], -1
	s_cbranch_scc1 .LBB231_83
; %bb.64:
	s_cmp_gt_i32 s27, 24
	s_cbranch_scc0 .LBB231_72
; %bb.65:
	v_lshlrev_b32_e32 v6, 16, v3
	v_and_b32_e32 v5, 0x7fffffff, v6
	s_mov_b32 s6, 0x47800000
	v_cmp_gt_u32_e32 vcc, s6, v5
	v_mov_b32_e32 v7, 0x80
	s_and_saveexec_b64 s[6:7], vcc
	s_cbranch_execz .LBB231_71
; %bb.66:
	s_mov_b32 s20, 0x37ffffff
	v_and_b32_e32 v4, 0xffff, v3
	v_cmp_lt_u32_e32 vcc, s20, v5
	s_mov_b64 s[20:21], 0
                                        ; implicit-def: $vgpr5
	s_and_saveexec_b64 s[24:25], vcc
	s_xor_b64 s[24:25], exec, s[24:25]
	s_cbranch_execz .LBB231_283
; %bb.67:
	v_bfe_u32 v5, v4, 5, 1
	s_mov_b32 s28, 0x88fffff
	v_add3_u32 v5, v6, v5, s28
	s_mov_b64 s[20:21], exec
	v_lshrrev_b32_e32 v5, 21, v5
                                        ; implicit-def: $vgpr6
	s_andn2_saveexec_b64 s[24:25], s[24:25]
	s_cbranch_execnz .LBB231_284
.LBB231_68:
	s_or_b64 exec, exec, s[24:25]
	v_mov_b32_e32 v7, 0
	s_and_saveexec_b64 s[24:25], s[20:21]
.LBB231_69:
	v_lshrrev_b32_e32 v4, 8, v4
	s_movk_i32 s20, 0x80
	v_and_or_b32 v7, v4, s20, v5
.LBB231_70:
	s_or_b64 exec, exec, s[24:25]
.LBB231_71:
	s_or_b64 exec, exec, s[6:7]
	s_mov_b64 s[6:7], 0
	global_store_byte v[0:1], v7, off
.LBB231_72:
	s_and_b64 vcc, exec, s[6:7]
	s_cbranch_vccz .LBB231_82
; %bb.73:
	v_lshlrev_b32_e32 v6, 16, v3
	v_and_b32_e32 v7, 0x7fffffff, v6
	s_mov_b32 s6, 0x43f00000
	v_and_b32_e32 v4, 0xffff, v3
	v_cmp_gt_u32_e32 vcc, s6, v7
                                        ; implicit-def: $vgpr5
	s_and_saveexec_b64 s[6:7], vcc
	s_xor_b64 s[6:7], exec, s[6:7]
	s_cbranch_execz .LBB231_79
; %bb.74:
	s_mov_b32 s20, 0x3c7fffff
	v_cmp_lt_u32_e32 vcc, s20, v7
                                        ; implicit-def: $vgpr5
	s_and_saveexec_b64 s[20:21], vcc
	s_xor_b64 s[20:21], exec, s[20:21]
; %bb.75:
	v_bfe_u32 v5, v4, 4, 1
	s_mov_b32 s24, 0x407ffff
	v_add3_u32 v5, v6, v5, s24
	v_lshrrev_b32_e32 v6, 20, v5
	v_and_b32_e32 v5, 0xff00000, v5
	s_mov_b32 s24, 0x7f00000
	v_mov_b32_e32 v7, 0x7e
	v_cmp_ne_u32_e32 vcc, s24, v5
	v_cndmask_b32_e32 v5, v7, v6, vcc
                                        ; implicit-def: $vgpr6
; %bb.76:
	s_andn2_saveexec_b64 s[20:21], s[20:21]
; %bb.77:
	s_mov_b32 s24, 0x46800000
	v_add_f32_e64 v5, |v6|, s24
; %bb.78:
	s_or_b64 exec, exec, s[20:21]
                                        ; implicit-def: $vgpr7
.LBB231_79:
	s_andn2_saveexec_b64 s[6:7], s[6:7]
; %bb.80:
	s_mov_b32 s20, 0x7f800000
	v_mov_b32_e32 v5, 0x7e
	v_mov_b32_e32 v6, 0x7f
	v_cmp_lt_u32_e32 vcc, s20, v7
	v_cndmask_b32_e32 v5, v5, v6, vcc
; %bb.81:
	s_or_b64 exec, exec, s[6:7]
	v_lshrrev_b32_e32 v4, 8, v4
	s_movk_i32 s6, 0x80
	v_and_or_b32 v4, v4, s6, v5
	global_store_byte v[0:1], v4, off
.LBB231_82:
	s_mov_b64 s[6:7], 0
.LBB231_83:
	s_andn2_b64 vcc, exec, s[6:7]
	s_cbranch_vccnz .LBB231_93
; %bb.84:
	v_lshlrev_b32_e32 v6, 16, v3
	v_and_b32_e32 v7, 0x7fffffff, v6
	s_mov_b32 s6, 0x47800000
	v_and_b32_e32 v4, 0xffff, v3
	v_cmp_gt_u32_e32 vcc, s6, v7
                                        ; implicit-def: $vgpr5
	s_and_saveexec_b64 s[6:7], vcc
	s_xor_b64 s[6:7], exec, s[6:7]
	s_cbranch_execz .LBB231_90
; %bb.85:
	s_mov_b32 s20, 0x387fffff
	v_cmp_lt_u32_e32 vcc, s20, v7
                                        ; implicit-def: $vgpr5
	s_and_saveexec_b64 s[20:21], vcc
	s_xor_b64 s[20:21], exec, s[20:21]
; %bb.86:
	v_bfe_u32 v5, v4, 5, 1
	s_mov_b32 s24, 0x80fffff
	v_add3_u32 v5, v6, v5, s24
	v_lshrrev_b32_e32 v5, 21, v5
                                        ; implicit-def: $vgpr6
; %bb.87:
	s_andn2_saveexec_b64 s[20:21], s[20:21]
; %bb.88:
	s_mov_b32 s24, 0x43000000
	v_add_f32_e64 v5, |v6|, s24
; %bb.89:
	s_or_b64 exec, exec, s[20:21]
                                        ; implicit-def: $vgpr7
.LBB231_90:
	s_andn2_saveexec_b64 s[6:7], s[6:7]
; %bb.91:
	s_mov_b32 s20, 0x7f800000
	v_mov_b32_e32 v5, 0x7c
	v_mov_b32_e32 v6, 0x7f
	v_cmp_lt_u32_e32 vcc, s20, v7
	v_cndmask_b32_e32 v5, v5, v6, vcc
; %bb.92:
	s_or_b64 exec, exec, s[6:7]
	v_lshrrev_b32_e32 v4, 8, v4
	s_movk_i32 s6, 0x80
	v_and_or_b32 v4, v4, s6, v5
	global_store_byte v[0:1], v4, off
.LBB231_93:
	s_mov_b64 s[20:21], 0
	s_mov_b64 s[6:7], -1
.LBB231_94:
	s_andn2_b64 vcc, exec, s[20:21]
	s_cbranch_vccnz .LBB231_102
; %bb.95:
	s_cmp_gt_i32 s27, 14
	s_mov_b64 s[20:21], -1
	s_cbranch_scc0 .LBB231_99
; %bb.96:
	s_cmp_eq_u32 s27, 15
	s_mov_b64 s[0:1], -1
	s_cbranch_scc0 .LBB231_98
; %bb.97:
	global_store_short v[0:1], v3, off
	s_mov_b64 s[6:7], -1
	s_mov_b64 s[0:1], 0
.LBB231_98:
	s_mov_b64 s[20:21], 0
.LBB231_99:
	s_and_b64 vcc, exec, s[20:21]
	s_cbranch_vccz .LBB231_102
; %bb.100:
	s_cmp_eq_u32 s27, 11
	s_mov_b64 s[0:1], -1
	s_cbranch_scc0 .LBB231_102
; %bb.101:
	v_and_b32_e32 v4, 0x7fff, v3
	v_cmp_ne_u16_e32 vcc, 0, v4
	v_cndmask_b32_e64 v4, 0, 1, vcc
	s_mov_b64 s[6:7], -1
	s_mov_b64 s[0:1], 0
	global_store_byte v[0:1], v4, off
.LBB231_102:
	s_branch .LBB231_20
.LBB231_103:
	s_and_b32 s20, 0xffff, s26
	s_cmp_lt_i32 s20, 5
	s_mov_b64 s[6:7], -1
	s_cbranch_scc1 .LBB231_124
; %bb.104:
	s_cmp_lt_i32 s20, 8
	s_cbranch_scc1 .LBB231_114
; %bb.105:
	s_cmp_lt_i32 s20, 9
	s_cbranch_scc1 .LBB231_111
; %bb.106:
	s_cmp_gt_i32 s20, 9
	s_cbranch_scc0 .LBB231_108
; %bb.107:
	v_lshlrev_b32_e32 v4, 16, v3
	v_cvt_f64_f32_e32 v[4:5], v4
	v_mov_b32_e32 v6, 0
	v_mov_b32_e32 v7, v6
	s_mov_b64 s[6:7], 0
	global_store_dwordx4 v[0:1], v[4:7], off
.LBB231_108:
	s_andn2_b64 vcc, exec, s[6:7]
	s_cbranch_vccnz .LBB231_110
; %bb.109:
	v_lshlrev_b32_e32 v4, 16, v3
	v_mov_b32_e32 v5, 0
	global_store_dwordx2 v[0:1], v[4:5], off
.LBB231_110:
	s_mov_b64 s[6:7], 0
.LBB231_111:
	s_andn2_b64 vcc, exec, s[6:7]
	s_cbranch_vccnz .LBB231_113
; %bb.112:
	v_lshlrev_b32_e32 v4, 16, v3
	v_cvt_f16_f32_e32 v4, v4
	global_store_dword v[0:1], v4, off
.LBB231_113:
	s_mov_b64 s[6:7], 0
.LBB231_114:
	s_andn2_b64 vcc, exec, s[6:7]
	s_cbranch_vccnz .LBB231_123
; %bb.115:
	s_cmp_lt_i32 s20, 6
	s_mov_b64 s[6:7], -1
	s_cbranch_scc1 .LBB231_121
; %bb.116:
	s_cmp_gt_i32 s20, 6
	s_cbranch_scc0 .LBB231_118
; %bb.117:
	v_lshlrev_b32_e32 v4, 16, v3
	v_cvt_f64_f32_e32 v[4:5], v4
	s_mov_b64 s[6:7], 0
	global_store_dwordx2 v[0:1], v[4:5], off
.LBB231_118:
	s_andn2_b64 vcc, exec, s[6:7]
	s_cbranch_vccnz .LBB231_120
; %bb.119:
	v_lshlrev_b32_e32 v4, 16, v3
	global_store_dword v[0:1], v4, off
.LBB231_120:
	s_mov_b64 s[6:7], 0
.LBB231_121:
	s_andn2_b64 vcc, exec, s[6:7]
	s_cbranch_vccnz .LBB231_123
; %bb.122:
	v_lshlrev_b32_e32 v4, 16, v3
	v_cvt_f16_f32_e32 v4, v4
	global_store_short v[0:1], v4, off
.LBB231_123:
	s_mov_b64 s[6:7], 0
.LBB231_124:
	s_andn2_b64 vcc, exec, s[6:7]
	s_cbranch_vccnz .LBB231_140
; %bb.125:
	s_cmp_lt_i32 s20, 2
	s_mov_b64 s[6:7], -1
	s_cbranch_scc1 .LBB231_135
; %bb.126:
	s_cmp_lt_i32 s20, 3
	s_cbranch_scc1 .LBB231_132
; %bb.127:
	s_cmp_gt_i32 s20, 3
	s_cbranch_scc0 .LBB231_129
; %bb.128:
	v_lshlrev_b32_e32 v4, 16, v3
	v_trunc_f32_e32 v4, v4
	s_mov_b32 s6, 0x2f800000
	v_mul_f32_e64 v5, |v4|, s6
	v_floor_f32_e32 v5, v5
	s_mov_b32 s6, 0xcf800000
	v_cvt_u32_f32_e32 v6, v5
	v_fma_f32 v5, v5, s6, |v4|
	v_cvt_u32_f32_e32 v5, v5
	v_ashrrev_i32_e32 v7, 31, v4
	v_xor_b32_e32 v6, v6, v7
	s_mov_b64 s[6:7], 0
	v_xor_b32_e32 v4, v5, v7
	v_sub_co_u32_e32 v4, vcc, v4, v7
	v_subb_co_u32_e32 v5, vcc, v6, v7, vcc
	global_store_dwordx2 v[0:1], v[4:5], off
.LBB231_129:
	s_andn2_b64 vcc, exec, s[6:7]
	s_cbranch_vccnz .LBB231_131
; %bb.130:
	v_lshlrev_b32_e32 v4, 16, v3
	v_cvt_i32_f32_e32 v4, v4
	global_store_dword v[0:1], v4, off
.LBB231_131:
	s_mov_b64 s[6:7], 0
.LBB231_132:
	s_andn2_b64 vcc, exec, s[6:7]
	s_cbranch_vccnz .LBB231_134
; %bb.133:
	v_lshlrev_b32_e32 v4, 16, v3
	v_cvt_i32_f32_e32 v4, v4
	global_store_short v[0:1], v4, off
.LBB231_134:
	s_mov_b64 s[6:7], 0
.LBB231_135:
	s_andn2_b64 vcc, exec, s[6:7]
	s_cbranch_vccnz .LBB231_140
; %bb.136:
	s_mov_b64 s[6:7], -1
	s_cmp_gt_i32 s20, 0
	v_lshlrev_b32_e32 v3, 16, v3
	s_cbranch_scc0 .LBB231_138
; %bb.137:
	v_cvt_i32_f32_e32 v4, v3
	s_mov_b64 s[6:7], 0
	global_store_byte v[0:1], v4, off
.LBB231_138:
	s_andn2_b64 vcc, exec, s[6:7]
	s_cbranch_vccnz .LBB231_140
; %bb.139:
	v_trunc_f32_e32 v3, v3
	s_mov_b32 s6, 0x2f800000
	v_mul_f32_e64 v4, |v3|, s6
	v_floor_f32_e32 v4, v4
	s_mov_b32 s6, 0xcf800000
	v_fma_f32 v4, v4, s6, |v3|
	v_cvt_u32_f32_e32 v4, v4
	v_ashrrev_i32_e32 v3, 31, v3
	v_xor_b32_e32 v4, v4, v3
	v_sub_u32_e32 v3, v4, v3
	global_store_byte v[0:1], v3, off
.LBB231_140:
	s_branch .LBB231_21
.LBB231_141:
	s_mov_b64 s[20:21], 0
                                        ; implicit-def: $vgpr2
	s_branch .LBB231_251
.LBB231_142:
	s_mov_b64 s[16:17], -1
                                        ; implicit-def: $vgpr3
.LBB231_143:
	s_mov_b64 s[6:7], 0
.LBB231_144:
	s_and_b64 vcc, exec, s[6:7]
	s_cbranch_vccz .LBB231_148
; %bb.145:
	s_cmp_eq_u32 s24, 29
	s_cbranch_scc0 .LBB231_147
; %bb.146:
	global_load_dwordx2 v[3:4], v[0:1], off
	s_movk_i32 s6, 0x7fff
	s_mov_b64 s[0:1], -1
	s_mov_b64 s[16:17], 0
	s_waitcnt vmcnt(0)
	v_ffbh_u32_e32 v5, v4
	v_min_u32_e32 v5, 32, v5
	v_lshlrev_b64 v[3:4], v5, v[3:4]
	v_min_u32_e32 v3, 1, v3
	v_or_b32_e32 v3, v4, v3
	v_cvt_f32_u32_e32 v3, v3
	v_sub_u32_e32 v4, 32, v5
	v_ldexp_f32 v3, v3, v4
	v_bfe_u32 v4, v3, 16, 1
	v_add3_u32 v3, v3, v4, s6
	v_lshrrev_b32_e32 v3, 16, v3
	s_branch .LBB231_148
.LBB231_147:
	s_mov_b64 s[16:17], -1
                                        ; implicit-def: $vgpr3
.LBB231_148:
	s_mov_b64 s[6:7], 0
.LBB231_149:
	s_and_b64 vcc, exec, s[6:7]
	s_cbranch_vccz .LBB231_167
; %bb.150:
	s_cmp_lt_i32 s24, 27
	s_cbranch_scc1 .LBB231_153
; %bb.151:
	s_cmp_gt_i32 s24, 27
	s_cbranch_scc0 .LBB231_154
; %bb.152:
	global_load_dword v3, v[0:1], off
	s_movk_i32 s0, 0x7fff
	s_waitcnt vmcnt(0)
	v_cvt_f32_u32_e32 v3, v3
	v_bfe_u32 v4, v3, 16, 1
	v_add3_u32 v3, v3, v4, s0
	v_lshrrev_b32_e32 v3, 16, v3
	s_mov_b64 s[0:1], 0
	s_branch .LBB231_155
.LBB231_153:
	s_mov_b64 s[0:1], -1
                                        ; implicit-def: $vgpr3
	s_branch .LBB231_158
.LBB231_154:
	s_mov_b64 s[0:1], -1
                                        ; implicit-def: $vgpr3
.LBB231_155:
	s_andn2_b64 vcc, exec, s[0:1]
	s_cbranch_vccnz .LBB231_157
; %bb.156:
	global_load_ushort v3, v[0:1], off
	s_movk_i32 s0, 0x7fff
	s_waitcnt vmcnt(0)
	v_cvt_f32_u32_e32 v3, v3
	v_bfe_u32 v4, v3, 16, 1
	v_add3_u32 v3, v3, v4, s0
	v_lshrrev_b32_e32 v3, 16, v3
.LBB231_157:
	s_mov_b64 s[0:1], 0
.LBB231_158:
	s_andn2_b64 vcc, exec, s[0:1]
	s_cbranch_vccnz .LBB231_166
; %bb.159:
	global_load_ubyte v3, v[0:1], off
	s_movk_i32 s0, 0x7f
	s_waitcnt vmcnt(0)
	v_cmp_lt_i16_e32 vcc, s0, v3
	s_mov_b64 s[0:1], 0
	s_and_saveexec_b64 s[6:7], vcc
	s_xor_b64 s[6:7], exec, s[6:7]
	s_cbranch_execz .LBB231_179
; %bb.160:
	s_movk_i32 s0, 0x80
	v_cmp_eq_u16_e32 vcc, s0, v3
	s_mov_b64 s[0:1], -1
	s_and_saveexec_b64 s[20:21], vcc
; %bb.161:
	s_xor_b64 s[0:1], exec, -1
; %bb.162:
	s_or_b64 exec, exec, s[20:21]
	s_and_b64 s[0:1], s[0:1], exec
	s_or_saveexec_b64 s[6:7], s[6:7]
	v_mov_b32_e32 v4, 0x7f800001
	s_xor_b64 exec, exec, s[6:7]
	s_cbranch_execnz .LBB231_180
.LBB231_163:
	s_or_b64 exec, exec, s[6:7]
	s_and_saveexec_b64 s[6:7], s[0:1]
	s_cbranch_execz .LBB231_165
.LBB231_164:
	v_lshlrev_b32_e32 v4, 24, v3
	v_and_b32_e32 v3, 0xffff, v3
	v_and_b32_e32 v5, 7, v3
	v_ffbh_u32_e32 v7, v5
	v_min_u32_e32 v7, 32, v7
	v_subrev_u32_e32 v8, 28, v7
	v_bfe_u32 v6, v3, 3, 4
	v_lshlrev_b32_e32 v3, v8, v3
	v_sub_u32_e32 v7, 29, v7
	v_and_b32_e32 v3, 7, v3
	v_cmp_eq_u32_e32 vcc, 0, v6
	v_cndmask_b32_e32 v6, v6, v7, vcc
	v_cndmask_b32_e32 v3, v5, v3, vcc
	v_mov_b32_e32 v5, 0x3b800000
	v_lshlrev_b32_e32 v3, 20, v3
	v_and_b32_e32 v4, 0x80000000, v4
	v_lshl_add_u32 v5, v6, 23, v5
	v_or3_b32 v4, v4, v5, v3
.LBB231_165:
	s_or_b64 exec, exec, s[6:7]
	v_bfe_u32 v3, v4, 16, 1
	s_movk_i32 s0, 0x7fff
	v_add3_u32 v3, v4, v3, s0
	v_cmp_o_f32_e32 vcc, v4, v4
	v_mov_b32_e32 v4, 0x7fc0
	v_cndmask_b32_sdwa v3, v4, v3, vcc dst_sel:DWORD dst_unused:UNUSED_PAD src0_sel:DWORD src1_sel:WORD_1
.LBB231_166:
	s_mov_b64 s[0:1], -1
.LBB231_167:
	s_branch .LBB231_202
.LBB231_168:
	s_cmp_gt_i32 s24, 22
	s_cbranch_scc0 .LBB231_178
; %bb.169:
	s_cmp_lt_i32 s24, 24
	s_cbranch_scc1 .LBB231_181
; %bb.170:
	s_cmp_gt_i32 s24, 24
	s_cbranch_scc0 .LBB231_182
; %bb.171:
	global_load_ubyte v3, v[0:1], off
	s_movk_i32 s0, 0x7f
	s_waitcnt vmcnt(0)
	v_cmp_lt_i16_e32 vcc, s0, v3
	s_mov_b64 s[0:1], 0
	s_and_saveexec_b64 s[6:7], vcc
	s_xor_b64 s[6:7], exec, s[6:7]
	s_cbranch_execz .LBB231_194
; %bb.172:
	s_movk_i32 s0, 0x80
	v_cmp_eq_u16_e32 vcc, s0, v3
	s_mov_b64 s[0:1], -1
	s_and_saveexec_b64 s[20:21], vcc
; %bb.173:
	s_xor_b64 s[0:1], exec, -1
; %bb.174:
	s_or_b64 exec, exec, s[20:21]
	s_and_b64 s[0:1], s[0:1], exec
	s_or_saveexec_b64 s[6:7], s[6:7]
	v_mov_b32_e32 v4, 0x7f800001
	s_xor_b64 exec, exec, s[6:7]
	s_cbranch_execnz .LBB231_195
.LBB231_175:
	s_or_b64 exec, exec, s[6:7]
	s_and_saveexec_b64 s[6:7], s[0:1]
	s_cbranch_execz .LBB231_177
.LBB231_176:
	v_lshlrev_b32_e32 v4, 24, v3
	v_and_b32_e32 v3, 0xffff, v3
	v_and_b32_e32 v5, 3, v3
	v_ffbh_u32_e32 v7, v5
	v_min_u32_e32 v7, 32, v7
	v_subrev_u32_e32 v8, 29, v7
	v_bfe_u32 v6, v3, 2, 5
	v_lshlrev_b32_e32 v3, v8, v3
	v_sub_u32_e32 v7, 30, v7
	v_and_b32_e32 v3, 3, v3
	v_cmp_eq_u32_e32 vcc, 0, v6
	v_cndmask_b32_e32 v6, v6, v7, vcc
	v_cndmask_b32_e32 v3, v5, v3, vcc
	v_mov_b32_e32 v5, 0x37800000
	v_lshlrev_b32_e32 v3, 21, v3
	v_and_b32_e32 v4, 0x80000000, v4
	v_lshl_add_u32 v5, v6, 23, v5
	v_or3_b32 v4, v4, v5, v3
.LBB231_177:
	s_or_b64 exec, exec, s[6:7]
	v_bfe_u32 v3, v4, 16, 1
	s_movk_i32 s0, 0x7fff
	v_add3_u32 v3, v4, v3, s0
	v_cmp_o_f32_e32 vcc, v4, v4
	v_mov_b32_e32 v4, 0x7fc0
	v_cndmask_b32_sdwa v3, v4, v3, vcc dst_sel:DWORD dst_unused:UNUSED_PAD src0_sel:DWORD src1_sel:WORD_1
	s_mov_b64 s[0:1], 0
	s_branch .LBB231_183
.LBB231_178:
	s_mov_b64 s[6:7], -1
                                        ; implicit-def: $vgpr3
	s_branch .LBB231_189
.LBB231_179:
	s_or_saveexec_b64 s[6:7], s[6:7]
	v_mov_b32_e32 v4, 0x7f800001
	s_xor_b64 exec, exec, s[6:7]
	s_cbranch_execz .LBB231_163
.LBB231_180:
	v_cmp_ne_u16_e32 vcc, 0, v3
	s_andn2_b64 s[0:1], s[0:1], exec
	s_and_b64 s[20:21], vcc, exec
	v_mov_b32_e32 v4, 0
	s_or_b64 s[0:1], s[0:1], s[20:21]
	s_or_b64 exec, exec, s[6:7]
	s_and_saveexec_b64 s[6:7], s[0:1]
	s_cbranch_execnz .LBB231_164
	s_branch .LBB231_165
.LBB231_181:
	s_mov_b64 s[0:1], -1
                                        ; implicit-def: $vgpr3
	s_branch .LBB231_186
.LBB231_182:
	s_mov_b64 s[0:1], -1
                                        ; implicit-def: $vgpr3
.LBB231_183:
	s_and_b64 vcc, exec, s[0:1]
	s_cbranch_vccz .LBB231_185
; %bb.184:
	global_load_ubyte v3, v[0:1], off
	s_mov_b32 s0, 0x7f800000
	s_brev_b32 s1, 1
	s_movk_i32 s6, 0x7fff
	s_waitcnt vmcnt(0)
	v_lshlrev_b32_e32 v3, 24, v3
	v_and_b32_e32 v4, 0x7f000000, v3
	v_ffbh_u32_e32 v5, v4
	v_min_u32_e32 v5, 32, v5
	v_sub_u32_e64 v5, v5, 4 clamp
	v_lshlrev_b32_e32 v7, v5, v4
	v_lshlrev_b32_e32 v5, 23, v5
	v_lshrrev_b32_e32 v7, 4, v7
	v_add_u32_e32 v6, 0x1000000, v4
	v_sub_u32_e32 v5, v7, v5
	v_ashrrev_i32_e32 v6, 8, v6
	v_add_u32_e32 v5, 0x3c000000, v5
	v_and_or_b32 v5, v6, s0, v5
	v_cmp_ne_u32_e32 vcc, 0, v4
	v_cndmask_b32_e32 v4, 0, v5, vcc
	v_and_or_b32 v3, v3, s1, v4
	v_bfe_u32 v4, v4, 16, 1
	v_add3_u32 v4, v3, v4, s6
	v_cmp_o_f32_e32 vcc, v3, v3
	v_mov_b32_e32 v3, 0x7fc0
	v_cndmask_b32_sdwa v3, v3, v4, vcc dst_sel:DWORD dst_unused:UNUSED_PAD src0_sel:DWORD src1_sel:WORD_1
.LBB231_185:
	s_mov_b64 s[0:1], 0
.LBB231_186:
	s_andn2_b64 vcc, exec, s[0:1]
	s_cbranch_vccnz .LBB231_188
; %bb.187:
	global_load_ubyte v3, v[0:1], off
	s_movk_i32 s0, 0x7f00
	s_brev_b32 s1, 16
	s_brev_b32 s6, 1
	s_movk_i32 s7, 0x7fff
	s_waitcnt vmcnt(0)
	v_lshlrev_b16_e32 v4, 8, v3
	v_lshlrev_b32_e32 v3, 25, v3
	v_lshrrev_b32_e32 v5, 4, v3
	v_and_or_b32 v6, v4, s0, 0.5
	v_or_b32_e32 v5, 0x70000000, v5
	v_add_f32_e32 v6, -0.5, v6
	v_mul_f32_e32 v5, 0x7800000, v5
	v_cmp_gt_u32_e32 vcc, s1, v3
	v_bfe_i32 v4, v4, 0, 16
	v_cndmask_b32_e32 v3, v5, v6, vcc
	v_and_or_b32 v4, v4, s6, v3
	v_bfe_u32 v3, v3, 16, 1
	v_add3_u32 v3, v4, v3, s7
	v_cmp_o_f32_e32 vcc, v4, v4
	v_mov_b32_e32 v4, 0x7fc0
	v_cndmask_b32_sdwa v3, v4, v3, vcc dst_sel:DWORD dst_unused:UNUSED_PAD src0_sel:DWORD src1_sel:WORD_1
.LBB231_188:
	s_mov_b64 s[6:7], 0
	s_mov_b64 s[0:1], -1
.LBB231_189:
	s_andn2_b64 vcc, exec, s[6:7]
	s_cbranch_vccnz .LBB231_202
; %bb.190:
	s_cmp_gt_i32 s24, 14
	s_cbranch_scc0 .LBB231_193
; %bb.191:
	s_cmp_eq_u32 s24, 15
	s_cbranch_scc0 .LBB231_196
; %bb.192:
	global_load_ushort v3, v[0:1], off
	s_mov_b64 s[0:1], -1
	s_mov_b64 s[16:17], 0
	s_branch .LBB231_197
.LBB231_193:
	s_mov_b64 s[6:7], -1
                                        ; implicit-def: $vgpr3
	s_branch .LBB231_198
.LBB231_194:
	s_or_saveexec_b64 s[6:7], s[6:7]
	v_mov_b32_e32 v4, 0x7f800001
	s_xor_b64 exec, exec, s[6:7]
	s_cbranch_execz .LBB231_175
.LBB231_195:
	v_cmp_ne_u16_e32 vcc, 0, v3
	s_andn2_b64 s[0:1], s[0:1], exec
	s_and_b64 s[20:21], vcc, exec
	v_mov_b32_e32 v4, 0
	s_or_b64 s[0:1], s[0:1], s[20:21]
	s_or_b64 exec, exec, s[6:7]
	s_and_saveexec_b64 s[6:7], s[0:1]
	s_cbranch_execnz .LBB231_176
	s_branch .LBB231_177
.LBB231_196:
	s_mov_b64 s[16:17], -1
                                        ; implicit-def: $vgpr3
.LBB231_197:
	s_mov_b64 s[6:7], 0
.LBB231_198:
	s_and_b64 vcc, exec, s[6:7]
	s_cbranch_vccz .LBB231_202
; %bb.199:
	s_cmp_eq_u32 s24, 11
	s_cbranch_scc0 .LBB231_201
; %bb.200:
	global_load_ubyte v3, v[0:1], off
	s_mov_b64 s[0:1], -1
	s_mov_b64 s[16:17], 0
	s_waitcnt vmcnt(0)
	v_cmp_ne_u16_e32 vcc, 0, v3
	v_cndmask_b32_e64 v3, 0, 1.0, vcc
	v_lshrrev_b32_e32 v3, 16, v3
	s_branch .LBB231_202
.LBB231_201:
	s_mov_b64 s[16:17], -1
                                        ; implicit-def: $vgpr3
.LBB231_202:
	s_branch .LBB231_10
.LBB231_203:
	s_cmp_lt_i32 s24, 5
	s_cbranch_scc1 .LBB231_208
; %bb.204:
	s_cmp_lt_i32 s24, 8
	s_cbranch_scc1 .LBB231_209
; %bb.205:
	;; [unrolled: 3-line block ×3, first 2 shown]
	s_cmp_gt_i32 s24, 9
	s_cbranch_scc0 .LBB231_211
; %bb.207:
	global_load_dwordx2 v[3:4], v[0:1], off
	s_movk_i32 s0, 0x7fff
	s_waitcnt vmcnt(0)
	v_cvt_f32_f64_e32 v3, v[3:4]
	v_mov_b32_e32 v4, 0x7fc0
	v_bfe_u32 v5, v3, 16, 1
	v_cmp_o_f32_e32 vcc, v3, v3
	v_add3_u32 v3, v3, v5, s0
	v_cndmask_b32_sdwa v3, v4, v3, vcc dst_sel:DWORD dst_unused:UNUSED_PAD src0_sel:DWORD src1_sel:WORD_1
	s_mov_b64 s[0:1], 0
	s_branch .LBB231_212
.LBB231_208:
                                        ; implicit-def: $vgpr3
	s_branch .LBB231_230
.LBB231_209:
	s_mov_b64 s[0:1], -1
                                        ; implicit-def: $vgpr3
	s_branch .LBB231_218
.LBB231_210:
	s_mov_b64 s[0:1], -1
                                        ; implicit-def: $vgpr3
	s_branch .LBB231_215
.LBB231_211:
	s_mov_b64 s[0:1], -1
                                        ; implicit-def: $vgpr3
.LBB231_212:
	s_andn2_b64 vcc, exec, s[0:1]
	s_cbranch_vccnz .LBB231_214
; %bb.213:
	global_load_dword v3, v[0:1], off
	s_movk_i32 s0, 0x7fff
	v_mov_b32_e32 v4, 0x7fc0
	s_waitcnt vmcnt(0)
	v_bfe_u32 v5, v3, 16, 1
	v_cmp_o_f32_e32 vcc, v3, v3
	v_add3_u32 v3, v3, v5, s0
	v_cndmask_b32_sdwa v3, v4, v3, vcc dst_sel:DWORD dst_unused:UNUSED_PAD src0_sel:DWORD src1_sel:WORD_1
.LBB231_214:
	s_mov_b64 s[0:1], 0
.LBB231_215:
	s_andn2_b64 vcc, exec, s[0:1]
	s_cbranch_vccnz .LBB231_217
; %bb.216:
	global_load_dword v3, v[0:1], off
	s_movk_i32 s0, 0x7fff
	v_mov_b32_e32 v5, 0x7fc0
	s_waitcnt vmcnt(0)
	v_cvt_f32_f16_e32 v4, v3
	v_cmp_o_f16_e32 vcc, v3, v3
	v_bfe_u32 v3, v4, 16, 1
	v_add3_u32 v3, v4, v3, s0
	v_cndmask_b32_sdwa v3, v5, v3, vcc dst_sel:DWORD dst_unused:UNUSED_PAD src0_sel:DWORD src1_sel:WORD_1
.LBB231_217:
	s_mov_b64 s[0:1], 0
.LBB231_218:
	s_andn2_b64 vcc, exec, s[0:1]
	s_cbranch_vccnz .LBB231_229
; %bb.219:
	s_cmp_lt_i32 s24, 6
	s_cbranch_scc1 .LBB231_222
; %bb.220:
	s_cmp_gt_i32 s24, 6
	s_cbranch_scc0 .LBB231_223
; %bb.221:
	global_load_dwordx2 v[3:4], v[0:1], off
	s_movk_i32 s0, 0x7fff
	s_waitcnt vmcnt(0)
	v_cvt_f32_f64_e32 v3, v[3:4]
	v_mov_b32_e32 v4, 0x7fc0
	v_bfe_u32 v5, v3, 16, 1
	v_cmp_o_f32_e32 vcc, v3, v3
	v_add3_u32 v3, v3, v5, s0
	v_cndmask_b32_sdwa v3, v4, v3, vcc dst_sel:DWORD dst_unused:UNUSED_PAD src0_sel:DWORD src1_sel:WORD_1
	s_mov_b64 s[0:1], 0
	s_branch .LBB231_224
.LBB231_222:
	s_mov_b64 s[0:1], -1
                                        ; implicit-def: $vgpr3
	s_branch .LBB231_227
.LBB231_223:
	s_mov_b64 s[0:1], -1
                                        ; implicit-def: $vgpr3
.LBB231_224:
	s_andn2_b64 vcc, exec, s[0:1]
	s_cbranch_vccnz .LBB231_226
; %bb.225:
	global_load_dword v3, v[0:1], off
	s_movk_i32 s0, 0x7fff
	v_mov_b32_e32 v4, 0x7fc0
	s_waitcnt vmcnt(0)
	v_bfe_u32 v5, v3, 16, 1
	v_cmp_o_f32_e32 vcc, v3, v3
	v_add3_u32 v3, v3, v5, s0
	v_cndmask_b32_sdwa v3, v4, v3, vcc dst_sel:DWORD dst_unused:UNUSED_PAD src0_sel:DWORD src1_sel:WORD_1
.LBB231_226:
	s_mov_b64 s[0:1], 0
.LBB231_227:
	s_andn2_b64 vcc, exec, s[0:1]
	s_cbranch_vccnz .LBB231_229
; %bb.228:
	global_load_ushort v3, v[0:1], off
	s_movk_i32 s0, 0x7fff
	v_mov_b32_e32 v5, 0x7fc0
	s_waitcnt vmcnt(0)
	v_cvt_f32_f16_e32 v4, v3
	v_cmp_o_f16_e32 vcc, v3, v3
	v_bfe_u32 v3, v4, 16, 1
	v_add3_u32 v3, v4, v3, s0
	v_cndmask_b32_sdwa v3, v5, v3, vcc dst_sel:DWORD dst_unused:UNUSED_PAD src0_sel:DWORD src1_sel:WORD_1
.LBB231_229:
	s_cbranch_execnz .LBB231_249
.LBB231_230:
	s_cmp_lt_i32 s24, 2
	s_cbranch_scc1 .LBB231_234
; %bb.231:
	s_cmp_lt_i32 s24, 3
	s_cbranch_scc1 .LBB231_235
; %bb.232:
	s_cmp_gt_i32 s24, 3
	s_cbranch_scc0 .LBB231_236
; %bb.233:
	global_load_dwordx2 v[3:4], v[0:1], off
	s_movk_i32 s0, 0x7fff
	s_waitcnt vmcnt(0)
	v_xor_b32_e32 v6, v3, v4
	v_ffbh_i32_e32 v5, v4
	v_ashrrev_i32_e32 v6, 31, v6
	v_add_u32_e32 v5, -1, v5
	v_add_u32_e32 v6, 32, v6
	v_min_u32_e32 v5, v5, v6
	v_lshlrev_b64 v[3:4], v5, v[3:4]
	v_min_u32_e32 v3, 1, v3
	v_or_b32_e32 v3, v4, v3
	v_cvt_f32_i32_e32 v3, v3
	v_sub_u32_e32 v4, 32, v5
	v_ldexp_f32 v3, v3, v4
	v_bfe_u32 v4, v3, 16, 1
	v_add3_u32 v3, v3, v4, s0
	v_lshrrev_b32_e32 v3, 16, v3
	s_mov_b64 s[0:1], 0
	s_branch .LBB231_237
.LBB231_234:
	s_mov_b64 s[0:1], -1
                                        ; implicit-def: $vgpr3
	s_branch .LBB231_243
.LBB231_235:
	s_mov_b64 s[0:1], -1
                                        ; implicit-def: $vgpr3
	s_branch .LBB231_240
.LBB231_236:
	s_mov_b64 s[0:1], -1
                                        ; implicit-def: $vgpr3
.LBB231_237:
	s_andn2_b64 vcc, exec, s[0:1]
	s_cbranch_vccnz .LBB231_239
; %bb.238:
	global_load_dword v3, v[0:1], off
	s_movk_i32 s0, 0x7fff
	s_waitcnt vmcnt(0)
	v_cvt_f32_i32_e32 v3, v3
	v_bfe_u32 v4, v3, 16, 1
	v_add3_u32 v3, v3, v4, s0
	v_lshrrev_b32_e32 v3, 16, v3
.LBB231_239:
	s_mov_b64 s[0:1], 0
.LBB231_240:
	s_andn2_b64 vcc, exec, s[0:1]
	s_cbranch_vccnz .LBB231_242
; %bb.241:
	global_load_sshort v3, v[0:1], off
	s_movk_i32 s0, 0x7fff
	s_waitcnt vmcnt(0)
	v_cvt_f32_i32_e32 v3, v3
	v_bfe_u32 v4, v3, 16, 1
	v_add3_u32 v3, v3, v4, s0
	v_lshrrev_b32_e32 v3, 16, v3
.LBB231_242:
	s_mov_b64 s[0:1], 0
.LBB231_243:
	s_andn2_b64 vcc, exec, s[0:1]
	s_cbranch_vccnz .LBB231_249
; %bb.244:
	s_cmp_gt_i32 s24, 0
	s_cbranch_scc0 .LBB231_246
; %bb.245:
	global_load_sbyte v3, v[0:1], off
	s_movk_i32 s0, 0x7fff
	s_waitcnt vmcnt(0)
	v_cvt_f32_i32_e32 v3, v3
	v_bfe_u32 v4, v3, 16, 1
	v_add3_u32 v3, v3, v4, s0
	v_lshrrev_b32_e32 v3, 16, v3
	s_mov_b64 s[0:1], 0
	s_branch .LBB231_247
.LBB231_246:
	s_mov_b64 s[0:1], -1
                                        ; implicit-def: $vgpr3
.LBB231_247:
	s_andn2_b64 vcc, exec, s[0:1]
	s_cbranch_vccnz .LBB231_249
; %bb.248:
	global_load_ubyte v0, v[0:1], off
	s_movk_i32 s0, 0x7fff
	s_waitcnt vmcnt(0)
	v_cvt_f32_ubyte0_e32 v0, v0
	v_bfe_u32 v1, v0, 16, 1
	v_add3_u32 v0, v0, v1, s0
	v_lshrrev_b32_e32 v3, 16, v0
.LBB231_249:
	s_branch .LBB231_11
.LBB231_250:
	s_mov_b64 s[0:1], 0
                                        ; implicit-def: $vgpr2
	s_mov_b64 s[20:21], 0
.LBB231_251:
	s_and_b64 s[6:7], s[0:1], exec
	s_and_b64 s[16:17], s[16:17], exec
	s_orn2_b64 s[20:21], s[20:21], exec
.LBB231_252:
	s_or_b64 exec, exec, s[18:19]
	s_mov_b64 s[24:25], 0
	s_mov_b64 s[0:1], 0
                                        ; implicit-def: $vgpr0_vgpr1
                                        ; implicit-def: $vgpr4
	s_and_saveexec_b64 s[18:19], s[20:21]
	s_cbranch_execz .LBB231_261
; %bb.253:
	v_cmp_gt_i32_e32 vcc, s40, v2
	s_mov_b64 s[0:1], -1
	s_mov_b64 s[20:21], s[16:17]
	s_mov_b64 s[22:23], s[6:7]
	s_and_saveexec_b64 s[24:25], vcc
	s_cbranch_execz .LBB231_514
; %bb.254:
	v_mul_lo_u32 v0, v2, s13
	v_mov_b32_e32 v1, s11
	s_and_b32 s28, 0xffff, s45
	s_cmp_lt_i32 s28, 11
	s_waitcnt vmcnt(0)
	v_ashrrev_i32_e32 v3, 31, v0
	v_add_co_u32_e32 v0, vcc, s10, v0
	v_addc_co_u32_e32 v1, vcc, v1, v3, vcc
	s_cbranch_scc1 .LBB231_264
; %bb.255:
	s_cmp_gt_i32 s28, 25
	s_cbranch_scc0 .LBB231_273
; %bb.256:
	s_cmp_gt_i32 s28, 28
	s_cbranch_scc0 .LBB231_275
	;; [unrolled: 3-line block ×4, first 2 shown]
; %bb.259:
	s_cmp_eq_u32 s28, 46
	s_mov_b64 s[22:23], 0
	s_cbranch_scc0 .LBB231_285
; %bb.260:
	global_load_dword v3, v[0:1], off
	s_mov_b64 s[20:21], 0
	s_branch .LBB231_286
.LBB231_261:
	s_or_b64 exec, exec, s[18:19]
	s_mov_b64 s[18:19], 0
	s_and_saveexec_b64 s[20:21], s[16:17]
	s_cbranch_execnz .LBB231_861
.LBB231_262:
	s_or_b64 exec, exec, s[20:21]
	s_and_saveexec_b64 s[16:17], s[22:23]
	s_xor_b64 s[16:17], exec, s[16:17]
	s_cbranch_execz .LBB231_862
.LBB231_263:
	global_load_ubyte v3, v[0:1], off
	s_or_b64 s[0:1], s[0:1], exec
	s_waitcnt vmcnt(0)
	v_cmp_ne_u16_e32 vcc, 0, v3
	v_cndmask_b32_e64 v3, 0, 1.0, vcc
	v_lshrrev_b32_e32 v4, 16, v3
	s_or_b64 exec, exec, s[16:17]
	s_and_saveexec_b64 s[16:17], s[24:25]
	s_cbranch_execz .LBB231_908
	s_branch .LBB231_863
.LBB231_264:
	s_mov_b64 s[0:1], 0
                                        ; implicit-def: $vgpr3
	s_mov_b64 s[20:21], s[16:17]
	s_cbranch_execnz .LBB231_463
.LBB231_265:
	s_andn2_b64 vcc, exec, s[0:1]
	s_cbranch_vccnz .LBB231_511
.LBB231_266:
	v_mul_lo_u32 v4, v2, s12
	s_waitcnt vmcnt(0)
	v_lshlrev_b32_e32 v0, 16, v3
	v_mov_b32_e32 v1, s15
	v_mov_b32_e32 v3, s33
	v_cmp_ge_f32_e32 vcc, s46, v0
	v_cndmask_b32_e32 v3, v1, v3, vcc
	v_ashrrev_i32_e32 v1, 31, v4
	v_mov_b32_e32 v5, s9
	s_and_b32 s30, s14, 0xff
	v_add_co_u32_e32 v0, vcc, s8, v4
	s_cmp_lt_i32 s30, 11
	v_addc_co_u32_e32 v1, vcc, v5, v1, vcc
	s_cbranch_scc1 .LBB231_274
; %bb.267:
	s_and_b32 s31, 0xffff, s30
	s_cmp_gt_i32 s31, 25
	s_cbranch_scc0 .LBB231_276
; %bb.268:
	s_cmp_gt_i32 s31, 28
	s_cbranch_scc0 .LBB231_278
; %bb.269:
	;; [unrolled: 3-line block ×4, first 2 shown]
	s_mov_b64 s[26:27], 0
	s_mov_b64 s[0:1], -1
	s_cmp_eq_u32 s31, 46
	s_mov_b64 s[22:23], 0
	s_cbranch_scc0 .LBB231_290
; %bb.272:
	v_and_b32_e32 v4, 0xffff, v3
	global_store_dword v[0:1], v4, off
	s_mov_b64 s[22:23], -1
	s_mov_b64 s[0:1], 0
	s_branch .LBB231_290
.LBB231_273:
	s_mov_b64 s[22:23], -1
	s_mov_b64 s[0:1], 0
	s_mov_b64 s[20:21], s[16:17]
                                        ; implicit-def: $vgpr3
	s_branch .LBB231_427
.LBB231_274:
	s_mov_b64 s[26:27], -1
	s_mov_b64 s[22:23], 0
	s_mov_b64 s[0:1], s[6:7]
	s_branch .LBB231_359
.LBB231_275:
	s_mov_b64 s[22:23], -1
	s_mov_b64 s[0:1], 0
	s_mov_b64 s[20:21], s[16:17]
                                        ; implicit-def: $vgpr3
	s_branch .LBB231_408
.LBB231_276:
	s_mov_b64 s[26:27], -1
	s_mov_b64 s[22:23], 0
	s_mov_b64 s[0:1], s[6:7]
	s_branch .LBB231_317
.LBB231_277:
	s_mov_b64 s[22:23], -1
	s_mov_b64 s[0:1], 0
	s_mov_b64 s[20:21], s[16:17]
                                        ; implicit-def: $vgpr3
	s_branch .LBB231_403
.LBB231_278:
	s_mov_b64 s[26:27], -1
	s_mov_b64 s[22:23], 0
	s_mov_b64 s[0:1], s[6:7]
	s_branch .LBB231_300
.LBB231_279:
	s_andn2_saveexec_b64 s[24:25], s[24:25]
	s_cbranch_execz .LBB231_55
.LBB231_280:
	s_mov_b32 s28, 0x46000000
	v_add_f32_e64 v5, |v6|, s28
	v_and_b32_e32 v5, 0xff, v5
	v_cmp_ne_u32_e32 vcc, 0, v5
	s_andn2_b64 s[20:21], s[20:21], exec
	s_and_b64 s[28:29], vcc, exec
	s_or_b64 s[20:21], s[20:21], s[28:29]
	s_or_b64 exec, exec, s[24:25]
	v_mov_b32_e32 v7, 0
	s_and_saveexec_b64 s[24:25], s[20:21]
	s_cbranch_execnz .LBB231_56
	s_branch .LBB231_57
.LBB231_281:
	s_mov_b64 s[22:23], -1
	s_mov_b64 s[0:1], 0
	s_mov_b64 s[20:21], s[16:17]
                                        ; implicit-def: $vgpr3
	s_branch .LBB231_286
.LBB231_282:
	s_mov_b64 s[26:27], -1
	s_mov_b64 s[22:23], 0
	s_mov_b64 s[0:1], s[6:7]
	s_branch .LBB231_296
.LBB231_283:
	s_andn2_saveexec_b64 s[24:25], s[24:25]
	s_cbranch_execz .LBB231_68
.LBB231_284:
	s_mov_b32 s28, 0x42800000
	v_add_f32_e64 v5, |v6|, s28
	v_and_b32_e32 v5, 0xff, v5
	v_cmp_ne_u32_e32 vcc, 0, v5
	s_andn2_b64 s[20:21], s[20:21], exec
	s_and_b64 s[28:29], vcc, exec
	s_or_b64 s[20:21], s[20:21], s[28:29]
	s_or_b64 exec, exec, s[24:25]
	v_mov_b32_e32 v7, 0
	s_and_saveexec_b64 s[24:25], s[20:21]
	s_cbranch_execnz .LBB231_69
	s_branch .LBB231_70
.LBB231_285:
	s_mov_b64 s[20:21], -1
                                        ; implicit-def: $vgpr3
	s_mov_b64 s[0:1], 0
.LBB231_286:
	s_and_b64 vcc, exec, s[22:23]
	s_cbranch_vccz .LBB231_402
; %bb.287:
	s_cmp_eq_u32 s28, 44
	s_cbranch_scc0 .LBB231_401
; %bb.288:
	global_load_ubyte v3, v[0:1], off
	s_movk_i32 s20, 0xff
	v_mov_b32_e32 v4, 0x7f800001
	v_mov_b32_e32 v5, 0x400000
	;; [unrolled: 1-line block ×3, first 2 shown]
	s_mov_b64 s[0:1], -1
	s_waitcnt vmcnt(0)
	v_lshlrev_b32_e32 v7, 23, v3
	v_cmp_ne_u32_e32 vcc, s20, v3
	v_cndmask_b32_e32 v4, v4, v7, vcc
	v_cmp_ne_u32_e32 vcc, 0, v3
	v_cndmask_b32_e32 v3, v5, v4, vcc
	v_add_u32_e32 v4, 0x7fff, v3
	v_cmp_o_f32_e32 vcc, v3, v3
	v_cndmask_b32_sdwa v3, v6, v4, vcc dst_sel:DWORD dst_unused:UNUSED_PAD src0_sel:DWORD src1_sel:WORD_1
	s_mov_b64 s[20:21], 0
	s_branch .LBB231_402
.LBB231_289:
	s_mov_b64 s[26:27], -1
	s_mov_b64 s[22:23], 0
	s_mov_b64 s[0:1], s[6:7]
.LBB231_290:
	s_and_b64 vcc, exec, s[26:27]
	s_cbranch_vccz .LBB231_295
; %bb.291:
	s_cmp_eq_u32 s31, 44
	s_mov_b64 s[0:1], -1
	s_cbranch_scc0 .LBB231_295
; %bb.292:
	v_and_b32_e32 v5, 0xffff, v3
	v_bfe_u32 v4, v5, 7, 8
	s_movk_i32 s0, 0xff
	v_cmp_ne_u32_e32 vcc, s0, v4
	v_mov_b32_e32 v6, 0xff
	s_and_saveexec_b64 s[22:23], vcc
	s_cbranch_execz .LBB231_294
; %bb.293:
	v_lshlrev_b32_e32 v7, 16, v5
	s_mov_b32 s0, 0x3f0000
	v_lshrrev_b32_e32 v6, 7, v5
	v_and_b32_e32 v5, 64, v5
	v_and_or_b32 v4, v7, s0, v4
	v_cmp_ne_u32_e32 vcc, 0, v5
	v_cmp_ne_u32_e64 s[0:1], 0, v4
	s_and_b64 s[0:1], vcc, s[0:1]
	v_cndmask_b32_e64 v4, 0, 1, s[0:1]
	v_add_u32_e32 v6, v6, v4
.LBB231_294:
	s_or_b64 exec, exec, s[22:23]
	s_mov_b64 s[22:23], -1
	s_mov_b64 s[0:1], 0
	global_store_byte v[0:1], v6, off
.LBB231_295:
	s_mov_b64 s[26:27], 0
.LBB231_296:
	s_and_b64 vcc, exec, s[26:27]
	s_cbranch_vccz .LBB231_299
; %bb.297:
	s_cmp_eq_u32 s31, 29
	s_mov_b64 s[0:1], -1
	s_cbranch_scc0 .LBB231_299
; %bb.298:
	v_lshlrev_b32_e32 v4, 16, v3
	v_trunc_f32_e32 v4, v4
	v_mul_f32_e32 v5, 0x2f800000, v4
	v_floor_f32_e32 v6, v5
	v_fmac_f32_e32 v4, 0xcf800000, v6
	v_cvt_u32_f32_e32 v5, v6
	v_cvt_u32_f32_e32 v4, v4
	s_mov_b64 s[22:23], -1
	s_mov_b64 s[0:1], 0
	s_mov_b64 s[26:27], 0
	global_store_dwordx2 v[0:1], v[4:5], off
	s_branch .LBB231_300
.LBB231_299:
	s_mov_b64 s[26:27], 0
.LBB231_300:
	s_and_b64 vcc, exec, s[26:27]
	s_cbranch_vccz .LBB231_316
; %bb.301:
	s_cmp_lt_i32 s31, 27
	s_mov_b64 s[22:23], -1
	s_cbranch_scc1 .LBB231_307
; %bb.302:
	s_cmp_gt_i32 s31, 27
	s_cbranch_scc0 .LBB231_304
; %bb.303:
	v_lshlrev_b32_e32 v4, 16, v3
	v_cvt_u32_f32_e32 v4, v4
	s_mov_b64 s[22:23], 0
	global_store_dword v[0:1], v4, off
.LBB231_304:
	s_andn2_b64 vcc, exec, s[22:23]
	s_cbranch_vccnz .LBB231_306
; %bb.305:
	v_lshlrev_b32_e32 v4, 16, v3
	v_cvt_u32_f32_e32 v4, v4
	global_store_short v[0:1], v4, off
.LBB231_306:
	s_mov_b64 s[22:23], 0
.LBB231_307:
	s_andn2_b64 vcc, exec, s[22:23]
	s_cbranch_vccnz .LBB231_315
; %bb.308:
	v_lshlrev_b32_e32 v6, 16, v3
	v_and_b32_e32 v5, 0x7fffffff, v6
	s_mov_b32 s22, 0x43800000
	v_cmp_gt_u32_e32 vcc, s22, v5
	v_mov_b32_e32 v7, 0x80
	s_and_saveexec_b64 s[22:23], vcc
	s_cbranch_execz .LBB231_314
; %bb.309:
	s_mov_b32 s26, 0x3bffffff
	v_and_b32_e32 v4, 0xffff, v3
	v_cmp_lt_u32_e32 vcc, s26, v5
	s_mov_b64 s[26:27], 0
                                        ; implicit-def: $vgpr5
	s_and_saveexec_b64 s[28:29], vcc
	s_xor_b64 s[28:29], exec, s[28:29]
	s_cbranch_execz .LBB231_527
; %bb.310:
	v_bfe_u32 v5, v4, 4, 1
	s_mov_b32 s34, 0x487ffff
	v_add3_u32 v5, v6, v5, s34
	s_mov_b64 s[26:27], exec
	v_lshrrev_b32_e32 v5, 20, v5
                                        ; implicit-def: $vgpr6
	s_andn2_saveexec_b64 s[28:29], s[28:29]
	s_cbranch_execnz .LBB231_528
.LBB231_311:
	s_or_b64 exec, exec, s[28:29]
	v_mov_b32_e32 v7, 0
	s_and_saveexec_b64 s[28:29], s[26:27]
.LBB231_312:
	v_lshrrev_b32_e32 v4, 8, v4
	s_movk_i32 s26, 0x80
	v_and_or_b32 v7, v4, s26, v5
.LBB231_313:
	s_or_b64 exec, exec, s[28:29]
.LBB231_314:
	s_or_b64 exec, exec, s[22:23]
	global_store_byte v[0:1], v7, off
.LBB231_315:
	s_mov_b64 s[22:23], -1
.LBB231_316:
	s_mov_b64 s[26:27], 0
.LBB231_317:
	s_and_b64 vcc, exec, s[26:27]
	s_cbranch_vccz .LBB231_358
; %bb.318:
	s_cmp_gt_i32 s31, 22
	s_mov_b64 s[26:27], -1
	s_cbranch_scc0 .LBB231_350
; %bb.319:
	s_cmp_lt_i32 s31, 24
	s_mov_b64 s[22:23], -1
	s_cbranch_scc1 .LBB231_339
; %bb.320:
	s_cmp_gt_i32 s31, 24
	s_cbranch_scc0 .LBB231_328
; %bb.321:
	v_lshlrev_b32_e32 v6, 16, v3
	v_and_b32_e32 v5, 0x7fffffff, v6
	s_mov_b32 s22, 0x47800000
	v_cmp_gt_u32_e32 vcc, s22, v5
	v_mov_b32_e32 v7, 0x80
	s_and_saveexec_b64 s[22:23], vcc
	s_cbranch_execz .LBB231_327
; %bb.322:
	s_mov_b32 s26, 0x37ffffff
	v_and_b32_e32 v4, 0xffff, v3
	v_cmp_lt_u32_e32 vcc, s26, v5
	s_mov_b64 s[26:27], 0
                                        ; implicit-def: $vgpr5
	s_and_saveexec_b64 s[28:29], vcc
	s_xor_b64 s[28:29], exec, s[28:29]
	s_cbranch_execz .LBB231_530
; %bb.323:
	v_bfe_u32 v5, v4, 5, 1
	s_mov_b32 s34, 0x88fffff
	v_add3_u32 v5, v6, v5, s34
	s_mov_b64 s[26:27], exec
	v_lshrrev_b32_e32 v5, 21, v5
                                        ; implicit-def: $vgpr6
	s_andn2_saveexec_b64 s[28:29], s[28:29]
	s_cbranch_execnz .LBB231_531
.LBB231_324:
	s_or_b64 exec, exec, s[28:29]
	v_mov_b32_e32 v7, 0
	s_and_saveexec_b64 s[28:29], s[26:27]
.LBB231_325:
	v_lshrrev_b32_e32 v4, 8, v4
	s_movk_i32 s26, 0x80
	v_and_or_b32 v7, v4, s26, v5
.LBB231_326:
	s_or_b64 exec, exec, s[28:29]
.LBB231_327:
	s_or_b64 exec, exec, s[22:23]
	s_mov_b64 s[22:23], 0
	global_store_byte v[0:1], v7, off
.LBB231_328:
	s_and_b64 vcc, exec, s[22:23]
	s_cbranch_vccz .LBB231_338
; %bb.329:
	v_lshlrev_b32_e32 v6, 16, v3
	v_and_b32_e32 v7, 0x7fffffff, v6
	s_mov_b32 s22, 0x43f00000
	v_and_b32_e32 v4, 0xffff, v3
	v_cmp_gt_u32_e32 vcc, s22, v7
                                        ; implicit-def: $vgpr5
	s_and_saveexec_b64 s[22:23], vcc
	s_xor_b64 s[22:23], exec, s[22:23]
	s_cbranch_execz .LBB231_335
; %bb.330:
	s_mov_b32 s26, 0x3c7fffff
	v_cmp_lt_u32_e32 vcc, s26, v7
                                        ; implicit-def: $vgpr5
	s_and_saveexec_b64 s[26:27], vcc
	s_xor_b64 s[26:27], exec, s[26:27]
; %bb.331:
	v_bfe_u32 v5, v4, 4, 1
	s_mov_b32 s28, 0x407ffff
	v_add3_u32 v5, v6, v5, s28
	v_lshrrev_b32_e32 v6, 20, v5
	v_and_b32_e32 v5, 0xff00000, v5
	s_mov_b32 s28, 0x7f00000
	v_mov_b32_e32 v7, 0x7e
	v_cmp_ne_u32_e32 vcc, s28, v5
	v_cndmask_b32_e32 v5, v7, v6, vcc
                                        ; implicit-def: $vgpr6
; %bb.332:
	s_andn2_saveexec_b64 s[26:27], s[26:27]
; %bb.333:
	s_mov_b32 s28, 0x46800000
	v_add_f32_e64 v5, |v6|, s28
; %bb.334:
	s_or_b64 exec, exec, s[26:27]
                                        ; implicit-def: $vgpr7
.LBB231_335:
	s_andn2_saveexec_b64 s[22:23], s[22:23]
; %bb.336:
	s_mov_b32 s26, 0x7f800000
	v_mov_b32_e32 v5, 0x7e
	v_mov_b32_e32 v6, 0x7f
	v_cmp_lt_u32_e32 vcc, s26, v7
	v_cndmask_b32_e32 v5, v5, v6, vcc
; %bb.337:
	s_or_b64 exec, exec, s[22:23]
	v_lshrrev_b32_e32 v4, 8, v4
	s_movk_i32 s22, 0x80
	v_and_or_b32 v4, v4, s22, v5
	global_store_byte v[0:1], v4, off
.LBB231_338:
	s_mov_b64 s[22:23], 0
.LBB231_339:
	s_andn2_b64 vcc, exec, s[22:23]
	s_cbranch_vccnz .LBB231_349
; %bb.340:
	v_lshlrev_b32_e32 v6, 16, v3
	v_and_b32_e32 v7, 0x7fffffff, v6
	s_mov_b32 s22, 0x47800000
	v_and_b32_e32 v4, 0xffff, v3
	v_cmp_gt_u32_e32 vcc, s22, v7
                                        ; implicit-def: $vgpr5
	s_and_saveexec_b64 s[22:23], vcc
	s_xor_b64 s[22:23], exec, s[22:23]
	s_cbranch_execz .LBB231_346
; %bb.341:
	s_mov_b32 s26, 0x387fffff
	v_cmp_lt_u32_e32 vcc, s26, v7
                                        ; implicit-def: $vgpr5
	s_and_saveexec_b64 s[26:27], vcc
	s_xor_b64 s[26:27], exec, s[26:27]
; %bb.342:
	v_bfe_u32 v5, v4, 5, 1
	s_mov_b32 s28, 0x80fffff
	v_add3_u32 v5, v6, v5, s28
	v_lshrrev_b32_e32 v5, 21, v5
                                        ; implicit-def: $vgpr6
; %bb.343:
	s_andn2_saveexec_b64 s[26:27], s[26:27]
; %bb.344:
	s_mov_b32 s28, 0x43000000
	v_add_f32_e64 v5, |v6|, s28
; %bb.345:
	s_or_b64 exec, exec, s[26:27]
                                        ; implicit-def: $vgpr7
.LBB231_346:
	s_andn2_saveexec_b64 s[22:23], s[22:23]
; %bb.347:
	s_mov_b32 s26, 0x7f800000
	v_mov_b32_e32 v5, 0x7c
	v_mov_b32_e32 v6, 0x7f
	v_cmp_lt_u32_e32 vcc, s26, v7
	v_cndmask_b32_e32 v5, v5, v6, vcc
; %bb.348:
	s_or_b64 exec, exec, s[22:23]
	v_lshrrev_b32_e32 v4, 8, v4
	s_movk_i32 s22, 0x80
	v_and_or_b32 v4, v4, s22, v5
	global_store_byte v[0:1], v4, off
.LBB231_349:
	s_mov_b64 s[26:27], 0
	s_mov_b64 s[22:23], -1
.LBB231_350:
	s_andn2_b64 vcc, exec, s[26:27]
	s_cbranch_vccnz .LBB231_358
; %bb.351:
	s_cmp_gt_i32 s31, 14
	s_mov_b64 s[26:27], -1
	s_cbranch_scc0 .LBB231_355
; %bb.352:
	s_cmp_eq_u32 s31, 15
	s_mov_b64 s[0:1], -1
	s_cbranch_scc0 .LBB231_354
; %bb.353:
	global_store_short v[0:1], v3, off
	s_mov_b64 s[22:23], -1
	s_mov_b64 s[0:1], 0
.LBB231_354:
	s_mov_b64 s[26:27], 0
.LBB231_355:
	s_and_b64 vcc, exec, s[26:27]
	s_cbranch_vccz .LBB231_358
; %bb.356:
	s_cmp_eq_u32 s31, 11
	s_mov_b64 s[0:1], -1
	s_cbranch_scc0 .LBB231_358
; %bb.357:
	v_and_b32_e32 v4, 0x7fff, v3
	v_cmp_ne_u16_e32 vcc, 0, v4
	v_cndmask_b32_e64 v4, 0, 1, vcc
	s_mov_b64 s[22:23], -1
	s_mov_b64 s[0:1], 0
	global_store_byte v[0:1], v4, off
.LBB231_358:
	s_mov_b64 s[26:27], 0
.LBB231_359:
	s_and_b64 vcc, exec, s[26:27]
	s_cbranch_vccz .LBB231_398
; %bb.360:
	s_and_b32 s26, 0xffff, s30
	s_cmp_lt_i32 s26, 5
	s_mov_b64 s[22:23], -1
	s_cbranch_scc1 .LBB231_381
; %bb.361:
	s_cmp_lt_i32 s26, 8
	s_cbranch_scc1 .LBB231_371
; %bb.362:
	s_cmp_lt_i32 s26, 9
	s_cbranch_scc1 .LBB231_368
; %bb.363:
	s_cmp_gt_i32 s26, 9
	s_cbranch_scc0 .LBB231_365
; %bb.364:
	v_lshlrev_b32_e32 v4, 16, v3
	v_cvt_f64_f32_e32 v[4:5], v4
	v_mov_b32_e32 v6, 0
	v_mov_b32_e32 v7, v6
	s_mov_b64 s[22:23], 0
	global_store_dwordx4 v[0:1], v[4:7], off
.LBB231_365:
	s_andn2_b64 vcc, exec, s[22:23]
	s_cbranch_vccnz .LBB231_367
; %bb.366:
	v_lshlrev_b32_e32 v4, 16, v3
	v_mov_b32_e32 v5, 0
	global_store_dwordx2 v[0:1], v[4:5], off
.LBB231_367:
	s_mov_b64 s[22:23], 0
.LBB231_368:
	s_andn2_b64 vcc, exec, s[22:23]
	s_cbranch_vccnz .LBB231_370
; %bb.369:
	v_lshlrev_b32_e32 v4, 16, v3
	v_cvt_f16_f32_e32 v4, v4
	global_store_dword v[0:1], v4, off
.LBB231_370:
	s_mov_b64 s[22:23], 0
.LBB231_371:
	s_andn2_b64 vcc, exec, s[22:23]
	s_cbranch_vccnz .LBB231_380
; %bb.372:
	s_cmp_lt_i32 s26, 6
	s_mov_b64 s[22:23], -1
	s_cbranch_scc1 .LBB231_378
; %bb.373:
	s_cmp_gt_i32 s26, 6
	s_cbranch_scc0 .LBB231_375
; %bb.374:
	v_lshlrev_b32_e32 v4, 16, v3
	v_cvt_f64_f32_e32 v[4:5], v4
	s_mov_b64 s[22:23], 0
	global_store_dwordx2 v[0:1], v[4:5], off
.LBB231_375:
	s_andn2_b64 vcc, exec, s[22:23]
	s_cbranch_vccnz .LBB231_377
; %bb.376:
	v_lshlrev_b32_e32 v4, 16, v3
	global_store_dword v[0:1], v4, off
.LBB231_377:
	s_mov_b64 s[22:23], 0
.LBB231_378:
	s_andn2_b64 vcc, exec, s[22:23]
	s_cbranch_vccnz .LBB231_380
; %bb.379:
	v_lshlrev_b32_e32 v4, 16, v3
	v_cvt_f16_f32_e32 v4, v4
	global_store_short v[0:1], v4, off
.LBB231_380:
	s_mov_b64 s[22:23], 0
.LBB231_381:
	s_andn2_b64 vcc, exec, s[22:23]
	s_cbranch_vccnz .LBB231_397
; %bb.382:
	s_cmp_lt_i32 s26, 2
	s_mov_b64 s[22:23], -1
	s_cbranch_scc1 .LBB231_392
; %bb.383:
	s_cmp_lt_i32 s26, 3
	s_cbranch_scc1 .LBB231_389
; %bb.384:
	s_cmp_gt_i32 s26, 3
	s_cbranch_scc0 .LBB231_386
; %bb.385:
	v_lshlrev_b32_e32 v4, 16, v3
	v_trunc_f32_e32 v4, v4
	s_mov_b32 s22, 0x2f800000
	v_mul_f32_e64 v5, |v4|, s22
	v_floor_f32_e32 v5, v5
	s_mov_b32 s22, 0xcf800000
	v_cvt_u32_f32_e32 v6, v5
	v_fma_f32 v5, v5, s22, |v4|
	v_cvt_u32_f32_e32 v5, v5
	v_ashrrev_i32_e32 v7, 31, v4
	v_xor_b32_e32 v6, v6, v7
	s_mov_b64 s[22:23], 0
	v_xor_b32_e32 v4, v5, v7
	v_sub_co_u32_e32 v4, vcc, v4, v7
	v_subb_co_u32_e32 v5, vcc, v6, v7, vcc
	global_store_dwordx2 v[0:1], v[4:5], off
.LBB231_386:
	s_andn2_b64 vcc, exec, s[22:23]
	s_cbranch_vccnz .LBB231_388
; %bb.387:
	v_lshlrev_b32_e32 v4, 16, v3
	v_cvt_i32_f32_e32 v4, v4
	global_store_dword v[0:1], v4, off
.LBB231_388:
	s_mov_b64 s[22:23], 0
.LBB231_389:
	s_andn2_b64 vcc, exec, s[22:23]
	s_cbranch_vccnz .LBB231_391
; %bb.390:
	v_lshlrev_b32_e32 v4, 16, v3
	v_cvt_i32_f32_e32 v4, v4
	global_store_short v[0:1], v4, off
.LBB231_391:
	s_mov_b64 s[22:23], 0
.LBB231_392:
	s_andn2_b64 vcc, exec, s[22:23]
	s_cbranch_vccnz .LBB231_397
; %bb.393:
	s_mov_b64 s[22:23], -1
	s_cmp_gt_i32 s26, 0
	v_lshlrev_b32_e32 v3, 16, v3
	s_cbranch_scc0 .LBB231_395
; %bb.394:
	v_cvt_i32_f32_e32 v4, v3
	s_mov_b64 s[22:23], 0
	global_store_byte v[0:1], v4, off
.LBB231_395:
	s_andn2_b64 vcc, exec, s[22:23]
	s_cbranch_vccnz .LBB231_397
; %bb.396:
	v_trunc_f32_e32 v3, v3
	s_mov_b32 s22, 0x2f800000
	v_mul_f32_e64 v4, |v3|, s22
	v_floor_f32_e32 v4, v4
	s_mov_b32 s22, 0xcf800000
	v_fma_f32 v4, v4, s22, |v3|
	v_cvt_u32_f32_e32 v4, v4
	v_ashrrev_i32_e32 v3, 31, v3
	v_xor_b32_e32 v4, v4, v3
	v_sub_u32_e32 v3, v4, v3
	global_store_byte v[0:1], v3, off
.LBB231_397:
	s_mov_b64 s[22:23], -1
.LBB231_398:
	s_andn2_b64 vcc, exec, s[22:23]
	s_cbranch_vccnz .LBB231_400
; %bb.399:
	v_add_u32_e32 v2, 0x80, v2
	s_mov_b64 s[26:27], -1
	s_branch .LBB231_513
.LBB231_400:
	s_mov_b64 s[26:27], 0
	s_branch .LBB231_512
.LBB231_401:
	s_mov_b64 s[20:21], -1
                                        ; implicit-def: $vgpr3
.LBB231_402:
	s_mov_b64 s[22:23], 0
.LBB231_403:
	s_and_b64 vcc, exec, s[22:23]
	s_cbranch_vccz .LBB231_407
; %bb.404:
	s_cmp_eq_u32 s28, 29
	s_cbranch_scc0 .LBB231_406
; %bb.405:
	global_load_dwordx2 v[3:4], v[0:1], off
	s_movk_i32 s20, 0x7fff
	s_mov_b64 s[0:1], -1
	s_mov_b64 s[22:23], 0
	s_waitcnt vmcnt(0)
	v_ffbh_u32_e32 v5, v4
	v_min_u32_e32 v5, 32, v5
	v_lshlrev_b64 v[3:4], v5, v[3:4]
	v_min_u32_e32 v3, 1, v3
	v_or_b32_e32 v3, v4, v3
	v_cvt_f32_u32_e32 v3, v3
	v_sub_u32_e32 v4, 32, v5
	v_ldexp_f32 v3, v3, v4
	v_bfe_u32 v4, v3, 16, 1
	v_add3_u32 v3, v3, v4, s20
	v_lshrrev_b32_e32 v3, 16, v3
	s_mov_b64 s[20:21], 0
	s_branch .LBB231_408
.LBB231_406:
	s_mov_b64 s[20:21], -1
                                        ; implicit-def: $vgpr3
.LBB231_407:
	s_mov_b64 s[22:23], 0
.LBB231_408:
	s_and_b64 vcc, exec, s[22:23]
	s_cbranch_vccz .LBB231_426
; %bb.409:
	s_cmp_lt_i32 s28, 27
	s_cbranch_scc1 .LBB231_412
; %bb.410:
	s_cmp_gt_i32 s28, 27
	s_cbranch_scc0 .LBB231_413
; %bb.411:
	global_load_dword v3, v[0:1], off
	s_movk_i32 s0, 0x7fff
	s_waitcnt vmcnt(0)
	v_cvt_f32_u32_e32 v3, v3
	v_bfe_u32 v4, v3, 16, 1
	v_add3_u32 v3, v3, v4, s0
	v_lshrrev_b32_e32 v3, 16, v3
	s_mov_b64 s[0:1], 0
	s_branch .LBB231_414
.LBB231_412:
	s_mov_b64 s[0:1], -1
                                        ; implicit-def: $vgpr3
	s_branch .LBB231_417
.LBB231_413:
	s_mov_b64 s[0:1], -1
                                        ; implicit-def: $vgpr3
.LBB231_414:
	s_andn2_b64 vcc, exec, s[0:1]
	s_cbranch_vccnz .LBB231_416
; %bb.415:
	global_load_ushort v3, v[0:1], off
	s_movk_i32 s0, 0x7fff
	s_waitcnt vmcnt(0)
	v_cvt_f32_u32_e32 v3, v3
	v_bfe_u32 v4, v3, 16, 1
	v_add3_u32 v3, v3, v4, s0
	v_lshrrev_b32_e32 v3, 16, v3
.LBB231_416:
	s_mov_b64 s[0:1], 0
.LBB231_417:
	s_andn2_b64 vcc, exec, s[0:1]
	s_cbranch_vccnz .LBB231_425
; %bb.418:
	global_load_ubyte v3, v[0:1], off
	s_movk_i32 s0, 0x7f
	s_waitcnt vmcnt(0)
	v_cmp_lt_i16_e32 vcc, s0, v3
	s_mov_b64 s[0:1], 0
	s_and_saveexec_b64 s[22:23], vcc
	s_xor_b64 s[22:23], exec, s[22:23]
	s_cbranch_execz .LBB231_439
; %bb.419:
	s_movk_i32 s0, 0x80
	v_cmp_eq_u16_e32 vcc, s0, v3
	s_mov_b64 s[0:1], -1
	s_and_saveexec_b64 s[26:27], vcc
; %bb.420:
	s_xor_b64 s[0:1], exec, -1
; %bb.421:
	s_or_b64 exec, exec, s[26:27]
	s_and_b64 s[0:1], s[0:1], exec
	s_or_saveexec_b64 s[22:23], s[22:23]
	v_mov_b32_e32 v4, 0x7f800001
	s_xor_b64 exec, exec, s[22:23]
	s_cbranch_execnz .LBB231_440
.LBB231_422:
	s_or_b64 exec, exec, s[22:23]
	s_and_saveexec_b64 s[22:23], s[0:1]
	s_cbranch_execz .LBB231_424
.LBB231_423:
	v_lshlrev_b32_e32 v4, 24, v3
	v_and_b32_e32 v3, 0xffff, v3
	v_and_b32_e32 v5, 7, v3
	v_ffbh_u32_e32 v7, v5
	v_min_u32_e32 v7, 32, v7
	v_subrev_u32_e32 v8, 28, v7
	v_bfe_u32 v6, v3, 3, 4
	v_lshlrev_b32_e32 v3, v8, v3
	v_sub_u32_e32 v7, 29, v7
	v_and_b32_e32 v3, 7, v3
	v_cmp_eq_u32_e32 vcc, 0, v6
	v_cndmask_b32_e32 v6, v6, v7, vcc
	v_cndmask_b32_e32 v3, v5, v3, vcc
	v_mov_b32_e32 v5, 0x3b800000
	v_lshlrev_b32_e32 v3, 20, v3
	v_and_b32_e32 v4, 0x80000000, v4
	v_lshl_add_u32 v5, v6, 23, v5
	v_or3_b32 v4, v4, v5, v3
.LBB231_424:
	s_or_b64 exec, exec, s[22:23]
	v_bfe_u32 v3, v4, 16, 1
	s_movk_i32 s0, 0x7fff
	v_add3_u32 v3, v4, v3, s0
	v_cmp_o_f32_e32 vcc, v4, v4
	v_mov_b32_e32 v4, 0x7fc0
	v_cndmask_b32_sdwa v3, v4, v3, vcc dst_sel:DWORD dst_unused:UNUSED_PAD src0_sel:DWORD src1_sel:WORD_1
.LBB231_425:
	s_mov_b64 s[0:1], -1
.LBB231_426:
	s_mov_b64 s[22:23], 0
.LBB231_427:
	s_and_b64 vcc, exec, s[22:23]
	s_cbranch_vccz .LBB231_462
; %bb.428:
	s_cmp_gt_i32 s28, 22
	s_cbranch_scc0 .LBB231_438
; %bb.429:
	s_cmp_lt_i32 s28, 24
	s_cbranch_scc1 .LBB231_441
; %bb.430:
	s_cmp_gt_i32 s28, 24
	s_cbranch_scc0 .LBB231_442
; %bb.431:
	global_load_ubyte v3, v[0:1], off
	s_movk_i32 s0, 0x7f
	s_waitcnt vmcnt(0)
	v_cmp_lt_i16_e32 vcc, s0, v3
	s_mov_b64 s[0:1], 0
	s_and_saveexec_b64 s[22:23], vcc
	s_xor_b64 s[22:23], exec, s[22:23]
	s_cbranch_execz .LBB231_454
; %bb.432:
	s_movk_i32 s0, 0x80
	v_cmp_eq_u16_e32 vcc, s0, v3
	s_mov_b64 s[0:1], -1
	s_and_saveexec_b64 s[26:27], vcc
; %bb.433:
	s_xor_b64 s[0:1], exec, -1
; %bb.434:
	s_or_b64 exec, exec, s[26:27]
	s_and_b64 s[0:1], s[0:1], exec
	s_or_saveexec_b64 s[22:23], s[22:23]
	v_mov_b32_e32 v4, 0x7f800001
	s_xor_b64 exec, exec, s[22:23]
	s_cbranch_execnz .LBB231_455
.LBB231_435:
	s_or_b64 exec, exec, s[22:23]
	s_and_saveexec_b64 s[22:23], s[0:1]
	s_cbranch_execz .LBB231_437
.LBB231_436:
	v_lshlrev_b32_e32 v4, 24, v3
	v_and_b32_e32 v3, 0xffff, v3
	v_and_b32_e32 v5, 3, v3
	v_ffbh_u32_e32 v7, v5
	v_min_u32_e32 v7, 32, v7
	v_subrev_u32_e32 v8, 29, v7
	v_bfe_u32 v6, v3, 2, 5
	v_lshlrev_b32_e32 v3, v8, v3
	v_sub_u32_e32 v7, 30, v7
	v_and_b32_e32 v3, 3, v3
	v_cmp_eq_u32_e32 vcc, 0, v6
	v_cndmask_b32_e32 v6, v6, v7, vcc
	v_cndmask_b32_e32 v3, v5, v3, vcc
	v_mov_b32_e32 v5, 0x37800000
	v_lshlrev_b32_e32 v3, 21, v3
	v_and_b32_e32 v4, 0x80000000, v4
	v_lshl_add_u32 v5, v6, 23, v5
	v_or3_b32 v4, v4, v5, v3
.LBB231_437:
	s_or_b64 exec, exec, s[22:23]
	v_bfe_u32 v3, v4, 16, 1
	s_movk_i32 s0, 0x7fff
	v_add3_u32 v3, v4, v3, s0
	v_cmp_o_f32_e32 vcc, v4, v4
	v_mov_b32_e32 v4, 0x7fc0
	v_cndmask_b32_sdwa v3, v4, v3, vcc dst_sel:DWORD dst_unused:UNUSED_PAD src0_sel:DWORD src1_sel:WORD_1
	s_mov_b64 s[0:1], 0
	s_branch .LBB231_443
.LBB231_438:
	s_mov_b64 s[22:23], -1
                                        ; implicit-def: $vgpr3
	s_branch .LBB231_449
.LBB231_439:
	s_or_saveexec_b64 s[22:23], s[22:23]
	v_mov_b32_e32 v4, 0x7f800001
	s_xor_b64 exec, exec, s[22:23]
	s_cbranch_execz .LBB231_422
.LBB231_440:
	v_cmp_ne_u16_e32 vcc, 0, v3
	s_andn2_b64 s[0:1], s[0:1], exec
	s_and_b64 s[26:27], vcc, exec
	v_mov_b32_e32 v4, 0
	s_or_b64 s[0:1], s[0:1], s[26:27]
	s_or_b64 exec, exec, s[22:23]
	s_and_saveexec_b64 s[22:23], s[0:1]
	s_cbranch_execnz .LBB231_423
	s_branch .LBB231_424
.LBB231_441:
	s_mov_b64 s[0:1], -1
                                        ; implicit-def: $vgpr3
	s_branch .LBB231_446
.LBB231_442:
	s_mov_b64 s[0:1], -1
                                        ; implicit-def: $vgpr3
.LBB231_443:
	s_and_b64 vcc, exec, s[0:1]
	s_cbranch_vccz .LBB231_445
; %bb.444:
	global_load_ubyte v3, v[0:1], off
	s_mov_b32 s0, 0x7f800000
	s_brev_b32 s1, 1
	s_movk_i32 s22, 0x7fff
	s_waitcnt vmcnt(0)
	v_lshlrev_b32_e32 v3, 24, v3
	v_and_b32_e32 v4, 0x7f000000, v3
	v_ffbh_u32_e32 v5, v4
	v_min_u32_e32 v5, 32, v5
	v_sub_u32_e64 v5, v5, 4 clamp
	v_lshlrev_b32_e32 v7, v5, v4
	v_lshlrev_b32_e32 v5, 23, v5
	v_lshrrev_b32_e32 v7, 4, v7
	v_add_u32_e32 v6, 0x1000000, v4
	v_sub_u32_e32 v5, v7, v5
	v_ashrrev_i32_e32 v6, 8, v6
	v_add_u32_e32 v5, 0x3c000000, v5
	v_and_or_b32 v5, v6, s0, v5
	v_cmp_ne_u32_e32 vcc, 0, v4
	v_cndmask_b32_e32 v4, 0, v5, vcc
	v_and_or_b32 v3, v3, s1, v4
	v_bfe_u32 v4, v4, 16, 1
	v_add3_u32 v4, v3, v4, s22
	v_cmp_o_f32_e32 vcc, v3, v3
	v_mov_b32_e32 v3, 0x7fc0
	v_cndmask_b32_sdwa v3, v3, v4, vcc dst_sel:DWORD dst_unused:UNUSED_PAD src0_sel:DWORD src1_sel:WORD_1
.LBB231_445:
	s_mov_b64 s[0:1], 0
.LBB231_446:
	s_andn2_b64 vcc, exec, s[0:1]
	s_cbranch_vccnz .LBB231_448
; %bb.447:
	global_load_ubyte v3, v[0:1], off
	s_movk_i32 s0, 0x7f00
	s_brev_b32 s1, 16
	s_brev_b32 s22, 1
	s_movk_i32 s23, 0x7fff
	s_waitcnt vmcnt(0)
	v_lshlrev_b16_e32 v4, 8, v3
	v_lshlrev_b32_e32 v3, 25, v3
	v_lshrrev_b32_e32 v5, 4, v3
	v_and_or_b32 v6, v4, s0, 0.5
	v_or_b32_e32 v5, 0x70000000, v5
	v_add_f32_e32 v6, -0.5, v6
	v_mul_f32_e32 v5, 0x7800000, v5
	v_cmp_gt_u32_e32 vcc, s1, v3
	v_bfe_i32 v4, v4, 0, 16
	v_cndmask_b32_e32 v3, v5, v6, vcc
	v_and_or_b32 v4, v4, s22, v3
	v_bfe_u32 v3, v3, 16, 1
	v_add3_u32 v3, v4, v3, s23
	v_cmp_o_f32_e32 vcc, v4, v4
	v_mov_b32_e32 v4, 0x7fc0
	v_cndmask_b32_sdwa v3, v4, v3, vcc dst_sel:DWORD dst_unused:UNUSED_PAD src0_sel:DWORD src1_sel:WORD_1
.LBB231_448:
	s_mov_b64 s[22:23], 0
	s_mov_b64 s[0:1], -1
.LBB231_449:
	s_andn2_b64 vcc, exec, s[22:23]
	s_cbranch_vccnz .LBB231_462
; %bb.450:
	s_cmp_gt_i32 s28, 14
	s_cbranch_scc0 .LBB231_453
; %bb.451:
	s_cmp_eq_u32 s28, 15
	s_cbranch_scc0 .LBB231_456
; %bb.452:
	global_load_ushort v3, v[0:1], off
	s_mov_b64 s[0:1], -1
	s_mov_b64 s[20:21], 0
	s_branch .LBB231_457
.LBB231_453:
	s_mov_b64 s[22:23], -1
                                        ; implicit-def: $vgpr3
	s_branch .LBB231_458
.LBB231_454:
	s_or_saveexec_b64 s[22:23], s[22:23]
	v_mov_b32_e32 v4, 0x7f800001
	s_xor_b64 exec, exec, s[22:23]
	s_cbranch_execz .LBB231_435
.LBB231_455:
	v_cmp_ne_u16_e32 vcc, 0, v3
	s_andn2_b64 s[0:1], s[0:1], exec
	s_and_b64 s[26:27], vcc, exec
	v_mov_b32_e32 v4, 0
	s_or_b64 s[0:1], s[0:1], s[26:27]
	s_or_b64 exec, exec, s[22:23]
	s_and_saveexec_b64 s[22:23], s[0:1]
	s_cbranch_execnz .LBB231_436
	s_branch .LBB231_437
.LBB231_456:
	s_mov_b64 s[20:21], -1
                                        ; implicit-def: $vgpr3
.LBB231_457:
	s_mov_b64 s[22:23], 0
.LBB231_458:
	s_and_b64 vcc, exec, s[22:23]
	s_cbranch_vccz .LBB231_462
; %bb.459:
	s_cmp_eq_u32 s28, 11
	s_cbranch_scc0 .LBB231_461
; %bb.460:
	global_load_ubyte v3, v[0:1], off
	s_mov_b64 s[0:1], -1
	s_mov_b64 s[20:21], 0
	s_waitcnt vmcnt(0)
	v_cmp_ne_u16_e32 vcc, 0, v3
	v_cndmask_b32_e64 v3, 0, 1.0, vcc
	v_lshrrev_b32_e32 v3, 16, v3
	s_branch .LBB231_462
.LBB231_461:
	s_mov_b64 s[20:21], -1
                                        ; implicit-def: $vgpr3
.LBB231_462:
	s_branch .LBB231_265
.LBB231_463:
	s_cmp_lt_i32 s28, 5
	s_cbranch_scc1 .LBB231_468
; %bb.464:
	s_cmp_lt_i32 s28, 8
	s_cbranch_scc1 .LBB231_469
; %bb.465:
	;; [unrolled: 3-line block ×3, first 2 shown]
	s_cmp_gt_i32 s28, 9
	s_cbranch_scc0 .LBB231_471
; %bb.467:
	global_load_dwordx2 v[3:4], v[0:1], off
	s_movk_i32 s0, 0x7fff
	s_waitcnt vmcnt(0)
	v_cvt_f32_f64_e32 v3, v[3:4]
	v_mov_b32_e32 v4, 0x7fc0
	v_bfe_u32 v5, v3, 16, 1
	v_cmp_o_f32_e32 vcc, v3, v3
	v_add3_u32 v3, v3, v5, s0
	v_cndmask_b32_sdwa v3, v4, v3, vcc dst_sel:DWORD dst_unused:UNUSED_PAD src0_sel:DWORD src1_sel:WORD_1
	s_mov_b64 s[0:1], 0
	s_branch .LBB231_472
.LBB231_468:
	s_mov_b64 s[0:1], -1
                                        ; implicit-def: $vgpr3
	s_branch .LBB231_490
.LBB231_469:
	s_mov_b64 s[0:1], -1
                                        ; implicit-def: $vgpr3
	s_branch .LBB231_478
.LBB231_470:
	s_mov_b64 s[0:1], -1
                                        ; implicit-def: $vgpr3
	s_branch .LBB231_475
.LBB231_471:
	s_mov_b64 s[0:1], -1
                                        ; implicit-def: $vgpr3
.LBB231_472:
	s_andn2_b64 vcc, exec, s[0:1]
	s_cbranch_vccnz .LBB231_474
; %bb.473:
	global_load_dword v3, v[0:1], off
	s_movk_i32 s0, 0x7fff
	v_mov_b32_e32 v4, 0x7fc0
	s_waitcnt vmcnt(0)
	v_bfe_u32 v5, v3, 16, 1
	v_cmp_o_f32_e32 vcc, v3, v3
	v_add3_u32 v3, v3, v5, s0
	v_cndmask_b32_sdwa v3, v4, v3, vcc dst_sel:DWORD dst_unused:UNUSED_PAD src0_sel:DWORD src1_sel:WORD_1
.LBB231_474:
	s_mov_b64 s[0:1], 0
.LBB231_475:
	s_andn2_b64 vcc, exec, s[0:1]
	s_cbranch_vccnz .LBB231_477
; %bb.476:
	global_load_dword v3, v[0:1], off
	s_movk_i32 s0, 0x7fff
	v_mov_b32_e32 v5, 0x7fc0
	s_waitcnt vmcnt(0)
	v_cvt_f32_f16_e32 v4, v3
	v_cmp_o_f16_e32 vcc, v3, v3
	v_bfe_u32 v3, v4, 16, 1
	v_add3_u32 v3, v4, v3, s0
	v_cndmask_b32_sdwa v3, v5, v3, vcc dst_sel:DWORD dst_unused:UNUSED_PAD src0_sel:DWORD src1_sel:WORD_1
.LBB231_477:
	s_mov_b64 s[0:1], 0
.LBB231_478:
	s_andn2_b64 vcc, exec, s[0:1]
	s_cbranch_vccnz .LBB231_489
; %bb.479:
	s_cmp_lt_i32 s28, 6
	s_cbranch_scc1 .LBB231_482
; %bb.480:
	s_cmp_gt_i32 s28, 6
	s_cbranch_scc0 .LBB231_483
; %bb.481:
	global_load_dwordx2 v[3:4], v[0:1], off
	s_movk_i32 s0, 0x7fff
	s_waitcnt vmcnt(0)
	v_cvt_f32_f64_e32 v3, v[3:4]
	v_mov_b32_e32 v4, 0x7fc0
	v_bfe_u32 v5, v3, 16, 1
	v_cmp_o_f32_e32 vcc, v3, v3
	v_add3_u32 v3, v3, v5, s0
	v_cndmask_b32_sdwa v3, v4, v3, vcc dst_sel:DWORD dst_unused:UNUSED_PAD src0_sel:DWORD src1_sel:WORD_1
	s_mov_b64 s[0:1], 0
	s_branch .LBB231_484
.LBB231_482:
	s_mov_b64 s[0:1], -1
                                        ; implicit-def: $vgpr3
	s_branch .LBB231_487
.LBB231_483:
	s_mov_b64 s[0:1], -1
                                        ; implicit-def: $vgpr3
.LBB231_484:
	s_andn2_b64 vcc, exec, s[0:1]
	s_cbranch_vccnz .LBB231_486
; %bb.485:
	global_load_dword v3, v[0:1], off
	s_movk_i32 s0, 0x7fff
	v_mov_b32_e32 v4, 0x7fc0
	s_waitcnt vmcnt(0)
	v_bfe_u32 v5, v3, 16, 1
	v_cmp_o_f32_e32 vcc, v3, v3
	v_add3_u32 v3, v3, v5, s0
	v_cndmask_b32_sdwa v3, v4, v3, vcc dst_sel:DWORD dst_unused:UNUSED_PAD src0_sel:DWORD src1_sel:WORD_1
.LBB231_486:
	s_mov_b64 s[0:1], 0
.LBB231_487:
	s_andn2_b64 vcc, exec, s[0:1]
	s_cbranch_vccnz .LBB231_489
; %bb.488:
	global_load_ushort v3, v[0:1], off
	s_movk_i32 s0, 0x7fff
	v_mov_b32_e32 v5, 0x7fc0
	s_waitcnt vmcnt(0)
	v_cvt_f32_f16_e32 v4, v3
	v_cmp_o_f16_e32 vcc, v3, v3
	v_bfe_u32 v3, v4, 16, 1
	v_add3_u32 v3, v4, v3, s0
	v_cndmask_b32_sdwa v3, v5, v3, vcc dst_sel:DWORD dst_unused:UNUSED_PAD src0_sel:DWORD src1_sel:WORD_1
.LBB231_489:
	s_mov_b64 s[0:1], 0
.LBB231_490:
	s_andn2_b64 vcc, exec, s[0:1]
	s_cbranch_vccnz .LBB231_510
; %bb.491:
	s_cmp_lt_i32 s28, 2
	s_cbranch_scc1 .LBB231_495
; %bb.492:
	s_cmp_lt_i32 s28, 3
	s_cbranch_scc1 .LBB231_496
; %bb.493:
	s_cmp_gt_i32 s28, 3
	s_cbranch_scc0 .LBB231_497
; %bb.494:
	global_load_dwordx2 v[3:4], v[0:1], off
	s_movk_i32 s0, 0x7fff
	s_waitcnt vmcnt(0)
	v_xor_b32_e32 v6, v3, v4
	v_ffbh_i32_e32 v5, v4
	v_ashrrev_i32_e32 v6, 31, v6
	v_add_u32_e32 v5, -1, v5
	v_add_u32_e32 v6, 32, v6
	v_min_u32_e32 v5, v5, v6
	v_lshlrev_b64 v[3:4], v5, v[3:4]
	v_min_u32_e32 v3, 1, v3
	v_or_b32_e32 v3, v4, v3
	v_cvt_f32_i32_e32 v3, v3
	v_sub_u32_e32 v4, 32, v5
	v_ldexp_f32 v3, v3, v4
	v_bfe_u32 v4, v3, 16, 1
	v_add3_u32 v3, v3, v4, s0
	v_lshrrev_b32_e32 v3, 16, v3
	s_mov_b64 s[0:1], 0
	s_branch .LBB231_498
.LBB231_495:
	s_mov_b64 s[0:1], -1
                                        ; implicit-def: $vgpr3
	s_branch .LBB231_504
.LBB231_496:
	s_mov_b64 s[0:1], -1
                                        ; implicit-def: $vgpr3
	s_branch .LBB231_501
.LBB231_497:
	s_mov_b64 s[0:1], -1
                                        ; implicit-def: $vgpr3
.LBB231_498:
	s_andn2_b64 vcc, exec, s[0:1]
	s_cbranch_vccnz .LBB231_500
; %bb.499:
	global_load_dword v3, v[0:1], off
	s_movk_i32 s0, 0x7fff
	s_waitcnt vmcnt(0)
	v_cvt_f32_i32_e32 v3, v3
	v_bfe_u32 v4, v3, 16, 1
	v_add3_u32 v3, v3, v4, s0
	v_lshrrev_b32_e32 v3, 16, v3
.LBB231_500:
	s_mov_b64 s[0:1], 0
.LBB231_501:
	s_andn2_b64 vcc, exec, s[0:1]
	s_cbranch_vccnz .LBB231_503
; %bb.502:
	global_load_sshort v3, v[0:1], off
	s_movk_i32 s0, 0x7fff
	s_waitcnt vmcnt(0)
	v_cvt_f32_i32_e32 v3, v3
	v_bfe_u32 v4, v3, 16, 1
	v_add3_u32 v3, v3, v4, s0
	v_lshrrev_b32_e32 v3, 16, v3
.LBB231_503:
	s_mov_b64 s[0:1], 0
.LBB231_504:
	s_andn2_b64 vcc, exec, s[0:1]
	s_cbranch_vccnz .LBB231_510
; %bb.505:
	s_cmp_gt_i32 s28, 0
	s_cbranch_scc0 .LBB231_507
; %bb.506:
	global_load_sbyte v3, v[0:1], off
	s_movk_i32 s0, 0x7fff
	s_waitcnt vmcnt(0)
	v_cvt_f32_i32_e32 v3, v3
	v_bfe_u32 v4, v3, 16, 1
	v_add3_u32 v3, v3, v4, s0
	v_lshrrev_b32_e32 v3, 16, v3
	s_mov_b64 s[0:1], 0
	s_branch .LBB231_508
.LBB231_507:
	s_mov_b64 s[0:1], -1
                                        ; implicit-def: $vgpr3
.LBB231_508:
	s_andn2_b64 vcc, exec, s[0:1]
	s_cbranch_vccnz .LBB231_510
; %bb.509:
	global_load_ubyte v0, v[0:1], off
	s_movk_i32 s0, 0x7fff
	s_waitcnt vmcnt(0)
	v_cvt_f32_ubyte0_e32 v0, v0
	v_bfe_u32 v1, v0, 16, 1
	v_add3_u32 v0, v0, v1, s0
	v_lshrrev_b32_e32 v3, 16, v0
.LBB231_510:
	s_branch .LBB231_266
.LBB231_511:
	s_mov_b64 s[26:27], 0
	s_mov_b64 s[0:1], s[6:7]
.LBB231_512:
                                        ; implicit-def: $vgpr2
.LBB231_513:
	s_andn2_b64 s[22:23], s[6:7], exec
	s_and_b64 s[0:1], s[0:1], exec
	s_or_b64 s[22:23], s[22:23], s[0:1]
	s_andn2_b64 s[0:1], s[16:17], exec
	s_and_b64 s[20:21], s[20:21], exec
	s_or_b64 s[20:21], s[0:1], s[20:21]
	s_orn2_b64 s[0:1], s[26:27], exec
.LBB231_514:
	s_or_b64 exec, exec, s[24:25]
	s_mov_b64 s[26:27], 0
	s_mov_b64 s[28:29], 0
	;; [unrolled: 1-line block ×3, first 2 shown]
                                        ; implicit-def: $vgpr0_vgpr1
                                        ; implicit-def: $vgpr4
	s_and_saveexec_b64 s[24:25], s[0:1]
	s_cbranch_execz .LBB231_860
; %bb.515:
	v_cmp_gt_i32_e32 vcc, s40, v2
	s_mov_b64 s[36:37], -1
	s_mov_b64 s[0:1], s[20:21]
	s_mov_b64 s[30:31], s[22:23]
	s_and_saveexec_b64 s[26:27], vcc
	s_cbranch_execz .LBB231_774
; %bb.516:
	v_mul_lo_u32 v0, v2, s13
	v_mov_b32_e32 v1, s11
	s_and_b32 s36, 0xffff, s45
	s_cmp_lt_i32 s36, 11
	s_waitcnt vmcnt(0)
	v_ashrrev_i32_e32 v3, 31, v0
	v_add_co_u32_e32 v0, vcc, s10, v0
	v_addc_co_u32_e32 v1, vcc, v1, v3, vcc
	s_cbranch_scc1 .LBB231_523
; %bb.517:
	s_cmp_gt_i32 s36, 25
	s_cbranch_scc0 .LBB231_524
; %bb.518:
	s_cmp_gt_i32 s36, 28
	s_cbranch_scc0 .LBB231_525
	;; [unrolled: 3-line block ×4, first 2 shown]
; %bb.521:
	s_cmp_eq_u32 s36, 46
	s_mov_b64 s[30:31], 0
	s_cbranch_scc0 .LBB231_532
; %bb.522:
	global_load_dword v3, v[0:1], off
	s_mov_b64 s[0:1], -1
	s_branch .LBB231_533
.LBB231_523:
	s_mov_b64 s[30:31], -1
	s_mov_b64 s[0:1], 0
                                        ; implicit-def: $vgpr3
	s_mov_b64 s[28:29], s[20:21]
	s_branch .LBB231_598
.LBB231_524:
	s_mov_b64 s[30:31], -1
	s_mov_b64 s[0:1], 0
	s_mov_b64 s[28:29], s[20:21]
                                        ; implicit-def: $vgpr3
	s_branch .LBB231_562
.LBB231_525:
	s_mov_b64 s[30:31], -1
	s_mov_b64 s[0:1], 0
	s_mov_b64 s[28:29], s[20:21]
                                        ; implicit-def: $vgpr3
	s_branch .LBB231_543
.LBB231_526:
	s_mov_b64 s[30:31], -1
	s_mov_b64 s[0:1], 0
	s_mov_b64 s[28:29], s[20:21]
                                        ; implicit-def: $vgpr3
	s_branch .LBB231_538
.LBB231_527:
	s_andn2_saveexec_b64 s[28:29], s[28:29]
	s_cbranch_execz .LBB231_311
.LBB231_528:
	s_mov_b32 s34, 0x46000000
	v_add_f32_e64 v5, |v6|, s34
	v_and_b32_e32 v5, 0xff, v5
	v_cmp_ne_u32_e32 vcc, 0, v5
	s_andn2_b64 s[26:27], s[26:27], exec
	s_and_b64 s[34:35], vcc, exec
	s_or_b64 s[26:27], s[26:27], s[34:35]
	s_or_b64 exec, exec, s[28:29]
	v_mov_b32_e32 v7, 0
	s_and_saveexec_b64 s[28:29], s[26:27]
	s_cbranch_execnz .LBB231_312
	s_branch .LBB231_313
.LBB231_529:
	s_mov_b64 s[30:31], -1
	s_mov_b64 s[0:1], 0
	s_mov_b64 s[28:29], s[20:21]
                                        ; implicit-def: $vgpr3
	s_branch .LBB231_533
.LBB231_530:
	s_andn2_saveexec_b64 s[28:29], s[28:29]
	s_cbranch_execz .LBB231_324
.LBB231_531:
	s_mov_b32 s34, 0x42800000
	v_add_f32_e64 v5, |v6|, s34
	v_and_b32_e32 v5, 0xff, v5
	v_cmp_ne_u32_e32 vcc, 0, v5
	s_andn2_b64 s[26:27], s[26:27], exec
	s_and_b64 s[34:35], vcc, exec
	s_or_b64 s[26:27], s[26:27], s[34:35]
	s_or_b64 exec, exec, s[28:29]
	v_mov_b32_e32 v7, 0
	s_and_saveexec_b64 s[28:29], s[26:27]
	s_cbranch_execnz .LBB231_325
	s_branch .LBB231_326
.LBB231_532:
	s_mov_b64 s[28:29], -1
                                        ; implicit-def: $vgpr3
	s_mov_b64 s[0:1], 0
.LBB231_533:
	s_and_b64 vcc, exec, s[30:31]
	s_cbranch_vccz .LBB231_537
; %bb.534:
	s_cmp_eq_u32 s36, 44
	s_cbranch_scc0 .LBB231_536
; %bb.535:
	global_load_ubyte v3, v[0:1], off
	s_movk_i32 s28, 0xff
	v_mov_b32_e32 v4, 0x7f800001
	v_mov_b32_e32 v5, 0x400000
	;; [unrolled: 1-line block ×3, first 2 shown]
	s_mov_b64 s[0:1], -1
	s_waitcnt vmcnt(0)
	v_lshlrev_b32_e32 v7, 23, v3
	v_cmp_ne_u32_e32 vcc, s28, v3
	v_cndmask_b32_e32 v4, v4, v7, vcc
	v_cmp_ne_u32_e32 vcc, 0, v3
	v_cndmask_b32_e32 v3, v5, v4, vcc
	v_add_u32_e32 v4, 0x7fff, v3
	v_cmp_o_f32_e32 vcc, v3, v3
	v_cndmask_b32_sdwa v3, v6, v4, vcc dst_sel:DWORD dst_unused:UNUSED_PAD src0_sel:DWORD src1_sel:WORD_1
	s_mov_b64 s[28:29], 0
	s_branch .LBB231_537
.LBB231_536:
	s_mov_b64 s[28:29], -1
                                        ; implicit-def: $vgpr3
.LBB231_537:
	s_mov_b64 s[30:31], 0
.LBB231_538:
	s_and_b64 vcc, exec, s[30:31]
	s_cbranch_vccz .LBB231_542
; %bb.539:
	s_cmp_eq_u32 s36, 29
	s_cbranch_scc0 .LBB231_541
; %bb.540:
	global_load_dwordx2 v[3:4], v[0:1], off
	s_movk_i32 s28, 0x7fff
	s_mov_b64 s[0:1], -1
	s_mov_b64 s[30:31], 0
	s_waitcnt vmcnt(0)
	v_ffbh_u32_e32 v5, v4
	v_min_u32_e32 v5, 32, v5
	v_lshlrev_b64 v[3:4], v5, v[3:4]
	v_min_u32_e32 v3, 1, v3
	v_or_b32_e32 v3, v4, v3
	v_cvt_f32_u32_e32 v3, v3
	v_sub_u32_e32 v4, 32, v5
	v_ldexp_f32 v3, v3, v4
	v_bfe_u32 v4, v3, 16, 1
	v_add3_u32 v3, v3, v4, s28
	v_lshrrev_b32_e32 v3, 16, v3
	s_mov_b64 s[28:29], 0
	s_branch .LBB231_543
.LBB231_541:
	s_mov_b64 s[28:29], -1
                                        ; implicit-def: $vgpr3
.LBB231_542:
	s_mov_b64 s[30:31], 0
.LBB231_543:
	s_and_b64 vcc, exec, s[30:31]
	s_cbranch_vccz .LBB231_561
; %bb.544:
	s_cmp_lt_i32 s36, 27
	s_cbranch_scc1 .LBB231_547
; %bb.545:
	s_cmp_gt_i32 s36, 27
	s_cbranch_scc0 .LBB231_548
; %bb.546:
	global_load_dword v3, v[0:1], off
	s_movk_i32 s0, 0x7fff
	s_waitcnt vmcnt(0)
	v_cvt_f32_u32_e32 v3, v3
	v_bfe_u32 v4, v3, 16, 1
	v_add3_u32 v3, v3, v4, s0
	v_lshrrev_b32_e32 v3, 16, v3
	s_mov_b64 s[0:1], 0
	s_branch .LBB231_549
.LBB231_547:
	s_mov_b64 s[0:1], -1
                                        ; implicit-def: $vgpr3
	s_branch .LBB231_552
.LBB231_548:
	s_mov_b64 s[0:1], -1
                                        ; implicit-def: $vgpr3
.LBB231_549:
	s_andn2_b64 vcc, exec, s[0:1]
	s_cbranch_vccnz .LBB231_551
; %bb.550:
	global_load_ushort v3, v[0:1], off
	s_movk_i32 s0, 0x7fff
	s_waitcnt vmcnt(0)
	v_cvt_f32_u32_e32 v3, v3
	v_bfe_u32 v4, v3, 16, 1
	v_add3_u32 v3, v3, v4, s0
	v_lshrrev_b32_e32 v3, 16, v3
.LBB231_551:
	s_mov_b64 s[0:1], 0
.LBB231_552:
	s_andn2_b64 vcc, exec, s[0:1]
	s_cbranch_vccnz .LBB231_560
; %bb.553:
	global_load_ubyte v3, v[0:1], off
	s_movk_i32 s0, 0x7f
	s_waitcnt vmcnt(0)
	v_cmp_lt_i16_e32 vcc, s0, v3
	s_mov_b64 s[0:1], 0
	s_and_saveexec_b64 s[30:31], vcc
	s_xor_b64 s[30:31], exec, s[30:31]
	s_cbranch_execz .LBB231_574
; %bb.554:
	s_movk_i32 s0, 0x80
	v_cmp_eq_u16_e32 vcc, s0, v3
	s_mov_b64 s[0:1], -1
	s_and_saveexec_b64 s[34:35], vcc
; %bb.555:
	s_xor_b64 s[0:1], exec, -1
; %bb.556:
	s_or_b64 exec, exec, s[34:35]
	s_and_b64 s[0:1], s[0:1], exec
	s_or_saveexec_b64 s[30:31], s[30:31]
	v_mov_b32_e32 v4, 0x7f800001
	s_xor_b64 exec, exec, s[30:31]
	s_cbranch_execnz .LBB231_575
.LBB231_557:
	s_or_b64 exec, exec, s[30:31]
	s_and_saveexec_b64 s[30:31], s[0:1]
	s_cbranch_execz .LBB231_559
.LBB231_558:
	v_lshlrev_b32_e32 v4, 24, v3
	v_and_b32_e32 v3, 0xffff, v3
	v_and_b32_e32 v5, 7, v3
	v_ffbh_u32_e32 v7, v5
	v_min_u32_e32 v7, 32, v7
	v_subrev_u32_e32 v8, 28, v7
	v_bfe_u32 v6, v3, 3, 4
	v_lshlrev_b32_e32 v3, v8, v3
	v_sub_u32_e32 v7, 29, v7
	v_and_b32_e32 v3, 7, v3
	v_cmp_eq_u32_e32 vcc, 0, v6
	v_cndmask_b32_e32 v6, v6, v7, vcc
	v_cndmask_b32_e32 v3, v5, v3, vcc
	v_mov_b32_e32 v5, 0x3b800000
	v_lshlrev_b32_e32 v3, 20, v3
	v_and_b32_e32 v4, 0x80000000, v4
	v_lshl_add_u32 v5, v6, 23, v5
	v_or3_b32 v4, v4, v5, v3
.LBB231_559:
	s_or_b64 exec, exec, s[30:31]
	v_bfe_u32 v3, v4, 16, 1
	s_movk_i32 s0, 0x7fff
	v_add3_u32 v3, v4, v3, s0
	v_cmp_o_f32_e32 vcc, v4, v4
	v_mov_b32_e32 v4, 0x7fc0
	v_cndmask_b32_sdwa v3, v4, v3, vcc dst_sel:DWORD dst_unused:UNUSED_PAD src0_sel:DWORD src1_sel:WORD_1
.LBB231_560:
	s_mov_b64 s[0:1], -1
.LBB231_561:
	s_mov_b64 s[30:31], 0
.LBB231_562:
	s_and_b64 vcc, exec, s[30:31]
	s_cbranch_vccz .LBB231_597
; %bb.563:
	s_cmp_gt_i32 s36, 22
	s_cbranch_scc0 .LBB231_573
; %bb.564:
	s_cmp_lt_i32 s36, 24
	s_cbranch_scc1 .LBB231_576
; %bb.565:
	s_cmp_gt_i32 s36, 24
	s_cbranch_scc0 .LBB231_577
; %bb.566:
	global_load_ubyte v3, v[0:1], off
	s_movk_i32 s0, 0x7f
	s_waitcnt vmcnt(0)
	v_cmp_lt_i16_e32 vcc, s0, v3
	s_mov_b64 s[0:1], 0
	s_and_saveexec_b64 s[30:31], vcc
	s_xor_b64 s[30:31], exec, s[30:31]
	s_cbranch_execz .LBB231_589
; %bb.567:
	s_movk_i32 s0, 0x80
	v_cmp_eq_u16_e32 vcc, s0, v3
	s_mov_b64 s[0:1], -1
	s_and_saveexec_b64 s[34:35], vcc
; %bb.568:
	s_xor_b64 s[0:1], exec, -1
; %bb.569:
	s_or_b64 exec, exec, s[34:35]
	s_and_b64 s[0:1], s[0:1], exec
	s_or_saveexec_b64 s[30:31], s[30:31]
	v_mov_b32_e32 v4, 0x7f800001
	s_xor_b64 exec, exec, s[30:31]
	s_cbranch_execnz .LBB231_590
.LBB231_570:
	s_or_b64 exec, exec, s[30:31]
	s_and_saveexec_b64 s[30:31], s[0:1]
	s_cbranch_execz .LBB231_572
.LBB231_571:
	v_lshlrev_b32_e32 v4, 24, v3
	v_and_b32_e32 v3, 0xffff, v3
	v_and_b32_e32 v5, 3, v3
	v_ffbh_u32_e32 v7, v5
	v_min_u32_e32 v7, 32, v7
	v_subrev_u32_e32 v8, 29, v7
	v_bfe_u32 v6, v3, 2, 5
	v_lshlrev_b32_e32 v3, v8, v3
	v_sub_u32_e32 v7, 30, v7
	v_and_b32_e32 v3, 3, v3
	v_cmp_eq_u32_e32 vcc, 0, v6
	v_cndmask_b32_e32 v6, v6, v7, vcc
	v_cndmask_b32_e32 v3, v5, v3, vcc
	v_mov_b32_e32 v5, 0x37800000
	v_lshlrev_b32_e32 v3, 21, v3
	v_and_b32_e32 v4, 0x80000000, v4
	v_lshl_add_u32 v5, v6, 23, v5
	v_or3_b32 v4, v4, v5, v3
.LBB231_572:
	s_or_b64 exec, exec, s[30:31]
	v_bfe_u32 v3, v4, 16, 1
	s_movk_i32 s0, 0x7fff
	v_add3_u32 v3, v4, v3, s0
	v_cmp_o_f32_e32 vcc, v4, v4
	v_mov_b32_e32 v4, 0x7fc0
	v_cndmask_b32_sdwa v3, v4, v3, vcc dst_sel:DWORD dst_unused:UNUSED_PAD src0_sel:DWORD src1_sel:WORD_1
	s_mov_b64 s[0:1], 0
	s_branch .LBB231_578
.LBB231_573:
	s_mov_b64 s[30:31], -1
                                        ; implicit-def: $vgpr3
	s_branch .LBB231_584
.LBB231_574:
	s_or_saveexec_b64 s[30:31], s[30:31]
	v_mov_b32_e32 v4, 0x7f800001
	s_xor_b64 exec, exec, s[30:31]
	s_cbranch_execz .LBB231_557
.LBB231_575:
	v_cmp_ne_u16_e32 vcc, 0, v3
	s_andn2_b64 s[0:1], s[0:1], exec
	s_and_b64 s[34:35], vcc, exec
	v_mov_b32_e32 v4, 0
	s_or_b64 s[0:1], s[0:1], s[34:35]
	s_or_b64 exec, exec, s[30:31]
	s_and_saveexec_b64 s[30:31], s[0:1]
	s_cbranch_execnz .LBB231_558
	s_branch .LBB231_559
.LBB231_576:
	s_mov_b64 s[0:1], -1
                                        ; implicit-def: $vgpr3
	s_branch .LBB231_581
.LBB231_577:
	s_mov_b64 s[0:1], -1
                                        ; implicit-def: $vgpr3
.LBB231_578:
	s_and_b64 vcc, exec, s[0:1]
	s_cbranch_vccz .LBB231_580
; %bb.579:
	global_load_ubyte v3, v[0:1], off
	s_mov_b32 s0, 0x7f800000
	s_brev_b32 s1, 1
	s_movk_i32 s30, 0x7fff
	s_waitcnt vmcnt(0)
	v_lshlrev_b32_e32 v3, 24, v3
	v_and_b32_e32 v4, 0x7f000000, v3
	v_ffbh_u32_e32 v5, v4
	v_min_u32_e32 v5, 32, v5
	v_sub_u32_e64 v5, v5, 4 clamp
	v_lshlrev_b32_e32 v7, v5, v4
	v_lshlrev_b32_e32 v5, 23, v5
	v_lshrrev_b32_e32 v7, 4, v7
	v_add_u32_e32 v6, 0x1000000, v4
	v_sub_u32_e32 v5, v7, v5
	v_ashrrev_i32_e32 v6, 8, v6
	v_add_u32_e32 v5, 0x3c000000, v5
	v_and_or_b32 v5, v6, s0, v5
	v_cmp_ne_u32_e32 vcc, 0, v4
	v_cndmask_b32_e32 v4, 0, v5, vcc
	v_and_or_b32 v3, v3, s1, v4
	v_bfe_u32 v4, v4, 16, 1
	v_add3_u32 v4, v3, v4, s30
	v_cmp_o_f32_e32 vcc, v3, v3
	v_mov_b32_e32 v3, 0x7fc0
	v_cndmask_b32_sdwa v3, v3, v4, vcc dst_sel:DWORD dst_unused:UNUSED_PAD src0_sel:DWORD src1_sel:WORD_1
.LBB231_580:
	s_mov_b64 s[0:1], 0
.LBB231_581:
	s_andn2_b64 vcc, exec, s[0:1]
	s_cbranch_vccnz .LBB231_583
; %bb.582:
	global_load_ubyte v3, v[0:1], off
	s_movk_i32 s0, 0x7f00
	s_brev_b32 s1, 16
	s_brev_b32 s30, 1
	s_movk_i32 s31, 0x7fff
	s_waitcnt vmcnt(0)
	v_lshlrev_b16_e32 v4, 8, v3
	v_lshlrev_b32_e32 v3, 25, v3
	v_lshrrev_b32_e32 v5, 4, v3
	v_and_or_b32 v6, v4, s0, 0.5
	v_or_b32_e32 v5, 0x70000000, v5
	v_add_f32_e32 v6, -0.5, v6
	v_mul_f32_e32 v5, 0x7800000, v5
	v_cmp_gt_u32_e32 vcc, s1, v3
	v_bfe_i32 v4, v4, 0, 16
	v_cndmask_b32_e32 v3, v5, v6, vcc
	v_and_or_b32 v4, v4, s30, v3
	v_bfe_u32 v3, v3, 16, 1
	v_add3_u32 v3, v4, v3, s31
	v_cmp_o_f32_e32 vcc, v4, v4
	v_mov_b32_e32 v4, 0x7fc0
	v_cndmask_b32_sdwa v3, v4, v3, vcc dst_sel:DWORD dst_unused:UNUSED_PAD src0_sel:DWORD src1_sel:WORD_1
.LBB231_583:
	s_mov_b64 s[30:31], 0
	s_mov_b64 s[0:1], -1
.LBB231_584:
	s_andn2_b64 vcc, exec, s[30:31]
	s_cbranch_vccnz .LBB231_597
; %bb.585:
	s_cmp_gt_i32 s36, 14
	s_cbranch_scc0 .LBB231_588
; %bb.586:
	s_cmp_eq_u32 s36, 15
	s_cbranch_scc0 .LBB231_591
; %bb.587:
	global_load_ushort v3, v[0:1], off
	s_mov_b64 s[0:1], -1
	s_mov_b64 s[28:29], 0
	s_branch .LBB231_592
.LBB231_588:
	s_mov_b64 s[30:31], -1
                                        ; implicit-def: $vgpr3
	s_branch .LBB231_593
.LBB231_589:
	s_or_saveexec_b64 s[30:31], s[30:31]
	v_mov_b32_e32 v4, 0x7f800001
	s_xor_b64 exec, exec, s[30:31]
	s_cbranch_execz .LBB231_570
.LBB231_590:
	v_cmp_ne_u16_e32 vcc, 0, v3
	s_andn2_b64 s[0:1], s[0:1], exec
	s_and_b64 s[34:35], vcc, exec
	v_mov_b32_e32 v4, 0
	s_or_b64 s[0:1], s[0:1], s[34:35]
	s_or_b64 exec, exec, s[30:31]
	s_and_saveexec_b64 s[30:31], s[0:1]
	s_cbranch_execnz .LBB231_571
	s_branch .LBB231_572
.LBB231_591:
	s_mov_b64 s[28:29], -1
                                        ; implicit-def: $vgpr3
.LBB231_592:
	s_mov_b64 s[30:31], 0
.LBB231_593:
	s_and_b64 vcc, exec, s[30:31]
	s_cbranch_vccz .LBB231_597
; %bb.594:
	s_cmp_eq_u32 s36, 11
	s_cbranch_scc0 .LBB231_596
; %bb.595:
	global_load_ubyte v3, v[0:1], off
	s_mov_b64 s[0:1], -1
	s_mov_b64 s[28:29], 0
	s_waitcnt vmcnt(0)
	v_cmp_ne_u16_e32 vcc, 0, v3
	v_cndmask_b32_e64 v3, 0, 1.0, vcc
	v_lshrrev_b32_e32 v3, 16, v3
	s_branch .LBB231_597
.LBB231_596:
	s_mov_b64 s[28:29], -1
                                        ; implicit-def: $vgpr3
.LBB231_597:
	s_mov_b64 s[30:31], 0
.LBB231_598:
	s_and_b64 vcc, exec, s[30:31]
	s_cbranch_vccz .LBB231_647
; %bb.599:
	s_cmp_lt_i32 s36, 5
	s_cbranch_scc1 .LBB231_604
; %bb.600:
	s_cmp_lt_i32 s36, 8
	s_cbranch_scc1 .LBB231_605
; %bb.601:
	s_cmp_lt_i32 s36, 9
	s_cbranch_scc1 .LBB231_606
; %bb.602:
	s_cmp_gt_i32 s36, 9
	s_cbranch_scc0 .LBB231_607
; %bb.603:
	global_load_dwordx2 v[3:4], v[0:1], off
	s_movk_i32 s0, 0x7fff
	s_waitcnt vmcnt(0)
	v_cvt_f32_f64_e32 v3, v[3:4]
	v_mov_b32_e32 v4, 0x7fc0
	v_bfe_u32 v5, v3, 16, 1
	v_cmp_o_f32_e32 vcc, v3, v3
	v_add3_u32 v3, v3, v5, s0
	v_cndmask_b32_sdwa v3, v4, v3, vcc dst_sel:DWORD dst_unused:UNUSED_PAD src0_sel:DWORD src1_sel:WORD_1
	s_mov_b64 s[0:1], 0
	s_branch .LBB231_608
.LBB231_604:
	s_mov_b64 s[0:1], -1
                                        ; implicit-def: $vgpr3
	s_branch .LBB231_626
.LBB231_605:
	s_mov_b64 s[0:1], -1
                                        ; implicit-def: $vgpr3
	s_branch .LBB231_614
.LBB231_606:
	s_mov_b64 s[0:1], -1
                                        ; implicit-def: $vgpr3
	s_branch .LBB231_611
.LBB231_607:
	s_mov_b64 s[0:1], -1
                                        ; implicit-def: $vgpr3
.LBB231_608:
	s_andn2_b64 vcc, exec, s[0:1]
	s_cbranch_vccnz .LBB231_610
; %bb.609:
	global_load_dword v3, v[0:1], off
	s_movk_i32 s0, 0x7fff
	v_mov_b32_e32 v4, 0x7fc0
	s_waitcnt vmcnt(0)
	v_bfe_u32 v5, v3, 16, 1
	v_cmp_o_f32_e32 vcc, v3, v3
	v_add3_u32 v3, v3, v5, s0
	v_cndmask_b32_sdwa v3, v4, v3, vcc dst_sel:DWORD dst_unused:UNUSED_PAD src0_sel:DWORD src1_sel:WORD_1
.LBB231_610:
	s_mov_b64 s[0:1], 0
.LBB231_611:
	s_andn2_b64 vcc, exec, s[0:1]
	s_cbranch_vccnz .LBB231_613
; %bb.612:
	global_load_dword v3, v[0:1], off
	s_movk_i32 s0, 0x7fff
	v_mov_b32_e32 v5, 0x7fc0
	s_waitcnt vmcnt(0)
	v_cvt_f32_f16_e32 v4, v3
	v_cmp_o_f16_e32 vcc, v3, v3
	v_bfe_u32 v3, v4, 16, 1
	v_add3_u32 v3, v4, v3, s0
	v_cndmask_b32_sdwa v3, v5, v3, vcc dst_sel:DWORD dst_unused:UNUSED_PAD src0_sel:DWORD src1_sel:WORD_1
.LBB231_613:
	s_mov_b64 s[0:1], 0
.LBB231_614:
	s_andn2_b64 vcc, exec, s[0:1]
	s_cbranch_vccnz .LBB231_625
; %bb.615:
	s_cmp_lt_i32 s36, 6
	s_cbranch_scc1 .LBB231_618
; %bb.616:
	s_cmp_gt_i32 s36, 6
	s_cbranch_scc0 .LBB231_619
; %bb.617:
	global_load_dwordx2 v[3:4], v[0:1], off
	s_movk_i32 s0, 0x7fff
	s_waitcnt vmcnt(0)
	v_cvt_f32_f64_e32 v3, v[3:4]
	v_mov_b32_e32 v4, 0x7fc0
	v_bfe_u32 v5, v3, 16, 1
	v_cmp_o_f32_e32 vcc, v3, v3
	v_add3_u32 v3, v3, v5, s0
	v_cndmask_b32_sdwa v3, v4, v3, vcc dst_sel:DWORD dst_unused:UNUSED_PAD src0_sel:DWORD src1_sel:WORD_1
	s_mov_b64 s[0:1], 0
	s_branch .LBB231_620
.LBB231_618:
	s_mov_b64 s[0:1], -1
                                        ; implicit-def: $vgpr3
	s_branch .LBB231_623
.LBB231_619:
	s_mov_b64 s[0:1], -1
                                        ; implicit-def: $vgpr3
.LBB231_620:
	s_andn2_b64 vcc, exec, s[0:1]
	s_cbranch_vccnz .LBB231_622
; %bb.621:
	global_load_dword v3, v[0:1], off
	s_movk_i32 s0, 0x7fff
	v_mov_b32_e32 v4, 0x7fc0
	s_waitcnt vmcnt(0)
	v_bfe_u32 v5, v3, 16, 1
	v_cmp_o_f32_e32 vcc, v3, v3
	v_add3_u32 v3, v3, v5, s0
	v_cndmask_b32_sdwa v3, v4, v3, vcc dst_sel:DWORD dst_unused:UNUSED_PAD src0_sel:DWORD src1_sel:WORD_1
.LBB231_622:
	s_mov_b64 s[0:1], 0
.LBB231_623:
	s_andn2_b64 vcc, exec, s[0:1]
	s_cbranch_vccnz .LBB231_625
; %bb.624:
	global_load_ushort v3, v[0:1], off
	s_movk_i32 s0, 0x7fff
	v_mov_b32_e32 v5, 0x7fc0
	s_waitcnt vmcnt(0)
	v_cvt_f32_f16_e32 v4, v3
	v_cmp_o_f16_e32 vcc, v3, v3
	v_bfe_u32 v3, v4, 16, 1
	v_add3_u32 v3, v4, v3, s0
	v_cndmask_b32_sdwa v3, v5, v3, vcc dst_sel:DWORD dst_unused:UNUSED_PAD src0_sel:DWORD src1_sel:WORD_1
.LBB231_625:
	s_mov_b64 s[0:1], 0
.LBB231_626:
	s_andn2_b64 vcc, exec, s[0:1]
	s_cbranch_vccnz .LBB231_646
; %bb.627:
	s_cmp_lt_i32 s36, 2
	s_cbranch_scc1 .LBB231_631
; %bb.628:
	s_cmp_lt_i32 s36, 3
	s_cbranch_scc1 .LBB231_632
; %bb.629:
	s_cmp_gt_i32 s36, 3
	s_cbranch_scc0 .LBB231_633
; %bb.630:
	global_load_dwordx2 v[3:4], v[0:1], off
	s_movk_i32 s0, 0x7fff
	s_waitcnt vmcnt(0)
	v_xor_b32_e32 v6, v3, v4
	v_ffbh_i32_e32 v5, v4
	v_ashrrev_i32_e32 v6, 31, v6
	v_add_u32_e32 v5, -1, v5
	v_add_u32_e32 v6, 32, v6
	v_min_u32_e32 v5, v5, v6
	v_lshlrev_b64 v[3:4], v5, v[3:4]
	v_min_u32_e32 v3, 1, v3
	v_or_b32_e32 v3, v4, v3
	v_cvt_f32_i32_e32 v3, v3
	v_sub_u32_e32 v4, 32, v5
	v_ldexp_f32 v3, v3, v4
	v_bfe_u32 v4, v3, 16, 1
	v_add3_u32 v3, v3, v4, s0
	v_lshrrev_b32_e32 v3, 16, v3
	s_mov_b64 s[0:1], 0
	s_branch .LBB231_634
.LBB231_631:
	s_mov_b64 s[0:1], -1
                                        ; implicit-def: $vgpr3
	s_branch .LBB231_640
.LBB231_632:
	s_mov_b64 s[0:1], -1
                                        ; implicit-def: $vgpr3
	s_branch .LBB231_637
.LBB231_633:
	s_mov_b64 s[0:1], -1
                                        ; implicit-def: $vgpr3
.LBB231_634:
	s_andn2_b64 vcc, exec, s[0:1]
	s_cbranch_vccnz .LBB231_636
; %bb.635:
	global_load_dword v3, v[0:1], off
	s_movk_i32 s0, 0x7fff
	s_waitcnt vmcnt(0)
	v_cvt_f32_i32_e32 v3, v3
	v_bfe_u32 v4, v3, 16, 1
	v_add3_u32 v3, v3, v4, s0
	v_lshrrev_b32_e32 v3, 16, v3
.LBB231_636:
	s_mov_b64 s[0:1], 0
.LBB231_637:
	s_andn2_b64 vcc, exec, s[0:1]
	s_cbranch_vccnz .LBB231_639
; %bb.638:
	global_load_sshort v3, v[0:1], off
	s_movk_i32 s0, 0x7fff
	s_waitcnt vmcnt(0)
	v_cvt_f32_i32_e32 v3, v3
	v_bfe_u32 v4, v3, 16, 1
	v_add3_u32 v3, v3, v4, s0
	v_lshrrev_b32_e32 v3, 16, v3
.LBB231_639:
	s_mov_b64 s[0:1], 0
.LBB231_640:
	s_andn2_b64 vcc, exec, s[0:1]
	s_cbranch_vccnz .LBB231_646
; %bb.641:
	s_cmp_gt_i32 s36, 0
	s_cbranch_scc0 .LBB231_643
; %bb.642:
	global_load_sbyte v3, v[0:1], off
	s_movk_i32 s0, 0x7fff
	s_waitcnt vmcnt(0)
	v_cvt_f32_i32_e32 v3, v3
	v_bfe_u32 v4, v3, 16, 1
	v_add3_u32 v3, v3, v4, s0
	v_lshrrev_b32_e32 v3, 16, v3
	s_mov_b64 s[0:1], 0
	s_branch .LBB231_644
.LBB231_643:
	s_mov_b64 s[0:1], -1
                                        ; implicit-def: $vgpr3
.LBB231_644:
	s_andn2_b64 vcc, exec, s[0:1]
	s_cbranch_vccnz .LBB231_646
; %bb.645:
	global_load_ubyte v0, v[0:1], off
	s_movk_i32 s0, 0x7fff
	s_waitcnt vmcnt(0)
	v_cvt_f32_ubyte0_e32 v0, v0
	v_bfe_u32 v1, v0, 16, 1
	v_add3_u32 v0, v0, v1, s0
	v_lshrrev_b32_e32 v3, 16, v0
.LBB231_646:
	s_mov_b64 s[0:1], -1
.LBB231_647:
	s_andn2_b64 vcc, exec, s[0:1]
	s_cbranch_vccnz .LBB231_655
; %bb.648:
	v_mul_lo_u32 v4, v2, s12
	s_waitcnt vmcnt(0)
	v_lshlrev_b32_e32 v0, 16, v3
	v_mov_b32_e32 v1, s15
	v_mov_b32_e32 v3, s33
	v_cmp_ge_f32_e32 vcc, s46, v0
	v_cndmask_b32_e32 v3, v1, v3, vcc
	v_ashrrev_i32_e32 v1, 31, v4
	v_mov_b32_e32 v5, s9
	s_and_b32 s38, s14, 0xff
	v_add_co_u32_e32 v0, vcc, s8, v4
	s_cmp_lt_i32 s38, 11
	v_addc_co_u32_e32 v1, vcc, v5, v1, vcc
	s_cbranch_scc1 .LBB231_656
; %bb.649:
	s_and_b32 s39, 0xffff, s38
	s_cmp_gt_i32 s39, 25
	s_cbranch_scc0 .LBB231_657
; %bb.650:
	s_cmp_gt_i32 s39, 28
	s_cbranch_scc0 .LBB231_658
; %bb.651:
	;; [unrolled: 3-line block ×4, first 2 shown]
	s_mov_b64 s[34:35], 0
	s_mov_b64 s[0:1], -1
	s_cmp_eq_u32 s39, 46
	s_mov_b64 s[30:31], 0
	s_cbranch_scc0 .LBB231_661
; %bb.654:
	v_and_b32_e32 v4, 0xffff, v3
	global_store_dword v[0:1], v4, off
	s_mov_b64 s[30:31], -1
	s_mov_b64 s[0:1], 0
	s_branch .LBB231_661
.LBB231_655:
	s_mov_b64 s[34:35], 0
	s_mov_b64 s[0:1], s[22:23]
	s_branch .LBB231_772
.LBB231_656:
	s_mov_b64 s[34:35], -1
	s_mov_b64 s[30:31], 0
	s_mov_b64 s[0:1], s[22:23]
	s_branch .LBB231_730
.LBB231_657:
	s_mov_b64 s[34:35], -1
	s_mov_b64 s[30:31], 0
	s_mov_b64 s[0:1], s[22:23]
	s_branch .LBB231_688
.LBB231_658:
	s_mov_b64 s[34:35], -1
	s_mov_b64 s[30:31], 0
	s_mov_b64 s[0:1], s[22:23]
	s_branch .LBB231_671
.LBB231_659:
	s_mov_b64 s[34:35], -1
	s_mov_b64 s[30:31], 0
	s_mov_b64 s[0:1], s[22:23]
	s_branch .LBB231_667
.LBB231_660:
	s_mov_b64 s[34:35], -1
	s_mov_b64 s[30:31], 0
	s_mov_b64 s[0:1], s[22:23]
.LBB231_661:
	s_and_b64 vcc, exec, s[34:35]
	s_cbranch_vccz .LBB231_666
; %bb.662:
	s_cmp_eq_u32 s39, 44
	s_mov_b64 s[0:1], -1
	s_cbranch_scc0 .LBB231_666
; %bb.663:
	v_and_b32_e32 v5, 0xffff, v3
	v_bfe_u32 v4, v5, 7, 8
	s_movk_i32 s0, 0xff
	v_cmp_ne_u32_e32 vcc, s0, v4
	v_mov_b32_e32 v6, 0xff
	s_and_saveexec_b64 s[30:31], vcc
	s_cbranch_execz .LBB231_665
; %bb.664:
	v_lshlrev_b32_e32 v7, 16, v5
	s_mov_b32 s0, 0x3f0000
	v_lshrrev_b32_e32 v6, 7, v5
	v_and_b32_e32 v5, 64, v5
	v_and_or_b32 v4, v7, s0, v4
	v_cmp_ne_u32_e32 vcc, 0, v5
	v_cmp_ne_u32_e64 s[0:1], 0, v4
	s_and_b64 s[0:1], vcc, s[0:1]
	v_cndmask_b32_e64 v4, 0, 1, s[0:1]
	v_add_u32_e32 v6, v6, v4
.LBB231_665:
	s_or_b64 exec, exec, s[30:31]
	s_mov_b64 s[30:31], -1
	s_mov_b64 s[0:1], 0
	global_store_byte v[0:1], v6, off
.LBB231_666:
	s_mov_b64 s[34:35], 0
.LBB231_667:
	s_and_b64 vcc, exec, s[34:35]
	s_cbranch_vccz .LBB231_670
; %bb.668:
	s_cmp_eq_u32 s39, 29
	s_mov_b64 s[0:1], -1
	s_cbranch_scc0 .LBB231_670
; %bb.669:
	v_lshlrev_b32_e32 v4, 16, v3
	v_trunc_f32_e32 v4, v4
	v_mul_f32_e32 v5, 0x2f800000, v4
	v_floor_f32_e32 v6, v5
	v_fmac_f32_e32 v4, 0xcf800000, v6
	v_cvt_u32_f32_e32 v5, v6
	v_cvt_u32_f32_e32 v4, v4
	s_mov_b64 s[30:31], -1
	s_mov_b64 s[0:1], 0
	s_mov_b64 s[34:35], 0
	global_store_dwordx2 v[0:1], v[4:5], off
	s_branch .LBB231_671
.LBB231_670:
	s_mov_b64 s[34:35], 0
.LBB231_671:
	s_and_b64 vcc, exec, s[34:35]
	s_cbranch_vccz .LBB231_687
; %bb.672:
	s_cmp_lt_i32 s39, 27
	s_mov_b64 s[30:31], -1
	s_cbranch_scc1 .LBB231_678
; %bb.673:
	s_cmp_gt_i32 s39, 27
	s_cbranch_scc0 .LBB231_675
; %bb.674:
	v_lshlrev_b32_e32 v4, 16, v3
	v_cvt_u32_f32_e32 v4, v4
	s_mov_b64 s[30:31], 0
	global_store_dword v[0:1], v4, off
.LBB231_675:
	s_andn2_b64 vcc, exec, s[30:31]
	s_cbranch_vccnz .LBB231_677
; %bb.676:
	v_lshlrev_b32_e32 v4, 16, v3
	v_cvt_u32_f32_e32 v4, v4
	global_store_short v[0:1], v4, off
.LBB231_677:
	s_mov_b64 s[30:31], 0
.LBB231_678:
	s_andn2_b64 vcc, exec, s[30:31]
	s_cbranch_vccnz .LBB231_686
; %bb.679:
	v_lshlrev_b32_e32 v6, 16, v3
	v_and_b32_e32 v5, 0x7fffffff, v6
	s_mov_b32 s30, 0x43800000
	v_cmp_gt_u32_e32 vcc, s30, v5
	v_mov_b32_e32 v7, 0x80
	s_and_saveexec_b64 s[30:31], vcc
	s_cbranch_execz .LBB231_685
; %bb.680:
	s_mov_b32 s34, 0x3bffffff
	v_and_b32_e32 v4, 0xffff, v3
	v_cmp_lt_u32_e32 vcc, s34, v5
	s_mov_b64 s[34:35], 0
                                        ; implicit-def: $vgpr5
	s_and_saveexec_b64 s[36:37], vcc
	s_xor_b64 s[36:37], exec, s[36:37]
	s_cbranch_execz .LBB231_787
; %bb.681:
	v_bfe_u32 v5, v4, 4, 1
	s_mov_b32 s41, 0x487ffff
	v_add3_u32 v5, v6, v5, s41
	s_mov_b64 s[34:35], exec
	v_lshrrev_b32_e32 v5, 20, v5
                                        ; implicit-def: $vgpr6
	s_andn2_saveexec_b64 s[36:37], s[36:37]
	s_cbranch_execnz .LBB231_788
.LBB231_682:
	s_or_b64 exec, exec, s[36:37]
	v_mov_b32_e32 v7, 0
	s_and_saveexec_b64 s[36:37], s[34:35]
.LBB231_683:
	v_lshrrev_b32_e32 v4, 8, v4
	s_movk_i32 s34, 0x80
	v_and_or_b32 v7, v4, s34, v5
.LBB231_684:
	s_or_b64 exec, exec, s[36:37]
.LBB231_685:
	s_or_b64 exec, exec, s[30:31]
	global_store_byte v[0:1], v7, off
.LBB231_686:
	s_mov_b64 s[30:31], -1
.LBB231_687:
	s_mov_b64 s[34:35], 0
.LBB231_688:
	s_and_b64 vcc, exec, s[34:35]
	s_cbranch_vccz .LBB231_729
; %bb.689:
	s_cmp_gt_i32 s39, 22
	s_mov_b64 s[34:35], -1
	s_cbranch_scc0 .LBB231_721
; %bb.690:
	s_cmp_lt_i32 s39, 24
	s_mov_b64 s[30:31], -1
	s_cbranch_scc1 .LBB231_710
; %bb.691:
	s_cmp_gt_i32 s39, 24
	s_cbranch_scc0 .LBB231_699
; %bb.692:
	v_lshlrev_b32_e32 v6, 16, v3
	v_and_b32_e32 v5, 0x7fffffff, v6
	s_mov_b32 s30, 0x47800000
	v_cmp_gt_u32_e32 vcc, s30, v5
	v_mov_b32_e32 v7, 0x80
	s_and_saveexec_b64 s[30:31], vcc
	s_cbranch_execz .LBB231_698
; %bb.693:
	s_mov_b32 s34, 0x37ffffff
	v_and_b32_e32 v4, 0xffff, v3
	v_cmp_lt_u32_e32 vcc, s34, v5
	s_mov_b64 s[34:35], 0
                                        ; implicit-def: $vgpr5
	s_and_saveexec_b64 s[36:37], vcc
	s_xor_b64 s[36:37], exec, s[36:37]
	s_cbranch_execz .LBB231_790
; %bb.694:
	v_bfe_u32 v5, v4, 5, 1
	s_mov_b32 s41, 0x88fffff
	v_add3_u32 v5, v6, v5, s41
	s_mov_b64 s[34:35], exec
	v_lshrrev_b32_e32 v5, 21, v5
                                        ; implicit-def: $vgpr6
	s_andn2_saveexec_b64 s[36:37], s[36:37]
	s_cbranch_execnz .LBB231_791
.LBB231_695:
	s_or_b64 exec, exec, s[36:37]
	v_mov_b32_e32 v7, 0
	s_and_saveexec_b64 s[36:37], s[34:35]
.LBB231_696:
	v_lshrrev_b32_e32 v4, 8, v4
	s_movk_i32 s34, 0x80
	v_and_or_b32 v7, v4, s34, v5
.LBB231_697:
	s_or_b64 exec, exec, s[36:37]
.LBB231_698:
	s_or_b64 exec, exec, s[30:31]
	s_mov_b64 s[30:31], 0
	global_store_byte v[0:1], v7, off
.LBB231_699:
	s_and_b64 vcc, exec, s[30:31]
	s_cbranch_vccz .LBB231_709
; %bb.700:
	v_lshlrev_b32_e32 v6, 16, v3
	v_and_b32_e32 v7, 0x7fffffff, v6
	s_mov_b32 s30, 0x43f00000
	v_and_b32_e32 v4, 0xffff, v3
	v_cmp_gt_u32_e32 vcc, s30, v7
                                        ; implicit-def: $vgpr5
	s_and_saveexec_b64 s[30:31], vcc
	s_xor_b64 s[30:31], exec, s[30:31]
	s_cbranch_execz .LBB231_706
; %bb.701:
	s_mov_b32 s34, 0x3c7fffff
	v_cmp_lt_u32_e32 vcc, s34, v7
                                        ; implicit-def: $vgpr5
	s_and_saveexec_b64 s[34:35], vcc
	s_xor_b64 s[34:35], exec, s[34:35]
; %bb.702:
	v_bfe_u32 v5, v4, 4, 1
	s_mov_b32 s36, 0x407ffff
	v_add3_u32 v5, v6, v5, s36
	v_lshrrev_b32_e32 v6, 20, v5
	v_and_b32_e32 v5, 0xff00000, v5
	s_mov_b32 s36, 0x7f00000
	v_mov_b32_e32 v7, 0x7e
	v_cmp_ne_u32_e32 vcc, s36, v5
	v_cndmask_b32_e32 v5, v7, v6, vcc
                                        ; implicit-def: $vgpr6
; %bb.703:
	s_andn2_saveexec_b64 s[34:35], s[34:35]
; %bb.704:
	s_mov_b32 s36, 0x46800000
	v_add_f32_e64 v5, |v6|, s36
; %bb.705:
	s_or_b64 exec, exec, s[34:35]
                                        ; implicit-def: $vgpr7
.LBB231_706:
	s_andn2_saveexec_b64 s[30:31], s[30:31]
; %bb.707:
	s_mov_b32 s34, 0x7f800000
	v_mov_b32_e32 v5, 0x7e
	v_mov_b32_e32 v6, 0x7f
	v_cmp_lt_u32_e32 vcc, s34, v7
	v_cndmask_b32_e32 v5, v5, v6, vcc
; %bb.708:
	s_or_b64 exec, exec, s[30:31]
	v_lshrrev_b32_e32 v4, 8, v4
	s_movk_i32 s30, 0x80
	v_and_or_b32 v4, v4, s30, v5
	global_store_byte v[0:1], v4, off
.LBB231_709:
	s_mov_b64 s[30:31], 0
.LBB231_710:
	s_andn2_b64 vcc, exec, s[30:31]
	s_cbranch_vccnz .LBB231_720
; %bb.711:
	v_lshlrev_b32_e32 v6, 16, v3
	v_and_b32_e32 v7, 0x7fffffff, v6
	s_mov_b32 s30, 0x47800000
	v_and_b32_e32 v4, 0xffff, v3
	v_cmp_gt_u32_e32 vcc, s30, v7
                                        ; implicit-def: $vgpr5
	s_and_saveexec_b64 s[30:31], vcc
	s_xor_b64 s[30:31], exec, s[30:31]
	s_cbranch_execz .LBB231_717
; %bb.712:
	s_mov_b32 s34, 0x387fffff
	v_cmp_lt_u32_e32 vcc, s34, v7
                                        ; implicit-def: $vgpr5
	s_and_saveexec_b64 s[34:35], vcc
	s_xor_b64 s[34:35], exec, s[34:35]
; %bb.713:
	v_bfe_u32 v5, v4, 5, 1
	s_mov_b32 s36, 0x80fffff
	v_add3_u32 v5, v6, v5, s36
	v_lshrrev_b32_e32 v5, 21, v5
                                        ; implicit-def: $vgpr6
; %bb.714:
	s_andn2_saveexec_b64 s[34:35], s[34:35]
; %bb.715:
	s_mov_b32 s36, 0x43000000
	v_add_f32_e64 v5, |v6|, s36
; %bb.716:
	s_or_b64 exec, exec, s[34:35]
                                        ; implicit-def: $vgpr7
.LBB231_717:
	s_andn2_saveexec_b64 s[30:31], s[30:31]
; %bb.718:
	s_mov_b32 s34, 0x7f800000
	v_mov_b32_e32 v5, 0x7c
	v_mov_b32_e32 v6, 0x7f
	v_cmp_lt_u32_e32 vcc, s34, v7
	v_cndmask_b32_e32 v5, v5, v6, vcc
; %bb.719:
	s_or_b64 exec, exec, s[30:31]
	v_lshrrev_b32_e32 v4, 8, v4
	s_movk_i32 s30, 0x80
	v_and_or_b32 v4, v4, s30, v5
	global_store_byte v[0:1], v4, off
.LBB231_720:
	s_mov_b64 s[34:35], 0
	s_mov_b64 s[30:31], -1
.LBB231_721:
	s_andn2_b64 vcc, exec, s[34:35]
	s_cbranch_vccnz .LBB231_729
; %bb.722:
	s_cmp_gt_i32 s39, 14
	s_mov_b64 s[34:35], -1
	s_cbranch_scc0 .LBB231_726
; %bb.723:
	s_cmp_eq_u32 s39, 15
	s_mov_b64 s[0:1], -1
	s_cbranch_scc0 .LBB231_725
; %bb.724:
	global_store_short v[0:1], v3, off
	s_mov_b64 s[30:31], -1
	s_mov_b64 s[0:1], 0
.LBB231_725:
	s_mov_b64 s[34:35], 0
.LBB231_726:
	s_and_b64 vcc, exec, s[34:35]
	s_cbranch_vccz .LBB231_729
; %bb.727:
	s_cmp_eq_u32 s39, 11
	s_mov_b64 s[0:1], -1
	s_cbranch_scc0 .LBB231_729
; %bb.728:
	v_and_b32_e32 v4, 0x7fff, v3
	v_cmp_ne_u16_e32 vcc, 0, v4
	v_cndmask_b32_e64 v4, 0, 1, vcc
	s_mov_b64 s[30:31], -1
	s_mov_b64 s[0:1], 0
	global_store_byte v[0:1], v4, off
.LBB231_729:
	s_mov_b64 s[34:35], 0
.LBB231_730:
	s_and_b64 vcc, exec, s[34:35]
	s_cbranch_vccz .LBB231_769
; %bb.731:
	s_and_b32 s34, 0xffff, s38
	s_cmp_lt_i32 s34, 5
	s_mov_b64 s[30:31], -1
	s_cbranch_scc1 .LBB231_752
; %bb.732:
	s_cmp_lt_i32 s34, 8
	s_cbranch_scc1 .LBB231_742
; %bb.733:
	s_cmp_lt_i32 s34, 9
	s_cbranch_scc1 .LBB231_739
; %bb.734:
	s_cmp_gt_i32 s34, 9
	s_cbranch_scc0 .LBB231_736
; %bb.735:
	v_lshlrev_b32_e32 v4, 16, v3
	v_cvt_f64_f32_e32 v[4:5], v4
	v_mov_b32_e32 v6, 0
	v_mov_b32_e32 v7, v6
	s_mov_b64 s[30:31], 0
	global_store_dwordx4 v[0:1], v[4:7], off
.LBB231_736:
	s_andn2_b64 vcc, exec, s[30:31]
	s_cbranch_vccnz .LBB231_738
; %bb.737:
	v_lshlrev_b32_e32 v4, 16, v3
	v_mov_b32_e32 v5, 0
	global_store_dwordx2 v[0:1], v[4:5], off
.LBB231_738:
	s_mov_b64 s[30:31], 0
.LBB231_739:
	s_andn2_b64 vcc, exec, s[30:31]
	s_cbranch_vccnz .LBB231_741
; %bb.740:
	v_lshlrev_b32_e32 v4, 16, v3
	v_cvt_f16_f32_e32 v4, v4
	global_store_dword v[0:1], v4, off
.LBB231_741:
	s_mov_b64 s[30:31], 0
.LBB231_742:
	s_andn2_b64 vcc, exec, s[30:31]
	s_cbranch_vccnz .LBB231_751
; %bb.743:
	s_cmp_lt_i32 s34, 6
	s_mov_b64 s[30:31], -1
	s_cbranch_scc1 .LBB231_749
; %bb.744:
	s_cmp_gt_i32 s34, 6
	s_cbranch_scc0 .LBB231_746
; %bb.745:
	v_lshlrev_b32_e32 v4, 16, v3
	v_cvt_f64_f32_e32 v[4:5], v4
	s_mov_b64 s[30:31], 0
	global_store_dwordx2 v[0:1], v[4:5], off
.LBB231_746:
	s_andn2_b64 vcc, exec, s[30:31]
	s_cbranch_vccnz .LBB231_748
; %bb.747:
	v_lshlrev_b32_e32 v4, 16, v3
	global_store_dword v[0:1], v4, off
.LBB231_748:
	s_mov_b64 s[30:31], 0
.LBB231_749:
	s_andn2_b64 vcc, exec, s[30:31]
	s_cbranch_vccnz .LBB231_751
; %bb.750:
	v_lshlrev_b32_e32 v4, 16, v3
	v_cvt_f16_f32_e32 v4, v4
	global_store_short v[0:1], v4, off
.LBB231_751:
	s_mov_b64 s[30:31], 0
.LBB231_752:
	s_andn2_b64 vcc, exec, s[30:31]
	s_cbranch_vccnz .LBB231_768
; %bb.753:
	s_cmp_lt_i32 s34, 2
	s_mov_b64 s[30:31], -1
	s_cbranch_scc1 .LBB231_763
; %bb.754:
	s_cmp_lt_i32 s34, 3
	s_cbranch_scc1 .LBB231_760
; %bb.755:
	s_cmp_gt_i32 s34, 3
	s_cbranch_scc0 .LBB231_757
; %bb.756:
	v_lshlrev_b32_e32 v4, 16, v3
	v_trunc_f32_e32 v4, v4
	s_mov_b32 s30, 0x2f800000
	v_mul_f32_e64 v5, |v4|, s30
	v_floor_f32_e32 v5, v5
	s_mov_b32 s30, 0xcf800000
	v_cvt_u32_f32_e32 v6, v5
	v_fma_f32 v5, v5, s30, |v4|
	v_cvt_u32_f32_e32 v5, v5
	v_ashrrev_i32_e32 v7, 31, v4
	v_xor_b32_e32 v6, v6, v7
	s_mov_b64 s[30:31], 0
	v_xor_b32_e32 v4, v5, v7
	v_sub_co_u32_e32 v4, vcc, v4, v7
	v_subb_co_u32_e32 v5, vcc, v6, v7, vcc
	global_store_dwordx2 v[0:1], v[4:5], off
.LBB231_757:
	s_andn2_b64 vcc, exec, s[30:31]
	s_cbranch_vccnz .LBB231_759
; %bb.758:
	v_lshlrev_b32_e32 v4, 16, v3
	v_cvt_i32_f32_e32 v4, v4
	global_store_dword v[0:1], v4, off
.LBB231_759:
	s_mov_b64 s[30:31], 0
.LBB231_760:
	s_andn2_b64 vcc, exec, s[30:31]
	s_cbranch_vccnz .LBB231_762
; %bb.761:
	v_lshlrev_b32_e32 v4, 16, v3
	v_cvt_i32_f32_e32 v4, v4
	global_store_short v[0:1], v4, off
.LBB231_762:
	s_mov_b64 s[30:31], 0
.LBB231_763:
	s_andn2_b64 vcc, exec, s[30:31]
	s_cbranch_vccnz .LBB231_768
; %bb.764:
	s_mov_b64 s[30:31], -1
	s_cmp_gt_i32 s34, 0
	v_lshlrev_b32_e32 v3, 16, v3
	s_cbranch_scc0 .LBB231_766
; %bb.765:
	v_cvt_i32_f32_e32 v4, v3
	s_mov_b64 s[30:31], 0
	global_store_byte v[0:1], v4, off
.LBB231_766:
	s_andn2_b64 vcc, exec, s[30:31]
	s_cbranch_vccnz .LBB231_768
; %bb.767:
	v_trunc_f32_e32 v3, v3
	s_mov_b32 s30, 0x2f800000
	v_mul_f32_e64 v4, |v3|, s30
	v_floor_f32_e32 v4, v4
	s_mov_b32 s30, 0xcf800000
	v_fma_f32 v4, v4, s30, |v3|
	v_cvt_u32_f32_e32 v4, v4
	v_ashrrev_i32_e32 v3, 31, v3
	v_xor_b32_e32 v4, v4, v3
	v_sub_u32_e32 v3, v4, v3
	global_store_byte v[0:1], v3, off
.LBB231_768:
	s_mov_b64 s[30:31], -1
.LBB231_769:
	s_andn2_b64 vcc, exec, s[30:31]
	s_cbranch_vccnz .LBB231_771
; %bb.770:
	v_add_u32_e32 v2, 0x80, v2
	s_mov_b64 s[34:35], -1
	s_branch .LBB231_773
.LBB231_771:
	s_mov_b64 s[34:35], 0
.LBB231_772:
                                        ; implicit-def: $vgpr2
.LBB231_773:
	s_andn2_b64 s[30:31], s[22:23], exec
	s_and_b64 s[0:1], s[0:1], exec
	s_or_b64 s[30:31], s[30:31], s[0:1]
	s_andn2_b64 s[0:1], s[20:21], exec
	s_and_b64 s[28:29], s[28:29], exec
	s_or_b64 s[0:1], s[0:1], s[28:29]
	s_orn2_b64 s[36:37], s[34:35], exec
.LBB231_774:
	s_or_b64 exec, exec, s[26:27]
	s_mov_b64 s[34:35], 0
	s_mov_b64 s[28:29], 0
	;; [unrolled: 1-line block ×3, first 2 shown]
                                        ; implicit-def: $vgpr0_vgpr1
                                        ; implicit-def: $vgpr4
	s_and_saveexec_b64 s[26:27], s[36:37]
	s_cbranch_execz .LBB231_859
; %bb.775:
	v_cmp_gt_i32_e32 vcc, s40, v2
	s_mov_b64 s[36:37], 0
	s_mov_b64 s[40:41], s[0:1]
	;; [unrolled: 1-line block ×3, first 2 shown]
                                        ; implicit-def: $vgpr0_vgpr1
                                        ; implicit-def: $vgpr4
	s_and_saveexec_b64 s[28:29], vcc
	s_cbranch_execz .LBB231_858
; %bb.776:
	v_mul_lo_u32 v0, v2, s13
	v_mov_b32_e32 v1, s11
	s_and_b32 s47, 0xffff, s45
	s_cmp_lt_i32 s47, 11
	s_waitcnt vmcnt(0)
	v_ashrrev_i32_e32 v3, 31, v0
	v_add_co_u32_e32 v0, vcc, s10, v0
	v_addc_co_u32_e32 v1, vcc, v1, v3, vcc
	s_cbranch_scc1 .LBB231_783
; %bb.777:
	s_cmp_gt_i32 s47, 25
	s_cbranch_scc0 .LBB231_784
; %bb.778:
	s_cmp_gt_i32 s47, 28
	s_cbranch_scc0 .LBB231_785
	;; [unrolled: 3-line block ×4, first 2 shown]
; %bb.781:
	s_cmp_eq_u32 s47, 46
	s_mov_b64 s[40:41], 0
	s_cbranch_scc0 .LBB231_792
; %bb.782:
	global_load_dword v4, v[0:1], off
	s_mov_b64 s[38:39], -1
	s_branch .LBB231_794
.LBB231_783:
	s_mov_b64 s[40:41], -1
                                        ; implicit-def: $vgpr4
	s_mov_b64 s[34:35], s[0:1]
	s_branch .LBB231_857
.LBB231_784:
	s_mov_b64 s[40:41], -1
	s_mov_b64 s[34:35], s[0:1]
                                        ; implicit-def: $vgpr4
	s_branch .LBB231_823
.LBB231_785:
	s_mov_b64 s[40:41], -1
	s_mov_b64 s[34:35], s[0:1]
                                        ; implicit-def: $vgpr4
	s_branch .LBB231_804
.LBB231_786:
	s_mov_b64 s[40:41], -1
	s_mov_b64 s[34:35], s[0:1]
                                        ; implicit-def: $vgpr4
	s_branch .LBB231_799
.LBB231_787:
	s_andn2_saveexec_b64 s[36:37], s[36:37]
	s_cbranch_execz .LBB231_682
.LBB231_788:
	s_mov_b32 s41, 0x46000000
	v_add_f32_e64 v5, |v6|, s41
	v_and_b32_e32 v5, 0xff, v5
	v_cmp_ne_u32_e32 vcc, 0, v5
	s_andn2_b64 s[34:35], s[34:35], exec
	s_and_b64 s[42:43], vcc, exec
	s_or_b64 s[34:35], s[34:35], s[42:43]
	s_or_b64 exec, exec, s[36:37]
	v_mov_b32_e32 v7, 0
	s_and_saveexec_b64 s[36:37], s[34:35]
	s_cbranch_execnz .LBB231_683
	s_branch .LBB231_684
.LBB231_789:
	s_mov_b64 s[40:41], -1
	s_mov_b64 s[34:35], s[0:1]
	s_branch .LBB231_793
.LBB231_790:
	s_andn2_saveexec_b64 s[36:37], s[36:37]
	s_cbranch_execz .LBB231_695
.LBB231_791:
	s_mov_b32 s41, 0x42800000
	v_add_f32_e64 v5, |v6|, s41
	v_and_b32_e32 v5, 0xff, v5
	v_cmp_ne_u32_e32 vcc, 0, v5
	s_andn2_b64 s[34:35], s[34:35], exec
	s_and_b64 s[42:43], vcc, exec
	s_or_b64 s[34:35], s[34:35], s[42:43]
	s_or_b64 exec, exec, s[36:37]
	v_mov_b32_e32 v7, 0
	s_and_saveexec_b64 s[36:37], s[34:35]
	s_cbranch_execnz .LBB231_696
	s_branch .LBB231_697
.LBB231_792:
	s_mov_b64 s[34:35], -1
.LBB231_793:
                                        ; implicit-def: $vgpr4
.LBB231_794:
	s_and_b64 vcc, exec, s[40:41]
	s_cbranch_vccz .LBB231_798
; %bb.795:
	s_cmp_eq_u32 s47, 44
	s_cbranch_scc0 .LBB231_797
; %bb.796:
	global_load_ubyte v3, v[0:1], off
	s_movk_i32 s38, 0xff
	s_waitcnt vmcnt(1)
	v_mov_b32_e32 v4, 0x7f800001
	v_mov_b32_e32 v5, 0x400000
	;; [unrolled: 1-line block ×3, first 2 shown]
	s_mov_b64 s[34:35], 0
	s_waitcnt vmcnt(0)
	v_lshlrev_b32_e32 v7, 23, v3
	v_cmp_ne_u32_e32 vcc, s38, v3
	v_cndmask_b32_e32 v4, v4, v7, vcc
	v_cmp_ne_u32_e32 vcc, 0, v3
	v_cndmask_b32_e32 v3, v5, v4, vcc
	v_add_u32_e32 v4, 0x7fff, v3
	v_cmp_o_f32_e32 vcc, v3, v3
	v_cndmask_b32_sdwa v4, v6, v4, vcc dst_sel:DWORD dst_unused:UNUSED_PAD src0_sel:DWORD src1_sel:WORD_1
	s_mov_b64 s[38:39], -1
	s_branch .LBB231_798
.LBB231_797:
	s_mov_b64 s[34:35], -1
                                        ; implicit-def: $vgpr4
.LBB231_798:
	s_mov_b64 s[40:41], 0
.LBB231_799:
	s_and_b64 vcc, exec, s[40:41]
	s_cbranch_vccz .LBB231_803
; %bb.800:
	s_cmp_eq_u32 s47, 29
	s_cbranch_scc0 .LBB231_802
; %bb.801:
	global_load_dwordx2 v[3:4], v[0:1], off
	s_movk_i32 s38, 0x7fff
	s_mov_b64 s[34:35], 0
	s_mov_b64 s[40:41], 0
	s_waitcnt vmcnt(0)
	v_ffbh_u32_e32 v5, v4
	v_min_u32_e32 v5, 32, v5
	v_lshlrev_b64 v[3:4], v5, v[3:4]
	v_min_u32_e32 v3, 1, v3
	v_or_b32_e32 v3, v4, v3
	v_cvt_f32_u32_e32 v3, v3
	v_sub_u32_e32 v4, 32, v5
	v_ldexp_f32 v3, v3, v4
	v_bfe_u32 v4, v3, 16, 1
	v_add3_u32 v3, v3, v4, s38
	v_lshrrev_b32_e32 v4, 16, v3
	s_mov_b64 s[38:39], -1
	s_branch .LBB231_804
.LBB231_802:
	s_mov_b64 s[34:35], -1
                                        ; implicit-def: $vgpr4
.LBB231_803:
	s_mov_b64 s[40:41], 0
.LBB231_804:
	s_and_b64 vcc, exec, s[40:41]
	s_cbranch_vccz .LBB231_822
; %bb.805:
	s_cmp_lt_i32 s47, 27
	s_cbranch_scc1 .LBB231_808
; %bb.806:
	s_cmp_gt_i32 s47, 27
	s_cbranch_scc0 .LBB231_809
; %bb.807:
	global_load_dword v3, v[0:1], off
	s_movk_i32 s38, 0x7fff
	s_waitcnt vmcnt(0)
	v_cvt_f32_u32_e32 v3, v3
	v_bfe_u32 v4, v3, 16, 1
	v_add3_u32 v3, v3, v4, s38
	v_lshrrev_b32_e32 v4, 16, v3
	s_mov_b64 s[38:39], 0
	s_branch .LBB231_810
.LBB231_808:
	s_mov_b64 s[38:39], -1
                                        ; implicit-def: $vgpr4
	s_branch .LBB231_813
.LBB231_809:
	s_mov_b64 s[38:39], -1
                                        ; implicit-def: $vgpr4
.LBB231_810:
	s_andn2_b64 vcc, exec, s[38:39]
	s_cbranch_vccnz .LBB231_812
; %bb.811:
	global_load_ushort v3, v[0:1], off
	s_movk_i32 s38, 0x7fff
	s_waitcnt vmcnt(0)
	v_cvt_f32_u32_e32 v3, v3
	v_bfe_u32 v4, v3, 16, 1
	v_add3_u32 v3, v3, v4, s38
	v_lshrrev_b32_e32 v4, 16, v3
.LBB231_812:
	s_mov_b64 s[38:39], 0
.LBB231_813:
	s_andn2_b64 vcc, exec, s[38:39]
	s_cbranch_vccnz .LBB231_821
; %bb.814:
	global_load_ubyte v3, v[0:1], off
	s_movk_i32 s38, 0x7f
	s_waitcnt vmcnt(0)
	v_cmp_lt_i16_e32 vcc, s38, v3
	s_mov_b64 s[38:39], 0
	s_and_saveexec_b64 s[40:41], vcc
	s_xor_b64 s[40:41], exec, s[40:41]
	s_cbranch_execz .LBB231_835
; %bb.815:
	s_movk_i32 s38, 0x80
	v_cmp_eq_u16_e32 vcc, s38, v3
	s_mov_b64 s[38:39], -1
	s_and_saveexec_b64 s[42:43], vcc
; %bb.816:
	s_xor_b64 s[38:39], exec, -1
; %bb.817:
	s_or_b64 exec, exec, s[42:43]
	s_and_b64 s[38:39], s[38:39], exec
	s_or_saveexec_b64 s[40:41], s[40:41]
	v_mov_b32_e32 v4, 0x7f800001
	s_xor_b64 exec, exec, s[40:41]
	s_cbranch_execnz .LBB231_836
.LBB231_818:
	s_or_b64 exec, exec, s[40:41]
	s_and_saveexec_b64 s[40:41], s[38:39]
	s_cbranch_execz .LBB231_820
.LBB231_819:
	v_lshlrev_b32_e32 v4, 24, v3
	v_and_b32_e32 v3, 0xffff, v3
	v_and_b32_e32 v5, 7, v3
	v_ffbh_u32_e32 v7, v5
	v_min_u32_e32 v7, 32, v7
	v_subrev_u32_e32 v8, 28, v7
	v_bfe_u32 v6, v3, 3, 4
	v_lshlrev_b32_e32 v3, v8, v3
	v_sub_u32_e32 v7, 29, v7
	v_and_b32_e32 v3, 7, v3
	v_cmp_eq_u32_e32 vcc, 0, v6
	v_cndmask_b32_e32 v6, v6, v7, vcc
	v_cndmask_b32_e32 v3, v5, v3, vcc
	v_mov_b32_e32 v5, 0x3b800000
	v_lshlrev_b32_e32 v3, 20, v3
	v_and_b32_e32 v4, 0x80000000, v4
	v_lshl_add_u32 v5, v6, 23, v5
	v_or3_b32 v4, v4, v5, v3
.LBB231_820:
	s_or_b64 exec, exec, s[40:41]
	v_bfe_u32 v3, v4, 16, 1
	s_movk_i32 s38, 0x7fff
	v_add3_u32 v3, v4, v3, s38
	v_cmp_o_f32_e32 vcc, v4, v4
	v_mov_b32_e32 v4, 0x7fc0
	v_cndmask_b32_sdwa v4, v4, v3, vcc dst_sel:DWORD dst_unused:UNUSED_PAD src0_sel:DWORD src1_sel:WORD_1
.LBB231_821:
	s_mov_b64 s[38:39], -1
.LBB231_822:
	s_mov_b64 s[40:41], 0
.LBB231_823:
	s_and_b64 vcc, exec, s[40:41]
	s_cbranch_vccz .LBB231_856
; %bb.824:
	s_cmp_gt_i32 s47, 22
	s_cbranch_scc0 .LBB231_834
; %bb.825:
	s_cmp_lt_i32 s47, 24
	s_cbranch_scc1 .LBB231_837
; %bb.826:
	s_cmp_gt_i32 s47, 24
	s_cbranch_scc0 .LBB231_838
; %bb.827:
	global_load_ubyte v3, v[0:1], off
	s_movk_i32 s36, 0x7f
	s_waitcnt vmcnt(0)
	v_cmp_lt_i16_e32 vcc, s36, v3
	s_mov_b64 s[36:37], 0
	s_and_saveexec_b64 s[38:39], vcc
	s_xor_b64 s[38:39], exec, s[38:39]
	s_cbranch_execz .LBB231_850
; %bb.828:
	s_movk_i32 s36, 0x80
	v_cmp_eq_u16_e32 vcc, s36, v3
	s_mov_b64 s[36:37], -1
	s_and_saveexec_b64 s[40:41], vcc
; %bb.829:
	s_xor_b64 s[36:37], exec, -1
; %bb.830:
	s_or_b64 exec, exec, s[40:41]
	s_and_b64 s[36:37], s[36:37], exec
	s_or_saveexec_b64 s[38:39], s[38:39]
	v_mov_b32_e32 v4, 0x7f800001
	s_xor_b64 exec, exec, s[38:39]
	s_cbranch_execnz .LBB231_851
.LBB231_831:
	s_or_b64 exec, exec, s[38:39]
	s_and_saveexec_b64 s[38:39], s[36:37]
	s_cbranch_execz .LBB231_833
.LBB231_832:
	v_lshlrev_b32_e32 v4, 24, v3
	v_and_b32_e32 v3, 0xffff, v3
	v_and_b32_e32 v5, 3, v3
	v_ffbh_u32_e32 v7, v5
	v_min_u32_e32 v7, 32, v7
	v_subrev_u32_e32 v8, 29, v7
	v_bfe_u32 v6, v3, 2, 5
	v_lshlrev_b32_e32 v3, v8, v3
	v_sub_u32_e32 v7, 30, v7
	v_and_b32_e32 v3, 3, v3
	v_cmp_eq_u32_e32 vcc, 0, v6
	v_cndmask_b32_e32 v6, v6, v7, vcc
	v_cndmask_b32_e32 v3, v5, v3, vcc
	v_mov_b32_e32 v5, 0x37800000
	v_lshlrev_b32_e32 v3, 21, v3
	v_and_b32_e32 v4, 0x80000000, v4
	v_lshl_add_u32 v5, v6, 23, v5
	v_or3_b32 v4, v4, v5, v3
.LBB231_833:
	s_or_b64 exec, exec, s[38:39]
	v_bfe_u32 v3, v4, 16, 1
	s_movk_i32 s36, 0x7fff
	v_add3_u32 v3, v4, v3, s36
	v_cmp_o_f32_e32 vcc, v4, v4
	v_mov_b32_e32 v4, 0x7fc0
	v_cndmask_b32_sdwa v4, v4, v3, vcc dst_sel:DWORD dst_unused:UNUSED_PAD src0_sel:DWORD src1_sel:WORD_1
	s_mov_b64 s[36:37], 0
	s_branch .LBB231_839
.LBB231_834:
	s_mov_b64 s[36:37], -1
                                        ; implicit-def: $vgpr4
	s_branch .LBB231_845
.LBB231_835:
	s_or_saveexec_b64 s[40:41], s[40:41]
	v_mov_b32_e32 v4, 0x7f800001
	s_xor_b64 exec, exec, s[40:41]
	s_cbranch_execz .LBB231_818
.LBB231_836:
	v_cmp_ne_u16_e32 vcc, 0, v3
	s_andn2_b64 s[38:39], s[38:39], exec
	s_and_b64 s[42:43], vcc, exec
	v_mov_b32_e32 v4, 0
	s_or_b64 s[38:39], s[38:39], s[42:43]
	s_or_b64 exec, exec, s[40:41]
	s_and_saveexec_b64 s[40:41], s[38:39]
	s_cbranch_execnz .LBB231_819
	s_branch .LBB231_820
.LBB231_837:
	s_mov_b64 s[36:37], -1
                                        ; implicit-def: $vgpr4
	s_branch .LBB231_842
.LBB231_838:
	s_mov_b64 s[36:37], -1
                                        ; implicit-def: $vgpr4
.LBB231_839:
	s_and_b64 vcc, exec, s[36:37]
	s_cbranch_vccz .LBB231_841
; %bb.840:
	global_load_ubyte v3, v[0:1], off
	s_mov_b32 s36, 0x7f800000
	s_brev_b32 s37, 1
	s_movk_i32 s38, 0x7fff
	s_waitcnt vmcnt(0)
	v_lshlrev_b32_e32 v3, 24, v3
	v_and_b32_e32 v4, 0x7f000000, v3
	v_ffbh_u32_e32 v5, v4
	v_min_u32_e32 v5, 32, v5
	v_sub_u32_e64 v5, v5, 4 clamp
	v_lshlrev_b32_e32 v7, v5, v4
	v_lshlrev_b32_e32 v5, 23, v5
	v_lshrrev_b32_e32 v7, 4, v7
	v_add_u32_e32 v6, 0x1000000, v4
	v_sub_u32_e32 v5, v7, v5
	v_ashrrev_i32_e32 v6, 8, v6
	v_add_u32_e32 v5, 0x3c000000, v5
	v_and_or_b32 v5, v6, s36, v5
	v_cmp_ne_u32_e32 vcc, 0, v4
	v_cndmask_b32_e32 v4, 0, v5, vcc
	v_and_or_b32 v3, v3, s37, v4
	v_bfe_u32 v4, v4, 16, 1
	v_add3_u32 v4, v3, v4, s38
	v_cmp_o_f32_e32 vcc, v3, v3
	v_mov_b32_e32 v3, 0x7fc0
	v_cndmask_b32_sdwa v4, v3, v4, vcc dst_sel:DWORD dst_unused:UNUSED_PAD src0_sel:DWORD src1_sel:WORD_1
.LBB231_841:
	s_mov_b64 s[36:37], 0
.LBB231_842:
	s_andn2_b64 vcc, exec, s[36:37]
	s_cbranch_vccnz .LBB231_844
; %bb.843:
	global_load_ubyte v3, v[0:1], off
	s_movk_i32 s36, 0x7f00
	s_brev_b32 s37, 16
	s_brev_b32 s38, 1
	s_movk_i32 s39, 0x7fff
	s_waitcnt vmcnt(0)
	v_lshlrev_b16_e32 v4, 8, v3
	v_lshlrev_b32_e32 v3, 25, v3
	v_lshrrev_b32_e32 v5, 4, v3
	v_and_or_b32 v6, v4, s36, 0.5
	v_or_b32_e32 v5, 0x70000000, v5
	v_add_f32_e32 v6, -0.5, v6
	v_mul_f32_e32 v5, 0x7800000, v5
	v_cmp_gt_u32_e32 vcc, s37, v3
	v_bfe_i32 v4, v4, 0, 16
	v_cndmask_b32_e32 v3, v5, v6, vcc
	v_and_or_b32 v4, v4, s38, v3
	v_bfe_u32 v3, v3, 16, 1
	v_add3_u32 v3, v4, v3, s39
	v_cmp_o_f32_e32 vcc, v4, v4
	v_mov_b32_e32 v4, 0x7fc0
	v_cndmask_b32_sdwa v4, v4, v3, vcc dst_sel:DWORD dst_unused:UNUSED_PAD src0_sel:DWORD src1_sel:WORD_1
.LBB231_844:
	s_mov_b64 s[36:37], 0
	s_mov_b64 s[38:39], -1
.LBB231_845:
	s_andn2_b64 vcc, exec, s[36:37]
	s_mov_b64 s[36:37], 0
	s_cbranch_vccnz .LBB231_856
; %bb.846:
	s_cmp_gt_i32 s47, 14
	s_cbranch_scc0 .LBB231_849
; %bb.847:
	s_cmp_eq_u32 s47, 15
	s_cbranch_scc0 .LBB231_852
; %bb.848:
	global_load_ushort v4, v[0:1], off
	s_mov_b64 s[34:35], 0
	s_mov_b64 s[38:39], -1
	s_branch .LBB231_853
.LBB231_849:
	s_mov_b64 s[40:41], -1
                                        ; implicit-def: $vgpr4
	s_branch .LBB231_854
.LBB231_850:
	s_or_saveexec_b64 s[38:39], s[38:39]
	v_mov_b32_e32 v4, 0x7f800001
	s_xor_b64 exec, exec, s[38:39]
	s_cbranch_execz .LBB231_831
.LBB231_851:
	v_cmp_ne_u16_e32 vcc, 0, v3
	s_andn2_b64 s[36:37], s[36:37], exec
	s_and_b64 s[40:41], vcc, exec
	v_mov_b32_e32 v4, 0
	s_or_b64 s[36:37], s[36:37], s[40:41]
	s_or_b64 exec, exec, s[38:39]
	s_and_saveexec_b64 s[38:39], s[36:37]
	s_cbranch_execnz .LBB231_832
	s_branch .LBB231_833
.LBB231_852:
	s_mov_b64 s[34:35], -1
                                        ; implicit-def: $vgpr4
.LBB231_853:
	s_mov_b64 s[40:41], 0
.LBB231_854:
	s_and_b64 vcc, exec, s[40:41]
	s_cbranch_vccz .LBB231_856
; %bb.855:
	s_cmp_lg_u32 s47, 11
	s_cselect_b64 s[40:41], -1, 0
	s_andn2_b64 s[34:35], s[34:35], exec
	s_and_b64 s[40:41], s[40:41], exec
	s_mov_b64 s[36:37], -1
	s_or_b64 s[34:35], s[34:35], s[40:41]
.LBB231_856:
	s_mov_b64 s[40:41], 0
.LBB231_857:
	s_and_b64 s[42:43], s[40:41], exec
	s_andn2_b64 s[40:41], s[0:1], exec
	s_and_b64 s[34:35], s[34:35], exec
	s_and_b64 s[38:39], s[38:39], exec
	;; [unrolled: 1-line block ×3, first 2 shown]
	s_or_b64 s[40:41], s[40:41], s[34:35]
.LBB231_858:
	s_or_b64 exec, exec, s[28:29]
	s_and_b64 s[34:35], s[36:37], exec
	s_andn2_b64 s[0:1], s[0:1], exec
	s_and_b64 s[36:37], s[40:41], exec
	s_and_b64 s[38:39], s[38:39], exec
	;; [unrolled: 1-line block ×3, first 2 shown]
	s_or_b64 s[0:1], s[0:1], s[36:37]
.LBB231_859:
	s_or_b64 exec, exec, s[26:27]
	s_andn2_b64 s[22:23], s[22:23], exec
	s_and_b64 s[26:27], s[30:31], exec
	s_andn2_b64 s[20:21], s[20:21], exec
	s_and_b64 s[0:1], s[0:1], exec
	s_or_b64 s[22:23], s[22:23], s[26:27]
	s_and_b64 s[30:31], s[38:39], exec
	s_and_b64 s[28:29], s[28:29], exec
	s_and_b64 s[26:27], s[34:35], exec
	s_or_b64 s[20:21], s[20:21], s[0:1]
.LBB231_860:
	s_or_b64 exec, exec, s[24:25]
	s_andn2_b64 s[0:1], s[6:7], exec
	s_and_b64 s[6:7], s[22:23], exec
	s_andn2_b64 s[16:17], s[16:17], exec
	s_and_b64 s[20:21], s[20:21], exec
	s_or_b64 s[6:7], s[0:1], s[6:7]
	s_and_b64 s[0:1], s[30:31], exec
	s_and_b64 s[24:25], s[28:29], exec
	;; [unrolled: 1-line block ×3, first 2 shown]
	s_or_b64 s[16:17], s[16:17], s[20:21]
	s_or_b64 exec, exec, s[18:19]
	s_mov_b64 s[18:19], 0
	s_and_saveexec_b64 s[20:21], s[16:17]
	s_cbranch_execz .LBB231_262
.LBB231_861:
	s_mov_b64 s[18:19], exec
	s_andn2_b64 s[22:23], s[22:23], exec
	s_trap 2
	s_or_b64 exec, exec, s[20:21]
	s_and_saveexec_b64 s[16:17], s[22:23]
	s_xor_b64 s[16:17], exec, s[16:17]
	s_cbranch_execnz .LBB231_263
.LBB231_862:
	s_or_b64 exec, exec, s[16:17]
	s_and_saveexec_b64 s[16:17], s[24:25]
	s_cbranch_execz .LBB231_908
.LBB231_863:
	s_sext_i32_i16 s20, s45
	s_cmp_lt_i32 s20, 5
	s_cbranch_scc1 .LBB231_868
; %bb.864:
	s_cmp_lt_i32 s20, 8
	s_cbranch_scc1 .LBB231_869
; %bb.865:
	;; [unrolled: 3-line block ×3, first 2 shown]
	s_cmp_gt_i32 s20, 9
	s_cbranch_scc0 .LBB231_871
; %bb.867:
	global_load_dwordx2 v[3:4], v[0:1], off
	s_movk_i32 s20, 0x7fff
	s_waitcnt vmcnt(0)
	v_cvt_f32_f64_e32 v3, v[3:4]
	v_mov_b32_e32 v4, 0x7fc0
	v_bfe_u32 v5, v3, 16, 1
	v_cmp_o_f32_e32 vcc, v3, v3
	v_add3_u32 v3, v3, v5, s20
	v_cndmask_b32_sdwa v4, v4, v3, vcc dst_sel:DWORD dst_unused:UNUSED_PAD src0_sel:DWORD src1_sel:WORD_1
	s_mov_b64 s[20:21], 0
	s_branch .LBB231_872
.LBB231_868:
                                        ; implicit-def: $vgpr4
	s_branch .LBB231_889
.LBB231_869:
                                        ; implicit-def: $vgpr4
	s_branch .LBB231_878
.LBB231_870:
	s_mov_b64 s[20:21], -1
                                        ; implicit-def: $vgpr4
	s_branch .LBB231_875
.LBB231_871:
	s_mov_b64 s[20:21], -1
                                        ; implicit-def: $vgpr4
.LBB231_872:
	s_andn2_b64 vcc, exec, s[20:21]
	s_cbranch_vccnz .LBB231_874
; %bb.873:
	global_load_dword v3, v[0:1], off
	s_movk_i32 s20, 0x7fff
	s_waitcnt vmcnt(1)
	v_mov_b32_e32 v4, 0x7fc0
	s_waitcnt vmcnt(0)
	v_bfe_u32 v5, v3, 16, 1
	v_cmp_o_f32_e32 vcc, v3, v3
	v_add3_u32 v3, v3, v5, s20
	v_cndmask_b32_sdwa v4, v4, v3, vcc dst_sel:DWORD dst_unused:UNUSED_PAD src0_sel:DWORD src1_sel:WORD_1
.LBB231_874:
	s_mov_b64 s[20:21], 0
.LBB231_875:
	s_andn2_b64 vcc, exec, s[20:21]
	s_cbranch_vccnz .LBB231_877
; %bb.876:
	global_load_dword v3, v[0:1], off
	s_movk_i32 s20, 0x7fff
	v_mov_b32_e32 v5, 0x7fc0
	s_waitcnt vmcnt(0)
	v_cvt_f32_f16_e32 v4, v3
	v_cmp_o_f16_e32 vcc, v3, v3
	v_bfe_u32 v3, v4, 16, 1
	v_add3_u32 v3, v4, v3, s20
	v_cndmask_b32_sdwa v4, v5, v3, vcc dst_sel:DWORD dst_unused:UNUSED_PAD src0_sel:DWORD src1_sel:WORD_1
.LBB231_877:
	s_cbranch_execnz .LBB231_888
.LBB231_878:
	s_sext_i32_i16 s20, s45
	s_cmp_lt_i32 s20, 6
	s_cbranch_scc1 .LBB231_881
; %bb.879:
	s_cmp_gt_i32 s20, 6
	s_cbranch_scc0 .LBB231_882
; %bb.880:
	global_load_dwordx2 v[3:4], v[0:1], off
	s_movk_i32 s20, 0x7fff
	s_waitcnt vmcnt(0)
	v_cvt_f32_f64_e32 v3, v[3:4]
	v_mov_b32_e32 v4, 0x7fc0
	v_bfe_u32 v5, v3, 16, 1
	v_cmp_o_f32_e32 vcc, v3, v3
	v_add3_u32 v3, v3, v5, s20
	v_cndmask_b32_sdwa v4, v4, v3, vcc dst_sel:DWORD dst_unused:UNUSED_PAD src0_sel:DWORD src1_sel:WORD_1
	s_mov_b64 s[20:21], 0
	s_branch .LBB231_883
.LBB231_881:
	s_mov_b64 s[20:21], -1
                                        ; implicit-def: $vgpr4
	s_branch .LBB231_886
.LBB231_882:
	s_mov_b64 s[20:21], -1
                                        ; implicit-def: $vgpr4
.LBB231_883:
	s_andn2_b64 vcc, exec, s[20:21]
	s_cbranch_vccnz .LBB231_885
; %bb.884:
	global_load_dword v3, v[0:1], off
	s_movk_i32 s20, 0x7fff
	s_waitcnt vmcnt(1)
	v_mov_b32_e32 v4, 0x7fc0
	s_waitcnt vmcnt(0)
	v_bfe_u32 v5, v3, 16, 1
	v_cmp_o_f32_e32 vcc, v3, v3
	v_add3_u32 v3, v3, v5, s20
	v_cndmask_b32_sdwa v4, v4, v3, vcc dst_sel:DWORD dst_unused:UNUSED_PAD src0_sel:DWORD src1_sel:WORD_1
.LBB231_885:
	s_mov_b64 s[20:21], 0
.LBB231_886:
	s_andn2_b64 vcc, exec, s[20:21]
	s_cbranch_vccnz .LBB231_888
; %bb.887:
	global_load_ushort v3, v[0:1], off
	s_movk_i32 s20, 0x7fff
	v_mov_b32_e32 v5, 0x7fc0
	s_waitcnt vmcnt(0)
	v_cvt_f32_f16_e32 v4, v3
	v_cmp_o_f16_e32 vcc, v3, v3
	v_bfe_u32 v3, v4, 16, 1
	v_add3_u32 v3, v4, v3, s20
	v_cndmask_b32_sdwa v4, v5, v3, vcc dst_sel:DWORD dst_unused:UNUSED_PAD src0_sel:DWORD src1_sel:WORD_1
.LBB231_888:
	s_cbranch_execnz .LBB231_907
.LBB231_889:
	s_sext_i32_i16 s20, s45
	s_cmp_lt_i32 s20, 2
	s_cbranch_scc1 .LBB231_893
; %bb.890:
	s_cmp_lt_i32 s20, 3
	s_cbranch_scc1 .LBB231_894
; %bb.891:
	s_cmp_gt_i32 s20, 3
	s_cbranch_scc0 .LBB231_895
; %bb.892:
	global_load_dwordx2 v[3:4], v[0:1], off
	s_movk_i32 s20, 0x7fff
	s_waitcnt vmcnt(0)
	v_xor_b32_e32 v6, v3, v4
	v_ffbh_i32_e32 v5, v4
	v_ashrrev_i32_e32 v6, 31, v6
	v_add_u32_e32 v5, -1, v5
	v_add_u32_e32 v6, 32, v6
	v_min_u32_e32 v5, v5, v6
	v_lshlrev_b64 v[3:4], v5, v[3:4]
	v_min_u32_e32 v3, 1, v3
	v_or_b32_e32 v3, v4, v3
	v_cvt_f32_i32_e32 v3, v3
	v_sub_u32_e32 v4, 32, v5
	v_ldexp_f32 v3, v3, v4
	v_bfe_u32 v4, v3, 16, 1
	v_add3_u32 v3, v3, v4, s20
	v_lshrrev_b32_e32 v4, 16, v3
	s_mov_b64 s[20:21], 0
	s_branch .LBB231_896
.LBB231_893:
                                        ; implicit-def: $vgpr4
	s_branch .LBB231_902
.LBB231_894:
	s_mov_b64 s[20:21], -1
                                        ; implicit-def: $vgpr4
	s_branch .LBB231_899
.LBB231_895:
	s_mov_b64 s[20:21], -1
                                        ; implicit-def: $vgpr4
.LBB231_896:
	s_andn2_b64 vcc, exec, s[20:21]
	s_cbranch_vccnz .LBB231_898
; %bb.897:
	global_load_dword v3, v[0:1], off
	s_movk_i32 s20, 0x7fff
	s_waitcnt vmcnt(0)
	v_cvt_f32_i32_e32 v3, v3
	v_bfe_u32 v4, v3, 16, 1
	v_add3_u32 v3, v3, v4, s20
	v_lshrrev_b32_e32 v4, 16, v3
.LBB231_898:
	s_mov_b64 s[20:21], 0
.LBB231_899:
	s_andn2_b64 vcc, exec, s[20:21]
	s_cbranch_vccnz .LBB231_901
; %bb.900:
	global_load_sshort v3, v[0:1], off
	s_movk_i32 s20, 0x7fff
	s_waitcnt vmcnt(0)
	v_cvt_f32_i32_e32 v3, v3
	v_bfe_u32 v4, v3, 16, 1
	v_add3_u32 v3, v3, v4, s20
	v_lshrrev_b32_e32 v4, 16, v3
.LBB231_901:
	s_cbranch_execnz .LBB231_907
.LBB231_902:
	s_sext_i32_i16 s20, s45
	s_cmp_gt_i32 s20, 0
	s_cbranch_scc0 .LBB231_904
; %bb.903:
	global_load_sbyte v3, v[0:1], off
	s_movk_i32 s20, 0x7fff
	s_waitcnt vmcnt(0)
	v_cvt_f32_i32_e32 v3, v3
	v_bfe_u32 v4, v3, 16, 1
	v_add3_u32 v3, v3, v4, s20
	v_lshrrev_b32_e32 v4, 16, v3
	s_mov_b64 s[20:21], 0
	s_branch .LBB231_905
.LBB231_904:
	s_mov_b64 s[20:21], -1
                                        ; implicit-def: $vgpr4
.LBB231_905:
	s_andn2_b64 vcc, exec, s[20:21]
	s_cbranch_vccnz .LBB231_907
; %bb.906:
	global_load_ubyte v0, v[0:1], off
	s_movk_i32 s20, 0x7fff
	s_waitcnt vmcnt(0)
	v_cvt_f32_ubyte0_e32 v0, v0
	v_bfe_u32 v1, v0, 16, 1
	v_add3_u32 v0, v0, v1, s20
	v_lshrrev_b32_e32 v4, 16, v0
.LBB231_907:
	s_or_b64 s[0:1], s[0:1], exec
.LBB231_908:
	s_or_b64 exec, exec, s[16:17]
	s_mov_b64 s[22:23], 0
	s_mov_b64 s[20:21], 0
                                        ; implicit-def: $sgpr28
                                        ; implicit-def: $vgpr0_vgpr1
                                        ; implicit-def: $vgpr3
	s_and_saveexec_b64 s[16:17], s[0:1]
	s_cbranch_execz .LBB231_926
; %bb.909:
	v_mul_lo_u32 v2, v2, s12
	s_waitcnt vmcnt(0)
	v_lshlrev_b32_e32 v0, 16, v4
	v_mov_b32_e32 v1, s15
	v_mov_b32_e32 v3, s33
	v_cmp_ge_f32_e32 vcc, s46, v0
	v_cndmask_b32_e32 v3, v1, v3, vcc
	v_ashrrev_i32_e32 v1, 31, v2
	v_mov_b32_e32 v4, s9
	s_and_b32 s28, s14, 0xff
	v_add_co_u32_e32 v0, vcc, s8, v2
	s_cmp_lt_i32 s28, 11
	v_addc_co_u32_e32 v1, vcc, v4, v1, vcc
	s_cbranch_scc1 .LBB231_929
; %bb.910:
	s_and_b32 s29, 0xffff, s28
	s_mov_b64 s[22:23], -1
	s_cmp_gt_i32 s29, 25
	s_mov_b64 s[0:1], s[6:7]
	s_cbranch_scc0 .LBB231_947
; %bb.911:
	s_mov_b64 s[20:21], -1
	s_cmp_gt_i32 s29, 28
	s_mov_b64 s[0:1], s[6:7]
	s_cbranch_scc0 .LBB231_931
; %bb.912:
	s_cmp_gt_i32 s29, 43
	s_mov_b64 s[0:1], s[6:7]
	s_cbranch_scc0 .LBB231_923
; %bb.913:
	;; [unrolled: 4-line block ×3, first 2 shown]
	s_cmp_eq_u32 s29, 46
	s_mov_b64 s[0:1], -1
	s_cbranch_scc0 .LBB231_916
; %bb.915:
	v_and_b32_e32 v2, 0xffff, v3
	global_store_dword v[0:1], v2, off
	s_mov_b64 s[0:1], 0
.LBB231_916:
	s_mov_b64 s[20:21], 0
.LBB231_917:
	s_and_b64 vcc, exec, s[20:21]
	s_cbranch_vccz .LBB231_922
; %bb.918:
	s_cmp_eq_u32 s29, 44
	s_mov_b64 s[0:1], -1
	s_cbranch_scc0 .LBB231_922
; %bb.919:
	v_and_b32_e32 v4, 0xffff, v3
	v_bfe_u32 v2, v4, 7, 8
	s_movk_i32 s0, 0xff
	v_cmp_ne_u32_e32 vcc, s0, v2
	v_mov_b32_e32 v5, 0xff
	s_and_saveexec_b64 s[20:21], vcc
	s_cbranch_execz .LBB231_921
; %bb.920:
	v_lshlrev_b32_e32 v6, 16, v4
	s_mov_b32 s0, 0x3f0000
	v_lshrrev_b32_e32 v5, 7, v4
	v_and_b32_e32 v4, 64, v4
	v_and_or_b32 v2, v6, s0, v2
	v_cmp_ne_u32_e32 vcc, 0, v4
	v_cmp_ne_u32_e64 s[0:1], 0, v2
	s_and_b64 s[0:1], vcc, s[0:1]
	v_cndmask_b32_e64 v2, 0, 1, s[0:1]
	v_add_u32_e32 v5, v5, v2
.LBB231_921:
	s_or_b64 exec, exec, s[20:21]
	s_mov_b64 s[0:1], 0
	global_store_byte v[0:1], v5, off
.LBB231_922:
	s_mov_b64 s[20:21], 0
.LBB231_923:
	s_and_b64 vcc, exec, s[20:21]
	s_cbranch_vccz .LBB231_930
; %bb.924:
	s_cmp_eq_u32 s29, 29
	s_mov_b64 s[0:1], -1
	s_cbranch_scc0 .LBB231_930
; %bb.925:
	v_lshlrev_b32_e32 v2, 16, v3
	v_trunc_f32_e32 v2, v2
	v_mul_f32_e32 v4, 0x2f800000, v2
	v_floor_f32_e32 v4, v4
	v_fmac_f32_e32 v2, 0xcf800000, v4
	v_cvt_u32_f32_e32 v5, v4
	v_cvt_u32_f32_e32 v4, v2
	s_mov_b64 s[0:1], 0
	s_mov_b64 s[20:21], 0
	global_store_dwordx2 v[0:1], v[4:5], off
	s_branch .LBB231_931
.LBB231_926:
	s_or_b64 exec, exec, s[16:17]
	s_and_saveexec_b64 s[0:1], s[6:7]
	s_cbranch_execnz .LBB231_989
.LBB231_927:
	s_or_b64 exec, exec, s[0:1]
	s_and_saveexec_b64 s[0:1], s[22:23]
	s_xor_b64 s[0:1], exec, s[0:1]
	s_cbranch_execz .LBB231_990
.LBB231_928:
	s_waitcnt vmcnt(0)
	v_and_b32_e32 v2, 0x7fff, v3
	v_cmp_ne_u16_e32 vcc, 0, v2
	v_cndmask_b32_e64 v2, 0, 1, vcc
	global_store_byte v[0:1], v2, off
	s_or_b64 exec, exec, s[0:1]
	s_and_saveexec_b64 s[0:1], s[20:21]
	s_xor_b64 s[0:1], exec, s[0:1]
	s_cbranch_execz .LBB231_1028
	s_branch .LBB231_991
.LBB231_929:
	s_mov_b64 s[20:21], -1
	s_mov_b64 s[0:1], s[6:7]
	s_branch .LBB231_988
.LBB231_930:
	s_mov_b64 s[20:21], 0
.LBB231_931:
	s_and_b64 vcc, exec, s[20:21]
	s_cbranch_vccz .LBB231_946
; %bb.932:
	s_cmp_lt_i32 s29, 27
	s_mov_b64 s[20:21], -1
	s_cbranch_scc1 .LBB231_938
; %bb.933:
	s_cmp_gt_i32 s29, 27
	s_cbranch_scc0 .LBB231_935
; %bb.934:
	v_lshlrev_b32_e32 v2, 16, v3
	v_cvt_u32_f32_e32 v2, v2
	s_mov_b64 s[20:21], 0
	global_store_dword v[0:1], v2, off
.LBB231_935:
	s_andn2_b64 vcc, exec, s[20:21]
	s_cbranch_vccnz .LBB231_937
; %bb.936:
	v_lshlrev_b32_e32 v2, 16, v3
	v_cvt_u32_f32_e32 v2, v2
	global_store_short v[0:1], v2, off
.LBB231_937:
	s_mov_b64 s[20:21], 0
.LBB231_938:
	s_andn2_b64 vcc, exec, s[20:21]
	s_cbranch_vccnz .LBB231_946
; %bb.939:
	v_lshlrev_b32_e32 v5, 16, v3
	v_and_b32_e32 v4, 0x7fffffff, v5
	s_mov_b32 s20, 0x43800000
	v_cmp_gt_u32_e32 vcc, s20, v4
	v_mov_b32_e32 v6, 0x80
	s_and_saveexec_b64 s[20:21], vcc
	s_cbranch_execz .LBB231_945
; %bb.940:
	s_mov_b32 s22, 0x3bffffff
	v_and_b32_e32 v2, 0xffff, v3
	v_cmp_lt_u32_e32 vcc, s22, v4
	s_mov_b64 s[22:23], 0
                                        ; implicit-def: $vgpr4
	s_and_saveexec_b64 s[24:25], vcc
	s_xor_b64 s[24:25], exec, s[24:25]
	s_cbranch_execz .LBB231_1043
; %bb.941:
	v_bfe_u32 v4, v2, 4, 1
	s_mov_b32 s26, 0x487ffff
	v_add3_u32 v4, v5, v4, s26
	s_mov_b64 s[22:23], exec
	v_lshrrev_b32_e32 v4, 20, v4
                                        ; implicit-def: $vgpr5
	s_andn2_saveexec_b64 s[24:25], s[24:25]
	s_cbranch_execnz .LBB231_1044
.LBB231_942:
	s_or_b64 exec, exec, s[24:25]
	v_mov_b32_e32 v6, 0
	s_and_saveexec_b64 s[24:25], s[22:23]
.LBB231_943:
	v_lshrrev_b32_e32 v2, 8, v2
	s_movk_i32 s22, 0x80
	v_and_or_b32 v6, v2, s22, v4
.LBB231_944:
	s_or_b64 exec, exec, s[24:25]
.LBB231_945:
	s_or_b64 exec, exec, s[20:21]
	global_store_byte v[0:1], v6, off
.LBB231_946:
	s_mov_b64 s[22:23], 0
.LBB231_947:
	s_mov_b64 s[20:21], 0
	s_and_b64 vcc, exec, s[22:23]
	s_cbranch_vccz .LBB231_987
; %bb.948:
	s_cmp_gt_i32 s29, 22
	s_mov_b64 s[22:23], -1
	s_cbranch_scc0 .LBB231_980
; %bb.949:
	s_cmp_lt_i32 s29, 24
	s_cbranch_scc1 .LBB231_969
; %bb.950:
	s_cmp_gt_i32 s29, 24
	s_cbranch_scc0 .LBB231_958
; %bb.951:
	v_lshlrev_b32_e32 v5, 16, v3
	v_and_b32_e32 v4, 0x7fffffff, v5
	s_mov_b32 s22, 0x47800000
	v_cmp_gt_u32_e32 vcc, s22, v4
	v_mov_b32_e32 v6, 0x80
	s_and_saveexec_b64 s[22:23], vcc
	s_cbranch_execz .LBB231_957
; %bb.952:
	s_mov_b32 s24, 0x37ffffff
	v_and_b32_e32 v2, 0xffff, v3
	v_cmp_lt_u32_e32 vcc, s24, v4
	s_mov_b64 s[24:25], 0
                                        ; implicit-def: $vgpr4
	s_and_saveexec_b64 s[26:27], vcc
	s_xor_b64 s[26:27], exec, s[26:27]
	s_cbranch_execz .LBB231_1167
; %bb.953:
	v_bfe_u32 v4, v2, 5, 1
	s_mov_b32 s30, 0x88fffff
	v_add3_u32 v4, v5, v4, s30
	s_mov_b64 s[24:25], exec
	v_lshrrev_b32_e32 v4, 21, v4
                                        ; implicit-def: $vgpr5
	s_andn2_saveexec_b64 s[26:27], s[26:27]
	s_cbranch_execnz .LBB231_1168
.LBB231_954:
	s_or_b64 exec, exec, s[26:27]
	v_mov_b32_e32 v6, 0
	s_and_saveexec_b64 s[26:27], s[24:25]
.LBB231_955:
	v_lshrrev_b32_e32 v2, 8, v2
	s_movk_i32 s24, 0x80
	v_and_or_b32 v6, v2, s24, v4
.LBB231_956:
	s_or_b64 exec, exec, s[26:27]
.LBB231_957:
	s_or_b64 exec, exec, s[22:23]
	s_mov_b64 s[22:23], 0
	global_store_byte v[0:1], v6, off
.LBB231_958:
	s_and_b64 vcc, exec, s[22:23]
	s_cbranch_vccz .LBB231_968
; %bb.959:
	v_lshlrev_b32_e32 v5, 16, v3
	v_and_b32_e32 v6, 0x7fffffff, v5
	s_mov_b32 s22, 0x43f00000
	v_and_b32_e32 v2, 0xffff, v3
	v_cmp_gt_u32_e32 vcc, s22, v6
                                        ; implicit-def: $vgpr4
	s_and_saveexec_b64 s[22:23], vcc
	s_xor_b64 s[22:23], exec, s[22:23]
	s_cbranch_execz .LBB231_965
; %bb.960:
	s_mov_b32 s24, 0x3c7fffff
	v_cmp_lt_u32_e32 vcc, s24, v6
                                        ; implicit-def: $vgpr4
	s_and_saveexec_b64 s[24:25], vcc
	s_xor_b64 s[24:25], exec, s[24:25]
; %bb.961:
	v_bfe_u32 v4, v2, 4, 1
	s_mov_b32 s26, 0x407ffff
	v_add3_u32 v4, v5, v4, s26
	v_lshrrev_b32_e32 v5, 20, v4
	v_and_b32_e32 v4, 0xff00000, v4
	s_mov_b32 s26, 0x7f00000
	v_mov_b32_e32 v6, 0x7e
	v_cmp_ne_u32_e32 vcc, s26, v4
	v_cndmask_b32_e32 v4, v6, v5, vcc
                                        ; implicit-def: $vgpr5
; %bb.962:
	s_andn2_saveexec_b64 s[24:25], s[24:25]
; %bb.963:
	s_mov_b32 s26, 0x46800000
	v_add_f32_e64 v4, |v5|, s26
; %bb.964:
	s_or_b64 exec, exec, s[24:25]
                                        ; implicit-def: $vgpr6
.LBB231_965:
	s_andn2_saveexec_b64 s[22:23], s[22:23]
; %bb.966:
	s_mov_b32 s24, 0x7f800000
	v_mov_b32_e32 v4, 0x7e
	v_mov_b32_e32 v5, 0x7f
	v_cmp_lt_u32_e32 vcc, s24, v6
	v_cndmask_b32_e32 v4, v4, v5, vcc
; %bb.967:
	s_or_b64 exec, exec, s[22:23]
	v_lshrrev_b32_e32 v2, 8, v2
	s_movk_i32 s22, 0x80
	v_and_or_b32 v2, v2, s22, v4
	global_store_byte v[0:1], v2, off
.LBB231_968:
	s_mov_b64 s[22:23], 0
.LBB231_969:
	s_andn2_b64 vcc, exec, s[22:23]
	s_cbranch_vccnz .LBB231_979
; %bb.970:
	v_lshlrev_b32_e32 v5, 16, v3
	v_and_b32_e32 v6, 0x7fffffff, v5
	s_mov_b32 s22, 0x47800000
	v_and_b32_e32 v2, 0xffff, v3
	v_cmp_gt_u32_e32 vcc, s22, v6
                                        ; implicit-def: $vgpr4
	s_and_saveexec_b64 s[22:23], vcc
	s_xor_b64 s[22:23], exec, s[22:23]
	s_cbranch_execz .LBB231_976
; %bb.971:
	s_mov_b32 s24, 0x387fffff
	v_cmp_lt_u32_e32 vcc, s24, v6
                                        ; implicit-def: $vgpr4
	s_and_saveexec_b64 s[24:25], vcc
	s_xor_b64 s[24:25], exec, s[24:25]
; %bb.972:
	v_bfe_u32 v4, v2, 5, 1
	s_mov_b32 s26, 0x80fffff
	v_add3_u32 v4, v5, v4, s26
	v_lshrrev_b32_e32 v4, 21, v4
                                        ; implicit-def: $vgpr5
; %bb.973:
	s_andn2_saveexec_b64 s[24:25], s[24:25]
; %bb.974:
	s_mov_b32 s26, 0x43000000
	v_add_f32_e64 v4, |v5|, s26
; %bb.975:
	s_or_b64 exec, exec, s[24:25]
                                        ; implicit-def: $vgpr6
.LBB231_976:
	s_andn2_saveexec_b64 s[22:23], s[22:23]
; %bb.977:
	s_mov_b32 s24, 0x7f800000
	v_mov_b32_e32 v4, 0x7c
	v_mov_b32_e32 v5, 0x7f
	v_cmp_lt_u32_e32 vcc, s24, v6
	v_cndmask_b32_e32 v4, v4, v5, vcc
; %bb.978:
	s_or_b64 exec, exec, s[22:23]
	v_lshrrev_b32_e32 v2, 8, v2
	s_movk_i32 s22, 0x80
	v_and_or_b32 v2, v2, s22, v4
	global_store_byte v[0:1], v2, off
.LBB231_979:
	s_mov_b64 s[22:23], 0
.LBB231_980:
	s_andn2_b64 vcc, exec, s[22:23]
	s_mov_b64 s[22:23], 0
	s_cbranch_vccnz .LBB231_988
; %bb.981:
	s_cmp_gt_i32 s29, 14
	s_mov_b64 s[24:25], -1
	s_cbranch_scc0 .LBB231_985
; %bb.982:
	s_cmp_eq_u32 s29, 15
	s_mov_b64 s[0:1], -1
	s_cbranch_scc0 .LBB231_984
; %bb.983:
	global_store_short v[0:1], v3, off
	s_mov_b64 s[0:1], 0
.LBB231_984:
	s_mov_b64 s[24:25], 0
.LBB231_985:
	s_and_b64 vcc, exec, s[24:25]
	s_cbranch_vccz .LBB231_988
; %bb.986:
	s_cmp_lg_u32 s29, 11
	s_cselect_b64 s[24:25], -1, 0
	s_andn2_b64 s[0:1], s[0:1], exec
	s_and_b64 s[24:25], s[24:25], exec
	s_mov_b64 s[22:23], -1
	s_or_b64 s[0:1], s[0:1], s[24:25]
	s_branch .LBB231_988
.LBB231_987:
	s_mov_b64 s[22:23], 0
.LBB231_988:
	s_andn2_b64 s[6:7], s[6:7], exec
	s_and_b64 s[0:1], s[0:1], exec
	s_and_b64 s[20:21], s[20:21], exec
	;; [unrolled: 1-line block ×3, first 2 shown]
	s_or_b64 s[6:7], s[6:7], s[0:1]
	s_or_b64 exec, exec, s[16:17]
	s_and_saveexec_b64 s[0:1], s[6:7]
	s_cbranch_execz .LBB231_927
.LBB231_989:
	s_or_b64 s[18:19], s[18:19], exec
	s_andn2_b64 s[22:23], s[22:23], exec
	s_trap 2
	s_or_b64 exec, exec, s[0:1]
	s_and_saveexec_b64 s[0:1], s[22:23]
	s_xor_b64 s[0:1], exec, s[0:1]
	s_cbranch_execnz .LBB231_928
.LBB231_990:
	s_or_b64 exec, exec, s[0:1]
	s_and_saveexec_b64 s[0:1], s[20:21]
	s_xor_b64 s[0:1], exec, s[0:1]
	s_cbranch_execz .LBB231_1028
.LBB231_991:
	s_sext_i32_i16 s16, s28
	s_cmp_lt_i32 s16, 5
	s_mov_b64 s[6:7], -1
	s_cbranch_scc1 .LBB231_1012
; %bb.992:
	s_cmp_lt_i32 s16, 8
	s_cbranch_scc1 .LBB231_1002
; %bb.993:
	s_cmp_lt_i32 s16, 9
	s_cbranch_scc1 .LBB231_999
; %bb.994:
	s_cmp_gt_i32 s16, 9
	s_cbranch_scc0 .LBB231_996
; %bb.995:
	s_waitcnt vmcnt(0)
	v_lshlrev_b32_e32 v2, 16, v3
	v_cvt_f64_f32_e32 v[4:5], v2
	v_mov_b32_e32 v6, 0
	v_mov_b32_e32 v7, v6
	s_mov_b64 s[6:7], 0
	global_store_dwordx4 v[0:1], v[4:7], off
.LBB231_996:
	s_andn2_b64 vcc, exec, s[6:7]
	s_cbranch_vccnz .LBB231_998
; %bb.997:
	s_waitcnt vmcnt(0)
	v_lshlrev_b32_e32 v4, 16, v3
	v_mov_b32_e32 v5, 0
	global_store_dwordx2 v[0:1], v[4:5], off
.LBB231_998:
	s_mov_b64 s[6:7], 0
.LBB231_999:
	s_andn2_b64 vcc, exec, s[6:7]
	s_cbranch_vccnz .LBB231_1001
; %bb.1000:
	s_waitcnt vmcnt(0)
	v_lshlrev_b32_e32 v2, 16, v3
	v_cvt_f16_f32_e32 v2, v2
	global_store_dword v[0:1], v2, off
.LBB231_1001:
	s_mov_b64 s[6:7], 0
.LBB231_1002:
	s_andn2_b64 vcc, exec, s[6:7]
	s_cbranch_vccnz .LBB231_1011
; %bb.1003:
	s_sext_i32_i16 s16, s28
	s_cmp_lt_i32 s16, 6
	s_mov_b64 s[6:7], -1
	s_cbranch_scc1 .LBB231_1009
; %bb.1004:
	s_cmp_gt_i32 s16, 6
	s_cbranch_scc0 .LBB231_1006
; %bb.1005:
	s_waitcnt vmcnt(0)
	v_lshlrev_b32_e32 v2, 16, v3
	v_cvt_f64_f32_e32 v[4:5], v2
	s_mov_b64 s[6:7], 0
	global_store_dwordx2 v[0:1], v[4:5], off
.LBB231_1006:
	s_andn2_b64 vcc, exec, s[6:7]
	s_cbranch_vccnz .LBB231_1008
; %bb.1007:
	s_waitcnt vmcnt(0)
	v_lshlrev_b32_e32 v2, 16, v3
	global_store_dword v[0:1], v2, off
.LBB231_1008:
	s_mov_b64 s[6:7], 0
.LBB231_1009:
	s_andn2_b64 vcc, exec, s[6:7]
	s_cbranch_vccnz .LBB231_1011
; %bb.1010:
	s_waitcnt vmcnt(0)
	v_lshlrev_b32_e32 v2, 16, v3
	v_cvt_f16_f32_e32 v2, v2
	global_store_short v[0:1], v2, off
.LBB231_1011:
	s_mov_b64 s[6:7], 0
.LBB231_1012:
	s_andn2_b64 vcc, exec, s[6:7]
	s_cbranch_vccnz .LBB231_1028
; %bb.1013:
	s_sext_i32_i16 s16, s28
	s_cmp_lt_i32 s16, 2
	s_mov_b64 s[6:7], -1
	s_cbranch_scc1 .LBB231_1023
; %bb.1014:
	s_cmp_lt_i32 s16, 3
	s_cbranch_scc1 .LBB231_1020
; %bb.1015:
	s_cmp_gt_i32 s16, 3
	s_cbranch_scc0 .LBB231_1017
; %bb.1016:
	s_waitcnt vmcnt(0)
	v_lshlrev_b32_e32 v2, 16, v3
	v_trunc_f32_e32 v2, v2
	s_mov_b32 s6, 0x2f800000
	v_mul_f32_e64 v4, |v2|, s6
	v_floor_f32_e32 v4, v4
	s_mov_b32 s6, 0xcf800000
	v_cvt_u32_f32_e32 v5, v4
	v_fma_f32 v4, v4, s6, |v2|
	v_cvt_u32_f32_e32 v4, v4
	v_ashrrev_i32_e32 v2, 31, v2
	v_xor_b32_e32 v5, v5, v2
	s_mov_b64 s[6:7], 0
	v_xor_b32_e32 v4, v4, v2
	v_sub_co_u32_e32 v4, vcc, v4, v2
	v_subb_co_u32_e32 v5, vcc, v5, v2, vcc
	global_store_dwordx2 v[0:1], v[4:5], off
.LBB231_1017:
	s_andn2_b64 vcc, exec, s[6:7]
	s_cbranch_vccnz .LBB231_1019
; %bb.1018:
	s_waitcnt vmcnt(0)
	v_lshlrev_b32_e32 v2, 16, v3
	v_cvt_i32_f32_e32 v2, v2
	global_store_dword v[0:1], v2, off
.LBB231_1019:
	s_mov_b64 s[6:7], 0
.LBB231_1020:
	s_andn2_b64 vcc, exec, s[6:7]
	s_cbranch_vccnz .LBB231_1022
; %bb.1021:
	s_waitcnt vmcnt(0)
	v_lshlrev_b32_e32 v2, 16, v3
	v_cvt_i32_f32_e32 v2, v2
	global_store_short v[0:1], v2, off
.LBB231_1022:
	s_mov_b64 s[6:7], 0
.LBB231_1023:
	s_andn2_b64 vcc, exec, s[6:7]
	s_cbranch_vccnz .LBB231_1028
; %bb.1024:
	s_sext_i32_i16 s16, s28
	s_mov_b64 s[6:7], -1
	s_cmp_gt_i32 s16, 0
	s_waitcnt vmcnt(0)
	v_lshlrev_b32_e32 v2, 16, v3
	s_cbranch_scc0 .LBB231_1026
; %bb.1025:
	v_cvt_i32_f32_e32 v3, v2
	s_mov_b64 s[6:7], 0
	global_store_byte v[0:1], v3, off
.LBB231_1026:
	s_andn2_b64 vcc, exec, s[6:7]
	s_cbranch_vccnz .LBB231_1028
; %bb.1027:
	v_trunc_f32_e32 v2, v2
	s_mov_b32 s6, 0x2f800000
	v_mul_f32_e64 v3, |v2|, s6
	v_floor_f32_e32 v3, v3
	s_mov_b32 s6, 0xcf800000
	v_fma_f32 v3, v3, s6, |v2|
	v_cvt_u32_f32_e32 v3, v3
	v_ashrrev_i32_e32 v2, 31, v2
	v_xor_b32_e32 v3, v3, v2
	v_sub_u32_e32 v2, v3, v2
	global_store_byte v[0:1], v2, off
.LBB231_1028:
	s_or_b64 exec, exec, s[0:1]
	s_and_b64 s[6:7], s[18:19], exec
                                        ; implicit-def: $vgpr2
.LBB231_1029:
	s_or_saveexec_b64 s[4:5], s[4:5]
	s_mov_b64 s[0:1], 0
                                        ; implicit-def: $sgpr22
                                        ; implicit-def: $vgpr0_vgpr1
                                        ; implicit-def: $vgpr3
	s_xor_b64 exec, exec, s[4:5]
	s_cbranch_execz .LBB231_1976
; %bb.1030:
	s_waitcnt vmcnt(0)
	v_mul_lo_u32 v4, s13, v2
	v_mov_b32_e32 v1, s11
	s_and_b32 s24, 0xffff, s45
	s_cmp_lt_i32 s24, 11
	v_ashrrev_i32_e32 v3, 31, v4
	v_add_co_u32_e32 v0, vcc, s10, v4
	v_addc_co_u32_e32 v1, vcc, v1, v3, vcc
	s_cbranch_scc1 .LBB231_1037
; %bb.1031:
	s_cmp_gt_i32 s24, 25
	s_cbranch_scc0 .LBB231_1039
; %bb.1032:
	s_cmp_gt_i32 s24, 28
	s_cbranch_scc0 .LBB231_1040
	;; [unrolled: 3-line block ×4, first 2 shown]
; %bb.1035:
	s_cmp_eq_u32 s24, 46
	s_mov_b64 s[16:17], 0
	s_cbranch_scc0 .LBB231_1045
; %bb.1036:
	global_load_dword v3, v[0:1], off
	s_mov_b64 s[18:19], -1
	s_branch .LBB231_1046
.LBB231_1037:
	s_mov_b64 s[18:19], 0
                                        ; implicit-def: $vgpr3
	s_mov_b64 s[16:17], s[6:7]
	s_cbranch_execnz .LBB231_1108
.LBB231_1038:
	s_andn2_b64 vcc, exec, s[18:19]
	s_cbranch_vccz .LBB231_1153
	s_branch .LBB231_1974
.LBB231_1039:
	s_mov_b64 s[18:19], 0
                                        ; implicit-def: $vgpr3
	s_cbranch_execnz .LBB231_1073
	s_branch .LBB231_1104
.LBB231_1040:
	s_mov_b64 s[18:19], 0
                                        ; implicit-def: $vgpr3
	s_cbranch_execz .LBB231_1072
	s_branch .LBB231_1055
.LBB231_1041:
	s_mov_b64 s[18:19], 0
                                        ; implicit-def: $vgpr3
	s_cbranch_execnz .LBB231_1051
	s_branch .LBB231_1054
.LBB231_1042:
	s_mov_b64 s[16:17], -1
	s_mov_b64 s[18:19], 0
                                        ; implicit-def: $vgpr3
	s_branch .LBB231_1046
.LBB231_1043:
	s_andn2_saveexec_b64 s[24:25], s[24:25]
	s_cbranch_execz .LBB231_942
.LBB231_1044:
	s_mov_b32 s26, 0x46000000
	v_add_f32_e64 v4, |v5|, s26
	v_and_b32_e32 v4, 0xff, v4
	v_cmp_ne_u32_e32 vcc, 0, v4
	s_andn2_b64 s[22:23], s[22:23], exec
	s_and_b64 s[26:27], vcc, exec
	s_or_b64 s[22:23], s[22:23], s[26:27]
	s_or_b64 exec, exec, s[24:25]
	v_mov_b32_e32 v6, 0
	s_and_saveexec_b64 s[24:25], s[22:23]
	s_cbranch_execnz .LBB231_943
	s_branch .LBB231_944
.LBB231_1045:
	s_mov_b64 s[0:1], -1
                                        ; implicit-def: $vgpr3
	s_mov_b64 s[18:19], 0
.LBB231_1046:
	s_and_b64 vcc, exec, s[16:17]
	s_cbranch_vccz .LBB231_1049
; %bb.1047:
	s_cmp_eq_u32 s24, 44
	s_cbranch_scc0 .LBB231_1050
; %bb.1048:
	global_load_ubyte v3, v[0:1], off
	s_movk_i32 s16, 0xff
	v_mov_b32_e32 v5, 0x7f800001
	v_mov_b32_e32 v6, 0x400000
	;; [unrolled: 1-line block ×3, first 2 shown]
	s_mov_b64 s[0:1], 0
	s_mov_b64 s[18:19], -1
	s_waitcnt vmcnt(0)
	v_lshlrev_b32_e32 v8, 23, v3
	v_cmp_ne_u32_e32 vcc, s16, v3
	v_cndmask_b32_e32 v5, v5, v8, vcc
	v_cmp_ne_u32_e32 vcc, 0, v3
	v_cndmask_b32_e32 v3, v6, v5, vcc
	v_add_u32_e32 v5, 0x7fff, v3
	v_cmp_o_f32_e32 vcc, v3, v3
	v_cndmask_b32_sdwa v3, v7, v5, vcc dst_sel:DWORD dst_unused:UNUSED_PAD src0_sel:DWORD src1_sel:WORD_1
.LBB231_1049:
	s_branch .LBB231_1054
.LBB231_1050:
	s_mov_b64 s[0:1], -1
                                        ; implicit-def: $vgpr3
	s_branch .LBB231_1054
.LBB231_1051:
	s_cmp_eq_u32 s24, 29
	s_cbranch_scc0 .LBB231_1053
; %bb.1052:
	global_load_dwordx2 v[5:6], v[0:1], off
	s_movk_i32 s16, 0x7fff
	s_mov_b64 s[0:1], 0
	s_mov_b64 s[18:19], -1
	s_waitcnt vmcnt(0)
	v_ffbh_u32_e32 v3, v6
	v_min_u32_e32 v3, 32, v3
	v_lshlrev_b64 v[5:6], v3, v[5:6]
	v_sub_u32_e32 v3, 32, v3
	v_min_u32_e32 v5, 1, v5
	v_or_b32_e32 v5, v6, v5
	v_cvt_f32_u32_e32 v5, v5
	v_ldexp_f32 v3, v5, v3
	v_bfe_u32 v5, v3, 16, 1
	v_add3_u32 v3, v3, v5, s16
	v_lshrrev_b32_e32 v3, 16, v3
	s_branch .LBB231_1054
.LBB231_1053:
	s_mov_b64 s[0:1], -1
                                        ; implicit-def: $vgpr3
.LBB231_1054:
	s_branch .LBB231_1072
.LBB231_1055:
	s_cmp_lt_i32 s24, 27
	s_cbranch_scc1 .LBB231_1058
; %bb.1056:
	s_cmp_gt_i32 s24, 27
	s_cbranch_scc0 .LBB231_1059
; %bb.1057:
	global_load_dword v3, v[0:1], off
	s_movk_i32 s16, 0x7fff
	s_waitcnt vmcnt(0)
	v_cvt_f32_u32_e32 v3, v3
	v_bfe_u32 v5, v3, 16, 1
	v_add3_u32 v3, v3, v5, s16
	v_lshrrev_b32_e32 v3, 16, v3
	s_mov_b64 s[16:17], 0
	s_branch .LBB231_1060
.LBB231_1058:
	s_mov_b64 s[16:17], -1
                                        ; implicit-def: $vgpr3
	s_branch .LBB231_1063
.LBB231_1059:
	s_mov_b64 s[16:17], -1
                                        ; implicit-def: $vgpr3
.LBB231_1060:
	s_andn2_b64 vcc, exec, s[16:17]
	s_cbranch_vccnz .LBB231_1062
; %bb.1061:
	global_load_ushort v3, v[0:1], off
	s_movk_i32 s16, 0x7fff
	s_waitcnt vmcnt(0)
	v_cvt_f32_u32_e32 v3, v3
	v_bfe_u32 v5, v3, 16, 1
	v_add3_u32 v3, v3, v5, s16
	v_lshrrev_b32_e32 v3, 16, v3
.LBB231_1062:
	s_mov_b64 s[16:17], 0
.LBB231_1063:
	s_andn2_b64 vcc, exec, s[16:17]
	s_cbranch_vccnz .LBB231_1071
; %bb.1064:
	global_load_ubyte v3, v[0:1], off
	s_movk_i32 s16, 0x7f
	s_waitcnt vmcnt(0)
	v_cmp_lt_i16_e32 vcc, s16, v3
	s_mov_b64 s[16:17], 0
	s_and_saveexec_b64 s[18:19], vcc
	s_xor_b64 s[18:19], exec, s[18:19]
	s_cbranch_execz .LBB231_1084
; %bb.1065:
	s_movk_i32 s16, 0x80
	v_cmp_eq_u16_e32 vcc, s16, v3
	s_mov_b64 s[16:17], -1
	s_and_saveexec_b64 s[20:21], vcc
; %bb.1066:
	s_xor_b64 s[16:17], exec, -1
; %bb.1067:
	s_or_b64 exec, exec, s[20:21]
	s_and_b64 s[16:17], s[16:17], exec
	s_or_saveexec_b64 s[18:19], s[18:19]
	v_mov_b32_e32 v5, 0x7f800001
	s_xor_b64 exec, exec, s[18:19]
	s_cbranch_execnz .LBB231_1085
.LBB231_1068:
	s_or_b64 exec, exec, s[18:19]
	s_and_saveexec_b64 s[18:19], s[16:17]
	s_cbranch_execz .LBB231_1070
.LBB231_1069:
	v_lshlrev_b32_e32 v5, 24, v3
	v_and_b32_e32 v3, 0xffff, v3
	v_and_b32_e32 v6, 7, v3
	v_ffbh_u32_e32 v8, v6
	v_min_u32_e32 v8, 32, v8
	v_subrev_u32_e32 v9, 28, v8
	v_bfe_u32 v7, v3, 3, 4
	v_lshlrev_b32_e32 v3, v9, v3
	v_sub_u32_e32 v8, 29, v8
	v_and_b32_e32 v3, 7, v3
	v_cmp_eq_u32_e32 vcc, 0, v7
	v_cndmask_b32_e32 v7, v7, v8, vcc
	v_cndmask_b32_e32 v3, v6, v3, vcc
	v_mov_b32_e32 v6, 0x3b800000
	v_lshlrev_b32_e32 v3, 20, v3
	v_and_b32_e32 v5, 0x80000000, v5
	v_lshl_add_u32 v6, v7, 23, v6
	v_or3_b32 v5, v5, v6, v3
.LBB231_1070:
	s_or_b64 exec, exec, s[18:19]
	v_bfe_u32 v3, v5, 16, 1
	s_movk_i32 s16, 0x7fff
	v_add3_u32 v3, v5, v3, s16
	v_cmp_o_f32_e32 vcc, v5, v5
	v_mov_b32_e32 v5, 0x7fc0
	v_cndmask_b32_sdwa v3, v5, v3, vcc dst_sel:DWORD dst_unused:UNUSED_PAD src0_sel:DWORD src1_sel:WORD_1
.LBB231_1071:
	s_mov_b64 s[18:19], -1
.LBB231_1072:
	s_branch .LBB231_1104
.LBB231_1073:
	s_cmp_gt_i32 s24, 22
	s_cbranch_scc0 .LBB231_1083
; %bb.1074:
	s_cmp_lt_i32 s24, 24
	s_cbranch_scc1 .LBB231_1086
; %bb.1075:
	s_cmp_gt_i32 s24, 24
	s_cbranch_scc0 .LBB231_1087
; %bb.1076:
	global_load_ubyte v3, v[0:1], off
	s_movk_i32 s2, 0x7f
	s_waitcnt vmcnt(0)
	v_cmp_lt_i16_e32 vcc, s2, v3
	s_mov_b64 s[2:3], 0
	s_and_saveexec_b64 s[16:17], vcc
	s_xor_b64 s[16:17], exec, s[16:17]
	s_cbranch_execz .LBB231_1098
; %bb.1077:
	s_movk_i32 s2, 0x80
	v_cmp_eq_u16_e32 vcc, s2, v3
	s_mov_b64 s[2:3], -1
	s_and_saveexec_b64 s[18:19], vcc
; %bb.1078:
	s_xor_b64 s[2:3], exec, -1
; %bb.1079:
	s_or_b64 exec, exec, s[18:19]
	s_and_b64 s[2:3], s[2:3], exec
	s_or_saveexec_b64 s[16:17], s[16:17]
	v_mov_b32_e32 v5, 0x7f800001
	s_xor_b64 exec, exec, s[16:17]
	s_cbranch_execnz .LBB231_1099
.LBB231_1080:
	s_or_b64 exec, exec, s[16:17]
	s_and_saveexec_b64 s[16:17], s[2:3]
	s_cbranch_execz .LBB231_1082
.LBB231_1081:
	v_lshlrev_b32_e32 v5, 24, v3
	v_and_b32_e32 v3, 0xffff, v3
	v_and_b32_e32 v6, 3, v3
	v_ffbh_u32_e32 v8, v6
	v_min_u32_e32 v8, 32, v8
	v_subrev_u32_e32 v9, 29, v8
	v_bfe_u32 v7, v3, 2, 5
	v_lshlrev_b32_e32 v3, v9, v3
	v_sub_u32_e32 v8, 30, v8
	v_and_b32_e32 v3, 3, v3
	v_cmp_eq_u32_e32 vcc, 0, v7
	v_cndmask_b32_e32 v7, v7, v8, vcc
	v_cndmask_b32_e32 v3, v6, v3, vcc
	v_mov_b32_e32 v6, 0x37800000
	v_lshlrev_b32_e32 v3, 21, v3
	v_and_b32_e32 v5, 0x80000000, v5
	v_lshl_add_u32 v6, v7, 23, v6
	v_or3_b32 v5, v5, v6, v3
.LBB231_1082:
	s_or_b64 exec, exec, s[16:17]
	v_bfe_u32 v3, v5, 16, 1
	s_movk_i32 s2, 0x7fff
	v_add3_u32 v3, v5, v3, s2
	v_cmp_o_f32_e32 vcc, v5, v5
	v_mov_b32_e32 v5, 0x7fc0
	v_cndmask_b32_sdwa v3, v5, v3, vcc dst_sel:DWORD dst_unused:UNUSED_PAD src0_sel:DWORD src1_sel:WORD_1
	s_mov_b64 s[2:3], 0
	s_branch .LBB231_1088
.LBB231_1083:
                                        ; implicit-def: $vgpr3
	s_mov_b64 s[2:3], 0
	s_branch .LBB231_1094
.LBB231_1084:
	s_or_saveexec_b64 s[18:19], s[18:19]
	v_mov_b32_e32 v5, 0x7f800001
	s_xor_b64 exec, exec, s[18:19]
	s_cbranch_execz .LBB231_1068
.LBB231_1085:
	v_cmp_ne_u16_e32 vcc, 0, v3
	s_andn2_b64 s[16:17], s[16:17], exec
	s_and_b64 s[20:21], vcc, exec
	v_mov_b32_e32 v5, 0
	s_or_b64 s[16:17], s[16:17], s[20:21]
	s_or_b64 exec, exec, s[18:19]
	s_and_saveexec_b64 s[18:19], s[16:17]
	s_cbranch_execnz .LBB231_1069
	s_branch .LBB231_1070
.LBB231_1086:
	s_mov_b64 s[2:3], -1
                                        ; implicit-def: $vgpr3
	s_branch .LBB231_1091
.LBB231_1087:
	s_mov_b64 s[2:3], -1
                                        ; implicit-def: $vgpr3
.LBB231_1088:
	s_and_b64 vcc, exec, s[2:3]
	s_cbranch_vccz .LBB231_1090
; %bb.1089:
	global_load_ubyte v3, v[0:1], off
	s_mov_b32 s2, 0x7f800000
	s_brev_b32 s3, 1
	s_movk_i32 s16, 0x7fff
	s_waitcnt vmcnt(0)
	v_lshlrev_b32_e32 v3, 24, v3
	v_and_b32_e32 v5, 0x7f000000, v3
	v_ffbh_u32_e32 v6, v5
	v_min_u32_e32 v6, 32, v6
	v_sub_u32_e64 v6, v6, 4 clamp
	v_lshlrev_b32_e32 v8, v6, v5
	v_lshlrev_b32_e32 v6, 23, v6
	v_lshrrev_b32_e32 v8, 4, v8
	v_add_u32_e32 v7, 0x1000000, v5
	v_sub_u32_e32 v6, v8, v6
	v_ashrrev_i32_e32 v7, 8, v7
	v_add_u32_e32 v6, 0x3c000000, v6
	v_and_or_b32 v6, v7, s2, v6
	v_cmp_ne_u32_e32 vcc, 0, v5
	v_cndmask_b32_e32 v5, 0, v6, vcc
	v_and_or_b32 v3, v3, s3, v5
	v_bfe_u32 v5, v5, 16, 1
	v_add3_u32 v5, v3, v5, s16
	v_cmp_o_f32_e32 vcc, v3, v3
	v_mov_b32_e32 v3, 0x7fc0
	v_cndmask_b32_sdwa v3, v3, v5, vcc dst_sel:DWORD dst_unused:UNUSED_PAD src0_sel:DWORD src1_sel:WORD_1
.LBB231_1090:
	s_mov_b64 s[2:3], 0
.LBB231_1091:
	s_andn2_b64 vcc, exec, s[2:3]
	s_cbranch_vccnz .LBB231_1093
; %bb.1092:
	global_load_ubyte v3, v[0:1], off
	s_movk_i32 s2, 0x7f00
	s_brev_b32 s3, 16
	s_brev_b32 s16, 1
	s_movk_i32 s17, 0x7fff
	s_waitcnt vmcnt(0)
	v_lshlrev_b16_e32 v5, 8, v3
	v_lshlrev_b32_e32 v3, 25, v3
	v_lshrrev_b32_e32 v6, 4, v3
	v_and_or_b32 v7, v5, s2, 0.5
	v_or_b32_e32 v6, 0x70000000, v6
	v_add_f32_e32 v7, -0.5, v7
	v_mul_f32_e32 v6, 0x7800000, v6
	v_cmp_gt_u32_e32 vcc, s3, v3
	v_bfe_i32 v5, v5, 0, 16
	v_cndmask_b32_e32 v3, v6, v7, vcc
	v_and_or_b32 v5, v5, s16, v3
	v_bfe_u32 v3, v3, 16, 1
	v_add3_u32 v3, v5, v3, s17
	v_cmp_o_f32_e32 vcc, v5, v5
	v_mov_b32_e32 v5, 0x7fc0
	v_cndmask_b32_sdwa v3, v5, v3, vcc dst_sel:DWORD dst_unused:UNUSED_PAD src0_sel:DWORD src1_sel:WORD_1
.LBB231_1093:
	s_mov_b64 s[18:19], -1
	s_mov_b64 s[2:3], 0
	s_cbranch_execnz .LBB231_1104
.LBB231_1094:
	s_cmp_gt_i32 s24, 14
	s_cbranch_scc0 .LBB231_1097
; %bb.1095:
	s_cmp_eq_u32 s24, 15
	s_cbranch_scc0 .LBB231_1100
; %bb.1096:
	global_load_ushort v3, v[0:1], off
	s_mov_b64 s[0:1], 0
	s_mov_b64 s[18:19], -1
	s_branch .LBB231_1101
.LBB231_1097:
	s_mov_b64 s[16:17], -1
                                        ; implicit-def: $vgpr3
	s_branch .LBB231_1102
.LBB231_1098:
	s_or_saveexec_b64 s[16:17], s[16:17]
	v_mov_b32_e32 v5, 0x7f800001
	s_xor_b64 exec, exec, s[16:17]
	s_cbranch_execz .LBB231_1080
.LBB231_1099:
	v_cmp_ne_u16_e32 vcc, 0, v3
	s_andn2_b64 s[2:3], s[2:3], exec
	s_and_b64 s[18:19], vcc, exec
	v_mov_b32_e32 v5, 0
	s_or_b64 s[2:3], s[2:3], s[18:19]
	s_or_b64 exec, exec, s[16:17]
	s_and_saveexec_b64 s[16:17], s[2:3]
	s_cbranch_execnz .LBB231_1081
	s_branch .LBB231_1082
.LBB231_1100:
	s_mov_b64 s[0:1], -1
                                        ; implicit-def: $vgpr3
.LBB231_1101:
	s_mov_b64 s[16:17], 0
.LBB231_1102:
	s_and_b64 vcc, exec, s[16:17]
	s_cbranch_vccz .LBB231_1104
; %bb.1103:
	s_cmp_lg_u32 s24, 11
	s_mov_b64 s[2:3], -1
	s_cselect_b64 s[0:1], -1, 0
.LBB231_1104:
	s_and_b64 vcc, exec, s[0:1]
	s_mov_b64 s[16:17], s[6:7]
	s_cbranch_vccnz .LBB231_1165
; %bb.1105:
	s_andn2_b64 vcc, exec, s[2:3]
	s_cbranch_vccnz .LBB231_1107
.LBB231_1106:
	global_load_ubyte v3, v[0:1], off
	s_mov_b64 s[18:19], -1
	s_waitcnt vmcnt(0)
	v_cmp_ne_u16_e32 vcc, 0, v3
	v_cndmask_b32_e64 v3, 0, 1.0, vcc
	v_lshrrev_b32_e32 v3, 16, v3
.LBB231_1107:
	s_branch .LBB231_1038
.LBB231_1108:
	s_cmp_lt_i32 s24, 5
	s_cbranch_scc1 .LBB231_1113
; %bb.1109:
	s_cmp_lt_i32 s24, 8
	s_cbranch_scc1 .LBB231_1114
; %bb.1110:
	;; [unrolled: 3-line block ×3, first 2 shown]
	s_cmp_gt_i32 s24, 9
	s_cbranch_scc0 .LBB231_1116
; %bb.1112:
	global_load_dwordx2 v[5:6], v[0:1], off
	s_movk_i32 s0, 0x7fff
	s_waitcnt vmcnt(0)
	v_cvt_f32_f64_e32 v3, v[5:6]
	v_mov_b32_e32 v5, 0x7fc0
	v_bfe_u32 v6, v3, 16, 1
	v_cmp_o_f32_e32 vcc, v3, v3
	v_add3_u32 v3, v3, v6, s0
	v_cndmask_b32_sdwa v3, v5, v3, vcc dst_sel:DWORD dst_unused:UNUSED_PAD src0_sel:DWORD src1_sel:WORD_1
	s_mov_b64 s[0:1], 0
	s_branch .LBB231_1117
.LBB231_1113:
                                        ; implicit-def: $vgpr3
	s_branch .LBB231_1134
.LBB231_1114:
                                        ; implicit-def: $vgpr3
	s_branch .LBB231_1123
.LBB231_1115:
	s_mov_b64 s[0:1], -1
                                        ; implicit-def: $vgpr3
	s_branch .LBB231_1120
.LBB231_1116:
	s_mov_b64 s[0:1], -1
                                        ; implicit-def: $vgpr3
.LBB231_1117:
	s_andn2_b64 vcc, exec, s[0:1]
	s_cbranch_vccnz .LBB231_1119
; %bb.1118:
	global_load_dword v3, v[0:1], off
	s_movk_i32 s0, 0x7fff
	v_mov_b32_e32 v5, 0x7fc0
	s_waitcnt vmcnt(0)
	v_bfe_u32 v6, v3, 16, 1
	v_cmp_o_f32_e32 vcc, v3, v3
	v_add3_u32 v3, v3, v6, s0
	v_cndmask_b32_sdwa v3, v5, v3, vcc dst_sel:DWORD dst_unused:UNUSED_PAD src0_sel:DWORD src1_sel:WORD_1
.LBB231_1119:
	s_mov_b64 s[0:1], 0
.LBB231_1120:
	s_andn2_b64 vcc, exec, s[0:1]
	s_cbranch_vccnz .LBB231_1122
; %bb.1121:
	global_load_dword v3, v[0:1], off
	s_movk_i32 s0, 0x7fff
	v_mov_b32_e32 v6, 0x7fc0
	s_waitcnt vmcnt(0)
	v_cvt_f32_f16_e32 v5, v3
	v_cmp_o_f16_e32 vcc, v3, v3
	v_bfe_u32 v3, v5, 16, 1
	v_add3_u32 v3, v5, v3, s0
	v_cndmask_b32_sdwa v3, v6, v3, vcc dst_sel:DWORD dst_unused:UNUSED_PAD src0_sel:DWORD src1_sel:WORD_1
.LBB231_1122:
	s_cbranch_execnz .LBB231_1133
.LBB231_1123:
	s_cmp_lt_i32 s24, 6
	s_cbranch_scc1 .LBB231_1126
; %bb.1124:
	s_cmp_gt_i32 s24, 6
	s_cbranch_scc0 .LBB231_1127
; %bb.1125:
	global_load_dwordx2 v[5:6], v[0:1], off
	s_movk_i32 s0, 0x7fff
	s_waitcnt vmcnt(0)
	v_cvt_f32_f64_e32 v3, v[5:6]
	v_mov_b32_e32 v5, 0x7fc0
	v_bfe_u32 v6, v3, 16, 1
	v_cmp_o_f32_e32 vcc, v3, v3
	v_add3_u32 v3, v3, v6, s0
	v_cndmask_b32_sdwa v3, v5, v3, vcc dst_sel:DWORD dst_unused:UNUSED_PAD src0_sel:DWORD src1_sel:WORD_1
	s_mov_b64 s[0:1], 0
	s_branch .LBB231_1128
.LBB231_1126:
	s_mov_b64 s[0:1], -1
                                        ; implicit-def: $vgpr3
	s_branch .LBB231_1131
.LBB231_1127:
	s_mov_b64 s[0:1], -1
                                        ; implicit-def: $vgpr3
.LBB231_1128:
	s_andn2_b64 vcc, exec, s[0:1]
	s_cbranch_vccnz .LBB231_1130
; %bb.1129:
	global_load_dword v3, v[0:1], off
	s_movk_i32 s0, 0x7fff
	v_mov_b32_e32 v5, 0x7fc0
	s_waitcnt vmcnt(0)
	v_bfe_u32 v6, v3, 16, 1
	v_cmp_o_f32_e32 vcc, v3, v3
	v_add3_u32 v3, v3, v6, s0
	v_cndmask_b32_sdwa v3, v5, v3, vcc dst_sel:DWORD dst_unused:UNUSED_PAD src0_sel:DWORD src1_sel:WORD_1
.LBB231_1130:
	s_mov_b64 s[0:1], 0
.LBB231_1131:
	s_andn2_b64 vcc, exec, s[0:1]
	s_cbranch_vccnz .LBB231_1133
; %bb.1132:
	global_load_ushort v3, v[0:1], off
	s_movk_i32 s0, 0x7fff
	v_mov_b32_e32 v6, 0x7fc0
	s_waitcnt vmcnt(0)
	v_cvt_f32_f16_e32 v5, v3
	v_cmp_o_f16_e32 vcc, v3, v3
	v_bfe_u32 v3, v5, 16, 1
	v_add3_u32 v3, v5, v3, s0
	v_cndmask_b32_sdwa v3, v6, v3, vcc dst_sel:DWORD dst_unused:UNUSED_PAD src0_sel:DWORD src1_sel:WORD_1
.LBB231_1133:
	s_cbranch_execnz .LBB231_1152
.LBB231_1134:
	s_cmp_lt_i32 s24, 2
	s_cbranch_scc1 .LBB231_1138
; %bb.1135:
	s_cmp_lt_i32 s24, 3
	s_cbranch_scc1 .LBB231_1139
; %bb.1136:
	s_cmp_gt_i32 s24, 3
	s_cbranch_scc0 .LBB231_1140
; %bb.1137:
	global_load_dwordx2 v[5:6], v[0:1], off
	s_movk_i32 s0, 0x7fff
	s_waitcnt vmcnt(0)
	v_xor_b32_e32 v7, v5, v6
	v_ffbh_i32_e32 v3, v6
	v_ashrrev_i32_e32 v7, 31, v7
	v_add_u32_e32 v3, -1, v3
	v_add_u32_e32 v7, 32, v7
	v_min_u32_e32 v3, v3, v7
	v_lshlrev_b64 v[5:6], v3, v[5:6]
	v_sub_u32_e32 v3, 32, v3
	v_min_u32_e32 v5, 1, v5
	v_or_b32_e32 v5, v6, v5
	v_cvt_f32_i32_e32 v5, v5
	v_ldexp_f32 v3, v5, v3
	v_bfe_u32 v5, v3, 16, 1
	v_add3_u32 v3, v3, v5, s0
	v_lshrrev_b32_e32 v3, 16, v3
	s_mov_b64 s[0:1], 0
	s_branch .LBB231_1141
.LBB231_1138:
                                        ; implicit-def: $vgpr3
	s_branch .LBB231_1147
.LBB231_1139:
	s_mov_b64 s[0:1], -1
                                        ; implicit-def: $vgpr3
	s_branch .LBB231_1144
.LBB231_1140:
	s_mov_b64 s[0:1], -1
                                        ; implicit-def: $vgpr3
.LBB231_1141:
	s_andn2_b64 vcc, exec, s[0:1]
	s_cbranch_vccnz .LBB231_1143
; %bb.1142:
	global_load_dword v3, v[0:1], off
	s_movk_i32 s0, 0x7fff
	s_waitcnt vmcnt(0)
	v_cvt_f32_i32_e32 v3, v3
	v_bfe_u32 v5, v3, 16, 1
	v_add3_u32 v3, v3, v5, s0
	v_lshrrev_b32_e32 v3, 16, v3
.LBB231_1143:
	s_mov_b64 s[0:1], 0
.LBB231_1144:
	s_andn2_b64 vcc, exec, s[0:1]
	s_cbranch_vccnz .LBB231_1146
; %bb.1145:
	global_load_sshort v3, v[0:1], off
	s_movk_i32 s0, 0x7fff
	s_waitcnt vmcnt(0)
	v_cvt_f32_i32_e32 v3, v3
	v_bfe_u32 v5, v3, 16, 1
	v_add3_u32 v3, v3, v5, s0
	v_lshrrev_b32_e32 v3, 16, v3
.LBB231_1146:
	s_cbranch_execnz .LBB231_1152
.LBB231_1147:
	s_cmp_gt_i32 s24, 0
	s_cbranch_scc0 .LBB231_1149
; %bb.1148:
	global_load_sbyte v3, v[0:1], off
	s_movk_i32 s0, 0x7fff
	s_waitcnt vmcnt(0)
	v_cvt_f32_i32_e32 v3, v3
	v_bfe_u32 v5, v3, 16, 1
	v_add3_u32 v3, v3, v5, s0
	v_lshrrev_b32_e32 v3, 16, v3
	s_mov_b64 s[0:1], 0
	s_branch .LBB231_1150
.LBB231_1149:
	s_mov_b64 s[0:1], -1
                                        ; implicit-def: $vgpr3
.LBB231_1150:
	s_andn2_b64 vcc, exec, s[0:1]
	s_cbranch_vccnz .LBB231_1152
; %bb.1151:
	global_load_ubyte v0, v[0:1], off
	s_movk_i32 s0, 0x7fff
	s_waitcnt vmcnt(0)
	v_cvt_f32_ubyte0_e32 v0, v0
	v_bfe_u32 v1, v0, 16, 1
	v_add3_u32 v0, v0, v1, s0
	v_lshrrev_b32_e32 v3, 16, v0
.LBB231_1152:
.LBB231_1153:
	s_lshl_b32 s13, s13, 7
	v_add_u32_e32 v5, s13, v4
	v_ashrrev_i32_e32 v1, 31, v5
	v_mov_b32_e32 v4, s11
	v_add_co_u32_e32 v0, vcc, s10, v5
	s_cmp_lt_i32 s24, 11
	v_addc_co_u32_e32 v1, vcc, v4, v1, vcc
	s_cbranch_scc1 .LBB231_1160
; %bb.1154:
	s_cmp_gt_i32 s24, 25
	s_mov_b64 s[2:3], 0
	s_cbranch_scc0 .LBB231_1162
; %bb.1155:
	s_cmp_gt_i32 s24, 28
	s_cbranch_scc0 .LBB231_1163
; %bb.1156:
	s_cmp_gt_i32 s24, 43
	;; [unrolled: 3-line block ×3, first 2 shown]
	s_cbranch_scc0 .LBB231_1166
; %bb.1158:
	s_cmp_eq_u32 s24, 46
	s_mov_b64 s[20:21], 0
	s_cbranch_scc0 .LBB231_1169
; %bb.1159:
	global_load_dword v4, v[0:1], off
	s_mov_b64 s[0:1], 0
	s_mov_b64 s[18:19], -1
	s_branch .LBB231_1170
.LBB231_1160:
	s_mov_b64 s[18:19], 0
                                        ; implicit-def: $vgpr4
	s_cbranch_execnz .LBB231_1235
.LBB231_1161:
	s_andn2_b64 vcc, exec, s[18:19]
	s_cbranch_vccnz .LBB231_1974
	s_branch .LBB231_1282
.LBB231_1162:
	s_mov_b64 s[18:19], 0
	s_mov_b64 s[0:1], 0
                                        ; implicit-def: $vgpr4
	s_cbranch_execnz .LBB231_1199
	s_branch .LBB231_1231
.LBB231_1163:
	s_mov_b64 s[20:21], -1
	s_mov_b64 s[18:19], 0
	s_mov_b64 s[0:1], 0
                                        ; implicit-def: $vgpr4
	s_branch .LBB231_1180
.LBB231_1164:
	s_mov_b64 s[20:21], -1
	s_mov_b64 s[18:19], 0
	s_mov_b64 s[0:1], 0
                                        ; implicit-def: $vgpr4
	s_branch .LBB231_1175
.LBB231_1165:
	s_or_b64 s[16:17], s[6:7], exec
	s_trap 2
	s_cbranch_execz .LBB231_1106
	s_branch .LBB231_1107
.LBB231_1166:
	s_mov_b64 s[20:21], -1
	s_mov_b64 s[18:19], 0
	s_mov_b64 s[0:1], 0
                                        ; implicit-def: $vgpr4
	s_branch .LBB231_1170
.LBB231_1167:
	s_andn2_saveexec_b64 s[26:27], s[26:27]
	s_cbranch_execz .LBB231_954
.LBB231_1168:
	s_mov_b32 s30, 0x42800000
	v_add_f32_e64 v4, |v5|, s30
	v_and_b32_e32 v4, 0xff, v4
	v_cmp_ne_u32_e32 vcc, 0, v4
	s_andn2_b64 s[24:25], s[24:25], exec
	s_and_b64 s[30:31], vcc, exec
	s_or_b64 s[24:25], s[24:25], s[30:31]
	s_or_b64 exec, exec, s[26:27]
	v_mov_b32_e32 v6, 0
	s_and_saveexec_b64 s[26:27], s[24:25]
	s_cbranch_execnz .LBB231_955
	s_branch .LBB231_956
.LBB231_1169:
	s_mov_b64 s[0:1], -1
                                        ; implicit-def: $vgpr4
	s_mov_b64 s[18:19], 0
.LBB231_1170:
	s_and_b64 vcc, exec, s[20:21]
	s_cbranch_vccz .LBB231_1174
; %bb.1171:
	s_cmp_eq_u32 s24, 44
	s_cbranch_scc0 .LBB231_1173
; %bb.1172:
	global_load_ubyte v4, v[0:1], off
	s_movk_i32 s18, 0xff
	v_mov_b32_e32 v6, 0x7f800001
	v_mov_b32_e32 v7, 0x400000
	;; [unrolled: 1-line block ×3, first 2 shown]
	s_mov_b64 s[0:1], 0
	s_waitcnt vmcnt(0)
	v_lshlrev_b32_e32 v9, 23, v4
	v_cmp_ne_u32_e32 vcc, s18, v4
	v_cndmask_b32_e32 v6, v6, v9, vcc
	v_cmp_ne_u32_e32 vcc, 0, v4
	v_cndmask_b32_e32 v4, v7, v6, vcc
	v_add_u32_e32 v6, 0x7fff, v4
	v_cmp_o_f32_e32 vcc, v4, v4
	v_cndmask_b32_sdwa v4, v8, v6, vcc dst_sel:DWORD dst_unused:UNUSED_PAD src0_sel:DWORD src1_sel:WORD_1
	s_mov_b64 s[18:19], -1
	s_branch .LBB231_1174
.LBB231_1173:
	s_mov_b64 s[0:1], -1
                                        ; implicit-def: $vgpr4
.LBB231_1174:
	s_mov_b64 s[20:21], 0
.LBB231_1175:
	s_and_b64 vcc, exec, s[20:21]
	s_cbranch_vccz .LBB231_1179
; %bb.1176:
	s_cmp_eq_u32 s24, 29
	s_cbranch_scc0 .LBB231_1178
; %bb.1177:
	global_load_dwordx2 v[6:7], v[0:1], off
	s_movk_i32 s18, 0x7fff
	s_mov_b64 s[0:1], 0
	s_mov_b64 s[20:21], 0
	s_waitcnt vmcnt(0)
	v_ffbh_u32_e32 v4, v7
	v_min_u32_e32 v4, 32, v4
	v_lshlrev_b64 v[6:7], v4, v[6:7]
	v_sub_u32_e32 v4, 32, v4
	v_min_u32_e32 v6, 1, v6
	v_or_b32_e32 v6, v7, v6
	v_cvt_f32_u32_e32 v6, v6
	v_ldexp_f32 v4, v6, v4
	v_bfe_u32 v6, v4, 16, 1
	v_add3_u32 v4, v4, v6, s18
	v_lshrrev_b32_e32 v4, 16, v4
	s_mov_b64 s[18:19], -1
	s_branch .LBB231_1180
.LBB231_1178:
	s_mov_b64 s[0:1], -1
                                        ; implicit-def: $vgpr4
.LBB231_1179:
	s_mov_b64 s[20:21], 0
.LBB231_1180:
	s_and_b64 vcc, exec, s[20:21]
	s_cbranch_vccz .LBB231_1198
; %bb.1181:
	s_cmp_lt_i32 s24, 27
	s_cbranch_scc1 .LBB231_1184
; %bb.1182:
	s_cmp_gt_i32 s24, 27
	s_cbranch_scc0 .LBB231_1185
; %bb.1183:
	global_load_dword v4, v[0:1], off
	s_movk_i32 s18, 0x7fff
	s_waitcnt vmcnt(0)
	v_cvt_f32_u32_e32 v4, v4
	v_bfe_u32 v6, v4, 16, 1
	v_add3_u32 v4, v4, v6, s18
	v_lshrrev_b32_e32 v4, 16, v4
	s_mov_b64 s[18:19], 0
	s_branch .LBB231_1186
.LBB231_1184:
	s_mov_b64 s[18:19], -1
                                        ; implicit-def: $vgpr4
	s_branch .LBB231_1189
.LBB231_1185:
	s_mov_b64 s[18:19], -1
                                        ; implicit-def: $vgpr4
.LBB231_1186:
	s_andn2_b64 vcc, exec, s[18:19]
	s_cbranch_vccnz .LBB231_1188
; %bb.1187:
	global_load_ushort v4, v[0:1], off
	s_movk_i32 s18, 0x7fff
	s_waitcnt vmcnt(0)
	v_cvt_f32_u32_e32 v4, v4
	v_bfe_u32 v6, v4, 16, 1
	v_add3_u32 v4, v4, v6, s18
	v_lshrrev_b32_e32 v4, 16, v4
.LBB231_1188:
	s_mov_b64 s[18:19], 0
.LBB231_1189:
	s_andn2_b64 vcc, exec, s[18:19]
	s_cbranch_vccnz .LBB231_1197
; %bb.1190:
	global_load_ubyte v4, v[0:1], off
	s_movk_i32 s18, 0x7f
	s_waitcnt vmcnt(0)
	v_cmp_lt_i16_e32 vcc, s18, v4
	s_mov_b64 s[18:19], 0
	s_and_saveexec_b64 s[20:21], vcc
	s_xor_b64 s[20:21], exec, s[20:21]
	s_cbranch_execz .LBB231_1210
; %bb.1191:
	s_movk_i32 s18, 0x80
	v_cmp_eq_u16_e32 vcc, s18, v4
	s_mov_b64 s[18:19], -1
	s_and_saveexec_b64 s[22:23], vcc
; %bb.1192:
	s_xor_b64 s[18:19], exec, -1
; %bb.1193:
	s_or_b64 exec, exec, s[22:23]
	s_and_b64 s[18:19], s[18:19], exec
	s_or_saveexec_b64 s[20:21], s[20:21]
	v_mov_b32_e32 v6, 0x7f800001
	s_xor_b64 exec, exec, s[20:21]
	s_cbranch_execnz .LBB231_1211
.LBB231_1194:
	s_or_b64 exec, exec, s[20:21]
	s_and_saveexec_b64 s[20:21], s[18:19]
	s_cbranch_execz .LBB231_1196
.LBB231_1195:
	v_lshlrev_b32_e32 v6, 24, v4
	v_and_b32_e32 v4, 0xffff, v4
	v_and_b32_e32 v7, 7, v4
	v_ffbh_u32_e32 v9, v7
	v_min_u32_e32 v9, 32, v9
	v_subrev_u32_e32 v10, 28, v9
	v_bfe_u32 v8, v4, 3, 4
	v_lshlrev_b32_e32 v4, v10, v4
	v_sub_u32_e32 v9, 29, v9
	v_and_b32_e32 v4, 7, v4
	v_cmp_eq_u32_e32 vcc, 0, v8
	v_cndmask_b32_e32 v8, v8, v9, vcc
	v_cndmask_b32_e32 v4, v7, v4, vcc
	v_mov_b32_e32 v7, 0x3b800000
	v_lshlrev_b32_e32 v4, 20, v4
	v_and_b32_e32 v6, 0x80000000, v6
	v_lshl_add_u32 v7, v8, 23, v7
	v_or3_b32 v6, v6, v7, v4
.LBB231_1196:
	s_or_b64 exec, exec, s[20:21]
	v_bfe_u32 v4, v6, 16, 1
	s_movk_i32 s18, 0x7fff
	v_add3_u32 v4, v6, v4, s18
	v_cmp_o_f32_e32 vcc, v6, v6
	v_mov_b32_e32 v6, 0x7fc0
	v_cndmask_b32_sdwa v4, v6, v4, vcc dst_sel:DWORD dst_unused:UNUSED_PAD src0_sel:DWORD src1_sel:WORD_1
.LBB231_1197:
	s_mov_b64 s[18:19], -1
.LBB231_1198:
	s_branch .LBB231_1231
.LBB231_1199:
	s_cmp_gt_i32 s24, 22
	s_cbranch_scc0 .LBB231_1209
; %bb.1200:
	s_cmp_lt_i32 s24, 24
	s_cbranch_scc1 .LBB231_1212
; %bb.1201:
	s_cmp_gt_i32 s24, 24
	s_cbranch_scc0 .LBB231_1213
; %bb.1202:
	global_load_ubyte v4, v[0:1], off
	s_movk_i32 s2, 0x7f
	s_waitcnt vmcnt(0)
	v_cmp_lt_i16_e32 vcc, s2, v4
	s_mov_b64 s[2:3], 0
	s_and_saveexec_b64 s[18:19], vcc
	s_xor_b64 s[18:19], exec, s[18:19]
	s_cbranch_execz .LBB231_1225
; %bb.1203:
	s_movk_i32 s2, 0x80
	v_cmp_eq_u16_e32 vcc, s2, v4
	s_mov_b64 s[2:3], -1
	s_and_saveexec_b64 s[20:21], vcc
; %bb.1204:
	s_xor_b64 s[2:3], exec, -1
; %bb.1205:
	s_or_b64 exec, exec, s[20:21]
	s_and_b64 s[2:3], s[2:3], exec
	s_or_saveexec_b64 s[18:19], s[18:19]
	v_mov_b32_e32 v6, 0x7f800001
	s_xor_b64 exec, exec, s[18:19]
	s_cbranch_execnz .LBB231_1226
.LBB231_1206:
	s_or_b64 exec, exec, s[18:19]
	s_and_saveexec_b64 s[18:19], s[2:3]
	s_cbranch_execz .LBB231_1208
.LBB231_1207:
	v_lshlrev_b32_e32 v6, 24, v4
	v_and_b32_e32 v4, 0xffff, v4
	v_and_b32_e32 v7, 3, v4
	v_ffbh_u32_e32 v9, v7
	v_min_u32_e32 v9, 32, v9
	v_subrev_u32_e32 v10, 29, v9
	v_bfe_u32 v8, v4, 2, 5
	v_lshlrev_b32_e32 v4, v10, v4
	v_sub_u32_e32 v9, 30, v9
	v_and_b32_e32 v4, 3, v4
	v_cmp_eq_u32_e32 vcc, 0, v8
	v_cndmask_b32_e32 v8, v8, v9, vcc
	v_cndmask_b32_e32 v4, v7, v4, vcc
	v_mov_b32_e32 v7, 0x37800000
	v_lshlrev_b32_e32 v4, 21, v4
	v_and_b32_e32 v6, 0x80000000, v6
	v_lshl_add_u32 v7, v8, 23, v7
	v_or3_b32 v6, v6, v7, v4
.LBB231_1208:
	s_or_b64 exec, exec, s[18:19]
	v_bfe_u32 v4, v6, 16, 1
	s_movk_i32 s2, 0x7fff
	v_add3_u32 v4, v6, v4, s2
	v_cmp_o_f32_e32 vcc, v6, v6
	v_mov_b32_e32 v6, 0x7fc0
	v_cndmask_b32_sdwa v4, v6, v4, vcc dst_sel:DWORD dst_unused:UNUSED_PAD src0_sel:DWORD src1_sel:WORD_1
	s_mov_b64 s[2:3], 0
	s_branch .LBB231_1214
.LBB231_1209:
	s_mov_b64 s[2:3], -1
                                        ; implicit-def: $vgpr4
	s_branch .LBB231_1220
.LBB231_1210:
	s_or_saveexec_b64 s[20:21], s[20:21]
	v_mov_b32_e32 v6, 0x7f800001
	s_xor_b64 exec, exec, s[20:21]
	s_cbranch_execz .LBB231_1194
.LBB231_1211:
	v_cmp_ne_u16_e32 vcc, 0, v4
	s_andn2_b64 s[18:19], s[18:19], exec
	s_and_b64 s[22:23], vcc, exec
	v_mov_b32_e32 v6, 0
	s_or_b64 s[18:19], s[18:19], s[22:23]
	s_or_b64 exec, exec, s[20:21]
	s_and_saveexec_b64 s[20:21], s[18:19]
	s_cbranch_execnz .LBB231_1195
	s_branch .LBB231_1196
.LBB231_1212:
	s_mov_b64 s[2:3], -1
                                        ; implicit-def: $vgpr4
	s_branch .LBB231_1217
.LBB231_1213:
	s_mov_b64 s[2:3], -1
                                        ; implicit-def: $vgpr4
.LBB231_1214:
	s_and_b64 vcc, exec, s[2:3]
	s_cbranch_vccz .LBB231_1216
; %bb.1215:
	global_load_ubyte v4, v[0:1], off
	s_mov_b32 s2, 0x7f800000
	s_brev_b32 s3, 1
	s_movk_i32 s18, 0x7fff
	s_waitcnt vmcnt(0)
	v_lshlrev_b32_e32 v4, 24, v4
	v_and_b32_e32 v6, 0x7f000000, v4
	v_ffbh_u32_e32 v7, v6
	v_min_u32_e32 v7, 32, v7
	v_sub_u32_e64 v7, v7, 4 clamp
	v_lshlrev_b32_e32 v9, v7, v6
	v_lshlrev_b32_e32 v7, 23, v7
	v_lshrrev_b32_e32 v9, 4, v9
	v_add_u32_e32 v8, 0x1000000, v6
	v_sub_u32_e32 v7, v9, v7
	v_ashrrev_i32_e32 v8, 8, v8
	v_add_u32_e32 v7, 0x3c000000, v7
	v_and_or_b32 v7, v8, s2, v7
	v_cmp_ne_u32_e32 vcc, 0, v6
	v_cndmask_b32_e32 v6, 0, v7, vcc
	v_and_or_b32 v4, v4, s3, v6
	v_bfe_u32 v6, v6, 16, 1
	v_add3_u32 v6, v4, v6, s18
	v_cmp_o_f32_e32 vcc, v4, v4
	v_mov_b32_e32 v4, 0x7fc0
	v_cndmask_b32_sdwa v4, v4, v6, vcc dst_sel:DWORD dst_unused:UNUSED_PAD src0_sel:DWORD src1_sel:WORD_1
.LBB231_1216:
	s_mov_b64 s[2:3], 0
.LBB231_1217:
	s_andn2_b64 vcc, exec, s[2:3]
	s_cbranch_vccnz .LBB231_1219
; %bb.1218:
	global_load_ubyte v4, v[0:1], off
	s_movk_i32 s2, 0x7f00
	s_brev_b32 s3, 16
	s_brev_b32 s18, 1
	s_movk_i32 s19, 0x7fff
	s_waitcnt vmcnt(0)
	v_lshlrev_b16_e32 v6, 8, v4
	v_lshlrev_b32_e32 v4, 25, v4
	v_lshrrev_b32_e32 v7, 4, v4
	v_and_or_b32 v8, v6, s2, 0.5
	v_or_b32_e32 v7, 0x70000000, v7
	v_add_f32_e32 v8, -0.5, v8
	v_mul_f32_e32 v7, 0x7800000, v7
	v_cmp_gt_u32_e32 vcc, s3, v4
	v_bfe_i32 v6, v6, 0, 16
	v_cndmask_b32_e32 v4, v7, v8, vcc
	v_and_or_b32 v6, v6, s18, v4
	v_bfe_u32 v4, v4, 16, 1
	v_add3_u32 v4, v6, v4, s19
	v_cmp_o_f32_e32 vcc, v6, v6
	v_mov_b32_e32 v6, 0x7fc0
	v_cndmask_b32_sdwa v4, v6, v4, vcc dst_sel:DWORD dst_unused:UNUSED_PAD src0_sel:DWORD src1_sel:WORD_1
.LBB231_1219:
	s_mov_b64 s[2:3], 0
	s_mov_b64 s[18:19], -1
.LBB231_1220:
	s_andn2_b64 vcc, exec, s[2:3]
	s_mov_b64 s[2:3], 0
	s_cbranch_vccnz .LBB231_1231
; %bb.1221:
	s_cmp_gt_i32 s24, 14
	s_cbranch_scc0 .LBB231_1224
; %bb.1222:
	s_cmp_eq_u32 s24, 15
	s_cbranch_scc0 .LBB231_1227
; %bb.1223:
	global_load_ushort v4, v[0:1], off
	s_mov_b64 s[0:1], 0
	s_mov_b64 s[18:19], -1
	s_branch .LBB231_1228
.LBB231_1224:
	s_mov_b64 s[20:21], -1
                                        ; implicit-def: $vgpr4
	s_branch .LBB231_1229
.LBB231_1225:
	s_or_saveexec_b64 s[18:19], s[18:19]
	v_mov_b32_e32 v6, 0x7f800001
	s_xor_b64 exec, exec, s[18:19]
	s_cbranch_execz .LBB231_1206
.LBB231_1226:
	v_cmp_ne_u16_e32 vcc, 0, v4
	s_andn2_b64 s[2:3], s[2:3], exec
	s_and_b64 s[20:21], vcc, exec
	v_mov_b32_e32 v6, 0
	s_or_b64 s[2:3], s[2:3], s[20:21]
	s_or_b64 exec, exec, s[18:19]
	s_and_saveexec_b64 s[18:19], s[2:3]
	s_cbranch_execnz .LBB231_1207
	s_branch .LBB231_1208
.LBB231_1227:
	s_mov_b64 s[0:1], -1
                                        ; implicit-def: $vgpr4
.LBB231_1228:
	s_mov_b64 s[20:21], 0
.LBB231_1229:
	s_and_b64 vcc, exec, s[20:21]
	s_cbranch_vccz .LBB231_1231
; %bb.1230:
	s_cmp_lg_u32 s24, 11
	s_mov_b64 s[2:3], -1
	s_cselect_b64 s[0:1], -1, 0
.LBB231_1231:
	s_and_b64 vcc, exec, s[0:1]
	s_cbranch_vccnz .LBB231_1294
; %bb.1232:
	s_andn2_b64 vcc, exec, s[2:3]
	s_cbranch_vccnz .LBB231_1234
.LBB231_1233:
	global_load_ubyte v4, v[0:1], off
	s_mov_b64 s[18:19], -1
	s_waitcnt vmcnt(0)
	v_cmp_ne_u16_e32 vcc, 0, v4
	v_cndmask_b32_e64 v4, 0, 1.0, vcc
	v_lshrrev_b32_e32 v4, 16, v4
.LBB231_1234:
	s_branch .LBB231_1161
.LBB231_1235:
	s_cmp_lt_i32 s24, 5
	s_cbranch_scc1 .LBB231_1240
; %bb.1236:
	s_cmp_lt_i32 s24, 8
	s_cbranch_scc1 .LBB231_1241
; %bb.1237:
	;; [unrolled: 3-line block ×3, first 2 shown]
	s_cmp_gt_i32 s24, 9
	s_cbranch_scc0 .LBB231_1243
; %bb.1239:
	global_load_dwordx2 v[6:7], v[0:1], off
	s_movk_i32 s0, 0x7fff
	s_waitcnt vmcnt(0)
	v_cvt_f32_f64_e32 v4, v[6:7]
	v_mov_b32_e32 v6, 0x7fc0
	v_bfe_u32 v7, v4, 16, 1
	v_cmp_o_f32_e32 vcc, v4, v4
	v_add3_u32 v4, v4, v7, s0
	v_cndmask_b32_sdwa v4, v6, v4, vcc dst_sel:DWORD dst_unused:UNUSED_PAD src0_sel:DWORD src1_sel:WORD_1
	s_mov_b64 s[0:1], 0
	s_branch .LBB231_1244
.LBB231_1240:
                                        ; implicit-def: $vgpr4
	s_branch .LBB231_1262
.LBB231_1241:
	s_mov_b64 s[0:1], -1
                                        ; implicit-def: $vgpr4
	s_branch .LBB231_1250
.LBB231_1242:
	s_mov_b64 s[0:1], -1
                                        ; implicit-def: $vgpr4
	s_branch .LBB231_1247
.LBB231_1243:
	s_mov_b64 s[0:1], -1
                                        ; implicit-def: $vgpr4
.LBB231_1244:
	s_andn2_b64 vcc, exec, s[0:1]
	s_cbranch_vccnz .LBB231_1246
; %bb.1245:
	global_load_dword v4, v[0:1], off
	s_movk_i32 s0, 0x7fff
	v_mov_b32_e32 v6, 0x7fc0
	s_waitcnt vmcnt(0)
	v_bfe_u32 v7, v4, 16, 1
	v_cmp_o_f32_e32 vcc, v4, v4
	v_add3_u32 v4, v4, v7, s0
	v_cndmask_b32_sdwa v4, v6, v4, vcc dst_sel:DWORD dst_unused:UNUSED_PAD src0_sel:DWORD src1_sel:WORD_1
.LBB231_1246:
	s_mov_b64 s[0:1], 0
.LBB231_1247:
	s_andn2_b64 vcc, exec, s[0:1]
	s_cbranch_vccnz .LBB231_1249
; %bb.1248:
	global_load_dword v4, v[0:1], off
	s_movk_i32 s0, 0x7fff
	v_mov_b32_e32 v7, 0x7fc0
	s_waitcnt vmcnt(0)
	v_cvt_f32_f16_e32 v6, v4
	v_cmp_o_f16_e32 vcc, v4, v4
	v_bfe_u32 v4, v6, 16, 1
	v_add3_u32 v4, v6, v4, s0
	v_cndmask_b32_sdwa v4, v7, v4, vcc dst_sel:DWORD dst_unused:UNUSED_PAD src0_sel:DWORD src1_sel:WORD_1
.LBB231_1249:
	s_mov_b64 s[0:1], 0
.LBB231_1250:
	s_andn2_b64 vcc, exec, s[0:1]
	s_cbranch_vccnz .LBB231_1261
; %bb.1251:
	s_cmp_lt_i32 s24, 6
	s_cbranch_scc1 .LBB231_1254
; %bb.1252:
	s_cmp_gt_i32 s24, 6
	s_cbranch_scc0 .LBB231_1255
; %bb.1253:
	global_load_dwordx2 v[6:7], v[0:1], off
	s_movk_i32 s0, 0x7fff
	s_waitcnt vmcnt(0)
	v_cvt_f32_f64_e32 v4, v[6:7]
	v_mov_b32_e32 v6, 0x7fc0
	v_bfe_u32 v7, v4, 16, 1
	v_cmp_o_f32_e32 vcc, v4, v4
	v_add3_u32 v4, v4, v7, s0
	v_cndmask_b32_sdwa v4, v6, v4, vcc dst_sel:DWORD dst_unused:UNUSED_PAD src0_sel:DWORD src1_sel:WORD_1
	s_mov_b64 s[0:1], 0
	s_branch .LBB231_1256
.LBB231_1254:
	s_mov_b64 s[0:1], -1
                                        ; implicit-def: $vgpr4
	s_branch .LBB231_1259
.LBB231_1255:
	s_mov_b64 s[0:1], -1
                                        ; implicit-def: $vgpr4
.LBB231_1256:
	s_andn2_b64 vcc, exec, s[0:1]
	s_cbranch_vccnz .LBB231_1258
; %bb.1257:
	global_load_dword v4, v[0:1], off
	s_movk_i32 s0, 0x7fff
	v_mov_b32_e32 v6, 0x7fc0
	s_waitcnt vmcnt(0)
	v_bfe_u32 v7, v4, 16, 1
	v_cmp_o_f32_e32 vcc, v4, v4
	v_add3_u32 v4, v4, v7, s0
	v_cndmask_b32_sdwa v4, v6, v4, vcc dst_sel:DWORD dst_unused:UNUSED_PAD src0_sel:DWORD src1_sel:WORD_1
.LBB231_1258:
	s_mov_b64 s[0:1], 0
.LBB231_1259:
	s_andn2_b64 vcc, exec, s[0:1]
	s_cbranch_vccnz .LBB231_1261
; %bb.1260:
	global_load_ushort v4, v[0:1], off
	s_movk_i32 s0, 0x7fff
	v_mov_b32_e32 v7, 0x7fc0
	s_waitcnt vmcnt(0)
	v_cvt_f32_f16_e32 v6, v4
	v_cmp_o_f16_e32 vcc, v4, v4
	v_bfe_u32 v4, v6, 16, 1
	v_add3_u32 v4, v6, v4, s0
	v_cndmask_b32_sdwa v4, v7, v4, vcc dst_sel:DWORD dst_unused:UNUSED_PAD src0_sel:DWORD src1_sel:WORD_1
.LBB231_1261:
	s_cbranch_execnz .LBB231_1281
.LBB231_1262:
	s_cmp_lt_i32 s24, 2
	s_cbranch_scc1 .LBB231_1266
; %bb.1263:
	s_cmp_lt_i32 s24, 3
	s_cbranch_scc1 .LBB231_1267
; %bb.1264:
	s_cmp_gt_i32 s24, 3
	s_cbranch_scc0 .LBB231_1268
; %bb.1265:
	global_load_dwordx2 v[6:7], v[0:1], off
	s_movk_i32 s0, 0x7fff
	s_waitcnt vmcnt(0)
	v_xor_b32_e32 v8, v6, v7
	v_ffbh_i32_e32 v4, v7
	v_ashrrev_i32_e32 v8, 31, v8
	v_add_u32_e32 v4, -1, v4
	v_add_u32_e32 v8, 32, v8
	v_min_u32_e32 v4, v4, v8
	v_lshlrev_b64 v[6:7], v4, v[6:7]
	v_sub_u32_e32 v4, 32, v4
	v_min_u32_e32 v6, 1, v6
	v_or_b32_e32 v6, v7, v6
	v_cvt_f32_i32_e32 v6, v6
	v_ldexp_f32 v4, v6, v4
	v_bfe_u32 v6, v4, 16, 1
	v_add3_u32 v4, v4, v6, s0
	v_lshrrev_b32_e32 v4, 16, v4
	s_mov_b64 s[0:1], 0
	s_branch .LBB231_1269
.LBB231_1266:
	s_mov_b64 s[0:1], -1
                                        ; implicit-def: $vgpr4
	s_branch .LBB231_1275
.LBB231_1267:
	s_mov_b64 s[0:1], -1
                                        ; implicit-def: $vgpr4
	s_branch .LBB231_1272
.LBB231_1268:
	s_mov_b64 s[0:1], -1
                                        ; implicit-def: $vgpr4
.LBB231_1269:
	s_andn2_b64 vcc, exec, s[0:1]
	s_cbranch_vccnz .LBB231_1271
; %bb.1270:
	global_load_dword v4, v[0:1], off
	s_movk_i32 s0, 0x7fff
	s_waitcnt vmcnt(0)
	v_cvt_f32_i32_e32 v4, v4
	v_bfe_u32 v6, v4, 16, 1
	v_add3_u32 v4, v4, v6, s0
	v_lshrrev_b32_e32 v4, 16, v4
.LBB231_1271:
	s_mov_b64 s[0:1], 0
.LBB231_1272:
	s_andn2_b64 vcc, exec, s[0:1]
	s_cbranch_vccnz .LBB231_1274
; %bb.1273:
	global_load_sshort v4, v[0:1], off
	s_movk_i32 s0, 0x7fff
	s_waitcnt vmcnt(0)
	v_cvt_f32_i32_e32 v4, v4
	v_bfe_u32 v6, v4, 16, 1
	v_add3_u32 v4, v4, v6, s0
	v_lshrrev_b32_e32 v4, 16, v4
.LBB231_1274:
	s_mov_b64 s[0:1], 0
.LBB231_1275:
	s_andn2_b64 vcc, exec, s[0:1]
	s_cbranch_vccnz .LBB231_1281
; %bb.1276:
	s_cmp_gt_i32 s24, 0
	s_cbranch_scc0 .LBB231_1278
; %bb.1277:
	global_load_sbyte v4, v[0:1], off
	s_movk_i32 s0, 0x7fff
	s_waitcnt vmcnt(0)
	v_cvt_f32_i32_e32 v4, v4
	v_bfe_u32 v6, v4, 16, 1
	v_add3_u32 v4, v4, v6, s0
	v_lshrrev_b32_e32 v4, 16, v4
	s_mov_b64 s[0:1], 0
	s_branch .LBB231_1279
.LBB231_1278:
	s_mov_b64 s[0:1], -1
                                        ; implicit-def: $vgpr4
.LBB231_1279:
	s_andn2_b64 vcc, exec, s[0:1]
	s_cbranch_vccnz .LBB231_1281
; %bb.1280:
	global_load_ubyte v0, v[0:1], off
	s_movk_i32 s0, 0x7fff
	s_waitcnt vmcnt(0)
	v_cvt_f32_ubyte0_e32 v0, v0
	v_bfe_u32 v1, v0, 16, 1
	v_add3_u32 v0, v0, v1, s0
	v_lshrrev_b32_e32 v4, 16, v0
.LBB231_1281:
.LBB231_1282:
	v_add_u32_e32 v6, s13, v5
	v_ashrrev_i32_e32 v1, 31, v6
	v_mov_b32_e32 v5, s11
	v_add_co_u32_e32 v0, vcc, s10, v6
	s_cmp_lt_i32 s24, 11
	v_addc_co_u32_e32 v1, vcc, v5, v1, vcc
	s_cbranch_scc1 .LBB231_1289
; %bb.1283:
	s_cmp_gt_i32 s24, 25
	s_mov_b64 s[2:3], 0
	s_cbranch_scc0 .LBB231_1291
; %bb.1284:
	s_cmp_gt_i32 s24, 28
	s_cbranch_scc0 .LBB231_1292
; %bb.1285:
	s_cmp_gt_i32 s24, 43
	;; [unrolled: 3-line block ×3, first 2 shown]
	s_cbranch_scc0 .LBB231_1295
; %bb.1287:
	s_cmp_eq_u32 s24, 46
	s_mov_b64 s[20:21], 0
	s_cbranch_scc0 .LBB231_1296
; %bb.1288:
	global_load_dword v5, v[0:1], off
	s_mov_b64 s[0:1], 0
	s_mov_b64 s[18:19], -1
	s_branch .LBB231_1297
.LBB231_1289:
	s_mov_b64 s[18:19], 0
                                        ; implicit-def: $vgpr5
	s_cbranch_execnz .LBB231_1363
.LBB231_1290:
	s_andn2_b64 vcc, exec, s[18:19]
	s_cbranch_vccnz .LBB231_1974
	s_branch .LBB231_1411
.LBB231_1291:
	s_mov_b64 s[20:21], -1
	s_mov_b64 s[18:19], 0
	s_mov_b64 s[0:1], 0
                                        ; implicit-def: $vgpr5
	s_branch .LBB231_1326
.LBB231_1292:
	s_mov_b64 s[20:21], -1
	s_mov_b64 s[18:19], 0
	s_mov_b64 s[0:1], 0
                                        ; implicit-def: $vgpr5
	s_branch .LBB231_1307
.LBB231_1293:
	s_mov_b64 s[20:21], -1
	s_mov_b64 s[18:19], 0
	s_mov_b64 s[0:1], 0
                                        ; implicit-def: $vgpr5
	s_branch .LBB231_1302
.LBB231_1294:
	s_trap 2
	s_or_b64 s[16:17], s[16:17], exec
	s_cbranch_execz .LBB231_1233
	s_branch .LBB231_1234
.LBB231_1295:
	s_mov_b64 s[20:21], -1
	s_mov_b64 s[18:19], 0
	s_mov_b64 s[0:1], 0
                                        ; implicit-def: $vgpr5
	s_branch .LBB231_1297
.LBB231_1296:
	s_mov_b64 s[0:1], -1
                                        ; implicit-def: $vgpr5
	s_mov_b64 s[18:19], 0
.LBB231_1297:
	s_and_b64 vcc, exec, s[20:21]
	s_cbranch_vccz .LBB231_1301
; %bb.1298:
	s_cmp_eq_u32 s24, 44
	s_cbranch_scc0 .LBB231_1300
; %bb.1299:
	global_load_ubyte v5, v[0:1], off
	s_movk_i32 s18, 0xff
	v_mov_b32_e32 v7, 0x7f800001
	v_mov_b32_e32 v8, 0x400000
	;; [unrolled: 1-line block ×3, first 2 shown]
	s_mov_b64 s[0:1], 0
	s_waitcnt vmcnt(0)
	v_lshlrev_b32_e32 v10, 23, v5
	v_cmp_ne_u32_e32 vcc, s18, v5
	v_cndmask_b32_e32 v7, v7, v10, vcc
	v_cmp_ne_u32_e32 vcc, 0, v5
	v_cndmask_b32_e32 v5, v8, v7, vcc
	v_add_u32_e32 v7, 0x7fff, v5
	v_cmp_o_f32_e32 vcc, v5, v5
	v_cndmask_b32_sdwa v5, v9, v7, vcc dst_sel:DWORD dst_unused:UNUSED_PAD src0_sel:DWORD src1_sel:WORD_1
	s_mov_b64 s[18:19], -1
	s_branch .LBB231_1301
.LBB231_1300:
	s_mov_b64 s[0:1], -1
                                        ; implicit-def: $vgpr5
.LBB231_1301:
	s_mov_b64 s[20:21], 0
.LBB231_1302:
	s_and_b64 vcc, exec, s[20:21]
	s_cbranch_vccz .LBB231_1306
; %bb.1303:
	s_cmp_eq_u32 s24, 29
	s_cbranch_scc0 .LBB231_1305
; %bb.1304:
	global_load_dwordx2 v[7:8], v[0:1], off
	s_movk_i32 s18, 0x7fff
	s_mov_b64 s[0:1], 0
	s_mov_b64 s[20:21], 0
	s_waitcnt vmcnt(0)
	v_ffbh_u32_e32 v5, v8
	v_min_u32_e32 v5, 32, v5
	v_lshlrev_b64 v[7:8], v5, v[7:8]
	v_sub_u32_e32 v5, 32, v5
	v_min_u32_e32 v7, 1, v7
	v_or_b32_e32 v7, v8, v7
	v_cvt_f32_u32_e32 v7, v7
	v_ldexp_f32 v5, v7, v5
	v_bfe_u32 v7, v5, 16, 1
	v_add3_u32 v5, v5, v7, s18
	v_lshrrev_b32_e32 v5, 16, v5
	s_mov_b64 s[18:19], -1
	s_branch .LBB231_1307
.LBB231_1305:
	s_mov_b64 s[0:1], -1
                                        ; implicit-def: $vgpr5
.LBB231_1306:
	s_mov_b64 s[20:21], 0
.LBB231_1307:
	s_and_b64 vcc, exec, s[20:21]
	s_cbranch_vccz .LBB231_1325
; %bb.1308:
	s_cmp_lt_i32 s24, 27
	s_cbranch_scc1 .LBB231_1311
; %bb.1309:
	s_cmp_gt_i32 s24, 27
	s_cbranch_scc0 .LBB231_1312
; %bb.1310:
	global_load_dword v5, v[0:1], off
	s_movk_i32 s18, 0x7fff
	s_waitcnt vmcnt(0)
	v_cvt_f32_u32_e32 v5, v5
	v_bfe_u32 v7, v5, 16, 1
	v_add3_u32 v5, v5, v7, s18
	v_lshrrev_b32_e32 v5, 16, v5
	s_mov_b64 s[18:19], 0
	s_branch .LBB231_1313
.LBB231_1311:
	s_mov_b64 s[18:19], -1
                                        ; implicit-def: $vgpr5
	s_branch .LBB231_1316
.LBB231_1312:
	s_mov_b64 s[18:19], -1
                                        ; implicit-def: $vgpr5
.LBB231_1313:
	s_andn2_b64 vcc, exec, s[18:19]
	s_cbranch_vccnz .LBB231_1315
; %bb.1314:
	global_load_ushort v5, v[0:1], off
	s_movk_i32 s18, 0x7fff
	s_waitcnt vmcnt(0)
	v_cvt_f32_u32_e32 v5, v5
	v_bfe_u32 v7, v5, 16, 1
	v_add3_u32 v5, v5, v7, s18
	v_lshrrev_b32_e32 v5, 16, v5
.LBB231_1315:
	s_mov_b64 s[18:19], 0
.LBB231_1316:
	s_andn2_b64 vcc, exec, s[18:19]
	s_cbranch_vccnz .LBB231_1324
; %bb.1317:
	global_load_ubyte v5, v[0:1], off
	s_movk_i32 s18, 0x7f
	s_waitcnt vmcnt(0)
	v_cmp_lt_i16_e32 vcc, s18, v5
	s_mov_b64 s[18:19], 0
	s_and_saveexec_b64 s[20:21], vcc
	s_xor_b64 s[20:21], exec, s[20:21]
	s_cbranch_execz .LBB231_1338
; %bb.1318:
	s_movk_i32 s18, 0x80
	v_cmp_eq_u16_e32 vcc, s18, v5
	s_mov_b64 s[18:19], -1
	s_and_saveexec_b64 s[22:23], vcc
; %bb.1319:
	s_xor_b64 s[18:19], exec, -1
; %bb.1320:
	s_or_b64 exec, exec, s[22:23]
	s_and_b64 s[18:19], s[18:19], exec
	s_or_saveexec_b64 s[20:21], s[20:21]
	v_mov_b32_e32 v7, 0x7f800001
	s_xor_b64 exec, exec, s[20:21]
	s_cbranch_execnz .LBB231_1339
.LBB231_1321:
	s_or_b64 exec, exec, s[20:21]
	s_and_saveexec_b64 s[20:21], s[18:19]
	s_cbranch_execz .LBB231_1323
.LBB231_1322:
	v_lshlrev_b32_e32 v7, 24, v5
	v_and_b32_e32 v5, 0xffff, v5
	v_and_b32_e32 v8, 7, v5
	v_ffbh_u32_e32 v10, v8
	v_min_u32_e32 v10, 32, v10
	v_subrev_u32_e32 v11, 28, v10
	v_bfe_u32 v9, v5, 3, 4
	v_lshlrev_b32_e32 v5, v11, v5
	v_sub_u32_e32 v10, 29, v10
	v_and_b32_e32 v5, 7, v5
	v_cmp_eq_u32_e32 vcc, 0, v9
	v_cndmask_b32_e32 v9, v9, v10, vcc
	v_cndmask_b32_e32 v5, v8, v5, vcc
	v_mov_b32_e32 v8, 0x3b800000
	v_lshlrev_b32_e32 v5, 20, v5
	v_and_b32_e32 v7, 0x80000000, v7
	v_lshl_add_u32 v8, v9, 23, v8
	v_or3_b32 v7, v7, v8, v5
.LBB231_1323:
	s_or_b64 exec, exec, s[20:21]
	v_bfe_u32 v5, v7, 16, 1
	s_movk_i32 s18, 0x7fff
	v_add3_u32 v5, v7, v5, s18
	v_cmp_o_f32_e32 vcc, v7, v7
	v_mov_b32_e32 v7, 0x7fc0
	v_cndmask_b32_sdwa v5, v7, v5, vcc dst_sel:DWORD dst_unused:UNUSED_PAD src0_sel:DWORD src1_sel:WORD_1
.LBB231_1324:
	s_mov_b64 s[18:19], -1
.LBB231_1325:
	s_mov_b64 s[20:21], 0
.LBB231_1326:
	s_and_b64 vcc, exec, s[20:21]
	s_cbranch_vccz .LBB231_1359
; %bb.1327:
	s_cmp_gt_i32 s24, 22
	s_cbranch_scc0 .LBB231_1337
; %bb.1328:
	s_cmp_lt_i32 s24, 24
	s_cbranch_scc1 .LBB231_1340
; %bb.1329:
	s_cmp_gt_i32 s24, 24
	s_cbranch_scc0 .LBB231_1341
; %bb.1330:
	global_load_ubyte v5, v[0:1], off
	s_movk_i32 s2, 0x7f
	s_waitcnt vmcnt(0)
	v_cmp_lt_i16_e32 vcc, s2, v5
	s_mov_b64 s[2:3], 0
	s_and_saveexec_b64 s[18:19], vcc
	s_xor_b64 s[18:19], exec, s[18:19]
	s_cbranch_execz .LBB231_1353
; %bb.1331:
	s_movk_i32 s2, 0x80
	v_cmp_eq_u16_e32 vcc, s2, v5
	s_mov_b64 s[2:3], -1
	s_and_saveexec_b64 s[20:21], vcc
; %bb.1332:
	s_xor_b64 s[2:3], exec, -1
; %bb.1333:
	s_or_b64 exec, exec, s[20:21]
	s_and_b64 s[2:3], s[2:3], exec
	s_or_saveexec_b64 s[18:19], s[18:19]
	v_mov_b32_e32 v7, 0x7f800001
	s_xor_b64 exec, exec, s[18:19]
	s_cbranch_execnz .LBB231_1354
.LBB231_1334:
	s_or_b64 exec, exec, s[18:19]
	s_and_saveexec_b64 s[18:19], s[2:3]
	s_cbranch_execz .LBB231_1336
.LBB231_1335:
	v_lshlrev_b32_e32 v7, 24, v5
	v_and_b32_e32 v5, 0xffff, v5
	v_and_b32_e32 v8, 3, v5
	v_ffbh_u32_e32 v10, v8
	v_min_u32_e32 v10, 32, v10
	v_subrev_u32_e32 v11, 29, v10
	v_bfe_u32 v9, v5, 2, 5
	v_lshlrev_b32_e32 v5, v11, v5
	v_sub_u32_e32 v10, 30, v10
	v_and_b32_e32 v5, 3, v5
	v_cmp_eq_u32_e32 vcc, 0, v9
	v_cndmask_b32_e32 v9, v9, v10, vcc
	v_cndmask_b32_e32 v5, v8, v5, vcc
	v_mov_b32_e32 v8, 0x37800000
	v_lshlrev_b32_e32 v5, 21, v5
	v_and_b32_e32 v7, 0x80000000, v7
	v_lshl_add_u32 v8, v9, 23, v8
	v_or3_b32 v7, v7, v8, v5
.LBB231_1336:
	s_or_b64 exec, exec, s[18:19]
	v_bfe_u32 v5, v7, 16, 1
	s_movk_i32 s2, 0x7fff
	v_add3_u32 v5, v7, v5, s2
	v_cmp_o_f32_e32 vcc, v7, v7
	v_mov_b32_e32 v7, 0x7fc0
	v_cndmask_b32_sdwa v5, v7, v5, vcc dst_sel:DWORD dst_unused:UNUSED_PAD src0_sel:DWORD src1_sel:WORD_1
	s_mov_b64 s[2:3], 0
	s_branch .LBB231_1342
.LBB231_1337:
	s_mov_b64 s[2:3], -1
                                        ; implicit-def: $vgpr5
	s_branch .LBB231_1348
.LBB231_1338:
	s_or_saveexec_b64 s[20:21], s[20:21]
	v_mov_b32_e32 v7, 0x7f800001
	s_xor_b64 exec, exec, s[20:21]
	s_cbranch_execz .LBB231_1321
.LBB231_1339:
	v_cmp_ne_u16_e32 vcc, 0, v5
	s_andn2_b64 s[18:19], s[18:19], exec
	s_and_b64 s[22:23], vcc, exec
	v_mov_b32_e32 v7, 0
	s_or_b64 s[18:19], s[18:19], s[22:23]
	s_or_b64 exec, exec, s[20:21]
	s_and_saveexec_b64 s[20:21], s[18:19]
	s_cbranch_execnz .LBB231_1322
	s_branch .LBB231_1323
.LBB231_1340:
	s_mov_b64 s[2:3], -1
                                        ; implicit-def: $vgpr5
	s_branch .LBB231_1345
.LBB231_1341:
	s_mov_b64 s[2:3], -1
                                        ; implicit-def: $vgpr5
.LBB231_1342:
	s_and_b64 vcc, exec, s[2:3]
	s_cbranch_vccz .LBB231_1344
; %bb.1343:
	global_load_ubyte v5, v[0:1], off
	s_mov_b32 s2, 0x7f800000
	s_brev_b32 s3, 1
	s_movk_i32 s18, 0x7fff
	s_waitcnt vmcnt(0)
	v_lshlrev_b32_e32 v5, 24, v5
	v_and_b32_e32 v7, 0x7f000000, v5
	v_ffbh_u32_e32 v8, v7
	v_min_u32_e32 v8, 32, v8
	v_sub_u32_e64 v8, v8, 4 clamp
	v_lshlrev_b32_e32 v10, v8, v7
	v_lshlrev_b32_e32 v8, 23, v8
	v_lshrrev_b32_e32 v10, 4, v10
	v_add_u32_e32 v9, 0x1000000, v7
	v_sub_u32_e32 v8, v10, v8
	v_ashrrev_i32_e32 v9, 8, v9
	v_add_u32_e32 v8, 0x3c000000, v8
	v_and_or_b32 v8, v9, s2, v8
	v_cmp_ne_u32_e32 vcc, 0, v7
	v_cndmask_b32_e32 v7, 0, v8, vcc
	v_and_or_b32 v5, v5, s3, v7
	v_bfe_u32 v7, v7, 16, 1
	v_add3_u32 v7, v5, v7, s18
	v_cmp_o_f32_e32 vcc, v5, v5
	v_mov_b32_e32 v5, 0x7fc0
	v_cndmask_b32_sdwa v5, v5, v7, vcc dst_sel:DWORD dst_unused:UNUSED_PAD src0_sel:DWORD src1_sel:WORD_1
.LBB231_1344:
	s_mov_b64 s[2:3], 0
.LBB231_1345:
	s_andn2_b64 vcc, exec, s[2:3]
	s_cbranch_vccnz .LBB231_1347
; %bb.1346:
	global_load_ubyte v5, v[0:1], off
	s_movk_i32 s2, 0x7f00
	s_brev_b32 s3, 16
	s_brev_b32 s18, 1
	s_movk_i32 s19, 0x7fff
	s_waitcnt vmcnt(0)
	v_lshlrev_b16_e32 v7, 8, v5
	v_lshlrev_b32_e32 v5, 25, v5
	v_lshrrev_b32_e32 v8, 4, v5
	v_and_or_b32 v9, v7, s2, 0.5
	v_or_b32_e32 v8, 0x70000000, v8
	v_add_f32_e32 v9, -0.5, v9
	v_mul_f32_e32 v8, 0x7800000, v8
	v_cmp_gt_u32_e32 vcc, s3, v5
	v_bfe_i32 v7, v7, 0, 16
	v_cndmask_b32_e32 v5, v8, v9, vcc
	v_and_or_b32 v7, v7, s18, v5
	v_bfe_u32 v5, v5, 16, 1
	v_add3_u32 v5, v7, v5, s19
	v_cmp_o_f32_e32 vcc, v7, v7
	v_mov_b32_e32 v7, 0x7fc0
	v_cndmask_b32_sdwa v5, v7, v5, vcc dst_sel:DWORD dst_unused:UNUSED_PAD src0_sel:DWORD src1_sel:WORD_1
.LBB231_1347:
	s_mov_b64 s[2:3], 0
	s_mov_b64 s[18:19], -1
.LBB231_1348:
	s_andn2_b64 vcc, exec, s[2:3]
	s_mov_b64 s[2:3], 0
	s_cbranch_vccnz .LBB231_1359
; %bb.1349:
	s_cmp_gt_i32 s24, 14
	s_cbranch_scc0 .LBB231_1352
; %bb.1350:
	s_cmp_eq_u32 s24, 15
	s_cbranch_scc0 .LBB231_1355
; %bb.1351:
	global_load_ushort v5, v[0:1], off
	s_mov_b64 s[0:1], 0
	s_mov_b64 s[18:19], -1
	s_branch .LBB231_1356
.LBB231_1352:
	s_mov_b64 s[20:21], -1
                                        ; implicit-def: $vgpr5
	s_branch .LBB231_1357
.LBB231_1353:
	s_or_saveexec_b64 s[18:19], s[18:19]
	v_mov_b32_e32 v7, 0x7f800001
	s_xor_b64 exec, exec, s[18:19]
	s_cbranch_execz .LBB231_1334
.LBB231_1354:
	v_cmp_ne_u16_e32 vcc, 0, v5
	s_andn2_b64 s[2:3], s[2:3], exec
	s_and_b64 s[20:21], vcc, exec
	v_mov_b32_e32 v7, 0
	s_or_b64 s[2:3], s[2:3], s[20:21]
	s_or_b64 exec, exec, s[18:19]
	s_and_saveexec_b64 s[18:19], s[2:3]
	s_cbranch_execnz .LBB231_1335
	s_branch .LBB231_1336
.LBB231_1355:
	s_mov_b64 s[0:1], -1
                                        ; implicit-def: $vgpr5
.LBB231_1356:
	s_mov_b64 s[20:21], 0
.LBB231_1357:
	s_and_b64 vcc, exec, s[20:21]
	s_cbranch_vccz .LBB231_1359
; %bb.1358:
	s_cmp_lg_u32 s24, 11
	s_mov_b64 s[2:3], -1
	s_cselect_b64 s[0:1], -1, 0
.LBB231_1359:
	s_and_b64 vcc, exec, s[0:1]
	s_cbranch_vccnz .LBB231_1422
; %bb.1360:
	s_andn2_b64 vcc, exec, s[2:3]
	s_cbranch_vccnz .LBB231_1362
.LBB231_1361:
	global_load_ubyte v5, v[0:1], off
	s_mov_b64 s[18:19], -1
	s_waitcnt vmcnt(0)
	v_cmp_ne_u16_e32 vcc, 0, v5
	v_cndmask_b32_e64 v5, 0, 1.0, vcc
	v_lshrrev_b32_e32 v5, 16, v5
.LBB231_1362:
	s_branch .LBB231_1290
.LBB231_1363:
	s_cmp_lt_i32 s24, 5
	s_cbranch_scc1 .LBB231_1368
; %bb.1364:
	s_cmp_lt_i32 s24, 8
	s_cbranch_scc1 .LBB231_1369
; %bb.1365:
	;; [unrolled: 3-line block ×3, first 2 shown]
	s_cmp_gt_i32 s24, 9
	s_cbranch_scc0 .LBB231_1371
; %bb.1367:
	global_load_dwordx2 v[7:8], v[0:1], off
	s_movk_i32 s0, 0x7fff
	s_waitcnt vmcnt(0)
	v_cvt_f32_f64_e32 v5, v[7:8]
	v_mov_b32_e32 v7, 0x7fc0
	v_bfe_u32 v8, v5, 16, 1
	v_cmp_o_f32_e32 vcc, v5, v5
	v_add3_u32 v5, v5, v8, s0
	v_cndmask_b32_sdwa v5, v7, v5, vcc dst_sel:DWORD dst_unused:UNUSED_PAD src0_sel:DWORD src1_sel:WORD_1
	s_mov_b64 s[0:1], 0
	s_branch .LBB231_1372
.LBB231_1368:
	s_mov_b64 s[0:1], -1
                                        ; implicit-def: $vgpr5
	s_branch .LBB231_1390
.LBB231_1369:
	s_mov_b64 s[0:1], -1
                                        ; implicit-def: $vgpr5
	s_branch .LBB231_1378
.LBB231_1370:
	s_mov_b64 s[0:1], -1
                                        ; implicit-def: $vgpr5
	s_branch .LBB231_1375
.LBB231_1371:
	s_mov_b64 s[0:1], -1
                                        ; implicit-def: $vgpr5
.LBB231_1372:
	s_andn2_b64 vcc, exec, s[0:1]
	s_cbranch_vccnz .LBB231_1374
; %bb.1373:
	global_load_dword v5, v[0:1], off
	s_movk_i32 s0, 0x7fff
	v_mov_b32_e32 v7, 0x7fc0
	s_waitcnt vmcnt(0)
	v_bfe_u32 v8, v5, 16, 1
	v_cmp_o_f32_e32 vcc, v5, v5
	v_add3_u32 v5, v5, v8, s0
	v_cndmask_b32_sdwa v5, v7, v5, vcc dst_sel:DWORD dst_unused:UNUSED_PAD src0_sel:DWORD src1_sel:WORD_1
.LBB231_1374:
	s_mov_b64 s[0:1], 0
.LBB231_1375:
	s_andn2_b64 vcc, exec, s[0:1]
	s_cbranch_vccnz .LBB231_1377
; %bb.1376:
	global_load_dword v5, v[0:1], off
	s_movk_i32 s0, 0x7fff
	v_mov_b32_e32 v8, 0x7fc0
	s_waitcnt vmcnt(0)
	v_cvt_f32_f16_e32 v7, v5
	v_cmp_o_f16_e32 vcc, v5, v5
	v_bfe_u32 v5, v7, 16, 1
	v_add3_u32 v5, v7, v5, s0
	v_cndmask_b32_sdwa v5, v8, v5, vcc dst_sel:DWORD dst_unused:UNUSED_PAD src0_sel:DWORD src1_sel:WORD_1
.LBB231_1377:
	s_mov_b64 s[0:1], 0
.LBB231_1378:
	s_andn2_b64 vcc, exec, s[0:1]
	s_cbranch_vccnz .LBB231_1389
; %bb.1379:
	s_cmp_lt_i32 s24, 6
	s_cbranch_scc1 .LBB231_1382
; %bb.1380:
	s_cmp_gt_i32 s24, 6
	s_cbranch_scc0 .LBB231_1383
; %bb.1381:
	global_load_dwordx2 v[7:8], v[0:1], off
	s_movk_i32 s0, 0x7fff
	s_waitcnt vmcnt(0)
	v_cvt_f32_f64_e32 v5, v[7:8]
	v_mov_b32_e32 v7, 0x7fc0
	v_bfe_u32 v8, v5, 16, 1
	v_cmp_o_f32_e32 vcc, v5, v5
	v_add3_u32 v5, v5, v8, s0
	v_cndmask_b32_sdwa v5, v7, v5, vcc dst_sel:DWORD dst_unused:UNUSED_PAD src0_sel:DWORD src1_sel:WORD_1
	s_mov_b64 s[0:1], 0
	s_branch .LBB231_1384
.LBB231_1382:
	s_mov_b64 s[0:1], -1
                                        ; implicit-def: $vgpr5
	s_branch .LBB231_1387
.LBB231_1383:
	s_mov_b64 s[0:1], -1
                                        ; implicit-def: $vgpr5
.LBB231_1384:
	s_andn2_b64 vcc, exec, s[0:1]
	s_cbranch_vccnz .LBB231_1386
; %bb.1385:
	global_load_dword v5, v[0:1], off
	s_movk_i32 s0, 0x7fff
	v_mov_b32_e32 v7, 0x7fc0
	s_waitcnt vmcnt(0)
	v_bfe_u32 v8, v5, 16, 1
	v_cmp_o_f32_e32 vcc, v5, v5
	v_add3_u32 v5, v5, v8, s0
	v_cndmask_b32_sdwa v5, v7, v5, vcc dst_sel:DWORD dst_unused:UNUSED_PAD src0_sel:DWORD src1_sel:WORD_1
.LBB231_1386:
	s_mov_b64 s[0:1], 0
.LBB231_1387:
	s_andn2_b64 vcc, exec, s[0:1]
	s_cbranch_vccnz .LBB231_1389
; %bb.1388:
	global_load_ushort v5, v[0:1], off
	s_movk_i32 s0, 0x7fff
	v_mov_b32_e32 v8, 0x7fc0
	s_waitcnt vmcnt(0)
	v_cvt_f32_f16_e32 v7, v5
	v_cmp_o_f16_e32 vcc, v5, v5
	v_bfe_u32 v5, v7, 16, 1
	v_add3_u32 v5, v7, v5, s0
	v_cndmask_b32_sdwa v5, v8, v5, vcc dst_sel:DWORD dst_unused:UNUSED_PAD src0_sel:DWORD src1_sel:WORD_1
.LBB231_1389:
	s_mov_b64 s[0:1], 0
.LBB231_1390:
	s_andn2_b64 vcc, exec, s[0:1]
	s_cbranch_vccnz .LBB231_1410
; %bb.1391:
	s_cmp_lt_i32 s24, 2
	s_cbranch_scc1 .LBB231_1395
; %bb.1392:
	s_cmp_lt_i32 s24, 3
	s_cbranch_scc1 .LBB231_1396
; %bb.1393:
	s_cmp_gt_i32 s24, 3
	s_cbranch_scc0 .LBB231_1397
; %bb.1394:
	global_load_dwordx2 v[7:8], v[0:1], off
	s_movk_i32 s0, 0x7fff
	s_waitcnt vmcnt(0)
	v_xor_b32_e32 v9, v7, v8
	v_ffbh_i32_e32 v5, v8
	v_ashrrev_i32_e32 v9, 31, v9
	v_add_u32_e32 v5, -1, v5
	v_add_u32_e32 v9, 32, v9
	v_min_u32_e32 v5, v5, v9
	v_lshlrev_b64 v[7:8], v5, v[7:8]
	v_sub_u32_e32 v5, 32, v5
	v_min_u32_e32 v7, 1, v7
	v_or_b32_e32 v7, v8, v7
	v_cvt_f32_i32_e32 v7, v7
	v_ldexp_f32 v5, v7, v5
	v_bfe_u32 v7, v5, 16, 1
	v_add3_u32 v5, v5, v7, s0
	v_lshrrev_b32_e32 v5, 16, v5
	s_mov_b64 s[0:1], 0
	s_branch .LBB231_1398
.LBB231_1395:
	s_mov_b64 s[0:1], -1
                                        ; implicit-def: $vgpr5
	s_branch .LBB231_1404
.LBB231_1396:
	s_mov_b64 s[0:1], -1
                                        ; implicit-def: $vgpr5
	s_branch .LBB231_1401
.LBB231_1397:
	s_mov_b64 s[0:1], -1
                                        ; implicit-def: $vgpr5
.LBB231_1398:
	s_andn2_b64 vcc, exec, s[0:1]
	s_cbranch_vccnz .LBB231_1400
; %bb.1399:
	global_load_dword v5, v[0:1], off
	s_movk_i32 s0, 0x7fff
	s_waitcnt vmcnt(0)
	v_cvt_f32_i32_e32 v5, v5
	v_bfe_u32 v7, v5, 16, 1
	v_add3_u32 v5, v5, v7, s0
	v_lshrrev_b32_e32 v5, 16, v5
.LBB231_1400:
	s_mov_b64 s[0:1], 0
.LBB231_1401:
	s_andn2_b64 vcc, exec, s[0:1]
	s_cbranch_vccnz .LBB231_1403
; %bb.1402:
	global_load_sshort v5, v[0:1], off
	s_movk_i32 s0, 0x7fff
	s_waitcnt vmcnt(0)
	v_cvt_f32_i32_e32 v5, v5
	v_bfe_u32 v7, v5, 16, 1
	v_add3_u32 v5, v5, v7, s0
	v_lshrrev_b32_e32 v5, 16, v5
.LBB231_1403:
	s_mov_b64 s[0:1], 0
.LBB231_1404:
	s_andn2_b64 vcc, exec, s[0:1]
	s_cbranch_vccnz .LBB231_1410
; %bb.1405:
	s_cmp_gt_i32 s24, 0
	s_cbranch_scc0 .LBB231_1407
; %bb.1406:
	global_load_sbyte v5, v[0:1], off
	s_movk_i32 s0, 0x7fff
	s_waitcnt vmcnt(0)
	v_cvt_f32_i32_e32 v5, v5
	v_bfe_u32 v7, v5, 16, 1
	v_add3_u32 v5, v5, v7, s0
	v_lshrrev_b32_e32 v5, 16, v5
	s_mov_b64 s[0:1], 0
	s_branch .LBB231_1408
.LBB231_1407:
	s_mov_b64 s[0:1], -1
                                        ; implicit-def: $vgpr5
.LBB231_1408:
	s_andn2_b64 vcc, exec, s[0:1]
	s_cbranch_vccnz .LBB231_1410
; %bb.1409:
	global_load_ubyte v0, v[0:1], off
	s_movk_i32 s0, 0x7fff
	s_waitcnt vmcnt(0)
	v_cvt_f32_ubyte0_e32 v0, v0
	v_bfe_u32 v1, v0, 16, 1
	v_add3_u32 v0, v0, v1, s0
	v_lshrrev_b32_e32 v5, 16, v0
.LBB231_1410:
.LBB231_1411:
	v_add_u32_e32 v0, s13, v6
	v_ashrrev_i32_e32 v1, 31, v0
	v_mov_b32_e32 v6, s11
	v_add_co_u32_e32 v0, vcc, s10, v0
	s_cmp_lt_i32 s24, 11
	v_addc_co_u32_e32 v1, vcc, v6, v1, vcc
	s_cbranch_scc1 .LBB231_1418
; %bb.1412:
	s_cmp_gt_i32 s24, 25
	s_mov_b64 s[2:3], 0
	s_cbranch_scc0 .LBB231_1419
; %bb.1413:
	s_cmp_gt_i32 s24, 28
	s_cbranch_scc0 .LBB231_1420
; %bb.1414:
	s_cmp_gt_i32 s24, 43
	;; [unrolled: 3-line block ×3, first 2 shown]
	s_cbranch_scc0 .LBB231_1423
; %bb.1416:
	s_cmp_eq_u32 s24, 46
	s_mov_b64 s[18:19], 0
	s_cbranch_scc0 .LBB231_1424
; %bb.1417:
	global_load_dword v6, v[0:1], off
	s_mov_b64 s[0:1], 0
	s_mov_b64 s[10:11], -1
	s_branch .LBB231_1425
.LBB231_1418:
	s_mov_b64 s[0:1], -1
	s_mov_b64 s[10:11], 0
                                        ; implicit-def: $vgpr6
	s_branch .LBB231_1491
.LBB231_1419:
	s_mov_b64 s[18:19], -1
	s_mov_b64 s[10:11], 0
	s_mov_b64 s[0:1], 0
                                        ; implicit-def: $vgpr6
	s_branch .LBB231_1454
.LBB231_1420:
	s_mov_b64 s[18:19], -1
	s_mov_b64 s[10:11], 0
	s_mov_b64 s[0:1], 0
                                        ; implicit-def: $vgpr6
	s_branch .LBB231_1435
.LBB231_1421:
	s_mov_b64 s[18:19], -1
	s_mov_b64 s[10:11], 0
	s_mov_b64 s[0:1], 0
                                        ; implicit-def: $vgpr6
	s_branch .LBB231_1430
.LBB231_1422:
	s_trap 2
	s_or_b64 s[16:17], s[16:17], exec
	s_cbranch_execz .LBB231_1361
	s_branch .LBB231_1362
.LBB231_1423:
	s_mov_b64 s[18:19], -1
	s_mov_b64 s[10:11], 0
	s_mov_b64 s[0:1], 0
                                        ; implicit-def: $vgpr6
	s_branch .LBB231_1425
.LBB231_1424:
	s_mov_b64 s[0:1], -1
                                        ; implicit-def: $vgpr6
	s_mov_b64 s[10:11], 0
.LBB231_1425:
	s_and_b64 vcc, exec, s[18:19]
	s_cbranch_vccz .LBB231_1429
; %bb.1426:
	s_cmp_eq_u32 s24, 44
	s_cbranch_scc0 .LBB231_1428
; %bb.1427:
	global_load_ubyte v6, v[0:1], off
	s_movk_i32 s10, 0xff
	v_mov_b32_e32 v7, 0x7f800001
	v_mov_b32_e32 v8, 0x400000
	v_mov_b32_e32 v9, 0x7fc0
	s_mov_b64 s[0:1], 0
	s_waitcnt vmcnt(0)
	v_lshlrev_b32_e32 v10, 23, v6
	v_cmp_ne_u32_e32 vcc, s10, v6
	v_cndmask_b32_e32 v7, v7, v10, vcc
	v_cmp_ne_u32_e32 vcc, 0, v6
	v_cndmask_b32_e32 v6, v8, v7, vcc
	v_add_u32_e32 v7, 0x7fff, v6
	v_cmp_o_f32_e32 vcc, v6, v6
	v_cndmask_b32_sdwa v6, v9, v7, vcc dst_sel:DWORD dst_unused:UNUSED_PAD src0_sel:DWORD src1_sel:WORD_1
	s_mov_b64 s[10:11], -1
	s_branch .LBB231_1429
.LBB231_1428:
	s_mov_b64 s[0:1], -1
                                        ; implicit-def: $vgpr6
.LBB231_1429:
	s_mov_b64 s[18:19], 0
.LBB231_1430:
	s_and_b64 vcc, exec, s[18:19]
	s_cbranch_vccz .LBB231_1434
; %bb.1431:
	s_cmp_eq_u32 s24, 29
	s_cbranch_scc0 .LBB231_1433
; %bb.1432:
	global_load_dwordx2 v[6:7], v[0:1], off
	s_movk_i32 s10, 0x7fff
	s_mov_b64 s[0:1], 0
	s_mov_b64 s[18:19], 0
	s_waitcnt vmcnt(0)
	v_ffbh_u32_e32 v8, v7
	v_min_u32_e32 v8, 32, v8
	v_lshlrev_b64 v[6:7], v8, v[6:7]
	v_min_u32_e32 v6, 1, v6
	v_or_b32_e32 v6, v7, v6
	v_cvt_f32_u32_e32 v6, v6
	v_sub_u32_e32 v7, 32, v8
	v_ldexp_f32 v6, v6, v7
	v_bfe_u32 v7, v6, 16, 1
	v_add3_u32 v6, v6, v7, s10
	v_lshrrev_b32_e32 v6, 16, v6
	s_mov_b64 s[10:11], -1
	s_branch .LBB231_1435
.LBB231_1433:
	s_mov_b64 s[0:1], -1
                                        ; implicit-def: $vgpr6
.LBB231_1434:
	s_mov_b64 s[18:19], 0
.LBB231_1435:
	s_and_b64 vcc, exec, s[18:19]
	s_cbranch_vccz .LBB231_1453
; %bb.1436:
	s_cmp_lt_i32 s24, 27
	s_cbranch_scc1 .LBB231_1439
; %bb.1437:
	s_cmp_gt_i32 s24, 27
	s_cbranch_scc0 .LBB231_1440
; %bb.1438:
	global_load_dword v6, v[0:1], off
	s_movk_i32 s10, 0x7fff
	s_waitcnt vmcnt(0)
	v_cvt_f32_u32_e32 v6, v6
	v_bfe_u32 v7, v6, 16, 1
	v_add3_u32 v6, v6, v7, s10
	v_lshrrev_b32_e32 v6, 16, v6
	s_mov_b64 s[10:11], 0
	s_branch .LBB231_1441
.LBB231_1439:
	s_mov_b64 s[10:11], -1
                                        ; implicit-def: $vgpr6
	s_branch .LBB231_1444
.LBB231_1440:
	s_mov_b64 s[10:11], -1
                                        ; implicit-def: $vgpr6
.LBB231_1441:
	s_andn2_b64 vcc, exec, s[10:11]
	s_cbranch_vccnz .LBB231_1443
; %bb.1442:
	global_load_ushort v6, v[0:1], off
	s_movk_i32 s10, 0x7fff
	s_waitcnt vmcnt(0)
	v_cvt_f32_u32_e32 v6, v6
	v_bfe_u32 v7, v6, 16, 1
	v_add3_u32 v6, v6, v7, s10
	v_lshrrev_b32_e32 v6, 16, v6
.LBB231_1443:
	s_mov_b64 s[10:11], 0
.LBB231_1444:
	s_andn2_b64 vcc, exec, s[10:11]
	s_cbranch_vccnz .LBB231_1452
; %bb.1445:
	global_load_ubyte v6, v[0:1], off
	s_movk_i32 s10, 0x7f
	s_waitcnt vmcnt(0)
	v_cmp_lt_i16_e32 vcc, s10, v6
	s_mov_b64 s[10:11], 0
	s_and_saveexec_b64 s[18:19], vcc
	s_xor_b64 s[18:19], exec, s[18:19]
	s_cbranch_execz .LBB231_1466
; %bb.1446:
	s_movk_i32 s10, 0x80
	v_cmp_eq_u16_e32 vcc, s10, v6
	s_mov_b64 s[10:11], -1
	s_and_saveexec_b64 s[20:21], vcc
; %bb.1447:
	s_xor_b64 s[10:11], exec, -1
; %bb.1448:
	s_or_b64 exec, exec, s[20:21]
	s_and_b64 s[10:11], s[10:11], exec
	s_or_saveexec_b64 s[18:19], s[18:19]
	v_mov_b32_e32 v7, 0x7f800001
	s_xor_b64 exec, exec, s[18:19]
	s_cbranch_execnz .LBB231_1467
.LBB231_1449:
	s_or_b64 exec, exec, s[18:19]
	s_and_saveexec_b64 s[18:19], s[10:11]
	s_cbranch_execz .LBB231_1451
.LBB231_1450:
	v_lshlrev_b32_e32 v7, 24, v6
	v_and_b32_e32 v6, 0xffff, v6
	v_and_b32_e32 v8, 7, v6
	v_ffbh_u32_e32 v10, v8
	v_min_u32_e32 v10, 32, v10
	v_subrev_u32_e32 v11, 28, v10
	v_bfe_u32 v9, v6, 3, 4
	v_lshlrev_b32_e32 v6, v11, v6
	v_sub_u32_e32 v10, 29, v10
	v_and_b32_e32 v6, 7, v6
	v_cmp_eq_u32_e32 vcc, 0, v9
	v_cndmask_b32_e32 v9, v9, v10, vcc
	v_cndmask_b32_e32 v6, v8, v6, vcc
	v_mov_b32_e32 v8, 0x3b800000
	v_lshlrev_b32_e32 v6, 20, v6
	v_and_b32_e32 v7, 0x80000000, v7
	v_lshl_add_u32 v8, v9, 23, v8
	v_or3_b32 v7, v7, v8, v6
.LBB231_1451:
	s_or_b64 exec, exec, s[18:19]
	v_bfe_u32 v6, v7, 16, 1
	s_movk_i32 s10, 0x7fff
	v_add3_u32 v6, v7, v6, s10
	v_cmp_o_f32_e32 vcc, v7, v7
	v_mov_b32_e32 v7, 0x7fc0
	v_cndmask_b32_sdwa v6, v7, v6, vcc dst_sel:DWORD dst_unused:UNUSED_PAD src0_sel:DWORD src1_sel:WORD_1
.LBB231_1452:
	s_mov_b64 s[10:11], -1
.LBB231_1453:
	s_mov_b64 s[18:19], 0
.LBB231_1454:
	s_and_b64 vcc, exec, s[18:19]
	s_cbranch_vccz .LBB231_1487
; %bb.1455:
	s_cmp_gt_i32 s24, 22
	s_cbranch_scc0 .LBB231_1465
; %bb.1456:
	s_cmp_lt_i32 s24, 24
	s_cbranch_scc1 .LBB231_1468
; %bb.1457:
	s_cmp_gt_i32 s24, 24
	s_cbranch_scc0 .LBB231_1469
; %bb.1458:
	global_load_ubyte v6, v[0:1], off
	s_movk_i32 s2, 0x7f
	s_waitcnt vmcnt(0)
	v_cmp_lt_i16_e32 vcc, s2, v6
	s_mov_b64 s[2:3], 0
	s_and_saveexec_b64 s[10:11], vcc
	s_xor_b64 s[10:11], exec, s[10:11]
	s_cbranch_execz .LBB231_1481
; %bb.1459:
	s_movk_i32 s2, 0x80
	v_cmp_eq_u16_e32 vcc, s2, v6
	s_mov_b64 s[2:3], -1
	s_and_saveexec_b64 s[18:19], vcc
; %bb.1460:
	s_xor_b64 s[2:3], exec, -1
; %bb.1461:
	s_or_b64 exec, exec, s[18:19]
	s_and_b64 s[2:3], s[2:3], exec
	s_or_saveexec_b64 s[10:11], s[10:11]
	v_mov_b32_e32 v7, 0x7f800001
	s_xor_b64 exec, exec, s[10:11]
	s_cbranch_execnz .LBB231_1482
.LBB231_1462:
	s_or_b64 exec, exec, s[10:11]
	s_and_saveexec_b64 s[10:11], s[2:3]
	s_cbranch_execz .LBB231_1464
.LBB231_1463:
	v_lshlrev_b32_e32 v7, 24, v6
	v_and_b32_e32 v6, 0xffff, v6
	v_and_b32_e32 v8, 3, v6
	v_ffbh_u32_e32 v10, v8
	v_min_u32_e32 v10, 32, v10
	v_subrev_u32_e32 v11, 29, v10
	v_bfe_u32 v9, v6, 2, 5
	v_lshlrev_b32_e32 v6, v11, v6
	v_sub_u32_e32 v10, 30, v10
	v_and_b32_e32 v6, 3, v6
	v_cmp_eq_u32_e32 vcc, 0, v9
	v_cndmask_b32_e32 v9, v9, v10, vcc
	v_cndmask_b32_e32 v6, v8, v6, vcc
	v_mov_b32_e32 v8, 0x37800000
	v_lshlrev_b32_e32 v6, 21, v6
	v_and_b32_e32 v7, 0x80000000, v7
	v_lshl_add_u32 v8, v9, 23, v8
	v_or3_b32 v7, v7, v8, v6
.LBB231_1464:
	s_or_b64 exec, exec, s[10:11]
	v_bfe_u32 v6, v7, 16, 1
	s_movk_i32 s2, 0x7fff
	v_add3_u32 v6, v7, v6, s2
	v_cmp_o_f32_e32 vcc, v7, v7
	v_mov_b32_e32 v7, 0x7fc0
	v_cndmask_b32_sdwa v6, v7, v6, vcc dst_sel:DWORD dst_unused:UNUSED_PAD src0_sel:DWORD src1_sel:WORD_1
	s_mov_b64 s[2:3], 0
	s_branch .LBB231_1470
.LBB231_1465:
	s_mov_b64 s[2:3], -1
                                        ; implicit-def: $vgpr6
	s_branch .LBB231_1476
.LBB231_1466:
	s_or_saveexec_b64 s[18:19], s[18:19]
	v_mov_b32_e32 v7, 0x7f800001
	s_xor_b64 exec, exec, s[18:19]
	s_cbranch_execz .LBB231_1449
.LBB231_1467:
	v_cmp_ne_u16_e32 vcc, 0, v6
	s_andn2_b64 s[10:11], s[10:11], exec
	s_and_b64 s[20:21], vcc, exec
	v_mov_b32_e32 v7, 0
	s_or_b64 s[10:11], s[10:11], s[20:21]
	s_or_b64 exec, exec, s[18:19]
	s_and_saveexec_b64 s[18:19], s[10:11]
	s_cbranch_execnz .LBB231_1450
	s_branch .LBB231_1451
.LBB231_1468:
	s_mov_b64 s[2:3], -1
                                        ; implicit-def: $vgpr6
	s_branch .LBB231_1473
.LBB231_1469:
	s_mov_b64 s[2:3], -1
                                        ; implicit-def: $vgpr6
.LBB231_1470:
	s_and_b64 vcc, exec, s[2:3]
	s_cbranch_vccz .LBB231_1472
; %bb.1471:
	global_load_ubyte v6, v[0:1], off
	s_mov_b32 s2, 0x7f800000
	s_brev_b32 s3, 1
	s_movk_i32 s10, 0x7fff
	s_waitcnt vmcnt(0)
	v_lshlrev_b32_e32 v6, 24, v6
	v_and_b32_e32 v7, 0x7f000000, v6
	v_ffbh_u32_e32 v8, v7
	v_min_u32_e32 v8, 32, v8
	v_sub_u32_e64 v8, v8, 4 clamp
	v_lshlrev_b32_e32 v10, v8, v7
	v_lshlrev_b32_e32 v8, 23, v8
	v_lshrrev_b32_e32 v10, 4, v10
	v_add_u32_e32 v9, 0x1000000, v7
	v_sub_u32_e32 v8, v10, v8
	v_ashrrev_i32_e32 v9, 8, v9
	v_add_u32_e32 v8, 0x3c000000, v8
	v_and_or_b32 v8, v9, s2, v8
	v_cmp_ne_u32_e32 vcc, 0, v7
	v_cndmask_b32_e32 v7, 0, v8, vcc
	v_and_or_b32 v6, v6, s3, v7
	v_bfe_u32 v7, v7, 16, 1
	v_add3_u32 v7, v6, v7, s10
	v_cmp_o_f32_e32 vcc, v6, v6
	v_mov_b32_e32 v6, 0x7fc0
	v_cndmask_b32_sdwa v6, v6, v7, vcc dst_sel:DWORD dst_unused:UNUSED_PAD src0_sel:DWORD src1_sel:WORD_1
.LBB231_1472:
	s_mov_b64 s[2:3], 0
.LBB231_1473:
	s_andn2_b64 vcc, exec, s[2:3]
	s_cbranch_vccnz .LBB231_1475
; %bb.1474:
	global_load_ubyte v6, v[0:1], off
	s_movk_i32 s2, 0x7f00
	s_brev_b32 s3, 16
	s_brev_b32 s10, 1
	s_movk_i32 s11, 0x7fff
	s_waitcnt vmcnt(0)
	v_lshlrev_b16_e32 v7, 8, v6
	v_lshlrev_b32_e32 v6, 25, v6
	v_lshrrev_b32_e32 v8, 4, v6
	v_and_or_b32 v9, v7, s2, 0.5
	v_or_b32_e32 v8, 0x70000000, v8
	v_add_f32_e32 v9, -0.5, v9
	v_mul_f32_e32 v8, 0x7800000, v8
	v_cmp_gt_u32_e32 vcc, s3, v6
	v_bfe_i32 v7, v7, 0, 16
	v_cndmask_b32_e32 v6, v8, v9, vcc
	v_and_or_b32 v7, v7, s10, v6
	v_bfe_u32 v6, v6, 16, 1
	v_add3_u32 v6, v7, v6, s11
	v_cmp_o_f32_e32 vcc, v7, v7
	v_mov_b32_e32 v7, 0x7fc0
	v_cndmask_b32_sdwa v6, v7, v6, vcc dst_sel:DWORD dst_unused:UNUSED_PAD src0_sel:DWORD src1_sel:WORD_1
.LBB231_1475:
	s_mov_b64 s[2:3], 0
	s_mov_b64 s[10:11], -1
.LBB231_1476:
	s_andn2_b64 vcc, exec, s[2:3]
	s_mov_b64 s[2:3], 0
	s_cbranch_vccnz .LBB231_1487
; %bb.1477:
	s_cmp_gt_i32 s24, 14
	s_cbranch_scc0 .LBB231_1480
; %bb.1478:
	s_cmp_eq_u32 s24, 15
	s_cbranch_scc0 .LBB231_1483
; %bb.1479:
	global_load_ushort v6, v[0:1], off
	s_mov_b64 s[0:1], 0
	s_mov_b64 s[10:11], -1
	s_branch .LBB231_1484
.LBB231_1480:
	s_mov_b64 s[18:19], -1
                                        ; implicit-def: $vgpr6
	s_branch .LBB231_1485
.LBB231_1481:
	s_or_saveexec_b64 s[10:11], s[10:11]
	v_mov_b32_e32 v7, 0x7f800001
	s_xor_b64 exec, exec, s[10:11]
	s_cbranch_execz .LBB231_1462
.LBB231_1482:
	v_cmp_ne_u16_e32 vcc, 0, v6
	s_andn2_b64 s[2:3], s[2:3], exec
	s_and_b64 s[18:19], vcc, exec
	v_mov_b32_e32 v7, 0
	s_or_b64 s[2:3], s[2:3], s[18:19]
	s_or_b64 exec, exec, s[10:11]
	s_and_saveexec_b64 s[10:11], s[2:3]
	s_cbranch_execnz .LBB231_1463
	s_branch .LBB231_1464
.LBB231_1483:
	s_mov_b64 s[0:1], -1
                                        ; implicit-def: $vgpr6
.LBB231_1484:
	s_mov_b64 s[18:19], 0
.LBB231_1485:
	s_and_b64 vcc, exec, s[18:19]
	s_cbranch_vccz .LBB231_1487
; %bb.1486:
	s_cmp_lg_u32 s24, 11
	s_mov_b64 s[2:3], -1
	s_cselect_b64 s[0:1], -1, 0
.LBB231_1487:
	s_and_b64 vcc, exec, s[0:1]
	s_cbranch_vccnz .LBB231_2020
; %bb.1488:
	s_andn2_b64 vcc, exec, s[2:3]
	s_cbranch_vccnz .LBB231_1490
.LBB231_1489:
	global_load_ubyte v6, v[0:1], off
	s_mov_b64 s[10:11], -1
	s_waitcnt vmcnt(0)
	v_cmp_ne_u16_e32 vcc, 0, v6
	v_cndmask_b32_e64 v6, 0, 1.0, vcc
	v_lshrrev_b32_e32 v6, 16, v6
.LBB231_1490:
	s_mov_b64 s[0:1], 0
.LBB231_1491:
	s_and_b64 vcc, exec, s[0:1]
	s_cbranch_vccz .LBB231_1540
; %bb.1492:
	s_cmp_lt_i32 s24, 5
	s_cbranch_scc1 .LBB231_1497
; %bb.1493:
	s_cmp_lt_i32 s24, 8
	s_cbranch_scc1 .LBB231_1498
	;; [unrolled: 3-line block ×3, first 2 shown]
; %bb.1495:
	s_cmp_gt_i32 s24, 9
	s_cbranch_scc0 .LBB231_1500
; %bb.1496:
	global_load_dwordx2 v[6:7], v[0:1], off
	s_movk_i32 s0, 0x7fff
	s_waitcnt vmcnt(0)
	v_cvt_f32_f64_e32 v6, v[6:7]
	v_mov_b32_e32 v7, 0x7fc0
	v_bfe_u32 v8, v6, 16, 1
	v_cmp_o_f32_e32 vcc, v6, v6
	v_add3_u32 v6, v6, v8, s0
	v_cndmask_b32_sdwa v6, v7, v6, vcc dst_sel:DWORD dst_unused:UNUSED_PAD src0_sel:DWORD src1_sel:WORD_1
	s_mov_b64 s[0:1], 0
	s_branch .LBB231_1501
.LBB231_1497:
	s_mov_b64 s[0:1], -1
                                        ; implicit-def: $vgpr6
	s_branch .LBB231_1519
.LBB231_1498:
	s_mov_b64 s[0:1], -1
                                        ; implicit-def: $vgpr6
	s_branch .LBB231_1507
.LBB231_1499:
	s_mov_b64 s[0:1], -1
                                        ; implicit-def: $vgpr6
	s_branch .LBB231_1504
.LBB231_1500:
	s_mov_b64 s[0:1], -1
                                        ; implicit-def: $vgpr6
.LBB231_1501:
	s_andn2_b64 vcc, exec, s[0:1]
	s_cbranch_vccnz .LBB231_1503
; %bb.1502:
	global_load_dword v6, v[0:1], off
	s_movk_i32 s0, 0x7fff
	v_mov_b32_e32 v7, 0x7fc0
	s_waitcnt vmcnt(0)
	v_bfe_u32 v8, v6, 16, 1
	v_cmp_o_f32_e32 vcc, v6, v6
	v_add3_u32 v6, v6, v8, s0
	v_cndmask_b32_sdwa v6, v7, v6, vcc dst_sel:DWORD dst_unused:UNUSED_PAD src0_sel:DWORD src1_sel:WORD_1
.LBB231_1503:
	s_mov_b64 s[0:1], 0
.LBB231_1504:
	s_andn2_b64 vcc, exec, s[0:1]
	s_cbranch_vccnz .LBB231_1506
; %bb.1505:
	global_load_dword v6, v[0:1], off
	s_movk_i32 s0, 0x7fff
	v_mov_b32_e32 v8, 0x7fc0
	s_waitcnt vmcnt(0)
	v_cvt_f32_f16_e32 v7, v6
	v_cmp_o_f16_e32 vcc, v6, v6
	v_bfe_u32 v6, v7, 16, 1
	v_add3_u32 v6, v7, v6, s0
	v_cndmask_b32_sdwa v6, v8, v6, vcc dst_sel:DWORD dst_unused:UNUSED_PAD src0_sel:DWORD src1_sel:WORD_1
.LBB231_1506:
	s_mov_b64 s[0:1], 0
.LBB231_1507:
	s_andn2_b64 vcc, exec, s[0:1]
	s_cbranch_vccnz .LBB231_1518
; %bb.1508:
	s_cmp_lt_i32 s24, 6
	s_cbranch_scc1 .LBB231_1511
; %bb.1509:
	s_cmp_gt_i32 s24, 6
	s_cbranch_scc0 .LBB231_1512
; %bb.1510:
	global_load_dwordx2 v[6:7], v[0:1], off
	s_movk_i32 s0, 0x7fff
	s_waitcnt vmcnt(0)
	v_cvt_f32_f64_e32 v6, v[6:7]
	v_mov_b32_e32 v7, 0x7fc0
	v_bfe_u32 v8, v6, 16, 1
	v_cmp_o_f32_e32 vcc, v6, v6
	v_add3_u32 v6, v6, v8, s0
	v_cndmask_b32_sdwa v6, v7, v6, vcc dst_sel:DWORD dst_unused:UNUSED_PAD src0_sel:DWORD src1_sel:WORD_1
	s_mov_b64 s[0:1], 0
	s_branch .LBB231_1513
.LBB231_1511:
	s_mov_b64 s[0:1], -1
                                        ; implicit-def: $vgpr6
	s_branch .LBB231_1516
.LBB231_1512:
	s_mov_b64 s[0:1], -1
                                        ; implicit-def: $vgpr6
.LBB231_1513:
	s_andn2_b64 vcc, exec, s[0:1]
	s_cbranch_vccnz .LBB231_1515
; %bb.1514:
	global_load_dword v6, v[0:1], off
	s_movk_i32 s0, 0x7fff
	v_mov_b32_e32 v7, 0x7fc0
	s_waitcnt vmcnt(0)
	v_bfe_u32 v8, v6, 16, 1
	v_cmp_o_f32_e32 vcc, v6, v6
	v_add3_u32 v6, v6, v8, s0
	v_cndmask_b32_sdwa v6, v7, v6, vcc dst_sel:DWORD dst_unused:UNUSED_PAD src0_sel:DWORD src1_sel:WORD_1
.LBB231_1515:
	s_mov_b64 s[0:1], 0
.LBB231_1516:
	s_andn2_b64 vcc, exec, s[0:1]
	s_cbranch_vccnz .LBB231_1518
; %bb.1517:
	global_load_ushort v6, v[0:1], off
	s_movk_i32 s0, 0x7fff
	v_mov_b32_e32 v8, 0x7fc0
	s_waitcnt vmcnt(0)
	v_cvt_f32_f16_e32 v7, v6
	v_cmp_o_f16_e32 vcc, v6, v6
	v_bfe_u32 v6, v7, 16, 1
	v_add3_u32 v6, v7, v6, s0
	v_cndmask_b32_sdwa v6, v8, v6, vcc dst_sel:DWORD dst_unused:UNUSED_PAD src0_sel:DWORD src1_sel:WORD_1
.LBB231_1518:
	s_mov_b64 s[0:1], 0
.LBB231_1519:
	s_andn2_b64 vcc, exec, s[0:1]
	s_cbranch_vccnz .LBB231_1539
; %bb.1520:
	s_cmp_lt_i32 s24, 2
	s_cbranch_scc1 .LBB231_1524
; %bb.1521:
	s_cmp_lt_i32 s24, 3
	s_cbranch_scc1 .LBB231_1525
; %bb.1522:
	s_cmp_gt_i32 s24, 3
	s_cbranch_scc0 .LBB231_1526
; %bb.1523:
	global_load_dwordx2 v[6:7], v[0:1], off
	s_movk_i32 s0, 0x7fff
	s_waitcnt vmcnt(0)
	v_xor_b32_e32 v9, v6, v7
	v_ffbh_i32_e32 v8, v7
	v_ashrrev_i32_e32 v9, 31, v9
	v_add_u32_e32 v8, -1, v8
	v_add_u32_e32 v9, 32, v9
	v_min_u32_e32 v8, v8, v9
	v_lshlrev_b64 v[6:7], v8, v[6:7]
	v_min_u32_e32 v6, 1, v6
	v_or_b32_e32 v6, v7, v6
	v_cvt_f32_i32_e32 v6, v6
	v_sub_u32_e32 v7, 32, v8
	v_ldexp_f32 v6, v6, v7
	v_bfe_u32 v7, v6, 16, 1
	v_add3_u32 v6, v6, v7, s0
	v_lshrrev_b32_e32 v6, 16, v6
	s_mov_b64 s[0:1], 0
	s_branch .LBB231_1527
.LBB231_1524:
	s_mov_b64 s[0:1], -1
                                        ; implicit-def: $vgpr6
	s_branch .LBB231_1533
.LBB231_1525:
	s_mov_b64 s[0:1], -1
                                        ; implicit-def: $vgpr6
	s_branch .LBB231_1530
.LBB231_1526:
	s_mov_b64 s[0:1], -1
                                        ; implicit-def: $vgpr6
.LBB231_1527:
	s_andn2_b64 vcc, exec, s[0:1]
	s_cbranch_vccnz .LBB231_1529
; %bb.1528:
	global_load_dword v6, v[0:1], off
	s_movk_i32 s0, 0x7fff
	s_waitcnt vmcnt(0)
	v_cvt_f32_i32_e32 v6, v6
	v_bfe_u32 v7, v6, 16, 1
	v_add3_u32 v6, v6, v7, s0
	v_lshrrev_b32_e32 v6, 16, v6
.LBB231_1529:
	s_mov_b64 s[0:1], 0
.LBB231_1530:
	s_andn2_b64 vcc, exec, s[0:1]
	s_cbranch_vccnz .LBB231_1532
; %bb.1531:
	global_load_sshort v6, v[0:1], off
	s_movk_i32 s0, 0x7fff
	s_waitcnt vmcnt(0)
	v_cvt_f32_i32_e32 v6, v6
	v_bfe_u32 v7, v6, 16, 1
	v_add3_u32 v6, v6, v7, s0
	v_lshrrev_b32_e32 v6, 16, v6
.LBB231_1532:
	s_mov_b64 s[0:1], 0
.LBB231_1533:
	s_andn2_b64 vcc, exec, s[0:1]
	s_cbranch_vccnz .LBB231_1539
; %bb.1534:
	s_cmp_gt_i32 s24, 0
	s_cbranch_scc0 .LBB231_1536
; %bb.1535:
	global_load_sbyte v6, v[0:1], off
	s_movk_i32 s0, 0x7fff
	s_waitcnt vmcnt(0)
	v_cvt_f32_i32_e32 v6, v6
	v_bfe_u32 v7, v6, 16, 1
	v_add3_u32 v6, v6, v7, s0
	v_lshrrev_b32_e32 v6, 16, v6
	s_mov_b64 s[0:1], 0
	s_branch .LBB231_1537
.LBB231_1536:
	s_mov_b64 s[0:1], -1
                                        ; implicit-def: $vgpr6
.LBB231_1537:
	s_andn2_b64 vcc, exec, s[0:1]
	s_cbranch_vccnz .LBB231_1539
; %bb.1538:
	global_load_ubyte v0, v[0:1], off
	s_movk_i32 s0, 0x7fff
	s_waitcnt vmcnt(0)
	v_cvt_f32_ubyte0_e32 v0, v0
	v_bfe_u32 v1, v0, 16, 1
	v_add3_u32 v0, v0, v1, s0
	v_lshrrev_b32_e32 v6, 16, v0
.LBB231_1539:
	s_mov_b64 s[10:11], -1
.LBB231_1540:
	s_andn2_b64 vcc, exec, s[10:11]
	s_cbranch_vccnz .LBB231_1974
; %bb.1541:
	v_mul_lo_u32 v2, s12, v2
	s_lshl_b32 s23, s44, 16
	s_waitcnt vmcnt(0)
	v_lshlrev_b32_e32 v0, 16, v3
	v_mov_b32_e32 v1, s15
	v_mov_b32_e32 v3, s33
	v_cmp_ge_f32_e32 vcc, s23, v0
	v_cndmask_b32_e32 v3, v1, v3, vcc
	v_ashrrev_i32_e32 v1, 31, v2
	v_mov_b32_e32 v7, s9
	s_and_b32 s22, s14, 0xff
	v_add_co_u32_e32 v0, vcc, s8, v2
	s_cmp_lt_i32 s22, 11
	v_addc_co_u32_e32 v1, vcc, v7, v1, vcc
	s_cbranch_scc1 .LBB231_1619
; %bb.1542:
	s_and_b32 s13, 0xffff, s22
	s_mov_b64 s[18:19], -1
	s_mov_b64 s[2:3], 0
	s_cmp_gt_i32 s13, 25
	s_mov_b64 s[10:11], 0
	s_mov_b64 s[0:1], 0
	s_cbranch_scc0 .LBB231_1575
; %bb.1543:
	s_cmp_gt_i32 s13, 28
	s_cbranch_scc0 .LBB231_1558
; %bb.1544:
	s_cmp_gt_i32 s13, 43
	;; [unrolled: 3-line block ×3, first 2 shown]
	s_cbranch_scc0 .LBB231_1548
; %bb.1546:
	s_mov_b64 s[0:1], -1
	s_mov_b64 s[18:19], 0
	s_cmp_eq_u32 s13, 46
	s_cbranch_scc0 .LBB231_1548
; %bb.1547:
	v_and_b32_e32 v7, 0xffff, v3
	global_store_dword v[0:1], v7, off
	s_mov_b64 s[0:1], 0
	s_mov_b64 s[10:11], -1
.LBB231_1548:
	s_and_b64 vcc, exec, s[18:19]
	s_cbranch_vccz .LBB231_1553
; %bb.1549:
	s_cmp_eq_u32 s13, 44
	s_mov_b64 s[0:1], -1
	s_cbranch_scc0 .LBB231_1553
; %bb.1550:
	v_and_b32_e32 v8, 0xffff, v3
	v_bfe_u32 v7, v8, 7, 8
	s_movk_i32 s0, 0xff
	v_cmp_ne_u32_e32 vcc, s0, v7
	v_mov_b32_e32 v9, 0xff
	s_and_saveexec_b64 s[10:11], vcc
	s_cbranch_execz .LBB231_1552
; %bb.1551:
	v_lshlrev_b32_e32 v10, 16, v8
	s_mov_b32 s0, 0x3f0000
	v_lshrrev_b32_e32 v9, 7, v8
	v_and_b32_e32 v8, 64, v8
	v_and_or_b32 v7, v10, s0, v7
	v_cmp_ne_u32_e32 vcc, 0, v8
	v_cmp_ne_u32_e64 s[0:1], 0, v7
	s_and_b64 s[0:1], vcc, s[0:1]
	v_cndmask_b32_e64 v7, 0, 1, s[0:1]
	v_add_u32_e32 v9, v9, v7
.LBB231_1552:
	s_or_b64 exec, exec, s[10:11]
	s_mov_b64 s[0:1], 0
	s_mov_b64 s[10:11], -1
	global_store_byte v[0:1], v9, off
.LBB231_1553:
	s_mov_b64 s[18:19], 0
.LBB231_1554:
	s_and_b64 vcc, exec, s[18:19]
	s_cbranch_vccz .LBB231_1557
; %bb.1555:
	s_cmp_eq_u32 s13, 29
	s_mov_b64 s[0:1], -1
	s_cbranch_scc0 .LBB231_1557
; %bb.1556:
	v_lshlrev_b32_e32 v7, 16, v3
	v_trunc_f32_e32 v7, v7
	v_mul_f32_e32 v8, 0x2f800000, v7
	v_floor_f32_e32 v9, v8
	v_fmac_f32_e32 v7, 0xcf800000, v9
	v_cvt_u32_f32_e32 v8, v9
	v_cvt_u32_f32_e32 v7, v7
	s_mov_b64 s[0:1], 0
	s_mov_b64 s[10:11], -1
	global_store_dwordx2 v[0:1], v[7:8], off
.LBB231_1557:
	s_mov_b64 s[18:19], 0
.LBB231_1558:
	s_and_b64 vcc, exec, s[18:19]
	s_cbranch_vccz .LBB231_1574
; %bb.1559:
	s_cmp_lt_i32 s13, 27
	s_mov_b64 s[10:11], -1
	s_cbranch_scc1 .LBB231_1565
; %bb.1560:
	s_cmp_gt_i32 s13, 27
	s_cbranch_scc0 .LBB231_1562
; %bb.1561:
	v_lshlrev_b32_e32 v7, 16, v3
	v_cvt_u32_f32_e32 v7, v7
	s_mov_b64 s[10:11], 0
	global_store_dword v[0:1], v7, off
.LBB231_1562:
	s_andn2_b64 vcc, exec, s[10:11]
	s_cbranch_vccnz .LBB231_1564
; %bb.1563:
	v_lshlrev_b32_e32 v7, 16, v3
	v_cvt_u32_f32_e32 v7, v7
	global_store_short v[0:1], v7, off
.LBB231_1564:
	s_mov_b64 s[10:11], 0
.LBB231_1565:
	s_andn2_b64 vcc, exec, s[10:11]
	s_cbranch_vccnz .LBB231_1573
; %bb.1566:
	v_lshlrev_b32_e32 v9, 16, v3
	v_and_b32_e32 v8, 0x7fffffff, v9
	s_mov_b32 s10, 0x43800000
	v_cmp_gt_u32_e32 vcc, s10, v8
	v_mov_b32_e32 v10, 0x80
	s_and_saveexec_b64 s[10:11], vcc
	s_cbranch_execz .LBB231_1572
; %bb.1567:
	s_mov_b32 s14, 0x3bffffff
	v_and_b32_e32 v7, 0xffff, v3
	v_cmp_lt_u32_e32 vcc, s14, v8
	s_mov_b64 s[18:19], 0
                                        ; implicit-def: $vgpr8
	s_and_saveexec_b64 s[20:21], vcc
	s_xor_b64 s[20:21], exec, s[20:21]
	s_cbranch_execz .LBB231_2021
; %bb.1568:
	v_bfe_u32 v8, v7, 4, 1
	s_mov_b32 s14, 0x487ffff
	v_add3_u32 v8, v9, v8, s14
	s_mov_b64 s[18:19], exec
	v_lshrrev_b32_e32 v8, 20, v8
                                        ; implicit-def: $vgpr9
	s_andn2_saveexec_b64 s[20:21], s[20:21]
	s_cbranch_execnz .LBB231_2022
.LBB231_1569:
	s_or_b64 exec, exec, s[20:21]
	v_mov_b32_e32 v10, 0
	s_and_saveexec_b64 s[20:21], s[18:19]
.LBB231_1570:
	v_lshrrev_b32_e32 v7, 8, v7
	s_movk_i32 s14, 0x80
	v_and_or_b32 v10, v7, s14, v8
.LBB231_1571:
	s_or_b64 exec, exec, s[20:21]
.LBB231_1572:
	s_or_b64 exec, exec, s[10:11]
	global_store_byte v[0:1], v10, off
.LBB231_1573:
	s_mov_b64 s[10:11], -1
.LBB231_1574:
	s_mov_b64 s[18:19], 0
.LBB231_1575:
	s_and_b64 vcc, exec, s[18:19]
	s_cbranch_vccz .LBB231_1615
; %bb.1576:
	s_cmp_gt_i32 s13, 22
	s_mov_b64 s[2:3], -1
	s_cbranch_scc0 .LBB231_1608
; %bb.1577:
	s_cmp_lt_i32 s13, 24
	s_cbranch_scc1 .LBB231_1597
; %bb.1578:
	s_cmp_gt_i32 s13, 24
	s_cbranch_scc0 .LBB231_1586
; %bb.1579:
	v_lshlrev_b32_e32 v9, 16, v3
	v_and_b32_e32 v8, 0x7fffffff, v9
	s_mov_b32 s2, 0x47800000
	v_cmp_gt_u32_e32 vcc, s2, v8
	v_mov_b32_e32 v10, 0x80
	s_and_saveexec_b64 s[2:3], vcc
	s_cbranch_execz .LBB231_1585
; %bb.1580:
	s_mov_b32 s10, 0x37ffffff
	v_and_b32_e32 v7, 0xffff, v3
	v_cmp_lt_u32_e32 vcc, s10, v8
	s_mov_b64 s[10:11], 0
                                        ; implicit-def: $vgpr8
	s_and_saveexec_b64 s[18:19], vcc
	s_xor_b64 s[18:19], exec, s[18:19]
	s_cbranch_execz .LBB231_2024
; %bb.1581:
	v_bfe_u32 v8, v7, 5, 1
	s_mov_b32 s14, 0x88fffff
	v_add3_u32 v8, v9, v8, s14
	s_mov_b64 s[10:11], exec
	v_lshrrev_b32_e32 v8, 21, v8
                                        ; implicit-def: $vgpr9
	s_andn2_saveexec_b64 s[18:19], s[18:19]
	s_cbranch_execnz .LBB231_2025
.LBB231_1582:
	s_or_b64 exec, exec, s[18:19]
	v_mov_b32_e32 v10, 0
	s_and_saveexec_b64 s[18:19], s[10:11]
.LBB231_1583:
	v_lshrrev_b32_e32 v7, 8, v7
	s_movk_i32 s10, 0x80
	v_and_or_b32 v10, v7, s10, v8
.LBB231_1584:
	s_or_b64 exec, exec, s[18:19]
.LBB231_1585:
	s_or_b64 exec, exec, s[2:3]
	s_mov_b64 s[2:3], 0
	global_store_byte v[0:1], v10, off
.LBB231_1586:
	s_and_b64 vcc, exec, s[2:3]
	s_cbranch_vccz .LBB231_1596
; %bb.1587:
	v_lshlrev_b32_e32 v9, 16, v3
	v_and_b32_e32 v10, 0x7fffffff, v9
	s_mov_b32 s2, 0x43f00000
	v_and_b32_e32 v7, 0xffff, v3
	v_cmp_gt_u32_e32 vcc, s2, v10
                                        ; implicit-def: $vgpr8
	s_and_saveexec_b64 s[2:3], vcc
	s_xor_b64 s[2:3], exec, s[2:3]
	s_cbranch_execz .LBB231_1593
; %bb.1588:
	s_mov_b32 s10, 0x3c7fffff
	v_cmp_lt_u32_e32 vcc, s10, v10
                                        ; implicit-def: $vgpr8
	s_and_saveexec_b64 s[10:11], vcc
	s_xor_b64 s[10:11], exec, s[10:11]
; %bb.1589:
	v_bfe_u32 v8, v7, 4, 1
	s_mov_b32 s14, 0x407ffff
	v_add3_u32 v8, v9, v8, s14
	v_lshrrev_b32_e32 v9, 20, v8
	v_and_b32_e32 v8, 0xff00000, v8
	s_mov_b32 s14, 0x7f00000
	v_mov_b32_e32 v10, 0x7e
	v_cmp_ne_u32_e32 vcc, s14, v8
	v_cndmask_b32_e32 v8, v10, v9, vcc
                                        ; implicit-def: $vgpr9
; %bb.1590:
	s_andn2_saveexec_b64 s[10:11], s[10:11]
; %bb.1591:
	s_mov_b32 s14, 0x46800000
	v_add_f32_e64 v8, |v9|, s14
; %bb.1592:
	s_or_b64 exec, exec, s[10:11]
                                        ; implicit-def: $vgpr10
.LBB231_1593:
	s_andn2_saveexec_b64 s[2:3], s[2:3]
; %bb.1594:
	s_mov_b32 s10, 0x7f800000
	v_mov_b32_e32 v8, 0x7e
	v_mov_b32_e32 v9, 0x7f
	v_cmp_lt_u32_e32 vcc, s10, v10
	v_cndmask_b32_e32 v8, v8, v9, vcc
; %bb.1595:
	s_or_b64 exec, exec, s[2:3]
	v_lshrrev_b32_e32 v7, 8, v7
	s_movk_i32 s2, 0x80
	v_and_or_b32 v7, v7, s2, v8
	global_store_byte v[0:1], v7, off
.LBB231_1596:
	s_mov_b64 s[2:3], 0
.LBB231_1597:
	s_andn2_b64 vcc, exec, s[2:3]
	s_cbranch_vccnz .LBB231_1607
; %bb.1598:
	v_lshlrev_b32_e32 v9, 16, v3
	v_and_b32_e32 v10, 0x7fffffff, v9
	s_mov_b32 s2, 0x47800000
	v_and_b32_e32 v7, 0xffff, v3
	v_cmp_gt_u32_e32 vcc, s2, v10
                                        ; implicit-def: $vgpr8
	s_and_saveexec_b64 s[2:3], vcc
	s_xor_b64 s[2:3], exec, s[2:3]
	s_cbranch_execz .LBB231_1604
; %bb.1599:
	s_mov_b32 s10, 0x387fffff
	v_cmp_lt_u32_e32 vcc, s10, v10
                                        ; implicit-def: $vgpr8
	s_and_saveexec_b64 s[10:11], vcc
	s_xor_b64 s[10:11], exec, s[10:11]
; %bb.1600:
	v_bfe_u32 v8, v7, 5, 1
	s_mov_b32 s14, 0x80fffff
	v_add3_u32 v8, v9, v8, s14
	v_lshrrev_b32_e32 v8, 21, v8
                                        ; implicit-def: $vgpr9
; %bb.1601:
	s_andn2_saveexec_b64 s[10:11], s[10:11]
; %bb.1602:
	s_mov_b32 s14, 0x43000000
	v_add_f32_e64 v8, |v9|, s14
; %bb.1603:
	s_or_b64 exec, exec, s[10:11]
                                        ; implicit-def: $vgpr10
.LBB231_1604:
	s_andn2_saveexec_b64 s[2:3], s[2:3]
; %bb.1605:
	s_mov_b32 s10, 0x7f800000
	v_mov_b32_e32 v8, 0x7c
	v_mov_b32_e32 v9, 0x7f
	v_cmp_lt_u32_e32 vcc, s10, v10
	v_cndmask_b32_e32 v8, v8, v9, vcc
; %bb.1606:
	s_or_b64 exec, exec, s[2:3]
	v_lshrrev_b32_e32 v7, 8, v7
	s_movk_i32 s2, 0x80
	v_and_or_b32 v7, v7, s2, v8
	global_store_byte v[0:1], v7, off
.LBB231_1607:
	s_mov_b64 s[2:3], 0
	s_mov_b64 s[10:11], -1
.LBB231_1608:
	s_andn2_b64 vcc, exec, s[2:3]
	s_mov_b64 s[2:3], 0
	s_cbranch_vccnz .LBB231_1615
; %bb.1609:
	s_cmp_gt_i32 s13, 14
	s_mov_b64 s[18:19], -1
	s_cbranch_scc0 .LBB231_1613
; %bb.1610:
	s_cmp_eq_u32 s13, 15
	s_mov_b64 s[0:1], -1
	s_cbranch_scc0 .LBB231_1612
; %bb.1611:
	global_store_short v[0:1], v3, off
	s_mov_b64 s[0:1], 0
	s_mov_b64 s[10:11], -1
.LBB231_1612:
	s_mov_b64 s[18:19], 0
.LBB231_1613:
	s_and_b64 vcc, exec, s[18:19]
	s_cbranch_vccz .LBB231_1615
; %bb.1614:
	s_cmp_lg_u32 s13, 11
	s_mov_b64 s[2:3], -1
	s_cselect_b64 s[0:1], -1, 0
.LBB231_1615:
	s_and_b64 vcc, exec, s[0:1]
	s_cbranch_vccnz .LBB231_2023
; %bb.1616:
	s_andn2_b64 vcc, exec, s[2:3]
	s_cbranch_vccnz .LBB231_1618
.LBB231_1617:
	v_and_b32_e32 v7, 0x7fff, v3
	v_cmp_ne_u16_e32 vcc, 0, v7
	v_cndmask_b32_e64 v7, 0, 1, vcc
	s_mov_b64 s[10:11], -1
	global_store_byte v[0:1], v7, off
.LBB231_1618:
	s_mov_b64 s[0:1], 0
	s_branch .LBB231_1620
.LBB231_1619:
	s_mov_b64 s[0:1], -1
	s_mov_b64 s[10:11], 0
.LBB231_1620:
	s_and_b64 vcc, exec, s[0:1]
	s_cbranch_vccz .LBB231_1659
; %bb.1621:
	s_and_b32 s2, 0xffff, s22
	s_cmp_lt_i32 s2, 5
	s_mov_b64 s[0:1], -1
	s_cbranch_scc1 .LBB231_1642
; %bb.1622:
	s_cmp_lt_i32 s2, 8
	s_cbranch_scc1 .LBB231_1632
; %bb.1623:
	s_cmp_lt_i32 s2, 9
	s_cbranch_scc1 .LBB231_1629
; %bb.1624:
	s_cmp_gt_i32 s2, 9
	s_cbranch_scc0 .LBB231_1626
; %bb.1625:
	v_lshlrev_b32_e32 v7, 16, v3
	v_cvt_f64_f32_e32 v[7:8], v7
	v_mov_b32_e32 v9, 0
	v_mov_b32_e32 v10, v9
	s_mov_b64 s[0:1], 0
	global_store_dwordx4 v[0:1], v[7:10], off
.LBB231_1626:
	s_andn2_b64 vcc, exec, s[0:1]
	s_cbranch_vccnz .LBB231_1628
; %bb.1627:
	v_lshlrev_b32_e32 v7, 16, v3
	v_mov_b32_e32 v8, 0
	global_store_dwordx2 v[0:1], v[7:8], off
.LBB231_1628:
	s_mov_b64 s[0:1], 0
.LBB231_1629:
	s_andn2_b64 vcc, exec, s[0:1]
	s_cbranch_vccnz .LBB231_1631
; %bb.1630:
	v_lshlrev_b32_e32 v7, 16, v3
	v_cvt_f16_f32_e32 v7, v7
	global_store_dword v[0:1], v7, off
.LBB231_1631:
	s_mov_b64 s[0:1], 0
.LBB231_1632:
	s_andn2_b64 vcc, exec, s[0:1]
	s_cbranch_vccnz .LBB231_1641
; %bb.1633:
	s_cmp_lt_i32 s2, 6
	s_mov_b64 s[0:1], -1
	s_cbranch_scc1 .LBB231_1639
; %bb.1634:
	s_cmp_gt_i32 s2, 6
	s_cbranch_scc0 .LBB231_1636
; %bb.1635:
	v_lshlrev_b32_e32 v7, 16, v3
	v_cvt_f64_f32_e32 v[7:8], v7
	s_mov_b64 s[0:1], 0
	global_store_dwordx2 v[0:1], v[7:8], off
.LBB231_1636:
	s_andn2_b64 vcc, exec, s[0:1]
	s_cbranch_vccnz .LBB231_1638
; %bb.1637:
	v_lshlrev_b32_e32 v7, 16, v3
	global_store_dword v[0:1], v7, off
.LBB231_1638:
	s_mov_b64 s[0:1], 0
.LBB231_1639:
	s_andn2_b64 vcc, exec, s[0:1]
	s_cbranch_vccnz .LBB231_1641
; %bb.1640:
	v_lshlrev_b32_e32 v7, 16, v3
	v_cvt_f16_f32_e32 v7, v7
	global_store_short v[0:1], v7, off
.LBB231_1641:
	s_mov_b64 s[0:1], 0
.LBB231_1642:
	s_andn2_b64 vcc, exec, s[0:1]
	s_cbranch_vccnz .LBB231_1658
; %bb.1643:
	s_cmp_lt_i32 s2, 2
	s_mov_b64 s[0:1], -1
	s_cbranch_scc1 .LBB231_1653
; %bb.1644:
	s_cmp_lt_i32 s2, 3
	s_cbranch_scc1 .LBB231_1650
; %bb.1645:
	s_cmp_gt_i32 s2, 3
	s_cbranch_scc0 .LBB231_1647
; %bb.1646:
	v_lshlrev_b32_e32 v7, 16, v3
	v_trunc_f32_e32 v7, v7
	s_mov_b32 s0, 0x2f800000
	v_mul_f32_e64 v8, |v7|, s0
	v_floor_f32_e32 v8, v8
	s_mov_b32 s0, 0xcf800000
	v_cvt_u32_f32_e32 v9, v8
	v_fma_f32 v8, v8, s0, |v7|
	v_cvt_u32_f32_e32 v8, v8
	v_ashrrev_i32_e32 v10, 31, v7
	v_xor_b32_e32 v9, v9, v10
	s_mov_b64 s[0:1], 0
	v_xor_b32_e32 v7, v8, v10
	v_sub_co_u32_e32 v7, vcc, v7, v10
	v_subb_co_u32_e32 v8, vcc, v9, v10, vcc
	global_store_dwordx2 v[0:1], v[7:8], off
.LBB231_1647:
	s_andn2_b64 vcc, exec, s[0:1]
	s_cbranch_vccnz .LBB231_1649
; %bb.1648:
	v_lshlrev_b32_e32 v7, 16, v3
	v_cvt_i32_f32_e32 v7, v7
	global_store_dword v[0:1], v7, off
.LBB231_1649:
	s_mov_b64 s[0:1], 0
.LBB231_1650:
	s_andn2_b64 vcc, exec, s[0:1]
	s_cbranch_vccnz .LBB231_1652
; %bb.1651:
	v_lshlrev_b32_e32 v7, 16, v3
	v_cvt_i32_f32_e32 v7, v7
	global_store_short v[0:1], v7, off
.LBB231_1652:
	s_mov_b64 s[0:1], 0
.LBB231_1653:
	s_andn2_b64 vcc, exec, s[0:1]
	s_cbranch_vccnz .LBB231_1658
; %bb.1654:
	s_mov_b64 s[0:1], -1
	s_cmp_gt_i32 s2, 0
	v_lshlrev_b32_e32 v3, 16, v3
	s_cbranch_scc0 .LBB231_1656
; %bb.1655:
	v_cvt_i32_f32_e32 v7, v3
	s_mov_b64 s[0:1], 0
	global_store_byte v[0:1], v7, off
.LBB231_1656:
	s_andn2_b64 vcc, exec, s[0:1]
	s_cbranch_vccnz .LBB231_1658
; %bb.1657:
	v_trunc_f32_e32 v3, v3
	s_mov_b32 s0, 0x2f800000
	v_mul_f32_e64 v7, |v3|, s0
	v_floor_f32_e32 v7, v7
	s_mov_b32 s0, 0xcf800000
	v_fma_f32 v7, v7, s0, |v3|
	v_cvt_u32_f32_e32 v7, v7
	v_ashrrev_i32_e32 v3, 31, v3
	v_xor_b32_e32 v7, v7, v3
	v_sub_u32_e32 v3, v7, v3
	global_store_byte v[0:1], v3, off
.LBB231_1658:
	s_mov_b64 s[10:11], -1
.LBB231_1659:
	s_andn2_b64 vcc, exec, s[10:11]
	s_cbranch_vccnz .LBB231_1974
; %bb.1660:
	v_lshlrev_b32_e32 v0, 16, v4
	s_lshl_b32 s14, s12, 7
	v_mov_b32_e32 v1, s15
	v_mov_b32_e32 v3, s33
	v_cmp_ge_f32_e32 vcc, s23, v0
	v_add_u32_e32 v2, s14, v2
	v_cndmask_b32_e32 v3, v1, v3, vcc
	v_ashrrev_i32_e32 v1, 31, v2
	v_mov_b32_e32 v4, s9
	v_add_co_u32_e32 v0, vcc, s8, v2
	s_cmp_lt_i32 s22, 11
	v_addc_co_u32_e32 v1, vcc, v4, v1, vcc
	s_cbranch_scc1 .LBB231_1738
; %bb.1661:
	s_and_b32 s20, 0xffff, s22
	s_mov_b64 s[12:13], -1
	s_mov_b64 s[2:3], 0
	s_cmp_gt_i32 s20, 25
	s_mov_b64 s[10:11], 0
	s_mov_b64 s[0:1], 0
	s_cbranch_scc0 .LBB231_1694
; %bb.1662:
	s_cmp_gt_i32 s20, 28
	s_cbranch_scc0 .LBB231_1677
; %bb.1663:
	s_cmp_gt_i32 s20, 43
	;; [unrolled: 3-line block ×3, first 2 shown]
	s_cbranch_scc0 .LBB231_1667
; %bb.1665:
	s_mov_b64 s[0:1], -1
	s_mov_b64 s[12:13], 0
	s_cmp_eq_u32 s20, 46
	s_cbranch_scc0 .LBB231_1667
; %bb.1666:
	v_and_b32_e32 v4, 0xffff, v3
	global_store_dword v[0:1], v4, off
	s_mov_b64 s[0:1], 0
	s_mov_b64 s[10:11], -1
.LBB231_1667:
	s_and_b64 vcc, exec, s[12:13]
	s_cbranch_vccz .LBB231_1672
; %bb.1668:
	s_cmp_eq_u32 s20, 44
	s_mov_b64 s[0:1], -1
	s_cbranch_scc0 .LBB231_1672
; %bb.1669:
	v_and_b32_e32 v7, 0xffff, v3
	v_bfe_u32 v4, v7, 7, 8
	s_movk_i32 s0, 0xff
	v_cmp_ne_u32_e32 vcc, s0, v4
	v_mov_b32_e32 v8, 0xff
	s_and_saveexec_b64 s[10:11], vcc
	s_cbranch_execz .LBB231_1671
; %bb.1670:
	v_lshlrev_b32_e32 v9, 16, v7
	s_mov_b32 s0, 0x3f0000
	v_lshrrev_b32_e32 v8, 7, v7
	v_and_b32_e32 v7, 64, v7
	v_and_or_b32 v4, v9, s0, v4
	v_cmp_ne_u32_e32 vcc, 0, v7
	v_cmp_ne_u32_e64 s[0:1], 0, v4
	s_and_b64 s[0:1], vcc, s[0:1]
	v_cndmask_b32_e64 v4, 0, 1, s[0:1]
	v_add_u32_e32 v8, v8, v4
.LBB231_1671:
	s_or_b64 exec, exec, s[10:11]
	s_mov_b64 s[0:1], 0
	s_mov_b64 s[10:11], -1
	global_store_byte v[0:1], v8, off
.LBB231_1672:
	s_mov_b64 s[12:13], 0
.LBB231_1673:
	s_and_b64 vcc, exec, s[12:13]
	s_cbranch_vccz .LBB231_1676
; %bb.1674:
	s_cmp_eq_u32 s20, 29
	s_mov_b64 s[0:1], -1
	s_cbranch_scc0 .LBB231_1676
; %bb.1675:
	v_lshlrev_b32_e32 v4, 16, v3
	v_trunc_f32_e32 v4, v4
	v_mul_f32_e32 v7, 0x2f800000, v4
	v_floor_f32_e32 v7, v7
	v_fmac_f32_e32 v4, 0xcf800000, v7
	v_cvt_u32_f32_e32 v8, v7
	v_cvt_u32_f32_e32 v7, v4
	s_mov_b64 s[0:1], 0
	s_mov_b64 s[10:11], -1
	global_store_dwordx2 v[0:1], v[7:8], off
.LBB231_1676:
	s_mov_b64 s[12:13], 0
.LBB231_1677:
	s_and_b64 vcc, exec, s[12:13]
	s_cbranch_vccz .LBB231_1693
; %bb.1678:
	s_cmp_lt_i32 s20, 27
	s_mov_b64 s[10:11], -1
	s_cbranch_scc1 .LBB231_1684
; %bb.1679:
	s_cmp_gt_i32 s20, 27
	s_cbranch_scc0 .LBB231_1681
; %bb.1680:
	v_lshlrev_b32_e32 v4, 16, v3
	v_cvt_u32_f32_e32 v4, v4
	s_mov_b64 s[10:11], 0
	global_store_dword v[0:1], v4, off
.LBB231_1681:
	s_andn2_b64 vcc, exec, s[10:11]
	s_cbranch_vccnz .LBB231_1683
; %bb.1682:
	v_lshlrev_b32_e32 v4, 16, v3
	v_cvt_u32_f32_e32 v4, v4
	global_store_short v[0:1], v4, off
.LBB231_1683:
	s_mov_b64 s[10:11], 0
.LBB231_1684:
	s_andn2_b64 vcc, exec, s[10:11]
	s_cbranch_vccnz .LBB231_1692
; %bb.1685:
	v_lshlrev_b32_e32 v8, 16, v3
	v_and_b32_e32 v7, 0x7fffffff, v8
	s_mov_b32 s10, 0x43800000
	v_cmp_gt_u32_e32 vcc, s10, v7
	v_mov_b32_e32 v9, 0x80
	s_and_saveexec_b64 s[10:11], vcc
	s_cbranch_execz .LBB231_1691
; %bb.1686:
	s_mov_b32 s12, 0x3bffffff
	v_and_b32_e32 v4, 0xffff, v3
	v_cmp_lt_u32_e32 vcc, s12, v7
	s_mov_b64 s[12:13], 0
                                        ; implicit-def: $vgpr7
	s_and_saveexec_b64 s[18:19], vcc
	s_xor_b64 s[18:19], exec, s[18:19]
	s_cbranch_execz .LBB231_2026
; %bb.1687:
	v_bfe_u32 v7, v4, 4, 1
	s_mov_b32 s21, 0x487ffff
	v_add3_u32 v7, v8, v7, s21
	s_mov_b64 s[12:13], exec
	v_lshrrev_b32_e32 v7, 20, v7
                                        ; implicit-def: $vgpr8
	s_andn2_saveexec_b64 s[18:19], s[18:19]
	s_cbranch_execnz .LBB231_2027
.LBB231_1688:
	s_or_b64 exec, exec, s[18:19]
	v_mov_b32_e32 v9, 0
	s_and_saveexec_b64 s[18:19], s[12:13]
.LBB231_1689:
	v_lshrrev_b32_e32 v4, 8, v4
	s_movk_i32 s12, 0x80
	v_and_or_b32 v9, v4, s12, v7
.LBB231_1690:
	s_or_b64 exec, exec, s[18:19]
.LBB231_1691:
	s_or_b64 exec, exec, s[10:11]
	global_store_byte v[0:1], v9, off
.LBB231_1692:
	s_mov_b64 s[10:11], -1
.LBB231_1693:
	s_mov_b64 s[12:13], 0
.LBB231_1694:
	s_and_b64 vcc, exec, s[12:13]
	s_cbranch_vccz .LBB231_1734
; %bb.1695:
	s_cmp_gt_i32 s20, 22
	s_mov_b64 s[2:3], -1
	s_cbranch_scc0 .LBB231_1727
; %bb.1696:
	s_cmp_lt_i32 s20, 24
	s_cbranch_scc1 .LBB231_1716
; %bb.1697:
	s_cmp_gt_i32 s20, 24
	s_cbranch_scc0 .LBB231_1705
; %bb.1698:
	v_lshlrev_b32_e32 v8, 16, v3
	v_and_b32_e32 v7, 0x7fffffff, v8
	s_mov_b32 s2, 0x47800000
	v_cmp_gt_u32_e32 vcc, s2, v7
	v_mov_b32_e32 v9, 0x80
	s_and_saveexec_b64 s[2:3], vcc
	s_cbranch_execz .LBB231_1704
; %bb.1699:
	s_mov_b32 s10, 0x37ffffff
	v_and_b32_e32 v4, 0xffff, v3
	v_cmp_lt_u32_e32 vcc, s10, v7
	s_mov_b64 s[10:11], 0
                                        ; implicit-def: $vgpr7
	s_and_saveexec_b64 s[12:13], vcc
	s_xor_b64 s[12:13], exec, s[12:13]
	s_cbranch_execz .LBB231_2029
; %bb.1700:
	v_bfe_u32 v7, v4, 5, 1
	s_mov_b32 s18, 0x88fffff
	v_add3_u32 v7, v8, v7, s18
	s_mov_b64 s[10:11], exec
	v_lshrrev_b32_e32 v7, 21, v7
                                        ; implicit-def: $vgpr8
	s_andn2_saveexec_b64 s[12:13], s[12:13]
	s_cbranch_execnz .LBB231_2030
.LBB231_1701:
	s_or_b64 exec, exec, s[12:13]
	v_mov_b32_e32 v9, 0
	s_and_saveexec_b64 s[12:13], s[10:11]
.LBB231_1702:
	v_lshrrev_b32_e32 v4, 8, v4
	s_movk_i32 s10, 0x80
	v_and_or_b32 v9, v4, s10, v7
.LBB231_1703:
	s_or_b64 exec, exec, s[12:13]
.LBB231_1704:
	s_or_b64 exec, exec, s[2:3]
	s_mov_b64 s[2:3], 0
	global_store_byte v[0:1], v9, off
.LBB231_1705:
	s_and_b64 vcc, exec, s[2:3]
	s_cbranch_vccz .LBB231_1715
; %bb.1706:
	v_lshlrev_b32_e32 v8, 16, v3
	v_and_b32_e32 v9, 0x7fffffff, v8
	s_mov_b32 s2, 0x43f00000
	v_and_b32_e32 v4, 0xffff, v3
	v_cmp_gt_u32_e32 vcc, s2, v9
                                        ; implicit-def: $vgpr7
	s_and_saveexec_b64 s[2:3], vcc
	s_xor_b64 s[2:3], exec, s[2:3]
	s_cbranch_execz .LBB231_1712
; %bb.1707:
	s_mov_b32 s10, 0x3c7fffff
	v_cmp_lt_u32_e32 vcc, s10, v9
                                        ; implicit-def: $vgpr7
	s_and_saveexec_b64 s[10:11], vcc
	s_xor_b64 s[10:11], exec, s[10:11]
; %bb.1708:
	v_bfe_u32 v7, v4, 4, 1
	s_mov_b32 s12, 0x407ffff
	v_add3_u32 v7, v8, v7, s12
	v_lshrrev_b32_e32 v8, 20, v7
	v_and_b32_e32 v7, 0xff00000, v7
	s_mov_b32 s12, 0x7f00000
	v_mov_b32_e32 v9, 0x7e
	v_cmp_ne_u32_e32 vcc, s12, v7
	v_cndmask_b32_e32 v7, v9, v8, vcc
                                        ; implicit-def: $vgpr8
; %bb.1709:
	s_andn2_saveexec_b64 s[10:11], s[10:11]
; %bb.1710:
	s_mov_b32 s12, 0x46800000
	v_add_f32_e64 v7, |v8|, s12
; %bb.1711:
	s_or_b64 exec, exec, s[10:11]
                                        ; implicit-def: $vgpr9
.LBB231_1712:
	s_andn2_saveexec_b64 s[2:3], s[2:3]
; %bb.1713:
	s_mov_b32 s10, 0x7f800000
	v_mov_b32_e32 v7, 0x7e
	v_mov_b32_e32 v8, 0x7f
	v_cmp_lt_u32_e32 vcc, s10, v9
	v_cndmask_b32_e32 v7, v7, v8, vcc
; %bb.1714:
	s_or_b64 exec, exec, s[2:3]
	v_lshrrev_b32_e32 v4, 8, v4
	s_movk_i32 s2, 0x80
	v_and_or_b32 v4, v4, s2, v7
	global_store_byte v[0:1], v4, off
.LBB231_1715:
	s_mov_b64 s[2:3], 0
.LBB231_1716:
	s_andn2_b64 vcc, exec, s[2:3]
	s_cbranch_vccnz .LBB231_1726
; %bb.1717:
	v_lshlrev_b32_e32 v8, 16, v3
	v_and_b32_e32 v9, 0x7fffffff, v8
	s_mov_b32 s2, 0x47800000
	v_and_b32_e32 v4, 0xffff, v3
	v_cmp_gt_u32_e32 vcc, s2, v9
                                        ; implicit-def: $vgpr7
	s_and_saveexec_b64 s[2:3], vcc
	s_xor_b64 s[2:3], exec, s[2:3]
	s_cbranch_execz .LBB231_1723
; %bb.1718:
	s_mov_b32 s10, 0x387fffff
	v_cmp_lt_u32_e32 vcc, s10, v9
                                        ; implicit-def: $vgpr7
	s_and_saveexec_b64 s[10:11], vcc
	s_xor_b64 s[10:11], exec, s[10:11]
; %bb.1719:
	v_bfe_u32 v7, v4, 5, 1
	s_mov_b32 s12, 0x80fffff
	v_add3_u32 v7, v8, v7, s12
	v_lshrrev_b32_e32 v7, 21, v7
                                        ; implicit-def: $vgpr8
; %bb.1720:
	s_andn2_saveexec_b64 s[10:11], s[10:11]
; %bb.1721:
	s_mov_b32 s12, 0x43000000
	v_add_f32_e64 v7, |v8|, s12
; %bb.1722:
	s_or_b64 exec, exec, s[10:11]
                                        ; implicit-def: $vgpr9
.LBB231_1723:
	s_andn2_saveexec_b64 s[2:3], s[2:3]
; %bb.1724:
	s_mov_b32 s10, 0x7f800000
	v_mov_b32_e32 v7, 0x7c
	v_mov_b32_e32 v8, 0x7f
	v_cmp_lt_u32_e32 vcc, s10, v9
	v_cndmask_b32_e32 v7, v7, v8, vcc
; %bb.1725:
	s_or_b64 exec, exec, s[2:3]
	v_lshrrev_b32_e32 v4, 8, v4
	s_movk_i32 s2, 0x80
	v_and_or_b32 v4, v4, s2, v7
	global_store_byte v[0:1], v4, off
.LBB231_1726:
	s_mov_b64 s[2:3], 0
	s_mov_b64 s[10:11], -1
.LBB231_1727:
	s_andn2_b64 vcc, exec, s[2:3]
	s_mov_b64 s[2:3], 0
	s_cbranch_vccnz .LBB231_1734
; %bb.1728:
	s_cmp_gt_i32 s20, 14
	s_mov_b64 s[12:13], -1
	s_cbranch_scc0 .LBB231_1732
; %bb.1729:
	s_cmp_eq_u32 s20, 15
	s_mov_b64 s[0:1], -1
	s_cbranch_scc0 .LBB231_1731
; %bb.1730:
	global_store_short v[0:1], v3, off
	s_mov_b64 s[0:1], 0
	s_mov_b64 s[10:11], -1
.LBB231_1731:
	s_mov_b64 s[12:13], 0
.LBB231_1732:
	s_and_b64 vcc, exec, s[12:13]
	s_cbranch_vccz .LBB231_1734
; %bb.1733:
	s_cmp_lg_u32 s20, 11
	s_mov_b64 s[2:3], -1
	s_cselect_b64 s[0:1], -1, 0
.LBB231_1734:
	s_and_b64 vcc, exec, s[0:1]
	s_cbranch_vccnz .LBB231_2028
; %bb.1735:
	s_andn2_b64 vcc, exec, s[2:3]
	s_cbranch_vccnz .LBB231_1737
.LBB231_1736:
	v_and_b32_e32 v4, 0x7fff, v3
	v_cmp_ne_u16_e32 vcc, 0, v4
	v_cndmask_b32_e64 v4, 0, 1, vcc
	s_mov_b64 s[10:11], -1
	global_store_byte v[0:1], v4, off
.LBB231_1737:
	s_mov_b64 s[0:1], 0
	s_branch .LBB231_1739
.LBB231_1738:
	s_mov_b64 s[0:1], -1
	s_mov_b64 s[10:11], 0
.LBB231_1739:
	s_and_b64 vcc, exec, s[0:1]
	s_cbranch_vccz .LBB231_1778
; %bb.1740:
	s_and_b32 s2, 0xffff, s22
	s_cmp_lt_i32 s2, 5
	s_mov_b64 s[0:1], -1
	s_cbranch_scc1 .LBB231_1761
; %bb.1741:
	s_cmp_lt_i32 s2, 8
	s_cbranch_scc1 .LBB231_1751
; %bb.1742:
	s_cmp_lt_i32 s2, 9
	s_cbranch_scc1 .LBB231_1748
; %bb.1743:
	s_cmp_gt_i32 s2, 9
	s_cbranch_scc0 .LBB231_1745
; %bb.1744:
	v_lshlrev_b32_e32 v4, 16, v3
	v_cvt_f64_f32_e32 v[7:8], v4
	v_mov_b32_e32 v9, 0
	v_mov_b32_e32 v10, v9
	s_mov_b64 s[0:1], 0
	global_store_dwordx4 v[0:1], v[7:10], off
.LBB231_1745:
	s_andn2_b64 vcc, exec, s[0:1]
	s_cbranch_vccnz .LBB231_1747
; %bb.1746:
	v_lshlrev_b32_e32 v7, 16, v3
	v_mov_b32_e32 v8, 0
	global_store_dwordx2 v[0:1], v[7:8], off
.LBB231_1747:
	s_mov_b64 s[0:1], 0
.LBB231_1748:
	s_andn2_b64 vcc, exec, s[0:1]
	s_cbranch_vccnz .LBB231_1750
; %bb.1749:
	v_lshlrev_b32_e32 v4, 16, v3
	v_cvt_f16_f32_e32 v4, v4
	global_store_dword v[0:1], v4, off
.LBB231_1750:
	s_mov_b64 s[0:1], 0
.LBB231_1751:
	s_andn2_b64 vcc, exec, s[0:1]
	s_cbranch_vccnz .LBB231_1760
; %bb.1752:
	s_cmp_lt_i32 s2, 6
	s_mov_b64 s[0:1], -1
	s_cbranch_scc1 .LBB231_1758
; %bb.1753:
	s_cmp_gt_i32 s2, 6
	s_cbranch_scc0 .LBB231_1755
; %bb.1754:
	v_lshlrev_b32_e32 v4, 16, v3
	v_cvt_f64_f32_e32 v[7:8], v4
	s_mov_b64 s[0:1], 0
	global_store_dwordx2 v[0:1], v[7:8], off
.LBB231_1755:
	s_andn2_b64 vcc, exec, s[0:1]
	s_cbranch_vccnz .LBB231_1757
; %bb.1756:
	v_lshlrev_b32_e32 v4, 16, v3
	global_store_dword v[0:1], v4, off
.LBB231_1757:
	s_mov_b64 s[0:1], 0
.LBB231_1758:
	s_andn2_b64 vcc, exec, s[0:1]
	s_cbranch_vccnz .LBB231_1760
; %bb.1759:
	v_lshlrev_b32_e32 v4, 16, v3
	v_cvt_f16_f32_e32 v4, v4
	global_store_short v[0:1], v4, off
.LBB231_1760:
	s_mov_b64 s[0:1], 0
.LBB231_1761:
	s_andn2_b64 vcc, exec, s[0:1]
	s_cbranch_vccnz .LBB231_1777
; %bb.1762:
	s_cmp_lt_i32 s2, 2
	s_mov_b64 s[0:1], -1
	s_cbranch_scc1 .LBB231_1772
; %bb.1763:
	s_cmp_lt_i32 s2, 3
	s_cbranch_scc1 .LBB231_1769
; %bb.1764:
	s_cmp_gt_i32 s2, 3
	s_cbranch_scc0 .LBB231_1766
; %bb.1765:
	v_lshlrev_b32_e32 v4, 16, v3
	v_trunc_f32_e32 v4, v4
	s_mov_b32 s0, 0x2f800000
	v_mul_f32_e64 v7, |v4|, s0
	v_floor_f32_e32 v7, v7
	s_mov_b32 s0, 0xcf800000
	v_cvt_u32_f32_e32 v8, v7
	v_fma_f32 v7, v7, s0, |v4|
	v_cvt_u32_f32_e32 v7, v7
	v_ashrrev_i32_e32 v4, 31, v4
	v_xor_b32_e32 v8, v8, v4
	s_mov_b64 s[0:1], 0
	v_xor_b32_e32 v7, v7, v4
	v_sub_co_u32_e32 v7, vcc, v7, v4
	v_subb_co_u32_e32 v8, vcc, v8, v4, vcc
	global_store_dwordx2 v[0:1], v[7:8], off
.LBB231_1766:
	s_andn2_b64 vcc, exec, s[0:1]
	s_cbranch_vccnz .LBB231_1768
; %bb.1767:
	v_lshlrev_b32_e32 v4, 16, v3
	v_cvt_i32_f32_e32 v4, v4
	global_store_dword v[0:1], v4, off
.LBB231_1768:
	s_mov_b64 s[0:1], 0
.LBB231_1769:
	s_andn2_b64 vcc, exec, s[0:1]
	s_cbranch_vccnz .LBB231_1771
; %bb.1770:
	v_lshlrev_b32_e32 v4, 16, v3
	v_cvt_i32_f32_e32 v4, v4
	global_store_short v[0:1], v4, off
.LBB231_1771:
	s_mov_b64 s[0:1], 0
.LBB231_1772:
	s_andn2_b64 vcc, exec, s[0:1]
	s_cbranch_vccnz .LBB231_1777
; %bb.1773:
	s_mov_b64 s[0:1], -1
	s_cmp_gt_i32 s2, 0
	v_lshlrev_b32_e32 v3, 16, v3
	s_cbranch_scc0 .LBB231_1775
; %bb.1774:
	v_cvt_i32_f32_e32 v4, v3
	s_mov_b64 s[0:1], 0
	global_store_byte v[0:1], v4, off
.LBB231_1775:
	s_andn2_b64 vcc, exec, s[0:1]
	s_cbranch_vccnz .LBB231_1777
; %bb.1776:
	v_trunc_f32_e32 v3, v3
	s_mov_b32 s0, 0x2f800000
	v_mul_f32_e64 v4, |v3|, s0
	v_floor_f32_e32 v4, v4
	s_mov_b32 s0, 0xcf800000
	v_fma_f32 v4, v4, s0, |v3|
	v_cvt_u32_f32_e32 v4, v4
	v_ashrrev_i32_e32 v3, 31, v3
	v_xor_b32_e32 v4, v4, v3
	v_sub_u32_e32 v3, v4, v3
	global_store_byte v[0:1], v3, off
.LBB231_1777:
	s_mov_b64 s[10:11], -1
.LBB231_1778:
	s_andn2_b64 vcc, exec, s[10:11]
	s_cbranch_vccnz .LBB231_1974
; %bb.1779:
	v_lshlrev_b32_e32 v0, 16, v5
	v_mov_b32_e32 v1, s15
	v_mov_b32_e32 v3, s33
	v_cmp_ge_f32_e32 vcc, s23, v0
	v_add_u32_e32 v2, s14, v2
	v_cndmask_b32_e32 v3, v1, v3, vcc
	v_ashrrev_i32_e32 v1, 31, v2
	v_mov_b32_e32 v4, s9
	v_add_co_u32_e32 v0, vcc, s8, v2
	s_cmp_lt_i32 s22, 11
	v_addc_co_u32_e32 v1, vcc, v4, v1, vcc
	s_cbranch_scc1 .LBB231_1857
; %bb.1780:
	s_and_b32 s20, 0xffff, s22
	s_mov_b64 s[12:13], -1
	s_mov_b64 s[2:3], 0
	s_cmp_gt_i32 s20, 25
	s_mov_b64 s[10:11], 0
	s_mov_b64 s[0:1], 0
	s_cbranch_scc0 .LBB231_1813
; %bb.1781:
	s_cmp_gt_i32 s20, 28
	s_cbranch_scc0 .LBB231_1796
; %bb.1782:
	s_cmp_gt_i32 s20, 43
	;; [unrolled: 3-line block ×3, first 2 shown]
	s_cbranch_scc0 .LBB231_1786
; %bb.1784:
	s_mov_b64 s[0:1], -1
	s_mov_b64 s[12:13], 0
	s_cmp_eq_u32 s20, 46
	s_cbranch_scc0 .LBB231_1786
; %bb.1785:
	v_and_b32_e32 v4, 0xffff, v3
	global_store_dword v[0:1], v4, off
	s_mov_b64 s[0:1], 0
	s_mov_b64 s[10:11], -1
.LBB231_1786:
	s_and_b64 vcc, exec, s[12:13]
	s_cbranch_vccz .LBB231_1791
; %bb.1787:
	s_cmp_eq_u32 s20, 44
	s_mov_b64 s[0:1], -1
	s_cbranch_scc0 .LBB231_1791
; %bb.1788:
	v_and_b32_e32 v5, 0xffff, v3
	v_bfe_u32 v4, v5, 7, 8
	s_movk_i32 s0, 0xff
	v_cmp_ne_u32_e32 vcc, s0, v4
	v_mov_b32_e32 v7, 0xff
	s_and_saveexec_b64 s[10:11], vcc
	s_cbranch_execz .LBB231_1790
; %bb.1789:
	v_lshlrev_b32_e32 v8, 16, v5
	s_mov_b32 s0, 0x3f0000
	v_lshrrev_b32_e32 v7, 7, v5
	v_and_b32_e32 v5, 64, v5
	v_and_or_b32 v4, v8, s0, v4
	v_cmp_ne_u32_e32 vcc, 0, v5
	v_cmp_ne_u32_e64 s[0:1], 0, v4
	s_and_b64 s[0:1], vcc, s[0:1]
	v_cndmask_b32_e64 v4, 0, 1, s[0:1]
	v_add_u32_e32 v7, v7, v4
.LBB231_1790:
	s_or_b64 exec, exec, s[10:11]
	s_mov_b64 s[0:1], 0
	s_mov_b64 s[10:11], -1
	global_store_byte v[0:1], v7, off
.LBB231_1791:
	s_mov_b64 s[12:13], 0
.LBB231_1792:
	s_and_b64 vcc, exec, s[12:13]
	s_cbranch_vccz .LBB231_1795
; %bb.1793:
	s_cmp_eq_u32 s20, 29
	s_mov_b64 s[0:1], -1
	s_cbranch_scc0 .LBB231_1795
; %bb.1794:
	v_lshlrev_b32_e32 v4, 16, v3
	v_trunc_f32_e32 v4, v4
	v_mul_f32_e32 v5, 0x2f800000, v4
	v_floor_f32_e32 v7, v5
	v_fmac_f32_e32 v4, 0xcf800000, v7
	v_cvt_u32_f32_e32 v5, v7
	v_cvt_u32_f32_e32 v4, v4
	s_mov_b64 s[0:1], 0
	s_mov_b64 s[10:11], -1
	global_store_dwordx2 v[0:1], v[4:5], off
.LBB231_1795:
	s_mov_b64 s[12:13], 0
.LBB231_1796:
	s_and_b64 vcc, exec, s[12:13]
	s_cbranch_vccz .LBB231_1812
; %bb.1797:
	s_cmp_lt_i32 s20, 27
	s_mov_b64 s[10:11], -1
	s_cbranch_scc1 .LBB231_1803
; %bb.1798:
	s_cmp_gt_i32 s20, 27
	s_cbranch_scc0 .LBB231_1800
; %bb.1799:
	v_lshlrev_b32_e32 v4, 16, v3
	v_cvt_u32_f32_e32 v4, v4
	s_mov_b64 s[10:11], 0
	global_store_dword v[0:1], v4, off
.LBB231_1800:
	s_andn2_b64 vcc, exec, s[10:11]
	s_cbranch_vccnz .LBB231_1802
; %bb.1801:
	v_lshlrev_b32_e32 v4, 16, v3
	v_cvt_u32_f32_e32 v4, v4
	global_store_short v[0:1], v4, off
.LBB231_1802:
	s_mov_b64 s[10:11], 0
.LBB231_1803:
	s_andn2_b64 vcc, exec, s[10:11]
	s_cbranch_vccnz .LBB231_1811
; %bb.1804:
	v_lshlrev_b32_e32 v7, 16, v3
	v_and_b32_e32 v5, 0x7fffffff, v7
	s_mov_b32 s10, 0x43800000
	v_cmp_gt_u32_e32 vcc, s10, v5
	v_mov_b32_e32 v8, 0x80
	s_and_saveexec_b64 s[10:11], vcc
	s_cbranch_execz .LBB231_1810
; %bb.1805:
	s_mov_b32 s12, 0x3bffffff
	v_and_b32_e32 v4, 0xffff, v3
	v_cmp_lt_u32_e32 vcc, s12, v5
	s_mov_b64 s[12:13], 0
                                        ; implicit-def: $vgpr5
	s_and_saveexec_b64 s[18:19], vcc
	s_xor_b64 s[18:19], exec, s[18:19]
	s_cbranch_execz .LBB231_2031
; %bb.1806:
	v_bfe_u32 v5, v4, 4, 1
	s_mov_b32 s21, 0x487ffff
	v_add3_u32 v5, v7, v5, s21
	s_mov_b64 s[12:13], exec
	v_lshrrev_b32_e32 v5, 20, v5
                                        ; implicit-def: $vgpr7
	s_andn2_saveexec_b64 s[18:19], s[18:19]
	s_cbranch_execnz .LBB231_2032
.LBB231_1807:
	s_or_b64 exec, exec, s[18:19]
	v_mov_b32_e32 v8, 0
	s_and_saveexec_b64 s[18:19], s[12:13]
.LBB231_1808:
	v_lshrrev_b32_e32 v4, 8, v4
	s_movk_i32 s12, 0x80
	v_and_or_b32 v8, v4, s12, v5
.LBB231_1809:
	s_or_b64 exec, exec, s[18:19]
.LBB231_1810:
	s_or_b64 exec, exec, s[10:11]
	global_store_byte v[0:1], v8, off
.LBB231_1811:
	s_mov_b64 s[10:11], -1
.LBB231_1812:
	s_mov_b64 s[12:13], 0
.LBB231_1813:
	s_and_b64 vcc, exec, s[12:13]
	s_cbranch_vccz .LBB231_1853
; %bb.1814:
	s_cmp_gt_i32 s20, 22
	s_mov_b64 s[2:3], -1
	s_cbranch_scc0 .LBB231_1846
; %bb.1815:
	s_cmp_lt_i32 s20, 24
	s_cbranch_scc1 .LBB231_1835
; %bb.1816:
	s_cmp_gt_i32 s20, 24
	s_cbranch_scc0 .LBB231_1824
; %bb.1817:
	v_lshlrev_b32_e32 v7, 16, v3
	v_and_b32_e32 v5, 0x7fffffff, v7
	s_mov_b32 s2, 0x47800000
	v_cmp_gt_u32_e32 vcc, s2, v5
	v_mov_b32_e32 v8, 0x80
	s_and_saveexec_b64 s[2:3], vcc
	s_cbranch_execz .LBB231_1823
; %bb.1818:
	s_mov_b32 s10, 0x37ffffff
	v_and_b32_e32 v4, 0xffff, v3
	v_cmp_lt_u32_e32 vcc, s10, v5
	s_mov_b64 s[10:11], 0
                                        ; implicit-def: $vgpr5
	s_and_saveexec_b64 s[12:13], vcc
	s_xor_b64 s[12:13], exec, s[12:13]
	s_cbranch_execz .LBB231_2034
; %bb.1819:
	v_bfe_u32 v5, v4, 5, 1
	s_mov_b32 s18, 0x88fffff
	v_add3_u32 v5, v7, v5, s18
	s_mov_b64 s[10:11], exec
	v_lshrrev_b32_e32 v5, 21, v5
                                        ; implicit-def: $vgpr7
	s_andn2_saveexec_b64 s[12:13], s[12:13]
	s_cbranch_execnz .LBB231_2035
.LBB231_1820:
	s_or_b64 exec, exec, s[12:13]
	v_mov_b32_e32 v8, 0
	s_and_saveexec_b64 s[12:13], s[10:11]
.LBB231_1821:
	v_lshrrev_b32_e32 v4, 8, v4
	s_movk_i32 s10, 0x80
	v_and_or_b32 v8, v4, s10, v5
.LBB231_1822:
	s_or_b64 exec, exec, s[12:13]
.LBB231_1823:
	s_or_b64 exec, exec, s[2:3]
	s_mov_b64 s[2:3], 0
	global_store_byte v[0:1], v8, off
.LBB231_1824:
	s_and_b64 vcc, exec, s[2:3]
	s_cbranch_vccz .LBB231_1834
; %bb.1825:
	v_lshlrev_b32_e32 v7, 16, v3
	v_and_b32_e32 v8, 0x7fffffff, v7
	s_mov_b32 s2, 0x43f00000
	v_and_b32_e32 v4, 0xffff, v3
	v_cmp_gt_u32_e32 vcc, s2, v8
                                        ; implicit-def: $vgpr5
	s_and_saveexec_b64 s[2:3], vcc
	s_xor_b64 s[2:3], exec, s[2:3]
	s_cbranch_execz .LBB231_1831
; %bb.1826:
	s_mov_b32 s10, 0x3c7fffff
	v_cmp_lt_u32_e32 vcc, s10, v8
                                        ; implicit-def: $vgpr5
	s_and_saveexec_b64 s[10:11], vcc
	s_xor_b64 s[10:11], exec, s[10:11]
; %bb.1827:
	v_bfe_u32 v5, v4, 4, 1
	s_mov_b32 s12, 0x407ffff
	v_add3_u32 v5, v7, v5, s12
	v_lshrrev_b32_e32 v7, 20, v5
	v_and_b32_e32 v5, 0xff00000, v5
	s_mov_b32 s12, 0x7f00000
	v_mov_b32_e32 v8, 0x7e
	v_cmp_ne_u32_e32 vcc, s12, v5
	v_cndmask_b32_e32 v5, v8, v7, vcc
                                        ; implicit-def: $vgpr7
; %bb.1828:
	s_andn2_saveexec_b64 s[10:11], s[10:11]
; %bb.1829:
	s_mov_b32 s12, 0x46800000
	v_add_f32_e64 v5, |v7|, s12
; %bb.1830:
	s_or_b64 exec, exec, s[10:11]
                                        ; implicit-def: $vgpr8
.LBB231_1831:
	s_andn2_saveexec_b64 s[2:3], s[2:3]
; %bb.1832:
	s_mov_b32 s10, 0x7f800000
	v_mov_b32_e32 v5, 0x7e
	v_mov_b32_e32 v7, 0x7f
	v_cmp_lt_u32_e32 vcc, s10, v8
	v_cndmask_b32_e32 v5, v5, v7, vcc
; %bb.1833:
	s_or_b64 exec, exec, s[2:3]
	v_lshrrev_b32_e32 v4, 8, v4
	s_movk_i32 s2, 0x80
	v_and_or_b32 v4, v4, s2, v5
	global_store_byte v[0:1], v4, off
.LBB231_1834:
	s_mov_b64 s[2:3], 0
.LBB231_1835:
	s_andn2_b64 vcc, exec, s[2:3]
	s_cbranch_vccnz .LBB231_1845
; %bb.1836:
	v_lshlrev_b32_e32 v7, 16, v3
	v_and_b32_e32 v8, 0x7fffffff, v7
	s_mov_b32 s2, 0x47800000
	v_and_b32_e32 v4, 0xffff, v3
	v_cmp_gt_u32_e32 vcc, s2, v8
                                        ; implicit-def: $vgpr5
	s_and_saveexec_b64 s[2:3], vcc
	s_xor_b64 s[2:3], exec, s[2:3]
	s_cbranch_execz .LBB231_1842
; %bb.1837:
	s_mov_b32 s10, 0x387fffff
	v_cmp_lt_u32_e32 vcc, s10, v8
                                        ; implicit-def: $vgpr5
	s_and_saveexec_b64 s[10:11], vcc
	s_xor_b64 s[10:11], exec, s[10:11]
; %bb.1838:
	v_bfe_u32 v5, v4, 5, 1
	s_mov_b32 s12, 0x80fffff
	v_add3_u32 v5, v7, v5, s12
	v_lshrrev_b32_e32 v5, 21, v5
                                        ; implicit-def: $vgpr7
; %bb.1839:
	s_andn2_saveexec_b64 s[10:11], s[10:11]
; %bb.1840:
	s_mov_b32 s12, 0x43000000
	v_add_f32_e64 v5, |v7|, s12
; %bb.1841:
	s_or_b64 exec, exec, s[10:11]
                                        ; implicit-def: $vgpr8
.LBB231_1842:
	s_andn2_saveexec_b64 s[2:3], s[2:3]
; %bb.1843:
	s_mov_b32 s10, 0x7f800000
	v_mov_b32_e32 v5, 0x7c
	v_mov_b32_e32 v7, 0x7f
	v_cmp_lt_u32_e32 vcc, s10, v8
	v_cndmask_b32_e32 v5, v5, v7, vcc
; %bb.1844:
	s_or_b64 exec, exec, s[2:3]
	v_lshrrev_b32_e32 v4, 8, v4
	s_movk_i32 s2, 0x80
	v_and_or_b32 v4, v4, s2, v5
	global_store_byte v[0:1], v4, off
.LBB231_1845:
	s_mov_b64 s[2:3], 0
	s_mov_b64 s[10:11], -1
.LBB231_1846:
	s_andn2_b64 vcc, exec, s[2:3]
	s_mov_b64 s[2:3], 0
	s_cbranch_vccnz .LBB231_1853
; %bb.1847:
	s_cmp_gt_i32 s20, 14
	s_mov_b64 s[12:13], -1
	s_cbranch_scc0 .LBB231_1851
; %bb.1848:
	s_cmp_eq_u32 s20, 15
	s_mov_b64 s[0:1], -1
	s_cbranch_scc0 .LBB231_1850
; %bb.1849:
	global_store_short v[0:1], v3, off
	s_mov_b64 s[0:1], 0
	s_mov_b64 s[10:11], -1
.LBB231_1850:
	s_mov_b64 s[12:13], 0
.LBB231_1851:
	s_and_b64 vcc, exec, s[12:13]
	s_cbranch_vccz .LBB231_1853
; %bb.1852:
	s_cmp_lg_u32 s20, 11
	s_mov_b64 s[2:3], -1
	s_cselect_b64 s[0:1], -1, 0
.LBB231_1853:
	s_and_b64 vcc, exec, s[0:1]
	s_cbranch_vccnz .LBB231_2033
; %bb.1854:
	s_andn2_b64 vcc, exec, s[2:3]
	s_cbranch_vccnz .LBB231_1856
.LBB231_1855:
	v_and_b32_e32 v4, 0x7fff, v3
	v_cmp_ne_u16_e32 vcc, 0, v4
	v_cndmask_b32_e64 v4, 0, 1, vcc
	s_mov_b64 s[10:11], -1
	global_store_byte v[0:1], v4, off
.LBB231_1856:
	s_mov_b64 s[0:1], 0
	s_branch .LBB231_1858
.LBB231_1857:
	s_mov_b64 s[0:1], -1
	s_mov_b64 s[10:11], 0
.LBB231_1858:
	s_and_b64 vcc, exec, s[0:1]
	s_cbranch_vccz .LBB231_1897
; %bb.1859:
	s_and_b32 s2, 0xffff, s22
	s_cmp_lt_i32 s2, 5
	s_mov_b64 s[0:1], -1
	s_cbranch_scc1 .LBB231_1880
; %bb.1860:
	s_cmp_lt_i32 s2, 8
	s_cbranch_scc1 .LBB231_1870
; %bb.1861:
	s_cmp_lt_i32 s2, 9
	s_cbranch_scc1 .LBB231_1867
; %bb.1862:
	s_cmp_gt_i32 s2, 9
	s_cbranch_scc0 .LBB231_1864
; %bb.1863:
	v_lshlrev_b32_e32 v4, 16, v3
	v_cvt_f64_f32_e32 v[7:8], v4
	v_mov_b32_e32 v9, 0
	v_mov_b32_e32 v10, v9
	s_mov_b64 s[0:1], 0
	global_store_dwordx4 v[0:1], v[7:10], off
.LBB231_1864:
	s_andn2_b64 vcc, exec, s[0:1]
	s_cbranch_vccnz .LBB231_1866
; %bb.1865:
	v_lshlrev_b32_e32 v4, 16, v3
	v_mov_b32_e32 v5, 0
	global_store_dwordx2 v[0:1], v[4:5], off
.LBB231_1866:
	s_mov_b64 s[0:1], 0
.LBB231_1867:
	s_andn2_b64 vcc, exec, s[0:1]
	s_cbranch_vccnz .LBB231_1869
; %bb.1868:
	v_lshlrev_b32_e32 v4, 16, v3
	v_cvt_f16_f32_e32 v4, v4
	global_store_dword v[0:1], v4, off
.LBB231_1869:
	s_mov_b64 s[0:1], 0
.LBB231_1870:
	s_andn2_b64 vcc, exec, s[0:1]
	s_cbranch_vccnz .LBB231_1879
; %bb.1871:
	s_cmp_lt_i32 s2, 6
	s_mov_b64 s[0:1], -1
	s_cbranch_scc1 .LBB231_1877
; %bb.1872:
	s_cmp_gt_i32 s2, 6
	s_cbranch_scc0 .LBB231_1874
; %bb.1873:
	v_lshlrev_b32_e32 v4, 16, v3
	v_cvt_f64_f32_e32 v[4:5], v4
	s_mov_b64 s[0:1], 0
	global_store_dwordx2 v[0:1], v[4:5], off
.LBB231_1874:
	s_andn2_b64 vcc, exec, s[0:1]
	s_cbranch_vccnz .LBB231_1876
; %bb.1875:
	v_lshlrev_b32_e32 v4, 16, v3
	global_store_dword v[0:1], v4, off
.LBB231_1876:
	s_mov_b64 s[0:1], 0
.LBB231_1877:
	s_andn2_b64 vcc, exec, s[0:1]
	s_cbranch_vccnz .LBB231_1879
; %bb.1878:
	v_lshlrev_b32_e32 v4, 16, v3
	v_cvt_f16_f32_e32 v4, v4
	global_store_short v[0:1], v4, off
.LBB231_1879:
	s_mov_b64 s[0:1], 0
.LBB231_1880:
	s_andn2_b64 vcc, exec, s[0:1]
	s_cbranch_vccnz .LBB231_1896
; %bb.1881:
	s_cmp_lt_i32 s2, 2
	s_mov_b64 s[0:1], -1
	s_cbranch_scc1 .LBB231_1891
; %bb.1882:
	s_cmp_lt_i32 s2, 3
	s_cbranch_scc1 .LBB231_1888
; %bb.1883:
	s_cmp_gt_i32 s2, 3
	s_cbranch_scc0 .LBB231_1885
; %bb.1884:
	v_lshlrev_b32_e32 v4, 16, v3
	v_trunc_f32_e32 v4, v4
	s_mov_b32 s0, 0x2f800000
	v_mul_f32_e64 v5, |v4|, s0
	v_floor_f32_e32 v5, v5
	s_mov_b32 s0, 0xcf800000
	v_cvt_u32_f32_e32 v7, v5
	v_fma_f32 v5, v5, s0, |v4|
	v_cvt_u32_f32_e32 v5, v5
	v_ashrrev_i32_e32 v8, 31, v4
	v_xor_b32_e32 v7, v7, v8
	s_mov_b64 s[0:1], 0
	v_xor_b32_e32 v4, v5, v8
	v_sub_co_u32_e32 v4, vcc, v4, v8
	v_subb_co_u32_e32 v5, vcc, v7, v8, vcc
	global_store_dwordx2 v[0:1], v[4:5], off
.LBB231_1885:
	s_andn2_b64 vcc, exec, s[0:1]
	s_cbranch_vccnz .LBB231_1887
; %bb.1886:
	v_lshlrev_b32_e32 v4, 16, v3
	v_cvt_i32_f32_e32 v4, v4
	global_store_dword v[0:1], v4, off
.LBB231_1887:
	s_mov_b64 s[0:1], 0
.LBB231_1888:
	s_andn2_b64 vcc, exec, s[0:1]
	s_cbranch_vccnz .LBB231_1890
; %bb.1889:
	v_lshlrev_b32_e32 v4, 16, v3
	v_cvt_i32_f32_e32 v4, v4
	global_store_short v[0:1], v4, off
.LBB231_1890:
	s_mov_b64 s[0:1], 0
.LBB231_1891:
	s_andn2_b64 vcc, exec, s[0:1]
	s_cbranch_vccnz .LBB231_1896
; %bb.1892:
	s_mov_b64 s[0:1], -1
	s_cmp_gt_i32 s2, 0
	v_lshlrev_b32_e32 v3, 16, v3
	s_cbranch_scc0 .LBB231_1894
; %bb.1893:
	v_cvt_i32_f32_e32 v4, v3
	s_mov_b64 s[0:1], 0
	global_store_byte v[0:1], v4, off
.LBB231_1894:
	s_andn2_b64 vcc, exec, s[0:1]
	s_cbranch_vccnz .LBB231_1896
; %bb.1895:
	v_trunc_f32_e32 v3, v3
	s_mov_b32 s0, 0x2f800000
	v_mul_f32_e64 v4, |v3|, s0
	v_floor_f32_e32 v4, v4
	s_mov_b32 s0, 0xcf800000
	v_fma_f32 v4, v4, s0, |v3|
	v_cvt_u32_f32_e32 v4, v4
	v_ashrrev_i32_e32 v3, 31, v3
	v_xor_b32_e32 v4, v4, v3
	v_sub_u32_e32 v3, v4, v3
	global_store_byte v[0:1], v3, off
.LBB231_1896:
	s_mov_b64 s[10:11], -1
.LBB231_1897:
	s_andn2_b64 vcc, exec, s[10:11]
	s_cbranch_vccnz .LBB231_1974
; %bb.1898:
	v_lshlrev_b32_e32 v0, 16, v6
	v_mov_b32_e32 v1, s15
	v_mov_b32_e32 v3, s33
	v_cmp_ge_f32_e32 vcc, s23, v0
	v_add_u32_e32 v0, s14, v2
	v_cndmask_b32_e32 v3, v1, v3, vcc
	v_ashrrev_i32_e32 v1, 31, v0
	v_mov_b32_e32 v2, s9
	v_add_co_u32_e32 v0, vcc, s8, v0
	s_cmp_lt_i32 s22, 11
	v_addc_co_u32_e32 v1, vcc, v2, v1, vcc
	s_cbranch_scc1 .LBB231_2019
; %bb.1899:
	s_and_b32 s14, 0xffff, s22
	s_mov_b64 s[8:9], -1
	s_mov_b64 s[2:3], 0
	s_cmp_gt_i32 s14, 25
	s_mov_b64 s[0:1], 0
	s_cbranch_scc0 .LBB231_1932
; %bb.1900:
	s_cmp_gt_i32 s14, 28
	s_cbranch_scc0 .LBB231_1916
; %bb.1901:
	s_cmp_gt_i32 s14, 43
	s_cbranch_scc0 .LBB231_1912
; %bb.1902:
	s_cmp_gt_i32 s14, 45
	s_cbranch_scc0 .LBB231_1906
; %bb.1903:
	s_cmp_eq_u32 s14, 46
	s_mov_b64 s[0:1], -1
	s_cbranch_scc0 .LBB231_1905
; %bb.1904:
	v_and_b32_e32 v2, 0xffff, v3
	global_store_dword v[0:1], v2, off
	s_mov_b64 s[0:1], 0
.LBB231_1905:
	s_mov_b64 s[8:9], 0
.LBB231_1906:
	s_and_b64 vcc, exec, s[8:9]
	s_cbranch_vccz .LBB231_1911
; %bb.1907:
	s_cmp_eq_u32 s14, 44
	s_mov_b64 s[0:1], -1
	s_cbranch_scc0 .LBB231_1911
; %bb.1908:
	v_and_b32_e32 v4, 0xffff, v3
	v_bfe_u32 v2, v4, 7, 8
	s_movk_i32 s0, 0xff
	v_cmp_ne_u32_e32 vcc, s0, v2
	v_mov_b32_e32 v5, 0xff
	s_and_saveexec_b64 s[8:9], vcc
	s_cbranch_execz .LBB231_1910
; %bb.1909:
	v_lshlrev_b32_e32 v6, 16, v4
	s_mov_b32 s0, 0x3f0000
	v_lshrrev_b32_e32 v5, 7, v4
	v_and_b32_e32 v4, 64, v4
	v_and_or_b32 v2, v6, s0, v2
	v_cmp_ne_u32_e32 vcc, 0, v4
	v_cmp_ne_u32_e64 s[0:1], 0, v2
	s_and_b64 s[0:1], vcc, s[0:1]
	v_cndmask_b32_e64 v2, 0, 1, s[0:1]
	v_add_u32_e32 v5, v5, v2
.LBB231_1910:
	s_or_b64 exec, exec, s[8:9]
	s_mov_b64 s[0:1], 0
	global_store_byte v[0:1], v5, off
.LBB231_1911:
	s_mov_b64 s[8:9], 0
.LBB231_1912:
	s_and_b64 vcc, exec, s[8:9]
	s_cbranch_vccz .LBB231_1915
; %bb.1913:
	s_cmp_eq_u32 s14, 29
	s_mov_b64 s[0:1], -1
	s_cbranch_scc0 .LBB231_1915
; %bb.1914:
	v_lshlrev_b32_e32 v2, 16, v3
	v_trunc_f32_e32 v2, v2
	v_mul_f32_e32 v4, 0x2f800000, v2
	v_floor_f32_e32 v4, v4
	v_fmac_f32_e32 v2, 0xcf800000, v4
	v_cvt_u32_f32_e32 v5, v4
	v_cvt_u32_f32_e32 v4, v2
	s_mov_b64 s[0:1], 0
	global_store_dwordx2 v[0:1], v[4:5], off
.LBB231_1915:
	s_mov_b64 s[8:9], 0
.LBB231_1916:
	s_and_b64 vcc, exec, s[8:9]
	s_cbranch_vccz .LBB231_1931
; %bb.1917:
	s_cmp_lt_i32 s14, 27
	s_mov_b64 s[8:9], -1
	s_cbranch_scc1 .LBB231_1923
; %bb.1918:
	s_cmp_gt_i32 s14, 27
	s_cbranch_scc0 .LBB231_1920
; %bb.1919:
	v_lshlrev_b32_e32 v2, 16, v3
	v_cvt_u32_f32_e32 v2, v2
	s_mov_b64 s[8:9], 0
	global_store_dword v[0:1], v2, off
.LBB231_1920:
	s_andn2_b64 vcc, exec, s[8:9]
	s_cbranch_vccnz .LBB231_1922
; %bb.1921:
	v_lshlrev_b32_e32 v2, 16, v3
	v_cvt_u32_f32_e32 v2, v2
	global_store_short v[0:1], v2, off
.LBB231_1922:
	s_mov_b64 s[8:9], 0
.LBB231_1923:
	s_andn2_b64 vcc, exec, s[8:9]
	s_cbranch_vccnz .LBB231_1931
; %bb.1924:
	v_lshlrev_b32_e32 v5, 16, v3
	v_and_b32_e32 v4, 0x7fffffff, v5
	s_mov_b32 s8, 0x43800000
	v_cmp_gt_u32_e32 vcc, s8, v4
	v_mov_b32_e32 v6, 0x80
	s_and_saveexec_b64 s[8:9], vcc
	s_cbranch_execz .LBB231_1930
; %bb.1925:
	s_mov_b32 s10, 0x3bffffff
	v_and_b32_e32 v2, 0xffff, v3
	v_cmp_lt_u32_e32 vcc, s10, v4
	s_mov_b64 s[10:11], 0
                                        ; implicit-def: $vgpr4
	s_and_saveexec_b64 s[12:13], vcc
	s_xor_b64 s[12:13], exec, s[12:13]
	s_cbranch_execz .LBB231_2036
; %bb.1926:
	v_bfe_u32 v4, v2, 4, 1
	s_mov_b32 s15, 0x487ffff
	v_add3_u32 v4, v5, v4, s15
	s_mov_b64 s[10:11], exec
	v_lshrrev_b32_e32 v4, 20, v4
                                        ; implicit-def: $vgpr5
	s_andn2_saveexec_b64 s[12:13], s[12:13]
	s_cbranch_execnz .LBB231_2037
.LBB231_1927:
	s_or_b64 exec, exec, s[12:13]
	v_mov_b32_e32 v6, 0
	s_and_saveexec_b64 s[12:13], s[10:11]
.LBB231_1928:
	v_lshrrev_b32_e32 v2, 8, v2
	s_movk_i32 s10, 0x80
	v_and_or_b32 v6, v2, s10, v4
.LBB231_1929:
	s_or_b64 exec, exec, s[12:13]
.LBB231_1930:
	s_or_b64 exec, exec, s[8:9]
	global_store_byte v[0:1], v6, off
.LBB231_1931:
	s_mov_b64 s[8:9], 0
.LBB231_1932:
	s_and_b64 vcc, exec, s[8:9]
	s_cbranch_vccz .LBB231_1972
; %bb.1933:
	s_cmp_gt_i32 s14, 22
	s_mov_b64 s[2:3], -1
	s_cbranch_scc0 .LBB231_1965
; %bb.1934:
	s_cmp_lt_i32 s14, 24
	s_cbranch_scc1 .LBB231_1954
; %bb.1935:
	s_cmp_gt_i32 s14, 24
	s_cbranch_scc0 .LBB231_1943
; %bb.1936:
	v_lshlrev_b32_e32 v5, 16, v3
	v_and_b32_e32 v4, 0x7fffffff, v5
	s_mov_b32 s2, 0x47800000
	v_cmp_gt_u32_e32 vcc, s2, v4
	v_mov_b32_e32 v6, 0x80
	s_and_saveexec_b64 s[2:3], vcc
	s_cbranch_execz .LBB231_1942
; %bb.1937:
	s_mov_b32 s8, 0x37ffffff
	v_and_b32_e32 v2, 0xffff, v3
	v_cmp_lt_u32_e32 vcc, s8, v4
	s_mov_b64 s[8:9], 0
                                        ; implicit-def: $vgpr4
	s_and_saveexec_b64 s[10:11], vcc
	s_xor_b64 s[10:11], exec, s[10:11]
	s_cbranch_execz .LBB231_2039
; %bb.1938:
	v_bfe_u32 v4, v2, 5, 1
	s_mov_b32 s12, 0x88fffff
	v_add3_u32 v4, v5, v4, s12
	s_mov_b64 s[8:9], exec
	v_lshrrev_b32_e32 v4, 21, v4
                                        ; implicit-def: $vgpr5
	s_andn2_saveexec_b64 s[10:11], s[10:11]
	s_cbranch_execnz .LBB231_2040
.LBB231_1939:
	s_or_b64 exec, exec, s[10:11]
	v_mov_b32_e32 v6, 0
	s_and_saveexec_b64 s[10:11], s[8:9]
.LBB231_1940:
	v_lshrrev_b32_e32 v2, 8, v2
	s_movk_i32 s8, 0x80
	v_and_or_b32 v6, v2, s8, v4
.LBB231_1941:
	s_or_b64 exec, exec, s[10:11]
.LBB231_1942:
	s_or_b64 exec, exec, s[2:3]
	s_mov_b64 s[2:3], 0
	global_store_byte v[0:1], v6, off
.LBB231_1943:
	s_and_b64 vcc, exec, s[2:3]
	s_cbranch_vccz .LBB231_1953
; %bb.1944:
	v_lshlrev_b32_e32 v5, 16, v3
	v_and_b32_e32 v6, 0x7fffffff, v5
	s_mov_b32 s2, 0x43f00000
	v_and_b32_e32 v2, 0xffff, v3
	v_cmp_gt_u32_e32 vcc, s2, v6
                                        ; implicit-def: $vgpr4
	s_and_saveexec_b64 s[2:3], vcc
	s_xor_b64 s[2:3], exec, s[2:3]
	s_cbranch_execz .LBB231_1950
; %bb.1945:
	s_mov_b32 s8, 0x3c7fffff
	v_cmp_lt_u32_e32 vcc, s8, v6
                                        ; implicit-def: $vgpr4
	s_and_saveexec_b64 s[8:9], vcc
	s_xor_b64 s[8:9], exec, s[8:9]
; %bb.1946:
	v_bfe_u32 v4, v2, 4, 1
	s_mov_b32 s10, 0x407ffff
	v_add3_u32 v4, v5, v4, s10
	v_lshrrev_b32_e32 v5, 20, v4
	v_and_b32_e32 v4, 0xff00000, v4
	s_mov_b32 s10, 0x7f00000
	v_mov_b32_e32 v6, 0x7e
	v_cmp_ne_u32_e32 vcc, s10, v4
	v_cndmask_b32_e32 v4, v6, v5, vcc
                                        ; implicit-def: $vgpr5
; %bb.1947:
	s_andn2_saveexec_b64 s[8:9], s[8:9]
; %bb.1948:
	s_mov_b32 s10, 0x46800000
	v_add_f32_e64 v4, |v5|, s10
; %bb.1949:
	s_or_b64 exec, exec, s[8:9]
                                        ; implicit-def: $vgpr6
.LBB231_1950:
	s_andn2_saveexec_b64 s[2:3], s[2:3]
; %bb.1951:
	s_mov_b32 s8, 0x7f800000
	v_mov_b32_e32 v4, 0x7e
	v_mov_b32_e32 v5, 0x7f
	v_cmp_lt_u32_e32 vcc, s8, v6
	v_cndmask_b32_e32 v4, v4, v5, vcc
; %bb.1952:
	s_or_b64 exec, exec, s[2:3]
	v_lshrrev_b32_e32 v2, 8, v2
	s_movk_i32 s2, 0x80
	v_and_or_b32 v2, v2, s2, v4
	global_store_byte v[0:1], v2, off
.LBB231_1953:
	s_mov_b64 s[2:3], 0
.LBB231_1954:
	s_andn2_b64 vcc, exec, s[2:3]
	s_cbranch_vccnz .LBB231_1964
; %bb.1955:
	v_lshlrev_b32_e32 v5, 16, v3
	v_and_b32_e32 v6, 0x7fffffff, v5
	s_mov_b32 s2, 0x47800000
	v_and_b32_e32 v2, 0xffff, v3
	v_cmp_gt_u32_e32 vcc, s2, v6
                                        ; implicit-def: $vgpr4
	s_and_saveexec_b64 s[2:3], vcc
	s_xor_b64 s[2:3], exec, s[2:3]
	s_cbranch_execz .LBB231_1961
; %bb.1956:
	s_mov_b32 s8, 0x387fffff
	v_cmp_lt_u32_e32 vcc, s8, v6
                                        ; implicit-def: $vgpr4
	s_and_saveexec_b64 s[8:9], vcc
	s_xor_b64 s[8:9], exec, s[8:9]
; %bb.1957:
	v_bfe_u32 v4, v2, 5, 1
	s_mov_b32 s10, 0x80fffff
	v_add3_u32 v4, v5, v4, s10
	v_lshrrev_b32_e32 v4, 21, v4
                                        ; implicit-def: $vgpr5
; %bb.1958:
	s_andn2_saveexec_b64 s[8:9], s[8:9]
; %bb.1959:
	s_mov_b32 s10, 0x43000000
	v_add_f32_e64 v4, |v5|, s10
; %bb.1960:
	s_or_b64 exec, exec, s[8:9]
                                        ; implicit-def: $vgpr6
.LBB231_1961:
	s_andn2_saveexec_b64 s[2:3], s[2:3]
; %bb.1962:
	s_mov_b32 s8, 0x7f800000
	v_mov_b32_e32 v4, 0x7c
	v_mov_b32_e32 v5, 0x7f
	v_cmp_lt_u32_e32 vcc, s8, v6
	v_cndmask_b32_e32 v4, v4, v5, vcc
; %bb.1963:
	s_or_b64 exec, exec, s[2:3]
	v_lshrrev_b32_e32 v2, 8, v2
	s_movk_i32 s2, 0x80
	v_and_or_b32 v2, v2, s2, v4
	global_store_byte v[0:1], v2, off
.LBB231_1964:
	s_mov_b64 s[2:3], 0
.LBB231_1965:
	s_andn2_b64 vcc, exec, s[2:3]
	s_mov_b64 s[2:3], 0
	s_cbranch_vccnz .LBB231_1972
; %bb.1966:
	s_cmp_gt_i32 s14, 14
	s_mov_b64 s[8:9], -1
	s_cbranch_scc0 .LBB231_1970
; %bb.1967:
	s_cmp_eq_u32 s14, 15
	s_mov_b64 s[0:1], -1
	s_cbranch_scc0 .LBB231_1969
; %bb.1968:
	global_store_short v[0:1], v3, off
	s_mov_b64 s[0:1], 0
.LBB231_1969:
	s_mov_b64 s[8:9], 0
.LBB231_1970:
	s_and_b64 vcc, exec, s[8:9]
	s_cbranch_vccz .LBB231_1972
; %bb.1971:
	s_cmp_lg_u32 s14, 11
	s_mov_b64 s[2:3], -1
	s_cselect_b64 s[0:1], -1, 0
.LBB231_1972:
	s_and_b64 vcc, exec, s[0:1]
	s_cbranch_vccnz .LBB231_2038
.LBB231_1973:
	s_mov_b64 s[0:1], 0
	s_branch .LBB231_1975
.LBB231_1974:
	s_mov_b64 s[0:1], 0
	s_mov_b64 s[2:3], 0
                                        ; implicit-def: $sgpr22
                                        ; implicit-def: $vgpr0_vgpr1
                                        ; implicit-def: $vgpr3
.LBB231_1975:
	s_andn2_b64 s[6:7], s[6:7], exec
	s_and_b64 s[8:9], s[16:17], exec
	s_and_b64 s[0:1], s[0:1], exec
	;; [unrolled: 1-line block ×3, first 2 shown]
	s_or_b64 s[6:7], s[6:7], s[8:9]
.LBB231_1976:
	s_or_b64 exec, exec, s[4:5]
	s_and_saveexec_b64 s[4:5], s[6:7]
	s_cbranch_execz .LBB231_1979
; %bb.1977:
	; divergent unreachable
	s_or_b64 exec, exec, s[4:5]
	s_and_saveexec_b64 s[4:5], s[2:3]
	s_xor_b64 s[2:3], exec, s[4:5]
	s_cbranch_execnz .LBB231_1980
.LBB231_1978:
	s_or_b64 exec, exec, s[2:3]
	s_and_saveexec_b64 s[2:3], s[0:1]
	s_cbranch_execnz .LBB231_1981
	s_branch .LBB231_2018
.LBB231_1979:
	s_or_b64 exec, exec, s[4:5]
	s_and_saveexec_b64 s[4:5], s[2:3]
	s_xor_b64 s[2:3], exec, s[4:5]
	s_cbranch_execz .LBB231_1978
.LBB231_1980:
	s_waitcnt vmcnt(0)
	v_and_b32_e32 v2, 0x7fff, v3
	v_cmp_ne_u16_e32 vcc, 0, v2
	v_cndmask_b32_e64 v2, 0, 1, vcc
	global_store_byte v[0:1], v2, off
	s_or_b64 exec, exec, s[2:3]
	s_and_saveexec_b64 s[2:3], s[0:1]
	s_cbranch_execz .LBB231_2018
.LBB231_1981:
	s_sext_i32_i16 s2, s22
	s_cmp_lt_i32 s2, 5
	s_mov_b64 s[0:1], -1
	s_cbranch_scc1 .LBB231_2002
; %bb.1982:
	s_cmp_lt_i32 s2, 8
	s_cbranch_scc1 .LBB231_1992
; %bb.1983:
	s_cmp_lt_i32 s2, 9
	s_cbranch_scc1 .LBB231_1989
; %bb.1984:
	s_cmp_gt_i32 s2, 9
	s_cbranch_scc0 .LBB231_1986
; %bb.1985:
	s_waitcnt vmcnt(0)
	v_lshlrev_b32_e32 v2, 16, v3
	v_cvt_f64_f32_e32 v[4:5], v2
	v_mov_b32_e32 v6, 0
	v_mov_b32_e32 v7, v6
	s_mov_b64 s[0:1], 0
	global_store_dwordx4 v[0:1], v[4:7], off
.LBB231_1986:
	s_andn2_b64 vcc, exec, s[0:1]
	s_cbranch_vccnz .LBB231_1988
; %bb.1987:
	s_waitcnt vmcnt(0)
	v_lshlrev_b32_e32 v4, 16, v3
	v_mov_b32_e32 v5, 0
	global_store_dwordx2 v[0:1], v[4:5], off
.LBB231_1988:
	s_mov_b64 s[0:1], 0
.LBB231_1989:
	s_andn2_b64 vcc, exec, s[0:1]
	s_cbranch_vccnz .LBB231_1991
; %bb.1990:
	s_waitcnt vmcnt(0)
	v_lshlrev_b32_e32 v2, 16, v3
	v_cvt_f16_f32_e32 v2, v2
	global_store_dword v[0:1], v2, off
.LBB231_1991:
	s_mov_b64 s[0:1], 0
.LBB231_1992:
	s_andn2_b64 vcc, exec, s[0:1]
	s_cbranch_vccnz .LBB231_2001
; %bb.1993:
	s_sext_i32_i16 s2, s22
	s_cmp_lt_i32 s2, 6
	s_mov_b64 s[0:1], -1
	s_cbranch_scc1 .LBB231_1999
; %bb.1994:
	s_cmp_gt_i32 s2, 6
	s_cbranch_scc0 .LBB231_1996
; %bb.1995:
	s_waitcnt vmcnt(0)
	v_lshlrev_b32_e32 v2, 16, v3
	v_cvt_f64_f32_e32 v[4:5], v2
	s_mov_b64 s[0:1], 0
	global_store_dwordx2 v[0:1], v[4:5], off
.LBB231_1996:
	s_andn2_b64 vcc, exec, s[0:1]
	s_cbranch_vccnz .LBB231_1998
; %bb.1997:
	s_waitcnt vmcnt(0)
	v_lshlrev_b32_e32 v2, 16, v3
	global_store_dword v[0:1], v2, off
.LBB231_1998:
	s_mov_b64 s[0:1], 0
.LBB231_1999:
	s_andn2_b64 vcc, exec, s[0:1]
	s_cbranch_vccnz .LBB231_2001
; %bb.2000:
	s_waitcnt vmcnt(0)
	v_lshlrev_b32_e32 v2, 16, v3
	v_cvt_f16_f32_e32 v2, v2
	global_store_short v[0:1], v2, off
.LBB231_2001:
	s_mov_b64 s[0:1], 0
.LBB231_2002:
	s_andn2_b64 vcc, exec, s[0:1]
	s_cbranch_vccnz .LBB231_2018
; %bb.2003:
	s_sext_i32_i16 s2, s22
	s_cmp_lt_i32 s2, 2
	s_mov_b64 s[0:1], -1
	s_cbranch_scc1 .LBB231_2013
; %bb.2004:
	s_cmp_lt_i32 s2, 3
	s_cbranch_scc1 .LBB231_2010
; %bb.2005:
	s_cmp_gt_i32 s2, 3
	s_cbranch_scc0 .LBB231_2007
; %bb.2006:
	s_waitcnt vmcnt(0)
	v_lshlrev_b32_e32 v2, 16, v3
	v_trunc_f32_e32 v2, v2
	s_mov_b32 s0, 0x2f800000
	v_mul_f32_e64 v4, |v2|, s0
	v_floor_f32_e32 v4, v4
	s_mov_b32 s0, 0xcf800000
	v_cvt_u32_f32_e32 v5, v4
	v_fma_f32 v4, v4, s0, |v2|
	v_cvt_u32_f32_e32 v4, v4
	v_ashrrev_i32_e32 v2, 31, v2
	v_xor_b32_e32 v5, v5, v2
	s_mov_b64 s[0:1], 0
	v_xor_b32_e32 v4, v4, v2
	v_sub_co_u32_e32 v4, vcc, v4, v2
	v_subb_co_u32_e32 v5, vcc, v5, v2, vcc
	global_store_dwordx2 v[0:1], v[4:5], off
.LBB231_2007:
	s_andn2_b64 vcc, exec, s[0:1]
	s_cbranch_vccnz .LBB231_2009
; %bb.2008:
	s_waitcnt vmcnt(0)
	v_lshlrev_b32_e32 v2, 16, v3
	v_cvt_i32_f32_e32 v2, v2
	global_store_dword v[0:1], v2, off
.LBB231_2009:
	s_mov_b64 s[0:1], 0
.LBB231_2010:
	s_andn2_b64 vcc, exec, s[0:1]
	s_cbranch_vccnz .LBB231_2012
; %bb.2011:
	s_waitcnt vmcnt(0)
	v_lshlrev_b32_e32 v2, 16, v3
	v_cvt_i32_f32_e32 v2, v2
	global_store_short v[0:1], v2, off
.LBB231_2012:
	s_mov_b64 s[0:1], 0
.LBB231_2013:
	s_andn2_b64 vcc, exec, s[0:1]
	s_cbranch_vccnz .LBB231_2018
; %bb.2014:
	s_sext_i32_i16 s2, s22
	s_mov_b64 s[0:1], -1
	s_cmp_gt_i32 s2, 0
	s_waitcnt vmcnt(0)
	v_lshlrev_b32_e32 v2, 16, v3
	s_cbranch_scc0 .LBB231_2016
; %bb.2015:
	v_cvt_i32_f32_e32 v3, v2
	s_mov_b64 s[0:1], 0
	global_store_byte v[0:1], v3, off
.LBB231_2016:
	s_andn2_b64 vcc, exec, s[0:1]
	s_cbranch_vccnz .LBB231_2018
; %bb.2017:
	v_trunc_f32_e32 v2, v2
	s_mov_b32 s0, 0x2f800000
	v_mul_f32_e64 v3, |v2|, s0
	v_floor_f32_e32 v3, v3
	s_mov_b32 s0, 0xcf800000
	v_fma_f32 v3, v3, s0, |v2|
	v_cvt_u32_f32_e32 v3, v3
	v_ashrrev_i32_e32 v2, 31, v2
	v_xor_b32_e32 v3, v3, v2
	v_sub_u32_e32 v2, v3, v2
	global_store_byte v[0:1], v2, off
	s_endpgm
.LBB231_2018:
	s_endpgm
.LBB231_2019:
	s_mov_b64 s[2:3], 0
	s_mov_b64 s[0:1], -1
	s_branch .LBB231_1975
.LBB231_2020:
	s_trap 2
	s_or_b64 s[16:17], s[16:17], exec
	s_cbranch_execz .LBB231_1489
	s_branch .LBB231_1490
.LBB231_2021:
	s_andn2_saveexec_b64 s[20:21], s[20:21]
	s_cbranch_execz .LBB231_1569
.LBB231_2022:
	s_mov_b32 s14, 0x46000000
	v_add_f32_e64 v8, |v9|, s14
	v_and_b32_e32 v8, 0xff, v8
	v_cmp_ne_u32_e32 vcc, 0, v8
	s_andn2_b64 s[18:19], s[18:19], exec
	s_and_b64 s[24:25], vcc, exec
	s_or_b64 s[18:19], s[18:19], s[24:25]
	s_or_b64 exec, exec, s[20:21]
	v_mov_b32_e32 v10, 0
	s_and_saveexec_b64 s[20:21], s[18:19]
	s_cbranch_execnz .LBB231_1570
	s_branch .LBB231_1571
.LBB231_2023:
	s_trap 2
	s_or_b64 s[16:17], s[16:17], exec
	s_cbranch_execz .LBB231_1617
	s_branch .LBB231_1618
.LBB231_2024:
	s_andn2_saveexec_b64 s[18:19], s[18:19]
	s_cbranch_execz .LBB231_1582
.LBB231_2025:
	s_mov_b32 s14, 0x42800000
	v_add_f32_e64 v8, |v9|, s14
	v_and_b32_e32 v8, 0xff, v8
	v_cmp_ne_u32_e32 vcc, 0, v8
	s_andn2_b64 s[10:11], s[10:11], exec
	s_and_b64 s[20:21], vcc, exec
	s_or_b64 s[10:11], s[10:11], s[20:21]
	s_or_b64 exec, exec, s[18:19]
	v_mov_b32_e32 v10, 0
	s_and_saveexec_b64 s[18:19], s[10:11]
	s_cbranch_execnz .LBB231_1583
	s_branch .LBB231_1584
.LBB231_2026:
	s_andn2_saveexec_b64 s[18:19], s[18:19]
	s_cbranch_execz .LBB231_1688
.LBB231_2027:
	s_mov_b32 s21, 0x46000000
	v_add_f32_e64 v7, |v8|, s21
	v_and_b32_e32 v7, 0xff, v7
	v_cmp_ne_u32_e32 vcc, 0, v7
	s_andn2_b64 s[12:13], s[12:13], exec
	s_and_b64 s[24:25], vcc, exec
	s_or_b64 s[12:13], s[12:13], s[24:25]
	s_or_b64 exec, exec, s[18:19]
	v_mov_b32_e32 v9, 0
	s_and_saveexec_b64 s[18:19], s[12:13]
	s_cbranch_execnz .LBB231_1689
	s_branch .LBB231_1690
.LBB231_2028:
	s_trap 2
	s_or_b64 s[16:17], s[16:17], exec
	s_cbranch_execz .LBB231_1736
	s_branch .LBB231_1737
.LBB231_2029:
	s_andn2_saveexec_b64 s[12:13], s[12:13]
	s_cbranch_execz .LBB231_1701
.LBB231_2030:
	s_mov_b32 s18, 0x42800000
	v_add_f32_e64 v7, |v8|, s18
	v_and_b32_e32 v7, 0xff, v7
	v_cmp_ne_u32_e32 vcc, 0, v7
	s_andn2_b64 s[10:11], s[10:11], exec
	s_and_b64 s[18:19], vcc, exec
	s_or_b64 s[10:11], s[10:11], s[18:19]
	s_or_b64 exec, exec, s[12:13]
	v_mov_b32_e32 v9, 0
	s_and_saveexec_b64 s[12:13], s[10:11]
	s_cbranch_execnz .LBB231_1702
	s_branch .LBB231_1703
.LBB231_2031:
	s_andn2_saveexec_b64 s[18:19], s[18:19]
	s_cbranch_execz .LBB231_1807
.LBB231_2032:
	s_mov_b32 s21, 0x46000000
	v_add_f32_e64 v5, |v7|, s21
	v_and_b32_e32 v5, 0xff, v5
	v_cmp_ne_u32_e32 vcc, 0, v5
	s_andn2_b64 s[12:13], s[12:13], exec
	s_and_b64 s[24:25], vcc, exec
	s_or_b64 s[12:13], s[12:13], s[24:25]
	s_or_b64 exec, exec, s[18:19]
	v_mov_b32_e32 v8, 0
	s_and_saveexec_b64 s[18:19], s[12:13]
	s_cbranch_execnz .LBB231_1808
	s_branch .LBB231_1809
.LBB231_2033:
	s_trap 2
	s_or_b64 s[16:17], s[16:17], exec
	s_cbranch_execz .LBB231_1855
	s_branch .LBB231_1856
.LBB231_2034:
	s_andn2_saveexec_b64 s[12:13], s[12:13]
	s_cbranch_execz .LBB231_1820
.LBB231_2035:
	s_mov_b32 s18, 0x42800000
	v_add_f32_e64 v5, |v7|, s18
	v_and_b32_e32 v5, 0xff, v5
	v_cmp_ne_u32_e32 vcc, 0, v5
	s_andn2_b64 s[10:11], s[10:11], exec
	s_and_b64 s[18:19], vcc, exec
	s_or_b64 s[10:11], s[10:11], s[18:19]
	s_or_b64 exec, exec, s[12:13]
	v_mov_b32_e32 v8, 0
	s_and_saveexec_b64 s[12:13], s[10:11]
	s_cbranch_execnz .LBB231_1821
	s_branch .LBB231_1822
.LBB231_2036:
	s_andn2_saveexec_b64 s[12:13], s[12:13]
	s_cbranch_execz .LBB231_1927
.LBB231_2037:
	s_mov_b32 s15, 0x46000000
	v_add_f32_e64 v4, |v5|, s15
	v_and_b32_e32 v4, 0xff, v4
	v_cmp_ne_u32_e32 vcc, 0, v4
	s_andn2_b64 s[10:11], s[10:11], exec
	s_and_b64 s[18:19], vcc, exec
	s_or_b64 s[10:11], s[10:11], s[18:19]
	s_or_b64 exec, exec, s[12:13]
	v_mov_b32_e32 v6, 0
	s_and_saveexec_b64 s[12:13], s[10:11]
	s_cbranch_execnz .LBB231_1928
	s_branch .LBB231_1929
.LBB231_2038:
	s_mov_b64 s[2:3], 0
	s_or_b64 s[16:17], s[16:17], exec
	s_trap 2
	s_branch .LBB231_1973
.LBB231_2039:
	s_andn2_saveexec_b64 s[10:11], s[10:11]
	s_cbranch_execz .LBB231_1939
.LBB231_2040:
	s_mov_b32 s12, 0x42800000
	v_add_f32_e64 v4, |v5|, s12
	v_and_b32_e32 v4, 0xff, v4
	v_cmp_ne_u32_e32 vcc, 0, v4
	s_andn2_b64 s[8:9], s[8:9], exec
	s_and_b64 s[12:13], vcc, exec
	s_or_b64 s[8:9], s[8:9], s[12:13]
	s_or_b64 exec, exec, s[10:11]
	v_mov_b32_e32 v6, 0
	s_and_saveexec_b64 s[10:11], s[8:9]
	s_cbranch_execnz .LBB231_1940
	s_branch .LBB231_1941
	.section	.rodata,"a",@progbits
	.p2align	6, 0x0
	.amdhsa_kernel _ZN2at6native32elementwise_kernel_manual_unrollILi128ELi4EZNS0_15gpu_kernel_implINS0_13BUnaryFunctorIN3c108BFloat16ES5_S5_ZNS0_12_GLOBAL__N_121threshold_kernel_implIS5_EEvRNS_18TensorIteratorBaseET_SA_EUlS5_S5_E_EEEEvS9_RKSA_EUlibE_EEviT1_
		.amdhsa_group_segment_fixed_size 0
		.amdhsa_private_segment_fixed_size 0
		.amdhsa_kernarg_size 40
		.amdhsa_user_sgpr_count 6
		.amdhsa_user_sgpr_private_segment_buffer 1
		.amdhsa_user_sgpr_dispatch_ptr 0
		.amdhsa_user_sgpr_queue_ptr 0
		.amdhsa_user_sgpr_kernarg_segment_ptr 1
		.amdhsa_user_sgpr_dispatch_id 0
		.amdhsa_user_sgpr_flat_scratch_init 0
		.amdhsa_user_sgpr_private_segment_size 0
		.amdhsa_uses_dynamic_stack 0
		.amdhsa_system_sgpr_private_segment_wavefront_offset 0
		.amdhsa_system_sgpr_workgroup_id_x 1
		.amdhsa_system_sgpr_workgroup_id_y 0
		.amdhsa_system_sgpr_workgroup_id_z 0
		.amdhsa_system_sgpr_workgroup_info 0
		.amdhsa_system_vgpr_workitem_id 0
		.amdhsa_next_free_vgpr 12
		.amdhsa_next_free_sgpr 48
		.amdhsa_reserve_vcc 1
		.amdhsa_reserve_flat_scratch 0
		.amdhsa_float_round_mode_32 0
		.amdhsa_float_round_mode_16_64 0
		.amdhsa_float_denorm_mode_32 3
		.amdhsa_float_denorm_mode_16_64 3
		.amdhsa_dx10_clamp 1
		.amdhsa_ieee_mode 1
		.amdhsa_fp16_overflow 0
		.amdhsa_exception_fp_ieee_invalid_op 0
		.amdhsa_exception_fp_denorm_src 0
		.amdhsa_exception_fp_ieee_div_zero 0
		.amdhsa_exception_fp_ieee_overflow 0
		.amdhsa_exception_fp_ieee_underflow 0
		.amdhsa_exception_fp_ieee_inexact 0
		.amdhsa_exception_int_div_zero 0
	.end_amdhsa_kernel
	.section	.text._ZN2at6native32elementwise_kernel_manual_unrollILi128ELi4EZNS0_15gpu_kernel_implINS0_13BUnaryFunctorIN3c108BFloat16ES5_S5_ZNS0_12_GLOBAL__N_121threshold_kernel_implIS5_EEvRNS_18TensorIteratorBaseET_SA_EUlS5_S5_E_EEEEvS9_RKSA_EUlibE_EEviT1_,"axG",@progbits,_ZN2at6native32elementwise_kernel_manual_unrollILi128ELi4EZNS0_15gpu_kernel_implINS0_13BUnaryFunctorIN3c108BFloat16ES5_S5_ZNS0_12_GLOBAL__N_121threshold_kernel_implIS5_EEvRNS_18TensorIteratorBaseET_SA_EUlS5_S5_E_EEEEvS9_RKSA_EUlibE_EEviT1_,comdat
.Lfunc_end231:
	.size	_ZN2at6native32elementwise_kernel_manual_unrollILi128ELi4EZNS0_15gpu_kernel_implINS0_13BUnaryFunctorIN3c108BFloat16ES5_S5_ZNS0_12_GLOBAL__N_121threshold_kernel_implIS5_EEvRNS_18TensorIteratorBaseET_SA_EUlS5_S5_E_EEEEvS9_RKSA_EUlibE_EEviT1_, .Lfunc_end231-_ZN2at6native32elementwise_kernel_manual_unrollILi128ELi4EZNS0_15gpu_kernel_implINS0_13BUnaryFunctorIN3c108BFloat16ES5_S5_ZNS0_12_GLOBAL__N_121threshold_kernel_implIS5_EEvRNS_18TensorIteratorBaseET_SA_EUlS5_S5_E_EEEEvS9_RKSA_EUlibE_EEviT1_
                                        ; -- End function
	.set _ZN2at6native32elementwise_kernel_manual_unrollILi128ELi4EZNS0_15gpu_kernel_implINS0_13BUnaryFunctorIN3c108BFloat16ES5_S5_ZNS0_12_GLOBAL__N_121threshold_kernel_implIS5_EEvRNS_18TensorIteratorBaseET_SA_EUlS5_S5_E_EEEEvS9_RKSA_EUlibE_EEviT1_.num_vgpr, 12
	.set _ZN2at6native32elementwise_kernel_manual_unrollILi128ELi4EZNS0_15gpu_kernel_implINS0_13BUnaryFunctorIN3c108BFloat16ES5_S5_ZNS0_12_GLOBAL__N_121threshold_kernel_implIS5_EEvRNS_18TensorIteratorBaseET_SA_EUlS5_S5_E_EEEEvS9_RKSA_EUlibE_EEviT1_.num_agpr, 0
	.set _ZN2at6native32elementwise_kernel_manual_unrollILi128ELi4EZNS0_15gpu_kernel_implINS0_13BUnaryFunctorIN3c108BFloat16ES5_S5_ZNS0_12_GLOBAL__N_121threshold_kernel_implIS5_EEvRNS_18TensorIteratorBaseET_SA_EUlS5_S5_E_EEEEvS9_RKSA_EUlibE_EEviT1_.numbered_sgpr, 48
	.set _ZN2at6native32elementwise_kernel_manual_unrollILi128ELi4EZNS0_15gpu_kernel_implINS0_13BUnaryFunctorIN3c108BFloat16ES5_S5_ZNS0_12_GLOBAL__N_121threshold_kernel_implIS5_EEvRNS_18TensorIteratorBaseET_SA_EUlS5_S5_E_EEEEvS9_RKSA_EUlibE_EEviT1_.num_named_barrier, 0
	.set _ZN2at6native32elementwise_kernel_manual_unrollILi128ELi4EZNS0_15gpu_kernel_implINS0_13BUnaryFunctorIN3c108BFloat16ES5_S5_ZNS0_12_GLOBAL__N_121threshold_kernel_implIS5_EEvRNS_18TensorIteratorBaseET_SA_EUlS5_S5_E_EEEEvS9_RKSA_EUlibE_EEviT1_.private_seg_size, 0
	.set _ZN2at6native32elementwise_kernel_manual_unrollILi128ELi4EZNS0_15gpu_kernel_implINS0_13BUnaryFunctorIN3c108BFloat16ES5_S5_ZNS0_12_GLOBAL__N_121threshold_kernel_implIS5_EEvRNS_18TensorIteratorBaseET_SA_EUlS5_S5_E_EEEEvS9_RKSA_EUlibE_EEviT1_.uses_vcc, 1
	.set _ZN2at6native32elementwise_kernel_manual_unrollILi128ELi4EZNS0_15gpu_kernel_implINS0_13BUnaryFunctorIN3c108BFloat16ES5_S5_ZNS0_12_GLOBAL__N_121threshold_kernel_implIS5_EEvRNS_18TensorIteratorBaseET_SA_EUlS5_S5_E_EEEEvS9_RKSA_EUlibE_EEviT1_.uses_flat_scratch, 0
	.set _ZN2at6native32elementwise_kernel_manual_unrollILi128ELi4EZNS0_15gpu_kernel_implINS0_13BUnaryFunctorIN3c108BFloat16ES5_S5_ZNS0_12_GLOBAL__N_121threshold_kernel_implIS5_EEvRNS_18TensorIteratorBaseET_SA_EUlS5_S5_E_EEEEvS9_RKSA_EUlibE_EEviT1_.has_dyn_sized_stack, 0
	.set _ZN2at6native32elementwise_kernel_manual_unrollILi128ELi4EZNS0_15gpu_kernel_implINS0_13BUnaryFunctorIN3c108BFloat16ES5_S5_ZNS0_12_GLOBAL__N_121threshold_kernel_implIS5_EEvRNS_18TensorIteratorBaseET_SA_EUlS5_S5_E_EEEEvS9_RKSA_EUlibE_EEviT1_.has_recursion, 0
	.set _ZN2at6native32elementwise_kernel_manual_unrollILi128ELi4EZNS0_15gpu_kernel_implINS0_13BUnaryFunctorIN3c108BFloat16ES5_S5_ZNS0_12_GLOBAL__N_121threshold_kernel_implIS5_EEvRNS_18TensorIteratorBaseET_SA_EUlS5_S5_E_EEEEvS9_RKSA_EUlibE_EEviT1_.has_indirect_call, 0
	.section	.AMDGPU.csdata,"",@progbits
; Kernel info:
; codeLenInByte = 37676
; TotalNumSgprs: 52
; NumVgprs: 12
; ScratchSize: 0
; MemoryBound: 0
; FloatMode: 240
; IeeeMode: 1
; LDSByteSize: 0 bytes/workgroup (compile time only)
; SGPRBlocks: 6
; VGPRBlocks: 2
; NumSGPRsForWavesPerEU: 52
; NumVGPRsForWavesPerEU: 12
; Occupancy: 10
; WaveLimiterHint : 0
; COMPUTE_PGM_RSRC2:SCRATCH_EN: 0
; COMPUTE_PGM_RSRC2:USER_SGPR: 6
; COMPUTE_PGM_RSRC2:TRAP_HANDLER: 0
; COMPUTE_PGM_RSRC2:TGID_X_EN: 1
; COMPUTE_PGM_RSRC2:TGID_Y_EN: 0
; COMPUTE_PGM_RSRC2:TGID_Z_EN: 0
; COMPUTE_PGM_RSRC2:TIDIG_COMP_CNT: 0
	.section	.text._ZN2at6native32elementwise_kernel_manual_unrollILi128ELi4EZNS0_15gpu_kernel_implINS0_13BUnaryFunctorIN3c108BFloat16ES5_S5_ZNS0_12_GLOBAL__N_121threshold_kernel_implIS5_EEvRNS_18TensorIteratorBaseET_SA_EUlS5_S5_E_EEEEvS9_RKSA_EUlibE0_EEviT1_,"axG",@progbits,_ZN2at6native32elementwise_kernel_manual_unrollILi128ELi4EZNS0_15gpu_kernel_implINS0_13BUnaryFunctorIN3c108BFloat16ES5_S5_ZNS0_12_GLOBAL__N_121threshold_kernel_implIS5_EEvRNS_18TensorIteratorBaseET_SA_EUlS5_S5_E_EEEEvS9_RKSA_EUlibE0_EEviT1_,comdat
	.globl	_ZN2at6native32elementwise_kernel_manual_unrollILi128ELi4EZNS0_15gpu_kernel_implINS0_13BUnaryFunctorIN3c108BFloat16ES5_S5_ZNS0_12_GLOBAL__N_121threshold_kernel_implIS5_EEvRNS_18TensorIteratorBaseET_SA_EUlS5_S5_E_EEEEvS9_RKSA_EUlibE0_EEviT1_ ; -- Begin function _ZN2at6native32elementwise_kernel_manual_unrollILi128ELi4EZNS0_15gpu_kernel_implINS0_13BUnaryFunctorIN3c108BFloat16ES5_S5_ZNS0_12_GLOBAL__N_121threshold_kernel_implIS5_EEvRNS_18TensorIteratorBaseET_SA_EUlS5_S5_E_EEEEvS9_RKSA_EUlibE0_EEviT1_
	.p2align	8
	.type	_ZN2at6native32elementwise_kernel_manual_unrollILi128ELi4EZNS0_15gpu_kernel_implINS0_13BUnaryFunctorIN3c108BFloat16ES5_S5_ZNS0_12_GLOBAL__N_121threshold_kernel_implIS5_EEvRNS_18TensorIteratorBaseET_SA_EUlS5_S5_E_EEEEvS9_RKSA_EUlibE0_EEviT1_,@function
_ZN2at6native32elementwise_kernel_manual_unrollILi128ELi4EZNS0_15gpu_kernel_implINS0_13BUnaryFunctorIN3c108BFloat16ES5_S5_ZNS0_12_GLOBAL__N_121threshold_kernel_implIS5_EEvRNS_18TensorIteratorBaseET_SA_EUlS5_S5_E_EEEEvS9_RKSA_EUlibE0_EEviT1_: ; @_ZN2at6native32elementwise_kernel_manual_unrollILi128ELi4EZNS0_15gpu_kernel_implINS0_13BUnaryFunctorIN3c108BFloat16ES5_S5_ZNS0_12_GLOBAL__N_121threshold_kernel_implIS5_EEvRNS_18TensorIteratorBaseET_SA_EUlS5_S5_E_EEEEvS9_RKSA_EUlibE0_EEviT1_
; %bb.0:
	s_load_dword s72, s[4:5], 0x0
	s_load_dword s33, s[4:5], 0x8
	s_add_u32 s34, s4, 8
	s_addc_u32 s35, s5, 0
	v_lshl_or_b32 v8, s6, 9, v0
	v_or_b32_e32 v15, 0x180, v8
	s_waitcnt lgkmcnt(0)
	s_add_i32 s74, s33, -1
	s_cmp_gt_u32 s74, 1
	v_cmp_le_i32_e32 vcc, s72, v15
	s_cselect_b64 s[40:41], -1, 0
	s_mov_b64 s[6:7], 0
	s_mov_b64 s[28:29], 0
	s_and_saveexec_b64 s[0:1], vcc
	s_xor_b64 s[42:43], exec, s[0:1]
	s_cbranch_execz .LBB232_1086
; %bb.1:
	s_load_dword s0, s[4:5], 0x164
	s_cmp_lg_u32 s33, 0
	s_load_dwordx4 s[28:31], s[34:35], 0x4
	s_load_dwordx2 s[46:47], s[34:35], 0x14
	s_cselect_b64 s[52:53], -1, 0
	s_add_u32 s50, s34, 0xc4
	s_load_dwordx2 s[44:45], s[34:35], 0x158
	s_load_dwordx4 s[36:39], s[34:35], 0xc4
	s_load_dwordx4 s[24:27], s[34:35], 0x148
	s_addc_u32 s51, s35, 0
	s_min_u32 s78, s74, 15
	s_cmp_gt_u32 s33, 1
	s_cselect_b64 s[48:49], -1, 0
	s_waitcnt lgkmcnt(0)
	s_lshr_b32 s75, s0, 16
	s_lshr_b32 s77, s0, 24
	;; [unrolled: 1-line block ×3, first 2 shown]
	s_lshl_b32 s44, s44, 16
	v_cmp_gt_i32_e32 vcc, s72, v8
	s_mov_b64 s[2:3], -1
	s_mov_b64 s[62:63], 0
	s_mov_b64 s[56:57], 0
	;; [unrolled: 1-line block ×3, first 2 shown]
	s_and_saveexec_b64 s[58:59], vcc
	s_cbranch_execz .LBB232_266
; %bb.2:
	s_andn2_b64 vcc, exec, s[40:41]
	s_cbranch_vccnz .LBB232_7
; %bb.3:
	s_andn2_b64 vcc, exec, s[52:53]
	s_cbranch_vccnz .LBB232_8
; %bb.4:
	s_add_i32 s61, s78, 1
	s_cmp_eq_u32 s74, 2
	s_cbranch_scc1 .LBB232_9
; %bb.5:
	s_and_b32 s60, s61, 28
	v_mov_b32_e32 v2, 0
	s_mov_b32 s64, 0
	s_mov_b64 s[54:55], s[34:35]
	s_mov_b64 s[56:57], s[50:51]
	v_mov_b32_e32 v0, 0
	v_mov_b32_e32 v1, v8
.LBB232_6:                              ; =>This Inner Loop Header: Depth=1
	s_load_dwordx8 s[16:23], s[54:55], 0x4
	s_load_dwordx4 s[0:3], s[54:55], 0x24
	s_load_dwordx8 s[8:15], s[56:57], 0x0
	s_add_u32 s54, s54, 48
	s_addc_u32 s55, s55, 0
	s_waitcnt lgkmcnt(0)
	v_mul_hi_u32 v3, s17, v1
	s_add_i32 s64, s64, 4
	s_add_u32 s56, s56, 32
	s_addc_u32 s57, s57, 0
	v_add_u32_e32 v3, v1, v3
	v_lshrrev_b32_e32 v3, s18, v3
	v_mul_lo_u32 v4, v3, s16
	v_mul_hi_u32 v5, s20, v3
	s_cmp_lg_u32 s60, s64
	v_sub_u32_e32 v1, v1, v4
	v_add_u32_e32 v4, v3, v5
	v_mul_lo_u32 v5, v1, s8
	v_mul_lo_u32 v6, v1, s9
	v_lshrrev_b32_e32 v1, s21, v4
	v_mul_lo_u32 v4, v1, s19
	v_mul_hi_u32 v7, s23, v1
	v_sub_u32_e32 v3, v3, v4
	v_add_u32_e32 v4, v1, v7
	v_lshrrev_b32_e32 v4, s0, v4
	v_mul_hi_u32 v9, s2, v4
	v_mul_lo_u32 v10, v4, s22
	v_mul_lo_u32 v7, v3, s10
	;; [unrolled: 1-line block ×3, first 2 shown]
	v_sub_u32_e32 v10, v1, v10
	v_add_u32_e32 v1, v4, v9
	v_lshrrev_b32_e32 v1, s3, v1
	v_mul_lo_u32 v9, v1, s1
	v_mul_lo_u32 v11, v10, s12
	;; [unrolled: 1-line block ×3, first 2 shown]
	v_add3_u32 v0, v5, v0, v7
	v_sub_u32_e32 v4, v4, v9
	v_mul_lo_u32 v9, v4, s14
	v_mul_lo_u32 v4, v4, s15
	v_add3_u32 v2, v6, v2, v3
	v_add3_u32 v0, v11, v0, v9
	;; [unrolled: 1-line block ×3, first 2 shown]
	s_cbranch_scc1 .LBB232_6
	s_branch .LBB232_10
.LBB232_7:
                                        ; implicit-def: $vgpr0
                                        ; implicit-def: $vgpr2
	s_branch .LBB232_14
.LBB232_8:
	v_mov_b32_e32 v0, 0
	v_mov_b32_e32 v2, 0
	s_branch .LBB232_13
.LBB232_9:
	s_mov_b32 s60, 0
	v_mov_b32_e32 v0, 0
	v_mov_b32_e32 v2, 0
	;; [unrolled: 1-line block ×3, first 2 shown]
.LBB232_10:
	s_and_b32 s8, s61, 3
	s_cmp_eq_u32 s8, 0
	s_cbranch_scc1 .LBB232_13
; %bb.11:
	s_lshl_b32 s0, s60, 3
	s_add_u32 s0, s34, s0
	s_addc_u32 s1, s35, 0
	s_add_u32 s0, s0, 0xc4
	s_addc_u32 s1, s1, 0
	s_mul_i32 s2, s60, 12
	s_add_u32 s2, s34, s2
	s_addc_u32 s3, s35, 0
.LBB232_12:                             ; =>This Inner Loop Header: Depth=1
	s_load_dwordx2 s[10:11], s[2:3], 0x4
	s_load_dword s9, s[2:3], 0xc
	s_load_dwordx2 s[12:13], s[0:1], 0x0
	s_add_u32 s2, s2, 12
	s_addc_u32 s3, s3, 0
	s_waitcnt lgkmcnt(0)
	v_mul_hi_u32 v3, s11, v1
	s_add_u32 s0, s0, 8
	s_addc_u32 s1, s1, 0
	s_add_i32 s8, s8, -1
	v_add_u32_e32 v3, v1, v3
	v_lshrrev_b32_e32 v4, s9, v3
	v_mul_lo_u32 v3, v4, s10
	s_cmp_lg_u32 s8, 0
	v_sub_u32_e32 v3, v1, v3
	v_mad_u64_u32 v[0:1], s[10:11], v3, s12, v[0:1]
	v_mad_u64_u32 v[2:3], s[10:11], v3, s13, v[2:3]
	v_mov_b32_e32 v1, v4
	s_cbranch_scc1 .LBB232_12
.LBB232_13:
	s_cbranch_execnz .LBB232_16
.LBB232_14:
	v_mul_hi_u32 v0, s29, v8
	s_andn2_b64 vcc, exec, s[48:49]
	v_add_u32_e32 v0, v8, v0
	v_lshrrev_b32_e32 v1, s30, v0
	v_mul_lo_u32 v0, v1, s28
	v_sub_u32_e32 v2, v8, v0
	v_mul_lo_u32 v0, v2, s36
	v_mul_lo_u32 v2, v2, s37
	s_cbranch_vccnz .LBB232_16
; %bb.15:
	v_mul_hi_u32 v3, s46, v1
	v_add_u32_e32 v3, v1, v3
	v_lshrrev_b32_e32 v3, s47, v3
	v_mul_lo_u32 v3, v3, s31
	v_sub_u32_e32 v3, v1, v3
	v_mad_u64_u32 v[0:1], s[0:1], v3, s38, v[0:1]
	v_mad_u64_u32 v[2:3], s[0:1], v3, s39, v[2:3]
.LBB232_16:
	v_mov_b32_e32 v3, s27
	s_and_b32 s12, 0xffff, s77
	v_add_co_u32_e32 v1, vcc, s26, v2
	s_cmp_lt_i32 s12, 11
	v_addc_co_u32_e32 v2, vcc, 0, v3, vcc
	s_cbranch_scc1 .LBB232_23
; %bb.17:
	s_cmp_gt_i32 s12, 25
	s_cbranch_scc0 .LBB232_32
; %bb.18:
	s_cmp_gt_i32 s12, 28
	s_cbranch_scc0 .LBB232_35
	;; [unrolled: 3-line block ×4, first 2 shown]
; %bb.21:
	s_cmp_eq_u32 s12, 46
	s_mov_b64 s[8:9], 0
	s_cbranch_scc0 .LBB232_41
; %bb.22:
	global_load_dword v3, v[1:2], off
	s_mov_b64 s[0:1], -1
	s_mov_b64 s[2:3], 0
	s_branch .LBB232_43
.LBB232_23:
	s_mov_b64 s[2:3], 0
                                        ; implicit-def: $vgpr3
	s_mov_b64 s[0:1], 0
	s_cbranch_execnz .LBB232_216
.LBB232_24:
	s_andn2_b64 vcc, exec, s[0:1]
	s_cbranch_vccnz .LBB232_263
.LBB232_25:
	s_waitcnt vmcnt(0)
	v_lshlrev_b32_e32 v1, 16, v3
	v_mov_b32_e32 v2, s45
	v_mov_b32_e32 v3, s76
	v_cmp_ge_f32_e32 vcc, s44, v1
	v_cndmask_b32_e32 v2, v2, v3, vcc
	v_mov_b32_e32 v1, s25
	s_and_b32 s14, s75, 0xff
	v_add_co_u32_e32 v0, vcc, s24, v0
	s_cmp_lt_i32 s14, 11
	v_addc_co_u32_e32 v1, vcc, 0, v1, vcc
	s_cbranch_scc1 .LBB232_33
; %bb.26:
	s_and_b32 s15, 0xffff, s14
	s_cmp_gt_i32 s15, 25
	s_cbranch_scc0 .LBB232_36
; %bb.27:
	s_cmp_gt_i32 s15, 28
	s_cbranch_scc0 .LBB232_38
; %bb.28:
	;; [unrolled: 3-line block ×4, first 2 shown]
	s_mov_b64 s[10:11], 0
	s_mov_b64 s[0:1], -1
	s_cmp_eq_u32 s15, 46
	s_mov_b64 s[8:9], 0
	s_cbranch_scc0 .LBB232_47
; %bb.31:
	v_and_b32_e32 v3, 0xffff, v2
	global_store_dword v[0:1], v3, off
	s_mov_b64 s[8:9], -1
	s_mov_b64 s[0:1], 0
	s_branch .LBB232_47
.LBB232_32:
	s_mov_b64 s[2:3], 0
	s_mov_b64 s[0:1], 0
                                        ; implicit-def: $vgpr3
	s_cbranch_execnz .LBB232_181
	s_branch .LBB232_215
.LBB232_33:
	s_mov_b64 s[0:1], 0
	s_mov_b64 s[8:9], 0
	s_cbranch_execnz .LBB232_116
.LBB232_34:
	s_andn2_b64 vcc, exec, s[8:9]
	s_cbranch_vccnz .LBB232_264
	s_branch .LBB232_154
.LBB232_35:
	s_mov_b64 s[8:9], -1
	s_mov_b64 s[2:3], 0
	s_mov_b64 s[0:1], 0
                                        ; implicit-def: $vgpr3
	s_branch .LBB232_162
.LBB232_36:
	s_mov_b64 s[10:11], -1
	s_mov_b64 s[0:1], 0
	s_mov_b64 s[8:9], 0
	s_branch .LBB232_74
.LBB232_37:
	s_mov_b64 s[8:9], -1
	s_mov_b64 s[2:3], 0
	s_mov_b64 s[0:1], 0
                                        ; implicit-def: $vgpr3
	s_branch .LBB232_157
.LBB232_38:
	s_mov_b64 s[10:11], -1
	s_mov_b64 s[0:1], 0
	s_mov_b64 s[8:9], 0
	s_branch .LBB232_57
.LBB232_39:
	s_mov_b64 s[8:9], -1
	s_mov_b64 s[2:3], 0
	s_branch .LBB232_42
.LBB232_40:
	s_mov_b64 s[10:11], -1
	s_mov_b64 s[0:1], 0
	s_mov_b64 s[8:9], 0
	s_branch .LBB232_53
.LBB232_41:
	s_mov_b64 s[2:3], -1
.LBB232_42:
	s_mov_b64 s[0:1], 0
                                        ; implicit-def: $vgpr3
.LBB232_43:
	s_and_b64 vcc, exec, s[8:9]
	s_cbranch_vccz .LBB232_156
; %bb.44:
	s_cmp_eq_u32 s12, 44
	s_cbranch_scc0 .LBB232_155
; %bb.45:
	global_load_ubyte v3, v[1:2], off
	s_movk_i32 s2, 0xff
	v_mov_b32_e32 v4, 0x7f800001
	v_mov_b32_e32 v5, 0x400000
	;; [unrolled: 1-line block ×3, first 2 shown]
	s_mov_b64 s[0:1], -1
	s_waitcnt vmcnt(0)
	v_lshlrev_b32_e32 v7, 23, v3
	v_cmp_ne_u32_e32 vcc, s2, v3
	v_cndmask_b32_e32 v4, v4, v7, vcc
	v_cmp_ne_u32_e32 vcc, 0, v3
	v_cndmask_b32_e32 v3, v5, v4, vcc
	v_add_u32_e32 v4, 0x7fff, v3
	v_cmp_o_f32_e32 vcc, v3, v3
	v_cndmask_b32_sdwa v3, v6, v4, vcc dst_sel:DWORD dst_unused:UNUSED_PAD src0_sel:DWORD src1_sel:WORD_1
	s_mov_b64 s[2:3], 0
	s_branch .LBB232_156
.LBB232_46:
	s_mov_b64 s[10:11], -1
	s_mov_b64 s[0:1], 0
	s_mov_b64 s[8:9], 0
.LBB232_47:
	s_and_b64 vcc, exec, s[10:11]
	s_cbranch_vccz .LBB232_52
; %bb.48:
	s_cmp_eq_u32 s15, 44
	s_mov_b64 s[0:1], -1
	s_cbranch_scc0 .LBB232_52
; %bb.49:
	v_and_b32_e32 v4, 0xffff, v2
	v_bfe_u32 v3, v4, 7, 8
	s_movk_i32 s0, 0xff
	v_cmp_ne_u32_e32 vcc, s0, v3
	v_mov_b32_e32 v5, 0xff
	s_and_saveexec_b64 s[8:9], vcc
	s_cbranch_execz .LBB232_51
; %bb.50:
	v_lshlrev_b32_e32 v6, 16, v4
	s_mov_b32 s0, 0x3f0000
	v_lshrrev_b32_e32 v5, 7, v4
	v_and_b32_e32 v4, 64, v4
	v_and_or_b32 v3, v6, s0, v3
	v_cmp_ne_u32_e32 vcc, 0, v4
	v_cmp_ne_u32_e64 s[0:1], 0, v3
	s_and_b64 s[0:1], vcc, s[0:1]
	v_cndmask_b32_e64 v3, 0, 1, s[0:1]
	v_add_u32_e32 v5, v5, v3
.LBB232_51:
	s_or_b64 exec, exec, s[8:9]
	s_mov_b64 s[8:9], -1
	s_mov_b64 s[0:1], 0
	global_store_byte v[0:1], v5, off
.LBB232_52:
	s_mov_b64 s[10:11], 0
.LBB232_53:
	s_and_b64 vcc, exec, s[10:11]
	s_cbranch_vccz .LBB232_56
; %bb.54:
	s_cmp_eq_u32 s15, 29
	s_mov_b64 s[0:1], -1
	s_cbranch_scc0 .LBB232_56
; %bb.55:
	v_lshlrev_b32_e32 v3, 16, v2
	v_trunc_f32_e32 v3, v3
	v_mul_f32_e32 v4, 0x2f800000, v3
	v_floor_f32_e32 v5, v4
	v_fmac_f32_e32 v3, 0xcf800000, v5
	v_cvt_u32_f32_e32 v4, v5
	v_cvt_u32_f32_e32 v3, v3
	s_mov_b64 s[8:9], -1
	s_mov_b64 s[0:1], 0
	s_mov_b64 s[10:11], 0
	global_store_dwordx2 v[0:1], v[3:4], off
	s_branch .LBB232_57
.LBB232_56:
	s_mov_b64 s[10:11], 0
.LBB232_57:
	s_and_b64 vcc, exec, s[10:11]
	s_cbranch_vccz .LBB232_73
; %bb.58:
	s_cmp_lt_i32 s15, 27
	s_mov_b64 s[8:9], -1
	s_cbranch_scc1 .LBB232_64
; %bb.59:
	s_cmp_gt_i32 s15, 27
	s_cbranch_scc0 .LBB232_61
; %bb.60:
	v_lshlrev_b32_e32 v3, 16, v2
	v_cvt_u32_f32_e32 v3, v3
	s_mov_b64 s[8:9], 0
	global_store_dword v[0:1], v3, off
.LBB232_61:
	s_andn2_b64 vcc, exec, s[8:9]
	s_cbranch_vccnz .LBB232_63
; %bb.62:
	v_lshlrev_b32_e32 v3, 16, v2
	v_cvt_u32_f32_e32 v3, v3
	global_store_short v[0:1], v3, off
.LBB232_63:
	s_mov_b64 s[8:9], 0
.LBB232_64:
	s_andn2_b64 vcc, exec, s[8:9]
	s_cbranch_vccnz .LBB232_72
; %bb.65:
	v_lshlrev_b32_e32 v5, 16, v2
	v_and_b32_e32 v4, 0x7fffffff, v5
	s_mov_b32 s8, 0x43800000
	v_cmp_gt_u32_e32 vcc, s8, v4
	v_mov_b32_e32 v6, 0x80
	s_and_saveexec_b64 s[8:9], vcc
	s_cbranch_execz .LBB232_71
; %bb.66:
	s_mov_b32 s10, 0x3bffffff
	v_and_b32_e32 v3, 0xffff, v2
	v_cmp_lt_u32_e32 vcc, s10, v4
	s_mov_b64 s[10:11], 0
                                        ; implicit-def: $vgpr4
	s_and_saveexec_b64 s[12:13], vcc
	s_xor_b64 s[12:13], exec, s[12:13]
	s_cbranch_execz .LBB232_307
; %bb.67:
	v_bfe_u32 v4, v3, 4, 1
	s_mov_b32 s16, 0x487ffff
	v_add3_u32 v4, v5, v4, s16
	s_mov_b64 s[10:11], exec
	v_lshrrev_b32_e32 v4, 20, v4
                                        ; implicit-def: $vgpr5
	s_andn2_saveexec_b64 s[12:13], s[12:13]
	s_cbranch_execnz .LBB232_308
.LBB232_68:
	s_or_b64 exec, exec, s[12:13]
	v_mov_b32_e32 v6, 0
	s_and_saveexec_b64 s[12:13], s[10:11]
.LBB232_69:
	v_lshrrev_b32_e32 v3, 8, v3
	s_movk_i32 s10, 0x80
	v_and_or_b32 v6, v3, s10, v4
.LBB232_70:
	s_or_b64 exec, exec, s[12:13]
.LBB232_71:
	s_or_b64 exec, exec, s[8:9]
	global_store_byte v[0:1], v6, off
.LBB232_72:
	s_mov_b64 s[8:9], -1
.LBB232_73:
	s_mov_b64 s[10:11], 0
.LBB232_74:
	s_and_b64 vcc, exec, s[10:11]
	s_cbranch_vccz .LBB232_115
; %bb.75:
	s_cmp_gt_i32 s15, 22
	s_mov_b64 s[10:11], -1
	s_cbranch_scc0 .LBB232_107
; %bb.76:
	s_cmp_lt_i32 s15, 24
	s_mov_b64 s[8:9], -1
	s_cbranch_scc1 .LBB232_96
; %bb.77:
	s_cmp_gt_i32 s15, 24
	s_cbranch_scc0 .LBB232_85
; %bb.78:
	v_lshlrev_b32_e32 v5, 16, v2
	v_and_b32_e32 v4, 0x7fffffff, v5
	s_mov_b32 s8, 0x47800000
	v_cmp_gt_u32_e32 vcc, s8, v4
	v_mov_b32_e32 v6, 0x80
	s_and_saveexec_b64 s[8:9], vcc
	s_cbranch_execz .LBB232_84
; %bb.79:
	s_mov_b32 s10, 0x37ffffff
	v_and_b32_e32 v3, 0xffff, v2
	v_cmp_lt_u32_e32 vcc, s10, v4
	s_mov_b64 s[10:11], 0
                                        ; implicit-def: $vgpr4
	s_and_saveexec_b64 s[12:13], vcc
	s_xor_b64 s[12:13], exec, s[12:13]
	s_cbranch_execz .LBB232_311
; %bb.80:
	v_bfe_u32 v4, v3, 5, 1
	s_mov_b32 s16, 0x88fffff
	v_add3_u32 v4, v5, v4, s16
	s_mov_b64 s[10:11], exec
	v_lshrrev_b32_e32 v4, 21, v4
                                        ; implicit-def: $vgpr5
	s_andn2_saveexec_b64 s[12:13], s[12:13]
	s_cbranch_execnz .LBB232_312
.LBB232_81:
	s_or_b64 exec, exec, s[12:13]
	v_mov_b32_e32 v6, 0
	s_and_saveexec_b64 s[12:13], s[10:11]
.LBB232_82:
	v_lshrrev_b32_e32 v3, 8, v3
	s_movk_i32 s10, 0x80
	v_and_or_b32 v6, v3, s10, v4
.LBB232_83:
	s_or_b64 exec, exec, s[12:13]
.LBB232_84:
	s_or_b64 exec, exec, s[8:9]
	s_mov_b64 s[8:9], 0
	global_store_byte v[0:1], v6, off
.LBB232_85:
	s_and_b64 vcc, exec, s[8:9]
	s_cbranch_vccz .LBB232_95
; %bb.86:
	v_lshlrev_b32_e32 v5, 16, v2
	v_and_b32_e32 v6, 0x7fffffff, v5
	s_mov_b32 s8, 0x43f00000
	v_and_b32_e32 v3, 0xffff, v2
	v_cmp_gt_u32_e32 vcc, s8, v6
                                        ; implicit-def: $vgpr4
	s_and_saveexec_b64 s[8:9], vcc
	s_xor_b64 s[8:9], exec, s[8:9]
	s_cbranch_execz .LBB232_92
; %bb.87:
	s_mov_b32 s10, 0x3c7fffff
	v_cmp_lt_u32_e32 vcc, s10, v6
                                        ; implicit-def: $vgpr4
	s_and_saveexec_b64 s[10:11], vcc
	s_xor_b64 s[10:11], exec, s[10:11]
; %bb.88:
	v_bfe_u32 v4, v3, 4, 1
	s_mov_b32 s12, 0x407ffff
	v_add3_u32 v4, v5, v4, s12
	v_lshrrev_b32_e32 v5, 20, v4
	v_and_b32_e32 v4, 0xff00000, v4
	s_mov_b32 s12, 0x7f00000
	v_mov_b32_e32 v6, 0x7e
	v_cmp_ne_u32_e32 vcc, s12, v4
	v_cndmask_b32_e32 v4, v6, v5, vcc
                                        ; implicit-def: $vgpr5
; %bb.89:
	s_andn2_saveexec_b64 s[10:11], s[10:11]
; %bb.90:
	s_mov_b32 s12, 0x46800000
	v_add_f32_e64 v4, |v5|, s12
; %bb.91:
	s_or_b64 exec, exec, s[10:11]
                                        ; implicit-def: $vgpr6
.LBB232_92:
	s_andn2_saveexec_b64 s[8:9], s[8:9]
; %bb.93:
	s_mov_b32 s10, 0x7f800000
	v_mov_b32_e32 v4, 0x7e
	v_mov_b32_e32 v5, 0x7f
	v_cmp_lt_u32_e32 vcc, s10, v6
	v_cndmask_b32_e32 v4, v4, v5, vcc
; %bb.94:
	s_or_b64 exec, exec, s[8:9]
	v_lshrrev_b32_e32 v3, 8, v3
	s_movk_i32 s8, 0x80
	v_and_or_b32 v3, v3, s8, v4
	global_store_byte v[0:1], v3, off
.LBB232_95:
	s_mov_b64 s[8:9], 0
.LBB232_96:
	s_andn2_b64 vcc, exec, s[8:9]
	s_cbranch_vccnz .LBB232_106
; %bb.97:
	v_lshlrev_b32_e32 v5, 16, v2
	v_and_b32_e32 v6, 0x7fffffff, v5
	s_mov_b32 s8, 0x47800000
	v_and_b32_e32 v3, 0xffff, v2
	v_cmp_gt_u32_e32 vcc, s8, v6
                                        ; implicit-def: $vgpr4
	s_and_saveexec_b64 s[8:9], vcc
	s_xor_b64 s[8:9], exec, s[8:9]
	s_cbranch_execz .LBB232_103
; %bb.98:
	s_mov_b32 s10, 0x387fffff
	v_cmp_lt_u32_e32 vcc, s10, v6
                                        ; implicit-def: $vgpr4
	s_and_saveexec_b64 s[10:11], vcc
	s_xor_b64 s[10:11], exec, s[10:11]
; %bb.99:
	v_bfe_u32 v4, v3, 5, 1
	s_mov_b32 s12, 0x80fffff
	v_add3_u32 v4, v5, v4, s12
	v_lshrrev_b32_e32 v4, 21, v4
                                        ; implicit-def: $vgpr5
; %bb.100:
	s_andn2_saveexec_b64 s[10:11], s[10:11]
; %bb.101:
	s_mov_b32 s12, 0x43000000
	v_add_f32_e64 v4, |v5|, s12
; %bb.102:
	s_or_b64 exec, exec, s[10:11]
                                        ; implicit-def: $vgpr6
.LBB232_103:
	s_andn2_saveexec_b64 s[8:9], s[8:9]
; %bb.104:
	s_mov_b32 s10, 0x7f800000
	v_mov_b32_e32 v4, 0x7c
	v_mov_b32_e32 v5, 0x7f
	v_cmp_lt_u32_e32 vcc, s10, v6
	v_cndmask_b32_e32 v4, v4, v5, vcc
; %bb.105:
	s_or_b64 exec, exec, s[8:9]
	v_lshrrev_b32_e32 v3, 8, v3
	s_movk_i32 s8, 0x80
	v_and_or_b32 v3, v3, s8, v4
	global_store_byte v[0:1], v3, off
.LBB232_106:
	s_mov_b64 s[10:11], 0
	s_mov_b64 s[8:9], -1
.LBB232_107:
	s_andn2_b64 vcc, exec, s[10:11]
	s_cbranch_vccnz .LBB232_115
; %bb.108:
	s_cmp_gt_i32 s15, 14
	s_mov_b64 s[10:11], -1
	s_cbranch_scc0 .LBB232_112
; %bb.109:
	s_cmp_eq_u32 s15, 15
	s_mov_b64 s[0:1], -1
	s_cbranch_scc0 .LBB232_111
; %bb.110:
	global_store_short v[0:1], v2, off
	s_mov_b64 s[8:9], -1
	s_mov_b64 s[0:1], 0
.LBB232_111:
	s_mov_b64 s[10:11], 0
.LBB232_112:
	s_and_b64 vcc, exec, s[10:11]
	s_cbranch_vccz .LBB232_115
; %bb.113:
	s_cmp_eq_u32 s15, 11
	s_mov_b64 s[0:1], -1
	s_cbranch_scc0 .LBB232_115
; %bb.114:
	v_and_b32_e32 v3, 0x7fff, v2
	v_cmp_ne_u16_e32 vcc, 0, v3
	v_cndmask_b32_e64 v3, 0, 1, vcc
	s_mov_b64 s[8:9], -1
	s_mov_b64 s[0:1], 0
	global_store_byte v[0:1], v3, off
.LBB232_115:
	s_branch .LBB232_34
.LBB232_116:
	s_and_b32 s10, 0xffff, s14
	s_cmp_lt_i32 s10, 5
	s_mov_b64 s[8:9], -1
	s_cbranch_scc1 .LBB232_137
; %bb.117:
	s_cmp_lt_i32 s10, 8
	s_cbranch_scc1 .LBB232_127
; %bb.118:
	s_cmp_lt_i32 s10, 9
	s_cbranch_scc1 .LBB232_124
; %bb.119:
	s_cmp_gt_i32 s10, 9
	s_cbranch_scc0 .LBB232_121
; %bb.120:
	v_lshlrev_b32_e32 v3, 16, v2
	v_cvt_f64_f32_e32 v[3:4], v3
	v_mov_b32_e32 v5, 0
	v_mov_b32_e32 v6, v5
	s_mov_b64 s[8:9], 0
	global_store_dwordx4 v[0:1], v[3:6], off
.LBB232_121:
	s_andn2_b64 vcc, exec, s[8:9]
	s_cbranch_vccnz .LBB232_123
; %bb.122:
	v_lshlrev_b32_e32 v3, 16, v2
	v_mov_b32_e32 v4, 0
	global_store_dwordx2 v[0:1], v[3:4], off
.LBB232_123:
	s_mov_b64 s[8:9], 0
.LBB232_124:
	s_andn2_b64 vcc, exec, s[8:9]
	s_cbranch_vccnz .LBB232_126
; %bb.125:
	v_lshlrev_b32_e32 v3, 16, v2
	v_cvt_f16_f32_e32 v3, v3
	global_store_dword v[0:1], v3, off
.LBB232_126:
	s_mov_b64 s[8:9], 0
.LBB232_127:
	s_andn2_b64 vcc, exec, s[8:9]
	s_cbranch_vccnz .LBB232_136
; %bb.128:
	s_cmp_lt_i32 s10, 6
	s_mov_b64 s[8:9], -1
	s_cbranch_scc1 .LBB232_134
; %bb.129:
	s_cmp_gt_i32 s10, 6
	s_cbranch_scc0 .LBB232_131
; %bb.130:
	v_lshlrev_b32_e32 v3, 16, v2
	v_cvt_f64_f32_e32 v[3:4], v3
	s_mov_b64 s[8:9], 0
	global_store_dwordx2 v[0:1], v[3:4], off
.LBB232_131:
	s_andn2_b64 vcc, exec, s[8:9]
	s_cbranch_vccnz .LBB232_133
; %bb.132:
	v_lshlrev_b32_e32 v3, 16, v2
	global_store_dword v[0:1], v3, off
.LBB232_133:
	s_mov_b64 s[8:9], 0
.LBB232_134:
	s_andn2_b64 vcc, exec, s[8:9]
	s_cbranch_vccnz .LBB232_136
; %bb.135:
	v_lshlrev_b32_e32 v3, 16, v2
	v_cvt_f16_f32_e32 v3, v3
	global_store_short v[0:1], v3, off
.LBB232_136:
	s_mov_b64 s[8:9], 0
.LBB232_137:
	s_andn2_b64 vcc, exec, s[8:9]
	s_cbranch_vccnz .LBB232_153
; %bb.138:
	s_cmp_lt_i32 s10, 2
	s_mov_b64 s[8:9], -1
	s_cbranch_scc1 .LBB232_148
; %bb.139:
	s_cmp_lt_i32 s10, 3
	s_cbranch_scc1 .LBB232_145
; %bb.140:
	s_cmp_gt_i32 s10, 3
	s_cbranch_scc0 .LBB232_142
; %bb.141:
	v_lshlrev_b32_e32 v3, 16, v2
	v_trunc_f32_e32 v3, v3
	s_mov_b32 s8, 0x2f800000
	v_mul_f32_e64 v4, |v3|, s8
	v_floor_f32_e32 v4, v4
	s_mov_b32 s8, 0xcf800000
	v_cvt_u32_f32_e32 v5, v4
	v_fma_f32 v4, v4, s8, |v3|
	v_cvt_u32_f32_e32 v4, v4
	v_ashrrev_i32_e32 v6, 31, v3
	v_xor_b32_e32 v5, v5, v6
	s_mov_b64 s[8:9], 0
	v_xor_b32_e32 v3, v4, v6
	v_sub_co_u32_e32 v3, vcc, v3, v6
	v_subb_co_u32_e32 v4, vcc, v5, v6, vcc
	global_store_dwordx2 v[0:1], v[3:4], off
.LBB232_142:
	s_andn2_b64 vcc, exec, s[8:9]
	s_cbranch_vccnz .LBB232_144
; %bb.143:
	v_lshlrev_b32_e32 v3, 16, v2
	v_cvt_i32_f32_e32 v3, v3
	global_store_dword v[0:1], v3, off
.LBB232_144:
	s_mov_b64 s[8:9], 0
.LBB232_145:
	s_andn2_b64 vcc, exec, s[8:9]
	s_cbranch_vccnz .LBB232_147
; %bb.146:
	v_lshlrev_b32_e32 v3, 16, v2
	v_cvt_i32_f32_e32 v3, v3
	global_store_short v[0:1], v3, off
.LBB232_147:
	s_mov_b64 s[8:9], 0
.LBB232_148:
	s_andn2_b64 vcc, exec, s[8:9]
	s_cbranch_vccnz .LBB232_153
; %bb.149:
	s_cmp_gt_i32 s10, 0
	s_mov_b64 s[8:9], -1
	s_cbranch_scc0 .LBB232_151
; %bb.150:
	v_lshlrev_b32_e32 v3, 16, v2
	v_cvt_i32_f32_e32 v3, v3
	s_mov_b64 s[8:9], 0
	global_store_byte v[0:1], v3, off
.LBB232_151:
	s_andn2_b64 vcc, exec, s[8:9]
	s_cbranch_vccnz .LBB232_153
; %bb.152:
	v_lshlrev_b32_e32 v2, 16, v2
	v_trunc_f32_e32 v2, v2
	s_mov_b32 s8, 0x2f800000
	v_mul_f32_e64 v3, |v2|, s8
	v_floor_f32_e32 v3, v3
	s_mov_b32 s8, 0xcf800000
	v_fma_f32 v3, v3, s8, |v2|
	v_cvt_u32_f32_e32 v3, v3
	v_ashrrev_i32_e32 v2, 31, v2
	v_xor_b32_e32 v3, v3, v2
	v_sub_u32_e32 v2, v3, v2
	global_store_byte v[0:1], v2, off
.LBB232_153:
.LBB232_154:
	v_add_u32_e32 v8, 0x80, v8
	s_mov_b64 s[8:9], -1
	s_branch .LBB232_265
.LBB232_155:
	s_mov_b64 s[2:3], -1
                                        ; implicit-def: $vgpr3
.LBB232_156:
	s_mov_b64 s[8:9], 0
.LBB232_157:
	s_and_b64 vcc, exec, s[8:9]
	s_cbranch_vccz .LBB232_161
; %bb.158:
	s_cmp_eq_u32 s12, 29
	s_cbranch_scc0 .LBB232_160
; %bb.159:
	global_load_dwordx2 v[3:4], v[1:2], off
	s_movk_i32 s2, 0x7fff
	s_mov_b64 s[0:1], -1
	s_mov_b64 s[8:9], 0
	s_waitcnt vmcnt(0)
	v_ffbh_u32_e32 v5, v4
	v_min_u32_e32 v5, 32, v5
	v_lshlrev_b64 v[3:4], v5, v[3:4]
	v_min_u32_e32 v3, 1, v3
	v_or_b32_e32 v3, v4, v3
	v_cvt_f32_u32_e32 v3, v3
	v_sub_u32_e32 v4, 32, v5
	v_ldexp_f32 v3, v3, v4
	v_bfe_u32 v4, v3, 16, 1
	v_add3_u32 v3, v3, v4, s2
	v_lshrrev_b32_e32 v3, 16, v3
	s_mov_b64 s[2:3], 0
	s_branch .LBB232_162
.LBB232_160:
	s_mov_b64 s[2:3], -1
                                        ; implicit-def: $vgpr3
.LBB232_161:
	s_mov_b64 s[8:9], 0
.LBB232_162:
	s_and_b64 vcc, exec, s[8:9]
	s_cbranch_vccz .LBB232_180
; %bb.163:
	s_cmp_lt_i32 s12, 27
	s_cbranch_scc1 .LBB232_166
; %bb.164:
	s_cmp_gt_i32 s12, 27
	s_cbranch_scc0 .LBB232_167
; %bb.165:
	global_load_dword v3, v[1:2], off
	s_movk_i32 s0, 0x7fff
	s_waitcnt vmcnt(0)
	v_cvt_f32_u32_e32 v3, v3
	v_bfe_u32 v4, v3, 16, 1
	v_add3_u32 v3, v3, v4, s0
	v_lshrrev_b32_e32 v3, 16, v3
	s_mov_b64 s[0:1], 0
	s_branch .LBB232_168
.LBB232_166:
	s_mov_b64 s[0:1], -1
                                        ; implicit-def: $vgpr3
	s_branch .LBB232_171
.LBB232_167:
	s_mov_b64 s[0:1], -1
                                        ; implicit-def: $vgpr3
.LBB232_168:
	s_andn2_b64 vcc, exec, s[0:1]
	s_cbranch_vccnz .LBB232_170
; %bb.169:
	global_load_ushort v3, v[1:2], off
	s_movk_i32 s0, 0x7fff
	s_waitcnt vmcnt(0)
	v_cvt_f32_u32_e32 v3, v3
	v_bfe_u32 v4, v3, 16, 1
	v_add3_u32 v3, v3, v4, s0
	v_lshrrev_b32_e32 v3, 16, v3
.LBB232_170:
	s_mov_b64 s[0:1], 0
.LBB232_171:
	s_andn2_b64 vcc, exec, s[0:1]
	s_cbranch_vccnz .LBB232_179
; %bb.172:
	global_load_ubyte v3, v[1:2], off
	s_movk_i32 s0, 0x7f
	s_waitcnt vmcnt(0)
	v_cmp_lt_i16_e32 vcc, s0, v3
	s_mov_b64 s[0:1], 0
	s_and_saveexec_b64 s[8:9], vcc
	s_xor_b64 s[8:9], exec, s[8:9]
	s_cbranch_execz .LBB232_192
; %bb.173:
	s_movk_i32 s0, 0x80
	v_cmp_eq_u16_e32 vcc, s0, v3
	s_mov_b64 s[0:1], -1
	s_and_saveexec_b64 s[10:11], vcc
; %bb.174:
	s_xor_b64 s[0:1], exec, -1
; %bb.175:
	s_or_b64 exec, exec, s[10:11]
	s_and_b64 s[0:1], s[0:1], exec
	s_or_saveexec_b64 s[8:9], s[8:9]
	v_mov_b32_e32 v4, 0x7f800001
	s_xor_b64 exec, exec, s[8:9]
	s_cbranch_execnz .LBB232_193
.LBB232_176:
	s_or_b64 exec, exec, s[8:9]
	s_and_saveexec_b64 s[8:9], s[0:1]
	s_cbranch_execz .LBB232_178
.LBB232_177:
	v_lshlrev_b32_e32 v4, 24, v3
	v_and_b32_e32 v3, 0xffff, v3
	v_and_b32_e32 v5, 7, v3
	v_ffbh_u32_e32 v7, v5
	v_min_u32_e32 v7, 32, v7
	v_subrev_u32_e32 v9, 28, v7
	v_bfe_u32 v6, v3, 3, 4
	v_lshlrev_b32_e32 v3, v9, v3
	v_sub_u32_e32 v7, 29, v7
	v_and_b32_e32 v3, 7, v3
	v_cmp_eq_u32_e32 vcc, 0, v6
	v_cndmask_b32_e32 v6, v6, v7, vcc
	v_cndmask_b32_e32 v3, v5, v3, vcc
	v_mov_b32_e32 v5, 0x3b800000
	v_lshlrev_b32_e32 v3, 20, v3
	v_and_b32_e32 v4, 0x80000000, v4
	v_lshl_add_u32 v5, v6, 23, v5
	v_or3_b32 v4, v4, v5, v3
.LBB232_178:
	s_or_b64 exec, exec, s[8:9]
	v_bfe_u32 v3, v4, 16, 1
	s_movk_i32 s0, 0x7fff
	v_add3_u32 v3, v4, v3, s0
	v_cmp_o_f32_e32 vcc, v4, v4
	v_mov_b32_e32 v4, 0x7fc0
	v_cndmask_b32_sdwa v3, v4, v3, vcc dst_sel:DWORD dst_unused:UNUSED_PAD src0_sel:DWORD src1_sel:WORD_1
.LBB232_179:
	s_mov_b64 s[0:1], -1
.LBB232_180:
	s_branch .LBB232_215
.LBB232_181:
	s_cmp_gt_i32 s12, 22
	s_cbranch_scc0 .LBB232_191
; %bb.182:
	s_cmp_lt_i32 s12, 24
	s_cbranch_scc1 .LBB232_194
; %bb.183:
	s_cmp_gt_i32 s12, 24
	s_cbranch_scc0 .LBB232_195
; %bb.184:
	global_load_ubyte v3, v[1:2], off
	s_movk_i32 s0, 0x7f
	s_waitcnt vmcnt(0)
	v_cmp_lt_i16_e32 vcc, s0, v3
	s_mov_b64 s[0:1], 0
	s_and_saveexec_b64 s[8:9], vcc
	s_xor_b64 s[8:9], exec, s[8:9]
	s_cbranch_execz .LBB232_207
; %bb.185:
	s_movk_i32 s0, 0x80
	v_cmp_eq_u16_e32 vcc, s0, v3
	s_mov_b64 s[0:1], -1
	s_and_saveexec_b64 s[10:11], vcc
; %bb.186:
	s_xor_b64 s[0:1], exec, -1
; %bb.187:
	s_or_b64 exec, exec, s[10:11]
	s_and_b64 s[0:1], s[0:1], exec
	s_or_saveexec_b64 s[8:9], s[8:9]
	v_mov_b32_e32 v4, 0x7f800001
	s_xor_b64 exec, exec, s[8:9]
	s_cbranch_execnz .LBB232_208
.LBB232_188:
	s_or_b64 exec, exec, s[8:9]
	s_and_saveexec_b64 s[8:9], s[0:1]
	s_cbranch_execz .LBB232_190
.LBB232_189:
	v_lshlrev_b32_e32 v4, 24, v3
	v_and_b32_e32 v3, 0xffff, v3
	v_and_b32_e32 v5, 3, v3
	v_ffbh_u32_e32 v7, v5
	v_min_u32_e32 v7, 32, v7
	v_subrev_u32_e32 v9, 29, v7
	v_bfe_u32 v6, v3, 2, 5
	v_lshlrev_b32_e32 v3, v9, v3
	v_sub_u32_e32 v7, 30, v7
	v_and_b32_e32 v3, 3, v3
	v_cmp_eq_u32_e32 vcc, 0, v6
	v_cndmask_b32_e32 v6, v6, v7, vcc
	v_cndmask_b32_e32 v3, v5, v3, vcc
	v_mov_b32_e32 v5, 0x37800000
	v_lshlrev_b32_e32 v3, 21, v3
	v_and_b32_e32 v4, 0x80000000, v4
	v_lshl_add_u32 v5, v6, 23, v5
	v_or3_b32 v4, v4, v5, v3
.LBB232_190:
	s_or_b64 exec, exec, s[8:9]
	v_bfe_u32 v3, v4, 16, 1
	s_movk_i32 s0, 0x7fff
	v_add3_u32 v3, v4, v3, s0
	v_cmp_o_f32_e32 vcc, v4, v4
	v_mov_b32_e32 v4, 0x7fc0
	v_cndmask_b32_sdwa v3, v4, v3, vcc dst_sel:DWORD dst_unused:UNUSED_PAD src0_sel:DWORD src1_sel:WORD_1
	s_mov_b64 s[0:1], 0
	s_branch .LBB232_196
.LBB232_191:
	s_mov_b64 s[8:9], -1
                                        ; implicit-def: $vgpr3
	s_branch .LBB232_202
.LBB232_192:
	s_or_saveexec_b64 s[8:9], s[8:9]
	v_mov_b32_e32 v4, 0x7f800001
	s_xor_b64 exec, exec, s[8:9]
	s_cbranch_execz .LBB232_176
.LBB232_193:
	v_cmp_ne_u16_e32 vcc, 0, v3
	s_andn2_b64 s[0:1], s[0:1], exec
	s_and_b64 s[10:11], vcc, exec
	v_mov_b32_e32 v4, 0
	s_or_b64 s[0:1], s[0:1], s[10:11]
	s_or_b64 exec, exec, s[8:9]
	s_and_saveexec_b64 s[8:9], s[0:1]
	s_cbranch_execnz .LBB232_177
	s_branch .LBB232_178
.LBB232_194:
	s_mov_b64 s[0:1], -1
                                        ; implicit-def: $vgpr3
	s_branch .LBB232_199
.LBB232_195:
	s_mov_b64 s[0:1], -1
                                        ; implicit-def: $vgpr3
.LBB232_196:
	s_and_b64 vcc, exec, s[0:1]
	s_cbranch_vccz .LBB232_198
; %bb.197:
	global_load_ubyte v3, v[1:2], off
	s_mov_b32 s0, 0x7f800000
	s_brev_b32 s1, 1
	s_movk_i32 s8, 0x7fff
	s_waitcnt vmcnt(0)
	v_lshlrev_b32_e32 v3, 24, v3
	v_and_b32_e32 v4, 0x7f000000, v3
	v_ffbh_u32_e32 v5, v4
	v_min_u32_e32 v5, 32, v5
	v_sub_u32_e64 v5, v5, 4 clamp
	v_lshlrev_b32_e32 v7, v5, v4
	v_lshlrev_b32_e32 v5, 23, v5
	v_lshrrev_b32_e32 v7, 4, v7
	v_add_u32_e32 v6, 0x1000000, v4
	v_sub_u32_e32 v5, v7, v5
	v_ashrrev_i32_e32 v6, 8, v6
	v_add_u32_e32 v5, 0x3c000000, v5
	v_and_or_b32 v5, v6, s0, v5
	v_cmp_ne_u32_e32 vcc, 0, v4
	v_cndmask_b32_e32 v4, 0, v5, vcc
	v_and_or_b32 v3, v3, s1, v4
	v_bfe_u32 v4, v4, 16, 1
	v_add3_u32 v4, v3, v4, s8
	v_cmp_o_f32_e32 vcc, v3, v3
	v_mov_b32_e32 v3, 0x7fc0
	v_cndmask_b32_sdwa v3, v3, v4, vcc dst_sel:DWORD dst_unused:UNUSED_PAD src0_sel:DWORD src1_sel:WORD_1
.LBB232_198:
	s_mov_b64 s[0:1], 0
.LBB232_199:
	s_andn2_b64 vcc, exec, s[0:1]
	s_cbranch_vccnz .LBB232_201
; %bb.200:
	global_load_ubyte v3, v[1:2], off
	s_movk_i32 s0, 0x7f00
	s_brev_b32 s1, 16
	s_brev_b32 s8, 1
	s_movk_i32 s9, 0x7fff
	s_waitcnt vmcnt(0)
	v_lshlrev_b16_e32 v4, 8, v3
	v_lshlrev_b32_e32 v3, 25, v3
	v_lshrrev_b32_e32 v5, 4, v3
	v_and_or_b32 v6, v4, s0, 0.5
	v_or_b32_e32 v5, 0x70000000, v5
	v_add_f32_e32 v6, -0.5, v6
	v_mul_f32_e32 v5, 0x7800000, v5
	v_cmp_gt_u32_e32 vcc, s1, v3
	v_bfe_i32 v4, v4, 0, 16
	v_cndmask_b32_e32 v3, v5, v6, vcc
	v_and_or_b32 v4, v4, s8, v3
	v_bfe_u32 v3, v3, 16, 1
	v_add3_u32 v3, v4, v3, s9
	v_cmp_o_f32_e32 vcc, v4, v4
	v_mov_b32_e32 v4, 0x7fc0
	v_cndmask_b32_sdwa v3, v4, v3, vcc dst_sel:DWORD dst_unused:UNUSED_PAD src0_sel:DWORD src1_sel:WORD_1
.LBB232_201:
	s_mov_b64 s[8:9], 0
	s_mov_b64 s[0:1], -1
.LBB232_202:
	s_andn2_b64 vcc, exec, s[8:9]
	s_cbranch_vccnz .LBB232_215
; %bb.203:
	s_cmp_gt_i32 s12, 14
	s_cbranch_scc0 .LBB232_206
; %bb.204:
	s_cmp_eq_u32 s12, 15
	s_cbranch_scc0 .LBB232_209
; %bb.205:
	global_load_ushort v3, v[1:2], off
	s_mov_b64 s[0:1], -1
	s_mov_b64 s[2:3], 0
	s_branch .LBB232_210
.LBB232_206:
	s_mov_b64 s[8:9], -1
                                        ; implicit-def: $vgpr3
	s_branch .LBB232_211
.LBB232_207:
	s_or_saveexec_b64 s[8:9], s[8:9]
	v_mov_b32_e32 v4, 0x7f800001
	s_xor_b64 exec, exec, s[8:9]
	s_cbranch_execz .LBB232_188
.LBB232_208:
	v_cmp_ne_u16_e32 vcc, 0, v3
	s_andn2_b64 s[0:1], s[0:1], exec
	s_and_b64 s[10:11], vcc, exec
	v_mov_b32_e32 v4, 0
	s_or_b64 s[0:1], s[0:1], s[10:11]
	s_or_b64 exec, exec, s[8:9]
	s_and_saveexec_b64 s[8:9], s[0:1]
	s_cbranch_execnz .LBB232_189
	s_branch .LBB232_190
.LBB232_209:
	s_mov_b64 s[2:3], -1
                                        ; implicit-def: $vgpr3
.LBB232_210:
	s_mov_b64 s[8:9], 0
.LBB232_211:
	s_and_b64 vcc, exec, s[8:9]
	s_cbranch_vccz .LBB232_215
; %bb.212:
	s_cmp_eq_u32 s12, 11
	s_cbranch_scc0 .LBB232_214
; %bb.213:
	global_load_ubyte v3, v[1:2], off
	s_mov_b64 s[0:1], -1
	s_mov_b64 s[2:3], 0
	s_waitcnt vmcnt(0)
	v_cmp_ne_u16_e32 vcc, 0, v3
	v_cndmask_b32_e64 v3, 0, 1.0, vcc
	v_lshrrev_b32_e32 v3, 16, v3
	s_branch .LBB232_215
.LBB232_214:
	s_mov_b64 s[2:3], -1
                                        ; implicit-def: $vgpr3
.LBB232_215:
	s_branch .LBB232_24
.LBB232_216:
	s_cmp_lt_i32 s12, 5
	s_cbranch_scc1 .LBB232_221
; %bb.217:
	s_cmp_lt_i32 s12, 8
	s_cbranch_scc1 .LBB232_222
; %bb.218:
	;; [unrolled: 3-line block ×3, first 2 shown]
	s_cmp_gt_i32 s12, 9
	s_cbranch_scc0 .LBB232_224
; %bb.220:
	global_load_dwordx2 v[3:4], v[1:2], off
	s_movk_i32 s0, 0x7fff
	s_waitcnt vmcnt(0)
	v_cvt_f32_f64_e32 v3, v[3:4]
	v_mov_b32_e32 v4, 0x7fc0
	v_bfe_u32 v5, v3, 16, 1
	v_cmp_o_f32_e32 vcc, v3, v3
	v_add3_u32 v3, v3, v5, s0
	v_cndmask_b32_sdwa v3, v4, v3, vcc dst_sel:DWORD dst_unused:UNUSED_PAD src0_sel:DWORD src1_sel:WORD_1
	s_mov_b64 s[0:1], 0
	s_branch .LBB232_225
.LBB232_221:
                                        ; implicit-def: $vgpr3
	s_branch .LBB232_243
.LBB232_222:
	s_mov_b64 s[0:1], -1
                                        ; implicit-def: $vgpr3
	s_branch .LBB232_231
.LBB232_223:
	s_mov_b64 s[0:1], -1
                                        ; implicit-def: $vgpr3
	s_branch .LBB232_228
.LBB232_224:
	s_mov_b64 s[0:1], -1
                                        ; implicit-def: $vgpr3
.LBB232_225:
	s_andn2_b64 vcc, exec, s[0:1]
	s_cbranch_vccnz .LBB232_227
; %bb.226:
	global_load_dword v3, v[1:2], off
	s_movk_i32 s0, 0x7fff
	v_mov_b32_e32 v4, 0x7fc0
	s_waitcnt vmcnt(0)
	v_bfe_u32 v5, v3, 16, 1
	v_cmp_o_f32_e32 vcc, v3, v3
	v_add3_u32 v3, v3, v5, s0
	v_cndmask_b32_sdwa v3, v4, v3, vcc dst_sel:DWORD dst_unused:UNUSED_PAD src0_sel:DWORD src1_sel:WORD_1
.LBB232_227:
	s_mov_b64 s[0:1], 0
.LBB232_228:
	s_andn2_b64 vcc, exec, s[0:1]
	s_cbranch_vccnz .LBB232_230
; %bb.229:
	global_load_dword v3, v[1:2], off
	s_movk_i32 s0, 0x7fff
	v_mov_b32_e32 v5, 0x7fc0
	s_waitcnt vmcnt(0)
	v_cvt_f32_f16_e32 v4, v3
	v_cmp_o_f16_e32 vcc, v3, v3
	v_bfe_u32 v3, v4, 16, 1
	v_add3_u32 v3, v4, v3, s0
	v_cndmask_b32_sdwa v3, v5, v3, vcc dst_sel:DWORD dst_unused:UNUSED_PAD src0_sel:DWORD src1_sel:WORD_1
.LBB232_230:
	s_mov_b64 s[0:1], 0
.LBB232_231:
	s_andn2_b64 vcc, exec, s[0:1]
	s_cbranch_vccnz .LBB232_242
; %bb.232:
	s_cmp_lt_i32 s12, 6
	s_cbranch_scc1 .LBB232_235
; %bb.233:
	s_cmp_gt_i32 s12, 6
	s_cbranch_scc0 .LBB232_236
; %bb.234:
	global_load_dwordx2 v[3:4], v[1:2], off
	s_movk_i32 s0, 0x7fff
	s_waitcnt vmcnt(0)
	v_cvt_f32_f64_e32 v3, v[3:4]
	v_mov_b32_e32 v4, 0x7fc0
	v_bfe_u32 v5, v3, 16, 1
	v_cmp_o_f32_e32 vcc, v3, v3
	v_add3_u32 v3, v3, v5, s0
	v_cndmask_b32_sdwa v3, v4, v3, vcc dst_sel:DWORD dst_unused:UNUSED_PAD src0_sel:DWORD src1_sel:WORD_1
	s_mov_b64 s[0:1], 0
	s_branch .LBB232_237
.LBB232_235:
	s_mov_b64 s[0:1], -1
                                        ; implicit-def: $vgpr3
	s_branch .LBB232_240
.LBB232_236:
	s_mov_b64 s[0:1], -1
                                        ; implicit-def: $vgpr3
.LBB232_237:
	s_andn2_b64 vcc, exec, s[0:1]
	s_cbranch_vccnz .LBB232_239
; %bb.238:
	global_load_dword v3, v[1:2], off
	s_movk_i32 s0, 0x7fff
	v_mov_b32_e32 v4, 0x7fc0
	s_waitcnt vmcnt(0)
	v_bfe_u32 v5, v3, 16, 1
	v_cmp_o_f32_e32 vcc, v3, v3
	v_add3_u32 v3, v3, v5, s0
	v_cndmask_b32_sdwa v3, v4, v3, vcc dst_sel:DWORD dst_unused:UNUSED_PAD src0_sel:DWORD src1_sel:WORD_1
.LBB232_239:
	s_mov_b64 s[0:1], 0
.LBB232_240:
	s_andn2_b64 vcc, exec, s[0:1]
	s_cbranch_vccnz .LBB232_242
; %bb.241:
	global_load_ushort v3, v[1:2], off
	s_movk_i32 s0, 0x7fff
	v_mov_b32_e32 v5, 0x7fc0
	s_waitcnt vmcnt(0)
	v_cvt_f32_f16_e32 v4, v3
	v_cmp_o_f16_e32 vcc, v3, v3
	v_bfe_u32 v3, v4, 16, 1
	v_add3_u32 v3, v4, v3, s0
	v_cndmask_b32_sdwa v3, v5, v3, vcc dst_sel:DWORD dst_unused:UNUSED_PAD src0_sel:DWORD src1_sel:WORD_1
.LBB232_242:
	s_cbranch_execnz .LBB232_262
.LBB232_243:
	s_cmp_lt_i32 s12, 2
	s_cbranch_scc1 .LBB232_247
; %bb.244:
	s_cmp_lt_i32 s12, 3
	s_cbranch_scc1 .LBB232_248
; %bb.245:
	s_cmp_gt_i32 s12, 3
	s_cbranch_scc0 .LBB232_249
; %bb.246:
	global_load_dwordx2 v[3:4], v[1:2], off
	s_movk_i32 s0, 0x7fff
	s_waitcnt vmcnt(0)
	v_xor_b32_e32 v6, v3, v4
	v_ffbh_i32_e32 v5, v4
	v_ashrrev_i32_e32 v6, 31, v6
	v_add_u32_e32 v5, -1, v5
	v_add_u32_e32 v6, 32, v6
	v_min_u32_e32 v5, v5, v6
	v_lshlrev_b64 v[3:4], v5, v[3:4]
	v_min_u32_e32 v3, 1, v3
	v_or_b32_e32 v3, v4, v3
	v_cvt_f32_i32_e32 v3, v3
	v_sub_u32_e32 v4, 32, v5
	v_ldexp_f32 v3, v3, v4
	v_bfe_u32 v4, v3, 16, 1
	v_add3_u32 v3, v3, v4, s0
	v_lshrrev_b32_e32 v3, 16, v3
	s_mov_b64 s[0:1], 0
	s_branch .LBB232_250
.LBB232_247:
	s_mov_b64 s[0:1], -1
                                        ; implicit-def: $vgpr3
	s_branch .LBB232_256
.LBB232_248:
	s_mov_b64 s[0:1], -1
                                        ; implicit-def: $vgpr3
	s_branch .LBB232_253
.LBB232_249:
	s_mov_b64 s[0:1], -1
                                        ; implicit-def: $vgpr3
.LBB232_250:
	s_andn2_b64 vcc, exec, s[0:1]
	s_cbranch_vccnz .LBB232_252
; %bb.251:
	global_load_dword v3, v[1:2], off
	s_movk_i32 s0, 0x7fff
	s_waitcnt vmcnt(0)
	v_cvt_f32_i32_e32 v3, v3
	v_bfe_u32 v4, v3, 16, 1
	v_add3_u32 v3, v3, v4, s0
	v_lshrrev_b32_e32 v3, 16, v3
.LBB232_252:
	s_mov_b64 s[0:1], 0
.LBB232_253:
	s_andn2_b64 vcc, exec, s[0:1]
	s_cbranch_vccnz .LBB232_255
; %bb.254:
	global_load_sshort v3, v[1:2], off
	s_movk_i32 s0, 0x7fff
	s_waitcnt vmcnt(0)
	v_cvt_f32_i32_e32 v3, v3
	v_bfe_u32 v4, v3, 16, 1
	v_add3_u32 v3, v3, v4, s0
	v_lshrrev_b32_e32 v3, 16, v3
.LBB232_255:
	s_mov_b64 s[0:1], 0
.LBB232_256:
	s_andn2_b64 vcc, exec, s[0:1]
	s_cbranch_vccnz .LBB232_262
; %bb.257:
	s_cmp_gt_i32 s12, 0
	s_cbranch_scc0 .LBB232_259
; %bb.258:
	global_load_sbyte v3, v[1:2], off
	s_movk_i32 s0, 0x7fff
	s_waitcnt vmcnt(0)
	v_cvt_f32_i32_e32 v3, v3
	v_bfe_u32 v4, v3, 16, 1
	v_add3_u32 v3, v3, v4, s0
	v_lshrrev_b32_e32 v3, 16, v3
	s_mov_b64 s[0:1], 0
	s_branch .LBB232_260
.LBB232_259:
	s_mov_b64 s[0:1], -1
                                        ; implicit-def: $vgpr3
.LBB232_260:
	s_andn2_b64 vcc, exec, s[0:1]
	s_cbranch_vccnz .LBB232_262
; %bb.261:
	global_load_ubyte v1, v[1:2], off
	s_movk_i32 s0, 0x7fff
	s_waitcnt vmcnt(0)
	v_cvt_f32_ubyte0_e32 v1, v1
	v_bfe_u32 v2, v1, 16, 1
	v_add3_u32 v1, v1, v2, s0
	v_lshrrev_b32_e32 v3, 16, v1
.LBB232_262:
	s_branch .LBB232_25
.LBB232_263:
	s_mov_b64 s[0:1], 0
.LBB232_264:
	s_mov_b64 s[8:9], 0
                                        ; implicit-def: $vgpr8
.LBB232_265:
	s_and_b64 s[54:55], s[0:1], exec
	s_and_b64 s[56:57], s[2:3], exec
	s_orn2_b64 s[2:3], s[8:9], exec
.LBB232_266:
	s_or_b64 exec, exec, s[58:59]
	s_mov_b64 s[10:11], 0
	s_mov_b64 s[0:1], 0
                                        ; implicit-def: $vgpr1_vgpr2
                                        ; implicit-def: $vgpr0
                                        ; implicit-def: $vgpr4
	s_and_saveexec_b64 s[58:59], s[2:3]
	s_cbranch_execz .LBB232_273
; %bb.267:
	v_cmp_gt_i32_e32 vcc, s72, v8
	s_mov_b64 s[0:1], -1
	s_mov_b64 s[60:61], s[56:57]
	s_mov_b64 s[62:63], s[54:55]
	s_and_saveexec_b64 s[64:65], vcc
	s_cbranch_execz .LBB232_542
; %bb.268:
	s_andn2_b64 vcc, exec, s[40:41]
	s_cbranch_vccnz .LBB232_276
; %bb.269:
	s_andn2_b64 vcc, exec, s[52:53]
	s_cbranch_vccnz .LBB232_277
; %bb.270:
	s_add_i32 s67, s78, 1
	s_cmp_eq_u32 s74, 2
	s_cbranch_scc1 .LBB232_278
; %bb.271:
	s_and_b32 s66, s67, 28
	v_mov_b32_e32 v2, 0
	s_mov_b32 s68, 0
	s_mov_b64 s[60:61], s[34:35]
	s_mov_b64 s[62:63], s[50:51]
	v_mov_b32_e32 v0, 0
	v_mov_b32_e32 v1, v8
.LBB232_272:                            ; =>This Inner Loop Header: Depth=1
	s_load_dwordx8 s[16:23], s[60:61], 0x4
	s_load_dwordx4 s[0:3], s[60:61], 0x24
	s_load_dwordx8 s[8:15], s[62:63], 0x0
	s_add_u32 s60, s60, 48
	s_addc_u32 s61, s61, 0
	s_waitcnt vmcnt(0) lgkmcnt(0)
	v_mul_hi_u32 v3, s17, v1
	s_add_i32 s68, s68, 4
	s_add_u32 s62, s62, 32
	s_addc_u32 s63, s63, 0
	v_add_u32_e32 v3, v1, v3
	v_lshrrev_b32_e32 v3, s18, v3
	v_mul_lo_u32 v4, v3, s16
	v_mul_hi_u32 v5, s20, v3
	s_cmp_eq_u32 s66, s68
	v_sub_u32_e32 v1, v1, v4
	v_add_u32_e32 v4, v3, v5
	v_mul_lo_u32 v5, v1, s8
	v_mul_lo_u32 v6, v1, s9
	v_lshrrev_b32_e32 v1, s21, v4
	v_mul_lo_u32 v4, v1, s19
	v_mul_hi_u32 v7, s23, v1
	v_sub_u32_e32 v3, v3, v4
	v_add_u32_e32 v4, v1, v7
	v_lshrrev_b32_e32 v4, s0, v4
	v_mul_hi_u32 v9, s2, v4
	v_mul_lo_u32 v10, v4, s22
	v_mul_lo_u32 v7, v3, s10
	;; [unrolled: 1-line block ×3, first 2 shown]
	v_sub_u32_e32 v10, v1, v10
	v_add_u32_e32 v1, v4, v9
	v_lshrrev_b32_e32 v1, s3, v1
	v_mul_lo_u32 v9, v1, s1
	v_mul_lo_u32 v11, v10, s12
	v_mul_lo_u32 v10, v10, s13
	v_add3_u32 v0, v5, v0, v7
	v_sub_u32_e32 v4, v4, v9
	v_mul_lo_u32 v9, v4, s14
	v_mul_lo_u32 v4, v4, s15
	v_add3_u32 v2, v6, v2, v3
	v_add3_u32 v0, v11, v0, v9
	;; [unrolled: 1-line block ×3, first 2 shown]
	s_cbranch_scc0 .LBB232_272
	s_branch .LBB232_279
.LBB232_273:
	s_or_b64 exec, exec, s[58:59]
	s_mov_b64 s[2:3], 0
	s_and_saveexec_b64 s[8:9], s[56:57]
	s_cbranch_execnz .LBB232_918
.LBB232_274:
	s_or_b64 exec, exec, s[8:9]
	s_and_saveexec_b64 s[8:9], s[62:63]
	s_xor_b64 s[8:9], exec, s[8:9]
	s_cbranch_execz .LBB232_919
.LBB232_275:
	global_load_ubyte v3, v[1:2], off
	s_or_b64 s[0:1], s[0:1], exec
	s_waitcnt vmcnt(0)
	v_cmp_ne_u16_e32 vcc, 0, v3
	v_cndmask_b32_e64 v3, 0, 1.0, vcc
	v_lshrrev_b32_e32 v4, 16, v3
	s_or_b64 exec, exec, s[8:9]
	s_and_saveexec_b64 s[8:9], s[10:11]
	s_cbranch_execz .LBB232_965
	s_branch .LBB232_920
.LBB232_276:
                                        ; implicit-def: $vgpr0
                                        ; implicit-def: $vgpr2
	s_andn2_b64 vcc, exec, s[0:1]
	s_cbranch_vccz .LBB232_283
	s_branch .LBB232_285
.LBB232_277:
	v_mov_b32_e32 v0, 0
	v_mov_b32_e32 v2, 0
	s_branch .LBB232_282
.LBB232_278:
	s_mov_b32 s66, 0
	v_mov_b32_e32 v0, 0
	v_mov_b32_e32 v2, 0
	;; [unrolled: 1-line block ×3, first 2 shown]
.LBB232_279:
	s_and_b32 s8, s67, 3
	s_cmp_eq_u32 s8, 0
	s_cbranch_scc1 .LBB232_282
; %bb.280:
	s_lshl_b32 s0, s66, 3
	s_add_u32 s0, s34, s0
	s_addc_u32 s1, s35, 0
	s_add_u32 s0, s0, 0xc4
	s_addc_u32 s1, s1, 0
	s_mul_i32 s2, s66, 12
	s_add_u32 s2, s34, s2
	s_addc_u32 s3, s35, 0
.LBB232_281:                            ; =>This Inner Loop Header: Depth=1
	s_load_dwordx2 s[10:11], s[2:3], 0x4
	s_load_dword s9, s[2:3], 0xc
	s_load_dwordx2 s[12:13], s[0:1], 0x0
	s_add_u32 s2, s2, 12
	s_addc_u32 s3, s3, 0
	s_waitcnt vmcnt(0) lgkmcnt(0)
	v_mul_hi_u32 v3, s11, v1
	s_add_u32 s0, s0, 8
	s_addc_u32 s1, s1, 0
	s_add_i32 s8, s8, -1
	v_add_u32_e32 v3, v1, v3
	v_lshrrev_b32_e32 v4, s9, v3
	v_mul_lo_u32 v3, v4, s10
	s_cmp_lg_u32 s8, 0
	v_sub_u32_e32 v3, v1, v3
	v_mad_u64_u32 v[0:1], s[10:11], v3, s12, v[0:1]
	v_mad_u64_u32 v[2:3], s[10:11], v3, s13, v[2:3]
	v_mov_b32_e32 v1, v4
	s_cbranch_scc1 .LBB232_281
.LBB232_282:
	s_cbranch_execnz .LBB232_285
.LBB232_283:
	v_mul_hi_u32 v0, s29, v8
	s_andn2_b64 vcc, exec, s[48:49]
	v_add_u32_e32 v0, v8, v0
	v_lshrrev_b32_e32 v1, s30, v0
	v_mul_lo_u32 v0, v1, s28
	v_sub_u32_e32 v2, v8, v0
	v_mul_lo_u32 v0, v2, s36
	v_mul_lo_u32 v2, v2, s37
	s_cbranch_vccnz .LBB232_285
; %bb.284:
	s_waitcnt vmcnt(0)
	v_mul_hi_u32 v3, s46, v1
	v_add_u32_e32 v3, v1, v3
	v_lshrrev_b32_e32 v3, s47, v3
	v_mul_lo_u32 v3, v3, s31
	v_sub_u32_e32 v3, v1, v3
	v_mad_u64_u32 v[0:1], s[0:1], v3, s38, v[0:1]
	v_mad_u64_u32 v[2:3], s[0:1], v3, s39, v[2:3]
.LBB232_285:
	s_waitcnt vmcnt(0)
	v_mov_b32_e32 v3, s27
	s_and_b32 s12, 0xffff, s77
	v_add_co_u32_e32 v1, vcc, s26, v2
	s_cmp_lt_i32 s12, 11
	v_addc_co_u32_e32 v2, vcc, 0, v3, vcc
	s_cbranch_scc1 .LBB232_292
; %bb.286:
	s_cmp_gt_i32 s12, 25
	s_cbranch_scc0 .LBB232_301
; %bb.287:
	s_cmp_gt_i32 s12, 28
	s_cbranch_scc0 .LBB232_303
	;; [unrolled: 3-line block ×4, first 2 shown]
; %bb.290:
	s_cmp_eq_u32 s12, 46
	s_mov_b64 s[8:9], 0
	s_cbranch_scc0 .LBB232_313
; %bb.291:
	global_load_dword v3, v[1:2], off
	s_mov_b64 s[0:1], -1
	s_mov_b64 s[2:3], 0
	s_branch .LBB232_314
.LBB232_292:
	s_mov_b64 s[0:1], 0
                                        ; implicit-def: $vgpr3
	s_mov_b64 s[2:3], s[56:57]
	s_cbranch_execnz .LBB232_491
.LBB232_293:
	s_andn2_b64 vcc, exec, s[0:1]
	s_cbranch_vccnz .LBB232_539
.LBB232_294:
	s_waitcnt vmcnt(0)
	v_lshlrev_b32_e32 v1, 16, v3
	v_mov_b32_e32 v2, s45
	v_mov_b32_e32 v3, s76
	v_cmp_ge_f32_e32 vcc, s44, v1
	v_cndmask_b32_e32 v2, v2, v3, vcc
	v_mov_b32_e32 v1, s25
	s_and_b32 s14, s75, 0xff
	v_add_co_u32_e32 v0, vcc, s24, v0
	s_cmp_lt_i32 s14, 11
	v_addc_co_u32_e32 v1, vcc, 0, v1, vcc
	s_cbranch_scc1 .LBB232_302
; %bb.295:
	s_and_b32 s15, 0xffff, s14
	s_cmp_gt_i32 s15, 25
	s_cbranch_scc0 .LBB232_304
; %bb.296:
	s_cmp_gt_i32 s15, 28
	s_cbranch_scc0 .LBB232_306
; %bb.297:
	;; [unrolled: 3-line block ×4, first 2 shown]
	s_mov_b64 s[10:11], 0
	s_mov_b64 s[0:1], -1
	s_cmp_eq_u32 s15, 46
	s_mov_b64 s[8:9], 0
	s_cbranch_scc0 .LBB232_318
; %bb.300:
	v_and_b32_e32 v3, 0xffff, v2
	global_store_dword v[0:1], v3, off
	s_mov_b64 s[8:9], -1
	s_mov_b64 s[0:1], 0
	s_branch .LBB232_318
.LBB232_301:
	s_mov_b64 s[8:9], -1
	s_mov_b64 s[0:1], 0
	s_mov_b64 s[2:3], s[56:57]
                                        ; implicit-def: $vgpr3
	s_branch .LBB232_455
.LBB232_302:
	s_mov_b64 s[10:11], -1
	s_mov_b64 s[8:9], 0
	s_mov_b64 s[0:1], s[54:55]
	s_branch .LBB232_387
.LBB232_303:
	s_mov_b64 s[8:9], -1
	s_mov_b64 s[0:1], 0
	s_mov_b64 s[2:3], s[56:57]
                                        ; implicit-def: $vgpr3
	s_branch .LBB232_436
.LBB232_304:
	s_mov_b64 s[10:11], -1
	s_mov_b64 s[8:9], 0
	s_mov_b64 s[0:1], s[54:55]
	s_branch .LBB232_345
.LBB232_305:
	s_mov_b64 s[8:9], -1
	s_mov_b64 s[0:1], 0
	s_mov_b64 s[2:3], s[56:57]
                                        ; implicit-def: $vgpr3
	s_branch .LBB232_431
.LBB232_306:
	s_mov_b64 s[10:11], -1
	s_mov_b64 s[8:9], 0
	s_mov_b64 s[0:1], s[54:55]
	s_branch .LBB232_328
.LBB232_307:
	s_andn2_saveexec_b64 s[12:13], s[12:13]
	s_cbranch_execz .LBB232_68
.LBB232_308:
	s_mov_b32 s16, 0x46000000
	v_add_f32_e64 v4, |v5|, s16
	v_and_b32_e32 v4, 0xff, v4
	v_cmp_ne_u32_e32 vcc, 0, v4
	s_andn2_b64 s[10:11], s[10:11], exec
	s_and_b64 s[16:17], vcc, exec
	s_or_b64 s[10:11], s[10:11], s[16:17]
	s_or_b64 exec, exec, s[12:13]
	v_mov_b32_e32 v6, 0
	s_and_saveexec_b64 s[12:13], s[10:11]
	s_cbranch_execnz .LBB232_69
	s_branch .LBB232_70
.LBB232_309:
	s_mov_b64 s[8:9], -1
	s_mov_b64 s[0:1], 0
	s_mov_b64 s[2:3], s[56:57]
                                        ; implicit-def: $vgpr3
	s_branch .LBB232_314
.LBB232_310:
	s_mov_b64 s[10:11], -1
	s_mov_b64 s[8:9], 0
	s_mov_b64 s[0:1], s[54:55]
	s_branch .LBB232_324
.LBB232_311:
	s_andn2_saveexec_b64 s[12:13], s[12:13]
	s_cbranch_execz .LBB232_81
.LBB232_312:
	s_mov_b32 s16, 0x42800000
	v_add_f32_e64 v4, |v5|, s16
	v_and_b32_e32 v4, 0xff, v4
	v_cmp_ne_u32_e32 vcc, 0, v4
	s_andn2_b64 s[10:11], s[10:11], exec
	s_and_b64 s[16:17], vcc, exec
	s_or_b64 s[10:11], s[10:11], s[16:17]
	s_or_b64 exec, exec, s[12:13]
	v_mov_b32_e32 v6, 0
	s_and_saveexec_b64 s[12:13], s[10:11]
	s_cbranch_execnz .LBB232_82
	s_branch .LBB232_83
.LBB232_313:
	s_mov_b64 s[2:3], -1
                                        ; implicit-def: $vgpr3
	s_mov_b64 s[0:1], 0
.LBB232_314:
	s_and_b64 vcc, exec, s[8:9]
	s_cbranch_vccz .LBB232_430
; %bb.315:
	s_cmp_eq_u32 s12, 44
	s_cbranch_scc0 .LBB232_429
; %bb.316:
	global_load_ubyte v3, v[1:2], off
	s_movk_i32 s2, 0xff
	v_mov_b32_e32 v4, 0x7f800001
	v_mov_b32_e32 v5, 0x400000
	v_mov_b32_e32 v6, 0x7fc0
	s_mov_b64 s[0:1], -1
	s_waitcnt vmcnt(0)
	v_lshlrev_b32_e32 v7, 23, v3
	v_cmp_ne_u32_e32 vcc, s2, v3
	v_cndmask_b32_e32 v4, v4, v7, vcc
	v_cmp_ne_u32_e32 vcc, 0, v3
	v_cndmask_b32_e32 v3, v5, v4, vcc
	v_add_u32_e32 v4, 0x7fff, v3
	v_cmp_o_f32_e32 vcc, v3, v3
	v_cndmask_b32_sdwa v3, v6, v4, vcc dst_sel:DWORD dst_unused:UNUSED_PAD src0_sel:DWORD src1_sel:WORD_1
	s_mov_b64 s[2:3], 0
	s_branch .LBB232_430
.LBB232_317:
	s_mov_b64 s[10:11], -1
	s_mov_b64 s[8:9], 0
	s_mov_b64 s[0:1], s[54:55]
.LBB232_318:
	s_and_b64 vcc, exec, s[10:11]
	s_cbranch_vccz .LBB232_323
; %bb.319:
	s_cmp_eq_u32 s15, 44
	s_mov_b64 s[0:1], -1
	s_cbranch_scc0 .LBB232_323
; %bb.320:
	v_and_b32_e32 v4, 0xffff, v2
	v_bfe_u32 v3, v4, 7, 8
	s_movk_i32 s0, 0xff
	v_cmp_ne_u32_e32 vcc, s0, v3
	v_mov_b32_e32 v5, 0xff
	s_and_saveexec_b64 s[8:9], vcc
	s_cbranch_execz .LBB232_322
; %bb.321:
	v_lshlrev_b32_e32 v6, 16, v4
	s_mov_b32 s0, 0x3f0000
	v_lshrrev_b32_e32 v5, 7, v4
	v_and_b32_e32 v4, 64, v4
	v_and_or_b32 v3, v6, s0, v3
	v_cmp_ne_u32_e32 vcc, 0, v4
	v_cmp_ne_u32_e64 s[0:1], 0, v3
	s_and_b64 s[0:1], vcc, s[0:1]
	v_cndmask_b32_e64 v3, 0, 1, s[0:1]
	v_add_u32_e32 v5, v5, v3
.LBB232_322:
	s_or_b64 exec, exec, s[8:9]
	s_mov_b64 s[8:9], -1
	s_mov_b64 s[0:1], 0
	global_store_byte v[0:1], v5, off
.LBB232_323:
	s_mov_b64 s[10:11], 0
.LBB232_324:
	s_and_b64 vcc, exec, s[10:11]
	s_cbranch_vccz .LBB232_327
; %bb.325:
	s_cmp_eq_u32 s15, 29
	s_mov_b64 s[0:1], -1
	s_cbranch_scc0 .LBB232_327
; %bb.326:
	v_lshlrev_b32_e32 v3, 16, v2
	v_trunc_f32_e32 v3, v3
	v_mul_f32_e32 v4, 0x2f800000, v3
	v_floor_f32_e32 v5, v4
	v_fmac_f32_e32 v3, 0xcf800000, v5
	v_cvt_u32_f32_e32 v4, v5
	v_cvt_u32_f32_e32 v3, v3
	s_mov_b64 s[8:9], -1
	s_mov_b64 s[0:1], 0
	s_mov_b64 s[10:11], 0
	global_store_dwordx2 v[0:1], v[3:4], off
	s_branch .LBB232_328
.LBB232_327:
	s_mov_b64 s[10:11], 0
.LBB232_328:
	s_and_b64 vcc, exec, s[10:11]
	s_cbranch_vccz .LBB232_344
; %bb.329:
	s_cmp_lt_i32 s15, 27
	s_mov_b64 s[8:9], -1
	s_cbranch_scc1 .LBB232_335
; %bb.330:
	s_cmp_gt_i32 s15, 27
	s_cbranch_scc0 .LBB232_332
; %bb.331:
	v_lshlrev_b32_e32 v3, 16, v2
	v_cvt_u32_f32_e32 v3, v3
	s_mov_b64 s[8:9], 0
	global_store_dword v[0:1], v3, off
.LBB232_332:
	s_andn2_b64 vcc, exec, s[8:9]
	s_cbranch_vccnz .LBB232_334
; %bb.333:
	v_lshlrev_b32_e32 v3, 16, v2
	v_cvt_u32_f32_e32 v3, v3
	global_store_short v[0:1], v3, off
.LBB232_334:
	s_mov_b64 s[8:9], 0
.LBB232_335:
	s_andn2_b64 vcc, exec, s[8:9]
	s_cbranch_vccnz .LBB232_343
; %bb.336:
	v_lshlrev_b32_e32 v5, 16, v2
	v_and_b32_e32 v4, 0x7fffffff, v5
	s_mov_b32 s8, 0x43800000
	v_cmp_gt_u32_e32 vcc, s8, v4
	v_mov_b32_e32 v6, 0x80
	s_and_saveexec_b64 s[8:9], vcc
	s_cbranch_execz .LBB232_342
; %bb.337:
	s_mov_b32 s10, 0x3bffffff
	v_and_b32_e32 v3, 0xffff, v2
	v_cmp_lt_u32_e32 vcc, s10, v4
	s_mov_b64 s[10:11], 0
                                        ; implicit-def: $vgpr4
	s_and_saveexec_b64 s[12:13], vcc
	s_xor_b64 s[12:13], exec, s[12:13]
	s_cbranch_execz .LBB232_570
; %bb.338:
	v_bfe_u32 v4, v3, 4, 1
	s_mov_b32 s16, 0x487ffff
	v_add3_u32 v4, v5, v4, s16
	s_mov_b64 s[10:11], exec
	v_lshrrev_b32_e32 v4, 20, v4
                                        ; implicit-def: $vgpr5
	s_andn2_saveexec_b64 s[12:13], s[12:13]
	s_cbranch_execnz .LBB232_571
.LBB232_339:
	s_or_b64 exec, exec, s[12:13]
	v_mov_b32_e32 v6, 0
	s_and_saveexec_b64 s[12:13], s[10:11]
.LBB232_340:
	v_lshrrev_b32_e32 v3, 8, v3
	s_movk_i32 s10, 0x80
	v_and_or_b32 v6, v3, s10, v4
.LBB232_341:
	s_or_b64 exec, exec, s[12:13]
.LBB232_342:
	s_or_b64 exec, exec, s[8:9]
	global_store_byte v[0:1], v6, off
.LBB232_343:
	s_mov_b64 s[8:9], -1
.LBB232_344:
	s_mov_b64 s[10:11], 0
.LBB232_345:
	s_and_b64 vcc, exec, s[10:11]
	s_cbranch_vccz .LBB232_386
; %bb.346:
	s_cmp_gt_i32 s15, 22
	s_mov_b64 s[10:11], -1
	s_cbranch_scc0 .LBB232_378
; %bb.347:
	s_cmp_lt_i32 s15, 24
	s_mov_b64 s[8:9], -1
	s_cbranch_scc1 .LBB232_367
; %bb.348:
	s_cmp_gt_i32 s15, 24
	s_cbranch_scc0 .LBB232_356
; %bb.349:
	v_lshlrev_b32_e32 v5, 16, v2
	v_and_b32_e32 v4, 0x7fffffff, v5
	s_mov_b32 s8, 0x47800000
	v_cmp_gt_u32_e32 vcc, s8, v4
	v_mov_b32_e32 v6, 0x80
	s_and_saveexec_b64 s[8:9], vcc
	s_cbranch_execz .LBB232_355
; %bb.350:
	s_mov_b32 s10, 0x37ffffff
	v_and_b32_e32 v3, 0xffff, v2
	v_cmp_lt_u32_e32 vcc, s10, v4
	s_mov_b64 s[10:11], 0
                                        ; implicit-def: $vgpr4
	s_and_saveexec_b64 s[12:13], vcc
	s_xor_b64 s[12:13], exec, s[12:13]
	s_cbranch_execz .LBB232_573
; %bb.351:
	v_bfe_u32 v4, v3, 5, 1
	s_mov_b32 s16, 0x88fffff
	v_add3_u32 v4, v5, v4, s16
	s_mov_b64 s[10:11], exec
	v_lshrrev_b32_e32 v4, 21, v4
                                        ; implicit-def: $vgpr5
	s_andn2_saveexec_b64 s[12:13], s[12:13]
	s_cbranch_execnz .LBB232_574
.LBB232_352:
	s_or_b64 exec, exec, s[12:13]
	v_mov_b32_e32 v6, 0
	s_and_saveexec_b64 s[12:13], s[10:11]
.LBB232_353:
	v_lshrrev_b32_e32 v3, 8, v3
	s_movk_i32 s10, 0x80
	v_and_or_b32 v6, v3, s10, v4
.LBB232_354:
	s_or_b64 exec, exec, s[12:13]
.LBB232_355:
	s_or_b64 exec, exec, s[8:9]
	s_mov_b64 s[8:9], 0
	global_store_byte v[0:1], v6, off
.LBB232_356:
	s_and_b64 vcc, exec, s[8:9]
	s_cbranch_vccz .LBB232_366
; %bb.357:
	v_lshlrev_b32_e32 v5, 16, v2
	v_and_b32_e32 v6, 0x7fffffff, v5
	s_mov_b32 s8, 0x43f00000
	v_and_b32_e32 v3, 0xffff, v2
	v_cmp_gt_u32_e32 vcc, s8, v6
                                        ; implicit-def: $vgpr4
	s_and_saveexec_b64 s[8:9], vcc
	s_xor_b64 s[8:9], exec, s[8:9]
	s_cbranch_execz .LBB232_363
; %bb.358:
	s_mov_b32 s10, 0x3c7fffff
	v_cmp_lt_u32_e32 vcc, s10, v6
                                        ; implicit-def: $vgpr4
	s_and_saveexec_b64 s[10:11], vcc
	s_xor_b64 s[10:11], exec, s[10:11]
; %bb.359:
	v_bfe_u32 v4, v3, 4, 1
	s_mov_b32 s12, 0x407ffff
	v_add3_u32 v4, v5, v4, s12
	v_lshrrev_b32_e32 v5, 20, v4
	v_and_b32_e32 v4, 0xff00000, v4
	s_mov_b32 s12, 0x7f00000
	v_mov_b32_e32 v6, 0x7e
	v_cmp_ne_u32_e32 vcc, s12, v4
	v_cndmask_b32_e32 v4, v6, v5, vcc
                                        ; implicit-def: $vgpr5
; %bb.360:
	s_andn2_saveexec_b64 s[10:11], s[10:11]
; %bb.361:
	s_mov_b32 s12, 0x46800000
	v_add_f32_e64 v4, |v5|, s12
; %bb.362:
	s_or_b64 exec, exec, s[10:11]
                                        ; implicit-def: $vgpr6
.LBB232_363:
	s_andn2_saveexec_b64 s[8:9], s[8:9]
; %bb.364:
	s_mov_b32 s10, 0x7f800000
	v_mov_b32_e32 v4, 0x7e
	v_mov_b32_e32 v5, 0x7f
	v_cmp_lt_u32_e32 vcc, s10, v6
	v_cndmask_b32_e32 v4, v4, v5, vcc
; %bb.365:
	s_or_b64 exec, exec, s[8:9]
	v_lshrrev_b32_e32 v3, 8, v3
	s_movk_i32 s8, 0x80
	v_and_or_b32 v3, v3, s8, v4
	global_store_byte v[0:1], v3, off
.LBB232_366:
	s_mov_b64 s[8:9], 0
.LBB232_367:
	s_andn2_b64 vcc, exec, s[8:9]
	s_cbranch_vccnz .LBB232_377
; %bb.368:
	v_lshlrev_b32_e32 v5, 16, v2
	v_and_b32_e32 v6, 0x7fffffff, v5
	s_mov_b32 s8, 0x47800000
	v_and_b32_e32 v3, 0xffff, v2
	v_cmp_gt_u32_e32 vcc, s8, v6
                                        ; implicit-def: $vgpr4
	s_and_saveexec_b64 s[8:9], vcc
	s_xor_b64 s[8:9], exec, s[8:9]
	s_cbranch_execz .LBB232_374
; %bb.369:
	s_mov_b32 s10, 0x387fffff
	v_cmp_lt_u32_e32 vcc, s10, v6
                                        ; implicit-def: $vgpr4
	s_and_saveexec_b64 s[10:11], vcc
	s_xor_b64 s[10:11], exec, s[10:11]
; %bb.370:
	v_bfe_u32 v4, v3, 5, 1
	s_mov_b32 s12, 0x80fffff
	v_add3_u32 v4, v5, v4, s12
	v_lshrrev_b32_e32 v4, 21, v4
                                        ; implicit-def: $vgpr5
; %bb.371:
	s_andn2_saveexec_b64 s[10:11], s[10:11]
; %bb.372:
	s_mov_b32 s12, 0x43000000
	v_add_f32_e64 v4, |v5|, s12
; %bb.373:
	s_or_b64 exec, exec, s[10:11]
                                        ; implicit-def: $vgpr6
.LBB232_374:
	s_andn2_saveexec_b64 s[8:9], s[8:9]
; %bb.375:
	s_mov_b32 s10, 0x7f800000
	v_mov_b32_e32 v4, 0x7c
	v_mov_b32_e32 v5, 0x7f
	v_cmp_lt_u32_e32 vcc, s10, v6
	v_cndmask_b32_e32 v4, v4, v5, vcc
; %bb.376:
	s_or_b64 exec, exec, s[8:9]
	v_lshrrev_b32_e32 v3, 8, v3
	s_movk_i32 s8, 0x80
	v_and_or_b32 v3, v3, s8, v4
	global_store_byte v[0:1], v3, off
.LBB232_377:
	s_mov_b64 s[10:11], 0
	s_mov_b64 s[8:9], -1
.LBB232_378:
	s_andn2_b64 vcc, exec, s[10:11]
	s_cbranch_vccnz .LBB232_386
; %bb.379:
	s_cmp_gt_i32 s15, 14
	s_mov_b64 s[10:11], -1
	s_cbranch_scc0 .LBB232_383
; %bb.380:
	s_cmp_eq_u32 s15, 15
	s_mov_b64 s[0:1], -1
	s_cbranch_scc0 .LBB232_382
; %bb.381:
	global_store_short v[0:1], v2, off
	s_mov_b64 s[8:9], -1
	s_mov_b64 s[0:1], 0
.LBB232_382:
	s_mov_b64 s[10:11], 0
.LBB232_383:
	s_and_b64 vcc, exec, s[10:11]
	s_cbranch_vccz .LBB232_386
; %bb.384:
	s_cmp_eq_u32 s15, 11
	s_mov_b64 s[0:1], -1
	s_cbranch_scc0 .LBB232_386
; %bb.385:
	v_and_b32_e32 v3, 0x7fff, v2
	v_cmp_ne_u16_e32 vcc, 0, v3
	v_cndmask_b32_e64 v3, 0, 1, vcc
	s_mov_b64 s[8:9], -1
	s_mov_b64 s[0:1], 0
	global_store_byte v[0:1], v3, off
.LBB232_386:
	s_mov_b64 s[10:11], 0
.LBB232_387:
	s_and_b64 vcc, exec, s[10:11]
	s_cbranch_vccz .LBB232_426
; %bb.388:
	s_and_b32 s10, 0xffff, s14
	s_cmp_lt_i32 s10, 5
	s_mov_b64 s[8:9], -1
	s_cbranch_scc1 .LBB232_409
; %bb.389:
	s_cmp_lt_i32 s10, 8
	s_cbranch_scc1 .LBB232_399
; %bb.390:
	s_cmp_lt_i32 s10, 9
	s_cbranch_scc1 .LBB232_396
; %bb.391:
	s_cmp_gt_i32 s10, 9
	s_cbranch_scc0 .LBB232_393
; %bb.392:
	v_lshlrev_b32_e32 v3, 16, v2
	v_cvt_f64_f32_e32 v[3:4], v3
	v_mov_b32_e32 v5, 0
	v_mov_b32_e32 v6, v5
	s_mov_b64 s[8:9], 0
	global_store_dwordx4 v[0:1], v[3:6], off
.LBB232_393:
	s_andn2_b64 vcc, exec, s[8:9]
	s_cbranch_vccnz .LBB232_395
; %bb.394:
	v_lshlrev_b32_e32 v3, 16, v2
	v_mov_b32_e32 v4, 0
	global_store_dwordx2 v[0:1], v[3:4], off
.LBB232_395:
	s_mov_b64 s[8:9], 0
.LBB232_396:
	s_andn2_b64 vcc, exec, s[8:9]
	s_cbranch_vccnz .LBB232_398
; %bb.397:
	v_lshlrev_b32_e32 v3, 16, v2
	v_cvt_f16_f32_e32 v3, v3
	global_store_dword v[0:1], v3, off
.LBB232_398:
	s_mov_b64 s[8:9], 0
.LBB232_399:
	s_andn2_b64 vcc, exec, s[8:9]
	s_cbranch_vccnz .LBB232_408
; %bb.400:
	s_cmp_lt_i32 s10, 6
	s_mov_b64 s[8:9], -1
	s_cbranch_scc1 .LBB232_406
; %bb.401:
	s_cmp_gt_i32 s10, 6
	s_cbranch_scc0 .LBB232_403
; %bb.402:
	v_lshlrev_b32_e32 v3, 16, v2
	v_cvt_f64_f32_e32 v[3:4], v3
	s_mov_b64 s[8:9], 0
	global_store_dwordx2 v[0:1], v[3:4], off
.LBB232_403:
	s_andn2_b64 vcc, exec, s[8:9]
	s_cbranch_vccnz .LBB232_405
; %bb.404:
	v_lshlrev_b32_e32 v3, 16, v2
	global_store_dword v[0:1], v3, off
.LBB232_405:
	s_mov_b64 s[8:9], 0
.LBB232_406:
	s_andn2_b64 vcc, exec, s[8:9]
	s_cbranch_vccnz .LBB232_408
; %bb.407:
	v_lshlrev_b32_e32 v3, 16, v2
	v_cvt_f16_f32_e32 v3, v3
	global_store_short v[0:1], v3, off
.LBB232_408:
	s_mov_b64 s[8:9], 0
.LBB232_409:
	s_andn2_b64 vcc, exec, s[8:9]
	s_cbranch_vccnz .LBB232_425
; %bb.410:
	s_cmp_lt_i32 s10, 2
	s_mov_b64 s[8:9], -1
	s_cbranch_scc1 .LBB232_420
; %bb.411:
	s_cmp_lt_i32 s10, 3
	s_cbranch_scc1 .LBB232_417
; %bb.412:
	s_cmp_gt_i32 s10, 3
	s_cbranch_scc0 .LBB232_414
; %bb.413:
	v_lshlrev_b32_e32 v3, 16, v2
	v_trunc_f32_e32 v3, v3
	s_mov_b32 s8, 0x2f800000
	v_mul_f32_e64 v4, |v3|, s8
	v_floor_f32_e32 v4, v4
	s_mov_b32 s8, 0xcf800000
	v_cvt_u32_f32_e32 v5, v4
	v_fma_f32 v4, v4, s8, |v3|
	v_cvt_u32_f32_e32 v4, v4
	v_ashrrev_i32_e32 v6, 31, v3
	v_xor_b32_e32 v5, v5, v6
	s_mov_b64 s[8:9], 0
	v_xor_b32_e32 v3, v4, v6
	v_sub_co_u32_e32 v3, vcc, v3, v6
	v_subb_co_u32_e32 v4, vcc, v5, v6, vcc
	global_store_dwordx2 v[0:1], v[3:4], off
.LBB232_414:
	s_andn2_b64 vcc, exec, s[8:9]
	s_cbranch_vccnz .LBB232_416
; %bb.415:
	v_lshlrev_b32_e32 v3, 16, v2
	v_cvt_i32_f32_e32 v3, v3
	global_store_dword v[0:1], v3, off
.LBB232_416:
	s_mov_b64 s[8:9], 0
.LBB232_417:
	s_andn2_b64 vcc, exec, s[8:9]
	s_cbranch_vccnz .LBB232_419
; %bb.418:
	v_lshlrev_b32_e32 v3, 16, v2
	v_cvt_i32_f32_e32 v3, v3
	global_store_short v[0:1], v3, off
.LBB232_419:
	s_mov_b64 s[8:9], 0
.LBB232_420:
	s_andn2_b64 vcc, exec, s[8:9]
	s_cbranch_vccnz .LBB232_425
; %bb.421:
	s_mov_b64 s[8:9], -1
	s_cmp_gt_i32 s10, 0
	v_lshlrev_b32_e32 v2, 16, v2
	s_cbranch_scc0 .LBB232_423
; %bb.422:
	v_cvt_i32_f32_e32 v3, v2
	s_mov_b64 s[8:9], 0
	global_store_byte v[0:1], v3, off
.LBB232_423:
	s_andn2_b64 vcc, exec, s[8:9]
	s_cbranch_vccnz .LBB232_425
; %bb.424:
	v_trunc_f32_e32 v2, v2
	s_mov_b32 s8, 0x2f800000
	v_mul_f32_e64 v3, |v2|, s8
	v_floor_f32_e32 v3, v3
	s_mov_b32 s8, 0xcf800000
	v_fma_f32 v3, v3, s8, |v2|
	v_cvt_u32_f32_e32 v3, v3
	v_ashrrev_i32_e32 v2, 31, v2
	v_xor_b32_e32 v3, v3, v2
	v_sub_u32_e32 v2, v3, v2
	global_store_byte v[0:1], v2, off
.LBB232_425:
	s_mov_b64 s[8:9], -1
.LBB232_426:
	s_andn2_b64 vcc, exec, s[8:9]
	s_cbranch_vccnz .LBB232_428
; %bb.427:
	v_add_u32_e32 v8, 0x80, v8
	s_mov_b64 s[8:9], -1
	s_branch .LBB232_541
.LBB232_428:
	s_mov_b64 s[8:9], 0
	s_branch .LBB232_540
.LBB232_429:
	s_mov_b64 s[2:3], -1
                                        ; implicit-def: $vgpr3
.LBB232_430:
	s_mov_b64 s[8:9], 0
.LBB232_431:
	s_and_b64 vcc, exec, s[8:9]
	s_cbranch_vccz .LBB232_435
; %bb.432:
	s_cmp_eq_u32 s12, 29
	s_cbranch_scc0 .LBB232_434
; %bb.433:
	global_load_dwordx2 v[3:4], v[1:2], off
	s_movk_i32 s2, 0x7fff
	s_mov_b64 s[0:1], -1
	s_mov_b64 s[8:9], 0
	s_waitcnt vmcnt(0)
	v_ffbh_u32_e32 v5, v4
	v_min_u32_e32 v5, 32, v5
	v_lshlrev_b64 v[3:4], v5, v[3:4]
	v_min_u32_e32 v3, 1, v3
	v_or_b32_e32 v3, v4, v3
	v_cvt_f32_u32_e32 v3, v3
	v_sub_u32_e32 v4, 32, v5
	v_ldexp_f32 v3, v3, v4
	v_bfe_u32 v4, v3, 16, 1
	v_add3_u32 v3, v3, v4, s2
	v_lshrrev_b32_e32 v3, 16, v3
	s_mov_b64 s[2:3], 0
	s_branch .LBB232_436
.LBB232_434:
	s_mov_b64 s[2:3], -1
                                        ; implicit-def: $vgpr3
.LBB232_435:
	s_mov_b64 s[8:9], 0
.LBB232_436:
	s_and_b64 vcc, exec, s[8:9]
	s_cbranch_vccz .LBB232_454
; %bb.437:
	s_cmp_lt_i32 s12, 27
	s_cbranch_scc1 .LBB232_440
; %bb.438:
	s_cmp_gt_i32 s12, 27
	s_cbranch_scc0 .LBB232_441
; %bb.439:
	global_load_dword v3, v[1:2], off
	s_movk_i32 s0, 0x7fff
	s_waitcnt vmcnt(0)
	v_cvt_f32_u32_e32 v3, v3
	v_bfe_u32 v4, v3, 16, 1
	v_add3_u32 v3, v3, v4, s0
	v_lshrrev_b32_e32 v3, 16, v3
	s_mov_b64 s[0:1], 0
	s_branch .LBB232_442
.LBB232_440:
	s_mov_b64 s[0:1], -1
                                        ; implicit-def: $vgpr3
	s_branch .LBB232_445
.LBB232_441:
	s_mov_b64 s[0:1], -1
                                        ; implicit-def: $vgpr3
.LBB232_442:
	s_andn2_b64 vcc, exec, s[0:1]
	s_cbranch_vccnz .LBB232_444
; %bb.443:
	global_load_ushort v3, v[1:2], off
	s_movk_i32 s0, 0x7fff
	s_waitcnt vmcnt(0)
	v_cvt_f32_u32_e32 v3, v3
	v_bfe_u32 v4, v3, 16, 1
	v_add3_u32 v3, v3, v4, s0
	v_lshrrev_b32_e32 v3, 16, v3
.LBB232_444:
	s_mov_b64 s[0:1], 0
.LBB232_445:
	s_andn2_b64 vcc, exec, s[0:1]
	s_cbranch_vccnz .LBB232_453
; %bb.446:
	global_load_ubyte v3, v[1:2], off
	s_movk_i32 s0, 0x7f
	s_waitcnt vmcnt(0)
	v_cmp_lt_i16_e32 vcc, s0, v3
	s_mov_b64 s[0:1], 0
	s_and_saveexec_b64 s[8:9], vcc
	s_xor_b64 s[8:9], exec, s[8:9]
	s_cbranch_execz .LBB232_467
; %bb.447:
	s_movk_i32 s0, 0x80
	v_cmp_eq_u16_e32 vcc, s0, v3
	s_mov_b64 s[0:1], -1
	s_and_saveexec_b64 s[10:11], vcc
; %bb.448:
	s_xor_b64 s[0:1], exec, -1
; %bb.449:
	s_or_b64 exec, exec, s[10:11]
	s_and_b64 s[0:1], s[0:1], exec
	s_or_saveexec_b64 s[8:9], s[8:9]
	v_mov_b32_e32 v4, 0x7f800001
	s_xor_b64 exec, exec, s[8:9]
	s_cbranch_execnz .LBB232_468
.LBB232_450:
	s_or_b64 exec, exec, s[8:9]
	s_and_saveexec_b64 s[8:9], s[0:1]
	s_cbranch_execz .LBB232_452
.LBB232_451:
	v_lshlrev_b32_e32 v4, 24, v3
	v_and_b32_e32 v3, 0xffff, v3
	v_and_b32_e32 v5, 7, v3
	v_ffbh_u32_e32 v7, v5
	v_min_u32_e32 v7, 32, v7
	v_subrev_u32_e32 v9, 28, v7
	v_bfe_u32 v6, v3, 3, 4
	v_lshlrev_b32_e32 v3, v9, v3
	v_sub_u32_e32 v7, 29, v7
	v_and_b32_e32 v3, 7, v3
	v_cmp_eq_u32_e32 vcc, 0, v6
	v_cndmask_b32_e32 v6, v6, v7, vcc
	v_cndmask_b32_e32 v3, v5, v3, vcc
	v_mov_b32_e32 v5, 0x3b800000
	v_lshlrev_b32_e32 v3, 20, v3
	v_and_b32_e32 v4, 0x80000000, v4
	v_lshl_add_u32 v5, v6, 23, v5
	v_or3_b32 v4, v4, v5, v3
.LBB232_452:
	s_or_b64 exec, exec, s[8:9]
	v_bfe_u32 v3, v4, 16, 1
	s_movk_i32 s0, 0x7fff
	v_add3_u32 v3, v4, v3, s0
	v_cmp_o_f32_e32 vcc, v4, v4
	v_mov_b32_e32 v4, 0x7fc0
	v_cndmask_b32_sdwa v3, v4, v3, vcc dst_sel:DWORD dst_unused:UNUSED_PAD src0_sel:DWORD src1_sel:WORD_1
.LBB232_453:
	s_mov_b64 s[0:1], -1
.LBB232_454:
	s_mov_b64 s[8:9], 0
.LBB232_455:
	s_and_b64 vcc, exec, s[8:9]
	s_cbranch_vccz .LBB232_490
; %bb.456:
	s_cmp_gt_i32 s12, 22
	s_cbranch_scc0 .LBB232_466
; %bb.457:
	s_cmp_lt_i32 s12, 24
	s_cbranch_scc1 .LBB232_469
; %bb.458:
	s_cmp_gt_i32 s12, 24
	s_cbranch_scc0 .LBB232_470
; %bb.459:
	global_load_ubyte v3, v[1:2], off
	s_movk_i32 s0, 0x7f
	s_waitcnt vmcnt(0)
	v_cmp_lt_i16_e32 vcc, s0, v3
	s_mov_b64 s[0:1], 0
	s_and_saveexec_b64 s[8:9], vcc
	s_xor_b64 s[8:9], exec, s[8:9]
	s_cbranch_execz .LBB232_482
; %bb.460:
	s_movk_i32 s0, 0x80
	v_cmp_eq_u16_e32 vcc, s0, v3
	s_mov_b64 s[0:1], -1
	s_and_saveexec_b64 s[10:11], vcc
; %bb.461:
	s_xor_b64 s[0:1], exec, -1
; %bb.462:
	s_or_b64 exec, exec, s[10:11]
	s_and_b64 s[0:1], s[0:1], exec
	s_or_saveexec_b64 s[8:9], s[8:9]
	v_mov_b32_e32 v4, 0x7f800001
	s_xor_b64 exec, exec, s[8:9]
	s_cbranch_execnz .LBB232_483
.LBB232_463:
	s_or_b64 exec, exec, s[8:9]
	s_and_saveexec_b64 s[8:9], s[0:1]
	s_cbranch_execz .LBB232_465
.LBB232_464:
	v_lshlrev_b32_e32 v4, 24, v3
	v_and_b32_e32 v3, 0xffff, v3
	v_and_b32_e32 v5, 3, v3
	v_ffbh_u32_e32 v7, v5
	v_min_u32_e32 v7, 32, v7
	v_subrev_u32_e32 v9, 29, v7
	v_bfe_u32 v6, v3, 2, 5
	v_lshlrev_b32_e32 v3, v9, v3
	v_sub_u32_e32 v7, 30, v7
	v_and_b32_e32 v3, 3, v3
	v_cmp_eq_u32_e32 vcc, 0, v6
	v_cndmask_b32_e32 v6, v6, v7, vcc
	v_cndmask_b32_e32 v3, v5, v3, vcc
	v_mov_b32_e32 v5, 0x37800000
	v_lshlrev_b32_e32 v3, 21, v3
	v_and_b32_e32 v4, 0x80000000, v4
	v_lshl_add_u32 v5, v6, 23, v5
	v_or3_b32 v4, v4, v5, v3
.LBB232_465:
	s_or_b64 exec, exec, s[8:9]
	v_bfe_u32 v3, v4, 16, 1
	s_movk_i32 s0, 0x7fff
	v_add3_u32 v3, v4, v3, s0
	v_cmp_o_f32_e32 vcc, v4, v4
	v_mov_b32_e32 v4, 0x7fc0
	v_cndmask_b32_sdwa v3, v4, v3, vcc dst_sel:DWORD dst_unused:UNUSED_PAD src0_sel:DWORD src1_sel:WORD_1
	s_mov_b64 s[0:1], 0
	s_branch .LBB232_471
.LBB232_466:
	s_mov_b64 s[8:9], -1
                                        ; implicit-def: $vgpr3
	s_branch .LBB232_477
.LBB232_467:
	s_or_saveexec_b64 s[8:9], s[8:9]
	v_mov_b32_e32 v4, 0x7f800001
	s_xor_b64 exec, exec, s[8:9]
	s_cbranch_execz .LBB232_450
.LBB232_468:
	v_cmp_ne_u16_e32 vcc, 0, v3
	s_andn2_b64 s[0:1], s[0:1], exec
	s_and_b64 s[10:11], vcc, exec
	v_mov_b32_e32 v4, 0
	s_or_b64 s[0:1], s[0:1], s[10:11]
	s_or_b64 exec, exec, s[8:9]
	s_and_saveexec_b64 s[8:9], s[0:1]
	s_cbranch_execnz .LBB232_451
	s_branch .LBB232_452
.LBB232_469:
	s_mov_b64 s[0:1], -1
                                        ; implicit-def: $vgpr3
	s_branch .LBB232_474
.LBB232_470:
	s_mov_b64 s[0:1], -1
                                        ; implicit-def: $vgpr3
.LBB232_471:
	s_and_b64 vcc, exec, s[0:1]
	s_cbranch_vccz .LBB232_473
; %bb.472:
	global_load_ubyte v3, v[1:2], off
	s_mov_b32 s0, 0x7f800000
	s_brev_b32 s1, 1
	s_movk_i32 s8, 0x7fff
	s_waitcnt vmcnt(0)
	v_lshlrev_b32_e32 v3, 24, v3
	v_and_b32_e32 v4, 0x7f000000, v3
	v_ffbh_u32_e32 v5, v4
	v_min_u32_e32 v5, 32, v5
	v_sub_u32_e64 v5, v5, 4 clamp
	v_lshlrev_b32_e32 v7, v5, v4
	v_lshlrev_b32_e32 v5, 23, v5
	v_lshrrev_b32_e32 v7, 4, v7
	v_add_u32_e32 v6, 0x1000000, v4
	v_sub_u32_e32 v5, v7, v5
	v_ashrrev_i32_e32 v6, 8, v6
	v_add_u32_e32 v5, 0x3c000000, v5
	v_and_or_b32 v5, v6, s0, v5
	v_cmp_ne_u32_e32 vcc, 0, v4
	v_cndmask_b32_e32 v4, 0, v5, vcc
	v_and_or_b32 v3, v3, s1, v4
	v_bfe_u32 v4, v4, 16, 1
	v_add3_u32 v4, v3, v4, s8
	v_cmp_o_f32_e32 vcc, v3, v3
	v_mov_b32_e32 v3, 0x7fc0
	v_cndmask_b32_sdwa v3, v3, v4, vcc dst_sel:DWORD dst_unused:UNUSED_PAD src0_sel:DWORD src1_sel:WORD_1
.LBB232_473:
	s_mov_b64 s[0:1], 0
.LBB232_474:
	s_andn2_b64 vcc, exec, s[0:1]
	s_cbranch_vccnz .LBB232_476
; %bb.475:
	global_load_ubyte v3, v[1:2], off
	s_movk_i32 s0, 0x7f00
	s_brev_b32 s1, 16
	s_brev_b32 s8, 1
	s_movk_i32 s9, 0x7fff
	s_waitcnt vmcnt(0)
	v_lshlrev_b16_e32 v4, 8, v3
	v_lshlrev_b32_e32 v3, 25, v3
	v_lshrrev_b32_e32 v5, 4, v3
	v_and_or_b32 v6, v4, s0, 0.5
	v_or_b32_e32 v5, 0x70000000, v5
	v_add_f32_e32 v6, -0.5, v6
	v_mul_f32_e32 v5, 0x7800000, v5
	v_cmp_gt_u32_e32 vcc, s1, v3
	v_bfe_i32 v4, v4, 0, 16
	v_cndmask_b32_e32 v3, v5, v6, vcc
	v_and_or_b32 v4, v4, s8, v3
	v_bfe_u32 v3, v3, 16, 1
	v_add3_u32 v3, v4, v3, s9
	v_cmp_o_f32_e32 vcc, v4, v4
	v_mov_b32_e32 v4, 0x7fc0
	v_cndmask_b32_sdwa v3, v4, v3, vcc dst_sel:DWORD dst_unused:UNUSED_PAD src0_sel:DWORD src1_sel:WORD_1
.LBB232_476:
	s_mov_b64 s[8:9], 0
	s_mov_b64 s[0:1], -1
.LBB232_477:
	s_andn2_b64 vcc, exec, s[8:9]
	s_cbranch_vccnz .LBB232_490
; %bb.478:
	s_cmp_gt_i32 s12, 14
	s_cbranch_scc0 .LBB232_481
; %bb.479:
	s_cmp_eq_u32 s12, 15
	s_cbranch_scc0 .LBB232_484
; %bb.480:
	global_load_ushort v3, v[1:2], off
	s_mov_b64 s[0:1], -1
	s_mov_b64 s[2:3], 0
	s_branch .LBB232_485
.LBB232_481:
	s_mov_b64 s[8:9], -1
                                        ; implicit-def: $vgpr3
	s_branch .LBB232_486
.LBB232_482:
	s_or_saveexec_b64 s[8:9], s[8:9]
	v_mov_b32_e32 v4, 0x7f800001
	s_xor_b64 exec, exec, s[8:9]
	s_cbranch_execz .LBB232_463
.LBB232_483:
	v_cmp_ne_u16_e32 vcc, 0, v3
	s_andn2_b64 s[0:1], s[0:1], exec
	s_and_b64 s[10:11], vcc, exec
	v_mov_b32_e32 v4, 0
	s_or_b64 s[0:1], s[0:1], s[10:11]
	s_or_b64 exec, exec, s[8:9]
	s_and_saveexec_b64 s[8:9], s[0:1]
	s_cbranch_execnz .LBB232_464
	s_branch .LBB232_465
.LBB232_484:
	s_mov_b64 s[2:3], -1
                                        ; implicit-def: $vgpr3
.LBB232_485:
	s_mov_b64 s[8:9], 0
.LBB232_486:
	s_and_b64 vcc, exec, s[8:9]
	s_cbranch_vccz .LBB232_490
; %bb.487:
	s_cmp_eq_u32 s12, 11
	s_cbranch_scc0 .LBB232_489
; %bb.488:
	global_load_ubyte v3, v[1:2], off
	s_mov_b64 s[0:1], -1
	s_mov_b64 s[2:3], 0
	s_waitcnt vmcnt(0)
	v_cmp_ne_u16_e32 vcc, 0, v3
	v_cndmask_b32_e64 v3, 0, 1.0, vcc
	v_lshrrev_b32_e32 v3, 16, v3
	s_branch .LBB232_490
.LBB232_489:
	s_mov_b64 s[2:3], -1
                                        ; implicit-def: $vgpr3
.LBB232_490:
	s_branch .LBB232_293
.LBB232_491:
	s_cmp_lt_i32 s12, 5
	s_cbranch_scc1 .LBB232_496
; %bb.492:
	s_cmp_lt_i32 s12, 8
	s_cbranch_scc1 .LBB232_497
; %bb.493:
	;; [unrolled: 3-line block ×3, first 2 shown]
	s_cmp_gt_i32 s12, 9
	s_cbranch_scc0 .LBB232_499
; %bb.495:
	global_load_dwordx2 v[3:4], v[1:2], off
	s_movk_i32 s0, 0x7fff
	s_waitcnt vmcnt(0)
	v_cvt_f32_f64_e32 v3, v[3:4]
	v_mov_b32_e32 v4, 0x7fc0
	v_bfe_u32 v5, v3, 16, 1
	v_cmp_o_f32_e32 vcc, v3, v3
	v_add3_u32 v3, v3, v5, s0
	v_cndmask_b32_sdwa v3, v4, v3, vcc dst_sel:DWORD dst_unused:UNUSED_PAD src0_sel:DWORD src1_sel:WORD_1
	s_mov_b64 s[0:1], 0
	s_branch .LBB232_500
.LBB232_496:
	s_mov_b64 s[0:1], -1
                                        ; implicit-def: $vgpr3
	s_branch .LBB232_518
.LBB232_497:
	s_mov_b64 s[0:1], -1
                                        ; implicit-def: $vgpr3
	s_branch .LBB232_506
.LBB232_498:
	s_mov_b64 s[0:1], -1
                                        ; implicit-def: $vgpr3
	s_branch .LBB232_503
.LBB232_499:
	s_mov_b64 s[0:1], -1
                                        ; implicit-def: $vgpr3
.LBB232_500:
	s_andn2_b64 vcc, exec, s[0:1]
	s_cbranch_vccnz .LBB232_502
; %bb.501:
	global_load_dword v3, v[1:2], off
	s_movk_i32 s0, 0x7fff
	v_mov_b32_e32 v4, 0x7fc0
	s_waitcnt vmcnt(0)
	v_bfe_u32 v5, v3, 16, 1
	v_cmp_o_f32_e32 vcc, v3, v3
	v_add3_u32 v3, v3, v5, s0
	v_cndmask_b32_sdwa v3, v4, v3, vcc dst_sel:DWORD dst_unused:UNUSED_PAD src0_sel:DWORD src1_sel:WORD_1
.LBB232_502:
	s_mov_b64 s[0:1], 0
.LBB232_503:
	s_andn2_b64 vcc, exec, s[0:1]
	s_cbranch_vccnz .LBB232_505
; %bb.504:
	global_load_dword v3, v[1:2], off
	s_movk_i32 s0, 0x7fff
	v_mov_b32_e32 v5, 0x7fc0
	s_waitcnt vmcnt(0)
	v_cvt_f32_f16_e32 v4, v3
	v_cmp_o_f16_e32 vcc, v3, v3
	v_bfe_u32 v3, v4, 16, 1
	v_add3_u32 v3, v4, v3, s0
	v_cndmask_b32_sdwa v3, v5, v3, vcc dst_sel:DWORD dst_unused:UNUSED_PAD src0_sel:DWORD src1_sel:WORD_1
.LBB232_505:
	s_mov_b64 s[0:1], 0
.LBB232_506:
	s_andn2_b64 vcc, exec, s[0:1]
	s_cbranch_vccnz .LBB232_517
; %bb.507:
	s_cmp_lt_i32 s12, 6
	s_cbranch_scc1 .LBB232_510
; %bb.508:
	s_cmp_gt_i32 s12, 6
	s_cbranch_scc0 .LBB232_511
; %bb.509:
	global_load_dwordx2 v[3:4], v[1:2], off
	s_movk_i32 s0, 0x7fff
	s_waitcnt vmcnt(0)
	v_cvt_f32_f64_e32 v3, v[3:4]
	v_mov_b32_e32 v4, 0x7fc0
	v_bfe_u32 v5, v3, 16, 1
	v_cmp_o_f32_e32 vcc, v3, v3
	v_add3_u32 v3, v3, v5, s0
	v_cndmask_b32_sdwa v3, v4, v3, vcc dst_sel:DWORD dst_unused:UNUSED_PAD src0_sel:DWORD src1_sel:WORD_1
	s_mov_b64 s[0:1], 0
	s_branch .LBB232_512
.LBB232_510:
	s_mov_b64 s[0:1], -1
                                        ; implicit-def: $vgpr3
	s_branch .LBB232_515
.LBB232_511:
	s_mov_b64 s[0:1], -1
                                        ; implicit-def: $vgpr3
.LBB232_512:
	s_andn2_b64 vcc, exec, s[0:1]
	s_cbranch_vccnz .LBB232_514
; %bb.513:
	global_load_dword v3, v[1:2], off
	s_movk_i32 s0, 0x7fff
	v_mov_b32_e32 v4, 0x7fc0
	s_waitcnt vmcnt(0)
	v_bfe_u32 v5, v3, 16, 1
	v_cmp_o_f32_e32 vcc, v3, v3
	v_add3_u32 v3, v3, v5, s0
	v_cndmask_b32_sdwa v3, v4, v3, vcc dst_sel:DWORD dst_unused:UNUSED_PAD src0_sel:DWORD src1_sel:WORD_1
.LBB232_514:
	s_mov_b64 s[0:1], 0
.LBB232_515:
	s_andn2_b64 vcc, exec, s[0:1]
	s_cbranch_vccnz .LBB232_517
; %bb.516:
	global_load_ushort v3, v[1:2], off
	s_movk_i32 s0, 0x7fff
	v_mov_b32_e32 v5, 0x7fc0
	s_waitcnt vmcnt(0)
	v_cvt_f32_f16_e32 v4, v3
	v_cmp_o_f16_e32 vcc, v3, v3
	v_bfe_u32 v3, v4, 16, 1
	v_add3_u32 v3, v4, v3, s0
	v_cndmask_b32_sdwa v3, v5, v3, vcc dst_sel:DWORD dst_unused:UNUSED_PAD src0_sel:DWORD src1_sel:WORD_1
.LBB232_517:
	s_mov_b64 s[0:1], 0
.LBB232_518:
	s_andn2_b64 vcc, exec, s[0:1]
	s_cbranch_vccnz .LBB232_538
; %bb.519:
	s_cmp_lt_i32 s12, 2
	s_cbranch_scc1 .LBB232_523
; %bb.520:
	s_cmp_lt_i32 s12, 3
	s_cbranch_scc1 .LBB232_524
; %bb.521:
	s_cmp_gt_i32 s12, 3
	s_cbranch_scc0 .LBB232_525
; %bb.522:
	global_load_dwordx2 v[3:4], v[1:2], off
	s_movk_i32 s0, 0x7fff
	s_waitcnt vmcnt(0)
	v_xor_b32_e32 v6, v3, v4
	v_ffbh_i32_e32 v5, v4
	v_ashrrev_i32_e32 v6, 31, v6
	v_add_u32_e32 v5, -1, v5
	v_add_u32_e32 v6, 32, v6
	v_min_u32_e32 v5, v5, v6
	v_lshlrev_b64 v[3:4], v5, v[3:4]
	v_min_u32_e32 v3, 1, v3
	v_or_b32_e32 v3, v4, v3
	v_cvt_f32_i32_e32 v3, v3
	v_sub_u32_e32 v4, 32, v5
	v_ldexp_f32 v3, v3, v4
	v_bfe_u32 v4, v3, 16, 1
	v_add3_u32 v3, v3, v4, s0
	v_lshrrev_b32_e32 v3, 16, v3
	s_mov_b64 s[0:1], 0
	s_branch .LBB232_526
.LBB232_523:
	s_mov_b64 s[0:1], -1
                                        ; implicit-def: $vgpr3
	s_branch .LBB232_532
.LBB232_524:
	s_mov_b64 s[0:1], -1
                                        ; implicit-def: $vgpr3
	s_branch .LBB232_529
.LBB232_525:
	s_mov_b64 s[0:1], -1
                                        ; implicit-def: $vgpr3
.LBB232_526:
	s_andn2_b64 vcc, exec, s[0:1]
	s_cbranch_vccnz .LBB232_528
; %bb.527:
	global_load_dword v3, v[1:2], off
	s_movk_i32 s0, 0x7fff
	s_waitcnt vmcnt(0)
	v_cvt_f32_i32_e32 v3, v3
	v_bfe_u32 v4, v3, 16, 1
	v_add3_u32 v3, v3, v4, s0
	v_lshrrev_b32_e32 v3, 16, v3
.LBB232_528:
	s_mov_b64 s[0:1], 0
.LBB232_529:
	s_andn2_b64 vcc, exec, s[0:1]
	s_cbranch_vccnz .LBB232_531
; %bb.530:
	global_load_sshort v3, v[1:2], off
	s_movk_i32 s0, 0x7fff
	s_waitcnt vmcnt(0)
	v_cvt_f32_i32_e32 v3, v3
	v_bfe_u32 v4, v3, 16, 1
	v_add3_u32 v3, v3, v4, s0
	v_lshrrev_b32_e32 v3, 16, v3
.LBB232_531:
	s_mov_b64 s[0:1], 0
.LBB232_532:
	s_andn2_b64 vcc, exec, s[0:1]
	s_cbranch_vccnz .LBB232_538
; %bb.533:
	s_cmp_gt_i32 s12, 0
	s_cbranch_scc0 .LBB232_535
; %bb.534:
	global_load_sbyte v3, v[1:2], off
	s_movk_i32 s0, 0x7fff
	s_waitcnt vmcnt(0)
	v_cvt_f32_i32_e32 v3, v3
	v_bfe_u32 v4, v3, 16, 1
	v_add3_u32 v3, v3, v4, s0
	v_lshrrev_b32_e32 v3, 16, v3
	s_mov_b64 s[0:1], 0
	s_branch .LBB232_536
.LBB232_535:
	s_mov_b64 s[0:1], -1
                                        ; implicit-def: $vgpr3
.LBB232_536:
	s_andn2_b64 vcc, exec, s[0:1]
	s_cbranch_vccnz .LBB232_538
; %bb.537:
	global_load_ubyte v1, v[1:2], off
	s_movk_i32 s0, 0x7fff
	s_waitcnt vmcnt(0)
	v_cvt_f32_ubyte0_e32 v1, v1
	v_bfe_u32 v2, v1, 16, 1
	v_add3_u32 v1, v1, v2, s0
	v_lshrrev_b32_e32 v3, 16, v1
.LBB232_538:
	s_branch .LBB232_294
.LBB232_539:
	s_mov_b64 s[8:9], 0
	s_mov_b64 s[0:1], s[54:55]
.LBB232_540:
                                        ; implicit-def: $vgpr8
.LBB232_541:
	s_andn2_b64 s[10:11], s[54:55], exec
	s_and_b64 s[0:1], s[0:1], exec
	s_or_b64 s[62:63], s[10:11], s[0:1]
	s_andn2_b64 s[0:1], s[56:57], exec
	s_and_b64 s[2:3], s[2:3], exec
	s_or_b64 s[60:61], s[0:1], s[2:3]
	s_orn2_b64 s[0:1], s[8:9], exec
.LBB232_542:
	s_or_b64 exec, exec, s[64:65]
	s_mov_b64 s[2:3], 0
	s_mov_b64 s[8:9], 0
	;; [unrolled: 1-line block ×3, first 2 shown]
                                        ; implicit-def: $vgpr1_vgpr2
                                        ; implicit-def: $vgpr0
                                        ; implicit-def: $vgpr4
	s_and_saveexec_b64 s[64:65], s[0:1]
	s_cbranch_execz .LBB232_917
; %bb.543:
	v_cmp_gt_i32_e32 vcc, s72, v8
	s_mov_b64 s[2:3], -1
	s_mov_b64 s[68:69], s[60:61]
	s_mov_b64 s[70:71], s[62:63]
	s_and_saveexec_b64 s[66:67], vcc
	s_cbranch_execz .LBB232_817
; %bb.544:
	s_andn2_b64 vcc, exec, s[40:41]
	s_cbranch_vccnz .LBB232_549
; %bb.545:
	s_andn2_b64 vcc, exec, s[52:53]
	s_cbranch_vccnz .LBB232_550
; %bb.546:
	s_add_i32 s79, s78, 1
	s_cmp_eq_u32 s74, 2
	s_cbranch_scc1 .LBB232_551
; %bb.547:
	s_and_b32 s73, s79, 28
	v_mov_b32_e32 v2, 0
	s_mov_b32 s80, 0
	s_mov_b64 s[68:69], s[34:35]
	s_mov_b64 s[70:71], s[50:51]
	v_mov_b32_e32 v0, 0
	v_mov_b32_e32 v1, v8
.LBB232_548:                            ; =>This Inner Loop Header: Depth=1
	s_load_dwordx8 s[16:23], s[68:69], 0x4
	s_load_dwordx4 s[0:3], s[68:69], 0x24
	s_load_dwordx8 s[8:15], s[70:71], 0x0
	s_add_u32 s68, s68, 48
	s_addc_u32 s69, s69, 0
	s_waitcnt vmcnt(0) lgkmcnt(0)
	v_mul_hi_u32 v3, s17, v1
	s_add_i32 s80, s80, 4
	s_add_u32 s70, s70, 32
	s_addc_u32 s71, s71, 0
	v_add_u32_e32 v3, v1, v3
	v_lshrrev_b32_e32 v3, s18, v3
	v_mul_lo_u32 v4, v3, s16
	v_mul_hi_u32 v5, s20, v3
	s_cmp_eq_u32 s73, s80
	v_sub_u32_e32 v1, v1, v4
	v_add_u32_e32 v4, v3, v5
	v_mul_lo_u32 v5, v1, s8
	v_mul_lo_u32 v6, v1, s9
	v_lshrrev_b32_e32 v1, s21, v4
	v_mul_lo_u32 v4, v1, s19
	v_mul_hi_u32 v7, s23, v1
	v_sub_u32_e32 v3, v3, v4
	v_add_u32_e32 v4, v1, v7
	v_lshrrev_b32_e32 v4, s0, v4
	v_mul_hi_u32 v9, s2, v4
	v_mul_lo_u32 v10, v4, s22
	v_mul_lo_u32 v7, v3, s10
	;; [unrolled: 1-line block ×3, first 2 shown]
	v_sub_u32_e32 v10, v1, v10
	v_add_u32_e32 v1, v4, v9
	v_lshrrev_b32_e32 v1, s3, v1
	v_mul_lo_u32 v9, v1, s1
	v_mul_lo_u32 v11, v10, s12
	;; [unrolled: 1-line block ×3, first 2 shown]
	v_add3_u32 v0, v5, v0, v7
	v_sub_u32_e32 v4, v4, v9
	v_mul_lo_u32 v9, v4, s14
	v_mul_lo_u32 v4, v4, s15
	v_add3_u32 v2, v6, v2, v3
	v_add3_u32 v0, v11, v0, v9
	;; [unrolled: 1-line block ×3, first 2 shown]
	s_cbranch_scc0 .LBB232_548
	s_branch .LBB232_552
.LBB232_549:
	s_mov_b64 s[0:1], -1
                                        ; implicit-def: $vgpr0
                                        ; implicit-def: $vgpr2
	s_branch .LBB232_556
.LBB232_550:
	v_mov_b32_e32 v0, 0
	v_mov_b32_e32 v2, 0
	s_branch .LBB232_555
.LBB232_551:
	s_mov_b32 s73, 0
	v_mov_b32_e32 v0, 0
	v_mov_b32_e32 v2, 0
	;; [unrolled: 1-line block ×3, first 2 shown]
.LBB232_552:
	s_and_b32 s8, s79, 3
	s_cmp_eq_u32 s8, 0
	s_cbranch_scc1 .LBB232_555
; %bb.553:
	s_lshl_b32 s0, s73, 3
	s_add_u32 s0, s34, s0
	s_addc_u32 s1, s35, 0
	s_add_u32 s0, s0, 0xc4
	s_addc_u32 s1, s1, 0
	s_mul_i32 s2, s73, 12
	s_add_u32 s2, s34, s2
	s_addc_u32 s3, s35, 0
.LBB232_554:                            ; =>This Inner Loop Header: Depth=1
	s_load_dwordx2 s[10:11], s[2:3], 0x4
	s_load_dword s9, s[2:3], 0xc
	s_load_dwordx2 s[12:13], s[0:1], 0x0
	s_add_u32 s2, s2, 12
	s_addc_u32 s3, s3, 0
	s_waitcnt vmcnt(0) lgkmcnt(0)
	v_mul_hi_u32 v3, s11, v1
	s_add_u32 s0, s0, 8
	s_addc_u32 s1, s1, 0
	s_add_i32 s8, s8, -1
	v_add_u32_e32 v3, v1, v3
	v_lshrrev_b32_e32 v4, s9, v3
	v_mul_lo_u32 v3, v4, s10
	s_cmp_lg_u32 s8, 0
	v_sub_u32_e32 v3, v1, v3
	v_mad_u64_u32 v[0:1], s[10:11], v3, s12, v[0:1]
	v_mad_u64_u32 v[2:3], s[10:11], v3, s13, v[2:3]
	v_mov_b32_e32 v1, v4
	s_cbranch_scc1 .LBB232_554
.LBB232_555:
	s_mov_b64 s[0:1], 0
.LBB232_556:
	s_andn2_b64 vcc, exec, s[0:1]
	s_cbranch_vccnz .LBB232_559
; %bb.557:
	v_mul_hi_u32 v0, s29, v8
	s_andn2_b64 vcc, exec, s[48:49]
	v_add_u32_e32 v0, v8, v0
	v_lshrrev_b32_e32 v1, s30, v0
	v_mul_lo_u32 v0, v1, s28
	v_sub_u32_e32 v2, v8, v0
	v_mul_lo_u32 v0, v2, s36
	v_mul_lo_u32 v2, v2, s37
	s_cbranch_vccnz .LBB232_559
; %bb.558:
	s_waitcnt vmcnt(0)
	v_mul_hi_u32 v3, s46, v1
	v_add_u32_e32 v3, v1, v3
	v_lshrrev_b32_e32 v3, s47, v3
	v_mul_lo_u32 v3, v3, s31
	v_sub_u32_e32 v3, v1, v3
	v_mad_u64_u32 v[0:1], s[0:1], v3, s38, v[0:1]
	v_mad_u64_u32 v[2:3], s[0:1], v3, s39, v[2:3]
.LBB232_559:
	s_waitcnt vmcnt(0)
	v_mov_b32_e32 v3, s27
	s_and_b32 s12, 0xffff, s77
	v_add_co_u32_e32 v1, vcc, s26, v2
	s_cmp_lt_i32 s12, 11
	v_addc_co_u32_e32 v2, vcc, 0, v3, vcc
	s_cbranch_scc1 .LBB232_566
; %bb.560:
	s_cmp_gt_i32 s12, 25
	s_cbranch_scc0 .LBB232_567
; %bb.561:
	s_cmp_gt_i32 s12, 28
	s_cbranch_scc0 .LBB232_568
	;; [unrolled: 3-line block ×4, first 2 shown]
; %bb.564:
	s_cmp_eq_u32 s12, 46
	s_mov_b64 s[8:9], 0
	s_cbranch_scc0 .LBB232_575
; %bb.565:
	global_load_dword v3, v[1:2], off
	s_mov_b64 s[0:1], -1
	s_mov_b64 s[2:3], 0
	s_branch .LBB232_576
.LBB232_566:
	s_mov_b64 s[8:9], -1
	s_mov_b64 s[0:1], 0
                                        ; implicit-def: $vgpr3
	s_mov_b64 s[2:3], s[60:61]
	s_branch .LBB232_641
.LBB232_567:
	s_mov_b64 s[8:9], -1
	s_mov_b64 s[0:1], 0
	s_mov_b64 s[2:3], s[60:61]
                                        ; implicit-def: $vgpr3
	s_branch .LBB232_605
.LBB232_568:
	s_mov_b64 s[8:9], -1
	s_mov_b64 s[0:1], 0
	s_mov_b64 s[2:3], s[60:61]
                                        ; implicit-def: $vgpr3
	s_branch .LBB232_586
.LBB232_569:
	s_mov_b64 s[8:9], -1
	s_mov_b64 s[0:1], 0
	s_mov_b64 s[2:3], s[60:61]
                                        ; implicit-def: $vgpr3
	s_branch .LBB232_581
.LBB232_570:
	s_andn2_saveexec_b64 s[12:13], s[12:13]
	s_cbranch_execz .LBB232_339
.LBB232_571:
	s_mov_b32 s16, 0x46000000
	v_add_f32_e64 v4, |v5|, s16
	v_and_b32_e32 v4, 0xff, v4
	v_cmp_ne_u32_e32 vcc, 0, v4
	s_andn2_b64 s[10:11], s[10:11], exec
	s_and_b64 s[16:17], vcc, exec
	s_or_b64 s[10:11], s[10:11], s[16:17]
	s_or_b64 exec, exec, s[12:13]
	v_mov_b32_e32 v6, 0
	s_and_saveexec_b64 s[12:13], s[10:11]
	s_cbranch_execnz .LBB232_340
	s_branch .LBB232_341
.LBB232_572:
	s_mov_b64 s[8:9], -1
	s_mov_b64 s[0:1], 0
	s_mov_b64 s[2:3], s[60:61]
                                        ; implicit-def: $vgpr3
	s_branch .LBB232_576
.LBB232_573:
	s_andn2_saveexec_b64 s[12:13], s[12:13]
	s_cbranch_execz .LBB232_352
.LBB232_574:
	s_mov_b32 s16, 0x42800000
	v_add_f32_e64 v4, |v5|, s16
	v_and_b32_e32 v4, 0xff, v4
	v_cmp_ne_u32_e32 vcc, 0, v4
	s_andn2_b64 s[10:11], s[10:11], exec
	s_and_b64 s[16:17], vcc, exec
	s_or_b64 s[10:11], s[10:11], s[16:17]
	s_or_b64 exec, exec, s[12:13]
	v_mov_b32_e32 v6, 0
	s_and_saveexec_b64 s[12:13], s[10:11]
	s_cbranch_execnz .LBB232_353
	s_branch .LBB232_354
.LBB232_575:
	s_mov_b64 s[2:3], -1
                                        ; implicit-def: $vgpr3
	s_mov_b64 s[0:1], 0
.LBB232_576:
	s_and_b64 vcc, exec, s[8:9]
	s_cbranch_vccz .LBB232_580
; %bb.577:
	s_cmp_eq_u32 s12, 44
	s_cbranch_scc0 .LBB232_579
; %bb.578:
	global_load_ubyte v3, v[1:2], off
	s_movk_i32 s2, 0xff
	v_mov_b32_e32 v4, 0x7f800001
	v_mov_b32_e32 v5, 0x400000
	;; [unrolled: 1-line block ×3, first 2 shown]
	s_mov_b64 s[0:1], -1
	s_waitcnt vmcnt(0)
	v_lshlrev_b32_e32 v7, 23, v3
	v_cmp_ne_u32_e32 vcc, s2, v3
	v_cndmask_b32_e32 v4, v4, v7, vcc
	v_cmp_ne_u32_e32 vcc, 0, v3
	v_cndmask_b32_e32 v3, v5, v4, vcc
	v_add_u32_e32 v4, 0x7fff, v3
	v_cmp_o_f32_e32 vcc, v3, v3
	v_cndmask_b32_sdwa v3, v6, v4, vcc dst_sel:DWORD dst_unused:UNUSED_PAD src0_sel:DWORD src1_sel:WORD_1
	s_mov_b64 s[2:3], 0
	s_branch .LBB232_580
.LBB232_579:
	s_mov_b64 s[2:3], -1
                                        ; implicit-def: $vgpr3
.LBB232_580:
	s_mov_b64 s[8:9], 0
.LBB232_581:
	s_and_b64 vcc, exec, s[8:9]
	s_cbranch_vccz .LBB232_585
; %bb.582:
	s_cmp_eq_u32 s12, 29
	s_cbranch_scc0 .LBB232_584
; %bb.583:
	global_load_dwordx2 v[3:4], v[1:2], off
	s_movk_i32 s2, 0x7fff
	s_mov_b64 s[0:1], -1
	s_mov_b64 s[8:9], 0
	s_waitcnt vmcnt(0)
	v_ffbh_u32_e32 v5, v4
	v_min_u32_e32 v5, 32, v5
	v_lshlrev_b64 v[3:4], v5, v[3:4]
	v_min_u32_e32 v3, 1, v3
	v_or_b32_e32 v3, v4, v3
	v_cvt_f32_u32_e32 v3, v3
	v_sub_u32_e32 v4, 32, v5
	v_ldexp_f32 v3, v3, v4
	v_bfe_u32 v4, v3, 16, 1
	v_add3_u32 v3, v3, v4, s2
	v_lshrrev_b32_e32 v3, 16, v3
	s_mov_b64 s[2:3], 0
	s_branch .LBB232_586
.LBB232_584:
	s_mov_b64 s[2:3], -1
                                        ; implicit-def: $vgpr3
.LBB232_585:
	s_mov_b64 s[8:9], 0
.LBB232_586:
	s_and_b64 vcc, exec, s[8:9]
	s_cbranch_vccz .LBB232_604
; %bb.587:
	s_cmp_lt_i32 s12, 27
	s_cbranch_scc1 .LBB232_590
; %bb.588:
	s_cmp_gt_i32 s12, 27
	s_cbranch_scc0 .LBB232_591
; %bb.589:
	global_load_dword v3, v[1:2], off
	s_movk_i32 s0, 0x7fff
	s_waitcnt vmcnt(0)
	v_cvt_f32_u32_e32 v3, v3
	v_bfe_u32 v4, v3, 16, 1
	v_add3_u32 v3, v3, v4, s0
	v_lshrrev_b32_e32 v3, 16, v3
	s_mov_b64 s[0:1], 0
	s_branch .LBB232_592
.LBB232_590:
	s_mov_b64 s[0:1], -1
                                        ; implicit-def: $vgpr3
	s_branch .LBB232_595
.LBB232_591:
	s_mov_b64 s[0:1], -1
                                        ; implicit-def: $vgpr3
.LBB232_592:
	s_andn2_b64 vcc, exec, s[0:1]
	s_cbranch_vccnz .LBB232_594
; %bb.593:
	global_load_ushort v3, v[1:2], off
	s_movk_i32 s0, 0x7fff
	s_waitcnt vmcnt(0)
	v_cvt_f32_u32_e32 v3, v3
	v_bfe_u32 v4, v3, 16, 1
	v_add3_u32 v3, v3, v4, s0
	v_lshrrev_b32_e32 v3, 16, v3
.LBB232_594:
	s_mov_b64 s[0:1], 0
.LBB232_595:
	s_andn2_b64 vcc, exec, s[0:1]
	s_cbranch_vccnz .LBB232_603
; %bb.596:
	global_load_ubyte v3, v[1:2], off
	s_movk_i32 s0, 0x7f
	s_waitcnt vmcnt(0)
	v_cmp_lt_i16_e32 vcc, s0, v3
	s_mov_b64 s[0:1], 0
	s_and_saveexec_b64 s[8:9], vcc
	s_xor_b64 s[8:9], exec, s[8:9]
	s_cbranch_execz .LBB232_617
; %bb.597:
	s_movk_i32 s0, 0x80
	v_cmp_eq_u16_e32 vcc, s0, v3
	s_mov_b64 s[0:1], -1
	s_and_saveexec_b64 s[10:11], vcc
; %bb.598:
	s_xor_b64 s[0:1], exec, -1
; %bb.599:
	s_or_b64 exec, exec, s[10:11]
	s_and_b64 s[0:1], s[0:1], exec
	s_or_saveexec_b64 s[8:9], s[8:9]
	v_mov_b32_e32 v4, 0x7f800001
	s_xor_b64 exec, exec, s[8:9]
	s_cbranch_execnz .LBB232_618
.LBB232_600:
	s_or_b64 exec, exec, s[8:9]
	s_and_saveexec_b64 s[8:9], s[0:1]
	s_cbranch_execz .LBB232_602
.LBB232_601:
	v_lshlrev_b32_e32 v4, 24, v3
	v_and_b32_e32 v3, 0xffff, v3
	v_and_b32_e32 v5, 7, v3
	v_ffbh_u32_e32 v7, v5
	v_min_u32_e32 v7, 32, v7
	v_subrev_u32_e32 v9, 28, v7
	v_bfe_u32 v6, v3, 3, 4
	v_lshlrev_b32_e32 v3, v9, v3
	v_sub_u32_e32 v7, 29, v7
	v_and_b32_e32 v3, 7, v3
	v_cmp_eq_u32_e32 vcc, 0, v6
	v_cndmask_b32_e32 v6, v6, v7, vcc
	v_cndmask_b32_e32 v3, v5, v3, vcc
	v_mov_b32_e32 v5, 0x3b800000
	v_lshlrev_b32_e32 v3, 20, v3
	v_and_b32_e32 v4, 0x80000000, v4
	v_lshl_add_u32 v5, v6, 23, v5
	v_or3_b32 v4, v4, v5, v3
.LBB232_602:
	s_or_b64 exec, exec, s[8:9]
	v_bfe_u32 v3, v4, 16, 1
	s_movk_i32 s0, 0x7fff
	v_add3_u32 v3, v4, v3, s0
	v_cmp_o_f32_e32 vcc, v4, v4
	v_mov_b32_e32 v4, 0x7fc0
	v_cndmask_b32_sdwa v3, v4, v3, vcc dst_sel:DWORD dst_unused:UNUSED_PAD src0_sel:DWORD src1_sel:WORD_1
.LBB232_603:
	s_mov_b64 s[0:1], -1
.LBB232_604:
	s_mov_b64 s[8:9], 0
.LBB232_605:
	s_and_b64 vcc, exec, s[8:9]
	s_cbranch_vccz .LBB232_640
; %bb.606:
	s_cmp_gt_i32 s12, 22
	s_cbranch_scc0 .LBB232_616
; %bb.607:
	s_cmp_lt_i32 s12, 24
	s_cbranch_scc1 .LBB232_619
; %bb.608:
	s_cmp_gt_i32 s12, 24
	s_cbranch_scc0 .LBB232_620
; %bb.609:
	global_load_ubyte v3, v[1:2], off
	s_movk_i32 s0, 0x7f
	s_waitcnt vmcnt(0)
	v_cmp_lt_i16_e32 vcc, s0, v3
	s_mov_b64 s[0:1], 0
	s_and_saveexec_b64 s[8:9], vcc
	s_xor_b64 s[8:9], exec, s[8:9]
	s_cbranch_execz .LBB232_632
; %bb.610:
	s_movk_i32 s0, 0x80
	v_cmp_eq_u16_e32 vcc, s0, v3
	s_mov_b64 s[0:1], -1
	s_and_saveexec_b64 s[10:11], vcc
; %bb.611:
	s_xor_b64 s[0:1], exec, -1
; %bb.612:
	s_or_b64 exec, exec, s[10:11]
	s_and_b64 s[0:1], s[0:1], exec
	s_or_saveexec_b64 s[8:9], s[8:9]
	v_mov_b32_e32 v4, 0x7f800001
	s_xor_b64 exec, exec, s[8:9]
	s_cbranch_execnz .LBB232_633
.LBB232_613:
	s_or_b64 exec, exec, s[8:9]
	s_and_saveexec_b64 s[8:9], s[0:1]
	s_cbranch_execz .LBB232_615
.LBB232_614:
	v_lshlrev_b32_e32 v4, 24, v3
	v_and_b32_e32 v3, 0xffff, v3
	v_and_b32_e32 v5, 3, v3
	v_ffbh_u32_e32 v7, v5
	v_min_u32_e32 v7, 32, v7
	v_subrev_u32_e32 v9, 29, v7
	v_bfe_u32 v6, v3, 2, 5
	v_lshlrev_b32_e32 v3, v9, v3
	v_sub_u32_e32 v7, 30, v7
	v_and_b32_e32 v3, 3, v3
	v_cmp_eq_u32_e32 vcc, 0, v6
	v_cndmask_b32_e32 v6, v6, v7, vcc
	v_cndmask_b32_e32 v3, v5, v3, vcc
	v_mov_b32_e32 v5, 0x37800000
	v_lshlrev_b32_e32 v3, 21, v3
	v_and_b32_e32 v4, 0x80000000, v4
	v_lshl_add_u32 v5, v6, 23, v5
	v_or3_b32 v4, v4, v5, v3
.LBB232_615:
	s_or_b64 exec, exec, s[8:9]
	v_bfe_u32 v3, v4, 16, 1
	s_movk_i32 s0, 0x7fff
	v_add3_u32 v3, v4, v3, s0
	v_cmp_o_f32_e32 vcc, v4, v4
	v_mov_b32_e32 v4, 0x7fc0
	v_cndmask_b32_sdwa v3, v4, v3, vcc dst_sel:DWORD dst_unused:UNUSED_PAD src0_sel:DWORD src1_sel:WORD_1
	s_mov_b64 s[0:1], 0
	s_branch .LBB232_621
.LBB232_616:
	s_mov_b64 s[8:9], -1
                                        ; implicit-def: $vgpr3
	s_branch .LBB232_627
.LBB232_617:
	s_or_saveexec_b64 s[8:9], s[8:9]
	v_mov_b32_e32 v4, 0x7f800001
	s_xor_b64 exec, exec, s[8:9]
	s_cbranch_execz .LBB232_600
.LBB232_618:
	v_cmp_ne_u16_e32 vcc, 0, v3
	s_andn2_b64 s[0:1], s[0:1], exec
	s_and_b64 s[10:11], vcc, exec
	v_mov_b32_e32 v4, 0
	s_or_b64 s[0:1], s[0:1], s[10:11]
	s_or_b64 exec, exec, s[8:9]
	s_and_saveexec_b64 s[8:9], s[0:1]
	s_cbranch_execnz .LBB232_601
	s_branch .LBB232_602
.LBB232_619:
	s_mov_b64 s[0:1], -1
                                        ; implicit-def: $vgpr3
	s_branch .LBB232_624
.LBB232_620:
	s_mov_b64 s[0:1], -1
                                        ; implicit-def: $vgpr3
.LBB232_621:
	s_and_b64 vcc, exec, s[0:1]
	s_cbranch_vccz .LBB232_623
; %bb.622:
	global_load_ubyte v3, v[1:2], off
	s_mov_b32 s0, 0x7f800000
	s_brev_b32 s1, 1
	s_movk_i32 s8, 0x7fff
	s_waitcnt vmcnt(0)
	v_lshlrev_b32_e32 v3, 24, v3
	v_and_b32_e32 v4, 0x7f000000, v3
	v_ffbh_u32_e32 v5, v4
	v_min_u32_e32 v5, 32, v5
	v_sub_u32_e64 v5, v5, 4 clamp
	v_lshlrev_b32_e32 v7, v5, v4
	v_lshlrev_b32_e32 v5, 23, v5
	v_lshrrev_b32_e32 v7, 4, v7
	v_add_u32_e32 v6, 0x1000000, v4
	v_sub_u32_e32 v5, v7, v5
	v_ashrrev_i32_e32 v6, 8, v6
	v_add_u32_e32 v5, 0x3c000000, v5
	v_and_or_b32 v5, v6, s0, v5
	v_cmp_ne_u32_e32 vcc, 0, v4
	v_cndmask_b32_e32 v4, 0, v5, vcc
	v_and_or_b32 v3, v3, s1, v4
	v_bfe_u32 v4, v4, 16, 1
	v_add3_u32 v4, v3, v4, s8
	v_cmp_o_f32_e32 vcc, v3, v3
	v_mov_b32_e32 v3, 0x7fc0
	v_cndmask_b32_sdwa v3, v3, v4, vcc dst_sel:DWORD dst_unused:UNUSED_PAD src0_sel:DWORD src1_sel:WORD_1
.LBB232_623:
	s_mov_b64 s[0:1], 0
.LBB232_624:
	s_andn2_b64 vcc, exec, s[0:1]
	s_cbranch_vccnz .LBB232_626
; %bb.625:
	global_load_ubyte v3, v[1:2], off
	s_movk_i32 s0, 0x7f00
	s_brev_b32 s1, 16
	s_brev_b32 s8, 1
	s_movk_i32 s9, 0x7fff
	s_waitcnt vmcnt(0)
	v_lshlrev_b16_e32 v4, 8, v3
	v_lshlrev_b32_e32 v3, 25, v3
	v_lshrrev_b32_e32 v5, 4, v3
	v_and_or_b32 v6, v4, s0, 0.5
	v_or_b32_e32 v5, 0x70000000, v5
	v_add_f32_e32 v6, -0.5, v6
	v_mul_f32_e32 v5, 0x7800000, v5
	v_cmp_gt_u32_e32 vcc, s1, v3
	v_bfe_i32 v4, v4, 0, 16
	v_cndmask_b32_e32 v3, v5, v6, vcc
	v_and_or_b32 v4, v4, s8, v3
	v_bfe_u32 v3, v3, 16, 1
	v_add3_u32 v3, v4, v3, s9
	v_cmp_o_f32_e32 vcc, v4, v4
	v_mov_b32_e32 v4, 0x7fc0
	v_cndmask_b32_sdwa v3, v4, v3, vcc dst_sel:DWORD dst_unused:UNUSED_PAD src0_sel:DWORD src1_sel:WORD_1
.LBB232_626:
	s_mov_b64 s[8:9], 0
	s_mov_b64 s[0:1], -1
.LBB232_627:
	s_andn2_b64 vcc, exec, s[8:9]
	s_cbranch_vccnz .LBB232_640
; %bb.628:
	s_cmp_gt_i32 s12, 14
	s_cbranch_scc0 .LBB232_631
; %bb.629:
	s_cmp_eq_u32 s12, 15
	s_cbranch_scc0 .LBB232_634
; %bb.630:
	global_load_ushort v3, v[1:2], off
	s_mov_b64 s[0:1], -1
	s_mov_b64 s[2:3], 0
	s_branch .LBB232_635
.LBB232_631:
	s_mov_b64 s[8:9], -1
                                        ; implicit-def: $vgpr3
	s_branch .LBB232_636
.LBB232_632:
	s_or_saveexec_b64 s[8:9], s[8:9]
	v_mov_b32_e32 v4, 0x7f800001
	s_xor_b64 exec, exec, s[8:9]
	s_cbranch_execz .LBB232_613
.LBB232_633:
	v_cmp_ne_u16_e32 vcc, 0, v3
	s_andn2_b64 s[0:1], s[0:1], exec
	s_and_b64 s[10:11], vcc, exec
	v_mov_b32_e32 v4, 0
	s_or_b64 s[0:1], s[0:1], s[10:11]
	s_or_b64 exec, exec, s[8:9]
	s_and_saveexec_b64 s[8:9], s[0:1]
	s_cbranch_execnz .LBB232_614
	s_branch .LBB232_615
.LBB232_634:
	s_mov_b64 s[2:3], -1
                                        ; implicit-def: $vgpr3
.LBB232_635:
	s_mov_b64 s[8:9], 0
.LBB232_636:
	s_and_b64 vcc, exec, s[8:9]
	s_cbranch_vccz .LBB232_640
; %bb.637:
	s_cmp_eq_u32 s12, 11
	s_cbranch_scc0 .LBB232_639
; %bb.638:
	global_load_ubyte v3, v[1:2], off
	s_mov_b64 s[0:1], -1
	s_mov_b64 s[2:3], 0
	s_waitcnt vmcnt(0)
	v_cmp_ne_u16_e32 vcc, 0, v3
	v_cndmask_b32_e64 v3, 0, 1.0, vcc
	v_lshrrev_b32_e32 v3, 16, v3
	s_branch .LBB232_640
.LBB232_639:
	s_mov_b64 s[2:3], -1
                                        ; implicit-def: $vgpr3
.LBB232_640:
	s_mov_b64 s[8:9], 0
.LBB232_641:
	s_and_b64 vcc, exec, s[8:9]
	s_cbranch_vccz .LBB232_690
; %bb.642:
	s_cmp_lt_i32 s12, 5
	s_cbranch_scc1 .LBB232_647
; %bb.643:
	s_cmp_lt_i32 s12, 8
	s_cbranch_scc1 .LBB232_648
	;; [unrolled: 3-line block ×3, first 2 shown]
; %bb.645:
	s_cmp_gt_i32 s12, 9
	s_cbranch_scc0 .LBB232_650
; %bb.646:
	global_load_dwordx2 v[3:4], v[1:2], off
	s_movk_i32 s0, 0x7fff
	s_waitcnt vmcnt(0)
	v_cvt_f32_f64_e32 v3, v[3:4]
	v_mov_b32_e32 v4, 0x7fc0
	v_bfe_u32 v5, v3, 16, 1
	v_cmp_o_f32_e32 vcc, v3, v3
	v_add3_u32 v3, v3, v5, s0
	v_cndmask_b32_sdwa v3, v4, v3, vcc dst_sel:DWORD dst_unused:UNUSED_PAD src0_sel:DWORD src1_sel:WORD_1
	s_mov_b64 s[0:1], 0
	s_branch .LBB232_651
.LBB232_647:
	s_mov_b64 s[0:1], -1
                                        ; implicit-def: $vgpr3
	s_branch .LBB232_669
.LBB232_648:
	s_mov_b64 s[0:1], -1
                                        ; implicit-def: $vgpr3
	s_branch .LBB232_657
.LBB232_649:
	s_mov_b64 s[0:1], -1
                                        ; implicit-def: $vgpr3
	s_branch .LBB232_654
.LBB232_650:
	s_mov_b64 s[0:1], -1
                                        ; implicit-def: $vgpr3
.LBB232_651:
	s_andn2_b64 vcc, exec, s[0:1]
	s_cbranch_vccnz .LBB232_653
; %bb.652:
	global_load_dword v3, v[1:2], off
	s_movk_i32 s0, 0x7fff
	v_mov_b32_e32 v4, 0x7fc0
	s_waitcnt vmcnt(0)
	v_bfe_u32 v5, v3, 16, 1
	v_cmp_o_f32_e32 vcc, v3, v3
	v_add3_u32 v3, v3, v5, s0
	v_cndmask_b32_sdwa v3, v4, v3, vcc dst_sel:DWORD dst_unused:UNUSED_PAD src0_sel:DWORD src1_sel:WORD_1
.LBB232_653:
	s_mov_b64 s[0:1], 0
.LBB232_654:
	s_andn2_b64 vcc, exec, s[0:1]
	s_cbranch_vccnz .LBB232_656
; %bb.655:
	global_load_dword v3, v[1:2], off
	s_movk_i32 s0, 0x7fff
	v_mov_b32_e32 v5, 0x7fc0
	s_waitcnt vmcnt(0)
	v_cvt_f32_f16_e32 v4, v3
	v_cmp_o_f16_e32 vcc, v3, v3
	v_bfe_u32 v3, v4, 16, 1
	v_add3_u32 v3, v4, v3, s0
	v_cndmask_b32_sdwa v3, v5, v3, vcc dst_sel:DWORD dst_unused:UNUSED_PAD src0_sel:DWORD src1_sel:WORD_1
.LBB232_656:
	s_mov_b64 s[0:1], 0
.LBB232_657:
	s_andn2_b64 vcc, exec, s[0:1]
	s_cbranch_vccnz .LBB232_668
; %bb.658:
	s_cmp_lt_i32 s12, 6
	s_cbranch_scc1 .LBB232_661
; %bb.659:
	s_cmp_gt_i32 s12, 6
	s_cbranch_scc0 .LBB232_662
; %bb.660:
	global_load_dwordx2 v[3:4], v[1:2], off
	s_movk_i32 s0, 0x7fff
	s_waitcnt vmcnt(0)
	v_cvt_f32_f64_e32 v3, v[3:4]
	v_mov_b32_e32 v4, 0x7fc0
	v_bfe_u32 v5, v3, 16, 1
	v_cmp_o_f32_e32 vcc, v3, v3
	v_add3_u32 v3, v3, v5, s0
	v_cndmask_b32_sdwa v3, v4, v3, vcc dst_sel:DWORD dst_unused:UNUSED_PAD src0_sel:DWORD src1_sel:WORD_1
	s_mov_b64 s[0:1], 0
	s_branch .LBB232_663
.LBB232_661:
	s_mov_b64 s[0:1], -1
                                        ; implicit-def: $vgpr3
	s_branch .LBB232_666
.LBB232_662:
	s_mov_b64 s[0:1], -1
                                        ; implicit-def: $vgpr3
.LBB232_663:
	s_andn2_b64 vcc, exec, s[0:1]
	s_cbranch_vccnz .LBB232_665
; %bb.664:
	global_load_dword v3, v[1:2], off
	s_movk_i32 s0, 0x7fff
	v_mov_b32_e32 v4, 0x7fc0
	s_waitcnt vmcnt(0)
	v_bfe_u32 v5, v3, 16, 1
	v_cmp_o_f32_e32 vcc, v3, v3
	v_add3_u32 v3, v3, v5, s0
	v_cndmask_b32_sdwa v3, v4, v3, vcc dst_sel:DWORD dst_unused:UNUSED_PAD src0_sel:DWORD src1_sel:WORD_1
.LBB232_665:
	s_mov_b64 s[0:1], 0
.LBB232_666:
	s_andn2_b64 vcc, exec, s[0:1]
	s_cbranch_vccnz .LBB232_668
; %bb.667:
	global_load_ushort v3, v[1:2], off
	s_movk_i32 s0, 0x7fff
	v_mov_b32_e32 v5, 0x7fc0
	s_waitcnt vmcnt(0)
	v_cvt_f32_f16_e32 v4, v3
	v_cmp_o_f16_e32 vcc, v3, v3
	v_bfe_u32 v3, v4, 16, 1
	v_add3_u32 v3, v4, v3, s0
	v_cndmask_b32_sdwa v3, v5, v3, vcc dst_sel:DWORD dst_unused:UNUSED_PAD src0_sel:DWORD src1_sel:WORD_1
.LBB232_668:
	s_mov_b64 s[0:1], 0
.LBB232_669:
	s_andn2_b64 vcc, exec, s[0:1]
	s_cbranch_vccnz .LBB232_689
; %bb.670:
	s_cmp_lt_i32 s12, 2
	s_cbranch_scc1 .LBB232_674
; %bb.671:
	s_cmp_lt_i32 s12, 3
	s_cbranch_scc1 .LBB232_675
; %bb.672:
	s_cmp_gt_i32 s12, 3
	s_cbranch_scc0 .LBB232_676
; %bb.673:
	global_load_dwordx2 v[3:4], v[1:2], off
	s_movk_i32 s0, 0x7fff
	s_waitcnt vmcnt(0)
	v_xor_b32_e32 v6, v3, v4
	v_ffbh_i32_e32 v5, v4
	v_ashrrev_i32_e32 v6, 31, v6
	v_add_u32_e32 v5, -1, v5
	v_add_u32_e32 v6, 32, v6
	v_min_u32_e32 v5, v5, v6
	v_lshlrev_b64 v[3:4], v5, v[3:4]
	v_min_u32_e32 v3, 1, v3
	v_or_b32_e32 v3, v4, v3
	v_cvt_f32_i32_e32 v3, v3
	v_sub_u32_e32 v4, 32, v5
	v_ldexp_f32 v3, v3, v4
	v_bfe_u32 v4, v3, 16, 1
	v_add3_u32 v3, v3, v4, s0
	v_lshrrev_b32_e32 v3, 16, v3
	s_mov_b64 s[0:1], 0
	s_branch .LBB232_677
.LBB232_674:
	s_mov_b64 s[0:1], -1
                                        ; implicit-def: $vgpr3
	s_branch .LBB232_683
.LBB232_675:
	s_mov_b64 s[0:1], -1
                                        ; implicit-def: $vgpr3
	s_branch .LBB232_680
.LBB232_676:
	s_mov_b64 s[0:1], -1
                                        ; implicit-def: $vgpr3
.LBB232_677:
	s_andn2_b64 vcc, exec, s[0:1]
	s_cbranch_vccnz .LBB232_679
; %bb.678:
	global_load_dword v3, v[1:2], off
	s_movk_i32 s0, 0x7fff
	s_waitcnt vmcnt(0)
	v_cvt_f32_i32_e32 v3, v3
	v_bfe_u32 v4, v3, 16, 1
	v_add3_u32 v3, v3, v4, s0
	v_lshrrev_b32_e32 v3, 16, v3
.LBB232_679:
	s_mov_b64 s[0:1], 0
.LBB232_680:
	s_andn2_b64 vcc, exec, s[0:1]
	s_cbranch_vccnz .LBB232_682
; %bb.681:
	global_load_sshort v3, v[1:2], off
	s_movk_i32 s0, 0x7fff
	s_waitcnt vmcnt(0)
	v_cvt_f32_i32_e32 v3, v3
	v_bfe_u32 v4, v3, 16, 1
	v_add3_u32 v3, v3, v4, s0
	v_lshrrev_b32_e32 v3, 16, v3
.LBB232_682:
	s_mov_b64 s[0:1], 0
.LBB232_683:
	s_andn2_b64 vcc, exec, s[0:1]
	s_cbranch_vccnz .LBB232_689
; %bb.684:
	s_cmp_gt_i32 s12, 0
	s_cbranch_scc0 .LBB232_686
; %bb.685:
	global_load_sbyte v3, v[1:2], off
	s_movk_i32 s0, 0x7fff
	s_waitcnt vmcnt(0)
	v_cvt_f32_i32_e32 v3, v3
	v_bfe_u32 v4, v3, 16, 1
	v_add3_u32 v3, v3, v4, s0
	v_lshrrev_b32_e32 v3, 16, v3
	s_mov_b64 s[0:1], 0
	s_branch .LBB232_687
.LBB232_686:
	s_mov_b64 s[0:1], -1
                                        ; implicit-def: $vgpr3
.LBB232_687:
	s_andn2_b64 vcc, exec, s[0:1]
	s_cbranch_vccnz .LBB232_689
; %bb.688:
	global_load_ubyte v1, v[1:2], off
	s_movk_i32 s0, 0x7fff
	s_waitcnt vmcnt(0)
	v_cvt_f32_ubyte0_e32 v1, v1
	v_bfe_u32 v2, v1, 16, 1
	v_add3_u32 v1, v1, v2, s0
	v_lshrrev_b32_e32 v3, 16, v1
.LBB232_689:
	s_mov_b64 s[0:1], -1
.LBB232_690:
	s_andn2_b64 vcc, exec, s[0:1]
	s_cbranch_vccnz .LBB232_698
; %bb.691:
	s_waitcnt vmcnt(0)
	v_lshlrev_b32_e32 v1, 16, v3
	v_mov_b32_e32 v2, s45
	v_mov_b32_e32 v3, s76
	v_cmp_ge_f32_e32 vcc, s44, v1
	v_cndmask_b32_e32 v2, v2, v3, vcc
	v_mov_b32_e32 v1, s25
	s_and_b32 s14, s75, 0xff
	v_add_co_u32_e32 v0, vcc, s24, v0
	s_cmp_lt_i32 s14, 11
	v_addc_co_u32_e32 v1, vcc, 0, v1, vcc
	s_cbranch_scc1 .LBB232_699
; %bb.692:
	s_and_b32 s15, 0xffff, s14
	s_cmp_gt_i32 s15, 25
	s_cbranch_scc0 .LBB232_700
; %bb.693:
	s_cmp_gt_i32 s15, 28
	s_cbranch_scc0 .LBB232_701
; %bb.694:
	;; [unrolled: 3-line block ×4, first 2 shown]
	s_mov_b64 s[10:11], 0
	s_mov_b64 s[0:1], -1
	s_cmp_eq_u32 s15, 46
	s_mov_b64 s[8:9], 0
	s_cbranch_scc0 .LBB232_704
; %bb.697:
	v_and_b32_e32 v3, 0xffff, v2
	global_store_dword v[0:1], v3, off
	s_mov_b64 s[8:9], -1
	s_mov_b64 s[0:1], 0
	s_branch .LBB232_704
.LBB232_698:
	s_mov_b64 s[8:9], 0
	s_mov_b64 s[0:1], s[62:63]
	s_branch .LBB232_815
.LBB232_699:
	s_mov_b64 s[10:11], -1
	s_mov_b64 s[8:9], 0
	s_mov_b64 s[0:1], s[62:63]
	s_branch .LBB232_773
.LBB232_700:
	s_mov_b64 s[10:11], -1
	s_mov_b64 s[8:9], 0
	s_mov_b64 s[0:1], s[62:63]
	s_branch .LBB232_731
.LBB232_701:
	s_mov_b64 s[10:11], -1
	s_mov_b64 s[8:9], 0
	s_mov_b64 s[0:1], s[62:63]
	s_branch .LBB232_714
.LBB232_702:
	s_mov_b64 s[10:11], -1
	s_mov_b64 s[8:9], 0
	s_mov_b64 s[0:1], s[62:63]
	s_branch .LBB232_710
.LBB232_703:
	s_mov_b64 s[10:11], -1
	s_mov_b64 s[8:9], 0
	s_mov_b64 s[0:1], s[62:63]
.LBB232_704:
	s_and_b64 vcc, exec, s[10:11]
	s_cbranch_vccz .LBB232_709
; %bb.705:
	s_cmp_eq_u32 s15, 44
	s_mov_b64 s[0:1], -1
	s_cbranch_scc0 .LBB232_709
; %bb.706:
	v_and_b32_e32 v4, 0xffff, v2
	v_bfe_u32 v3, v4, 7, 8
	s_movk_i32 s0, 0xff
	v_cmp_ne_u32_e32 vcc, s0, v3
	v_mov_b32_e32 v5, 0xff
	s_and_saveexec_b64 s[8:9], vcc
	s_cbranch_execz .LBB232_708
; %bb.707:
	v_lshlrev_b32_e32 v6, 16, v4
	s_mov_b32 s0, 0x3f0000
	v_lshrrev_b32_e32 v5, 7, v4
	v_and_b32_e32 v4, 64, v4
	v_and_or_b32 v3, v6, s0, v3
	v_cmp_ne_u32_e32 vcc, 0, v4
	v_cmp_ne_u32_e64 s[0:1], 0, v3
	s_and_b64 s[0:1], vcc, s[0:1]
	v_cndmask_b32_e64 v3, 0, 1, s[0:1]
	v_add_u32_e32 v5, v5, v3
.LBB232_708:
	s_or_b64 exec, exec, s[8:9]
	s_mov_b64 s[8:9], -1
	s_mov_b64 s[0:1], 0
	global_store_byte v[0:1], v5, off
.LBB232_709:
	s_mov_b64 s[10:11], 0
.LBB232_710:
	s_and_b64 vcc, exec, s[10:11]
	s_cbranch_vccz .LBB232_713
; %bb.711:
	s_cmp_eq_u32 s15, 29
	s_mov_b64 s[0:1], -1
	s_cbranch_scc0 .LBB232_713
; %bb.712:
	v_lshlrev_b32_e32 v3, 16, v2
	v_trunc_f32_e32 v3, v3
	v_mul_f32_e32 v4, 0x2f800000, v3
	v_floor_f32_e32 v5, v4
	v_fmac_f32_e32 v3, 0xcf800000, v5
	v_cvt_u32_f32_e32 v4, v5
	v_cvt_u32_f32_e32 v3, v3
	s_mov_b64 s[8:9], -1
	s_mov_b64 s[0:1], 0
	s_mov_b64 s[10:11], 0
	global_store_dwordx2 v[0:1], v[3:4], off
	s_branch .LBB232_714
.LBB232_713:
	s_mov_b64 s[10:11], 0
.LBB232_714:
	s_and_b64 vcc, exec, s[10:11]
	s_cbranch_vccz .LBB232_730
; %bb.715:
	s_cmp_lt_i32 s15, 27
	s_mov_b64 s[8:9], -1
	s_cbranch_scc1 .LBB232_721
; %bb.716:
	s_cmp_gt_i32 s15, 27
	s_cbranch_scc0 .LBB232_718
; %bb.717:
	v_lshlrev_b32_e32 v3, 16, v2
	v_cvt_u32_f32_e32 v3, v3
	s_mov_b64 s[8:9], 0
	global_store_dword v[0:1], v3, off
.LBB232_718:
	s_andn2_b64 vcc, exec, s[8:9]
	s_cbranch_vccnz .LBB232_720
; %bb.719:
	v_lshlrev_b32_e32 v3, 16, v2
	v_cvt_u32_f32_e32 v3, v3
	global_store_short v[0:1], v3, off
.LBB232_720:
	s_mov_b64 s[8:9], 0
.LBB232_721:
	s_andn2_b64 vcc, exec, s[8:9]
	s_cbranch_vccnz .LBB232_729
; %bb.722:
	v_lshlrev_b32_e32 v5, 16, v2
	v_and_b32_e32 v4, 0x7fffffff, v5
	s_mov_b32 s8, 0x43800000
	v_cmp_gt_u32_e32 vcc, s8, v4
	v_mov_b32_e32 v6, 0x80
	s_and_saveexec_b64 s[8:9], vcc
	s_cbranch_execz .LBB232_728
; %bb.723:
	s_mov_b32 s10, 0x3bffffff
	v_and_b32_e32 v3, 0xffff, v2
	v_cmp_lt_u32_e32 vcc, s10, v4
	s_mov_b64 s[10:11], 0
                                        ; implicit-def: $vgpr4
	s_and_saveexec_b64 s[12:13], vcc
	s_xor_b64 s[12:13], exec, s[12:13]
	s_cbranch_execz .LBB232_845
; %bb.724:
	v_bfe_u32 v4, v3, 4, 1
	s_mov_b32 s16, 0x487ffff
	v_add3_u32 v4, v5, v4, s16
	s_mov_b64 s[10:11], exec
	v_lshrrev_b32_e32 v4, 20, v4
                                        ; implicit-def: $vgpr5
	s_andn2_saveexec_b64 s[12:13], s[12:13]
	s_cbranch_execnz .LBB232_846
.LBB232_725:
	s_or_b64 exec, exec, s[12:13]
	v_mov_b32_e32 v6, 0
	s_and_saveexec_b64 s[12:13], s[10:11]
.LBB232_726:
	v_lshrrev_b32_e32 v3, 8, v3
	s_movk_i32 s10, 0x80
	v_and_or_b32 v6, v3, s10, v4
.LBB232_727:
	s_or_b64 exec, exec, s[12:13]
.LBB232_728:
	s_or_b64 exec, exec, s[8:9]
	global_store_byte v[0:1], v6, off
.LBB232_729:
	s_mov_b64 s[8:9], -1
.LBB232_730:
	s_mov_b64 s[10:11], 0
.LBB232_731:
	s_and_b64 vcc, exec, s[10:11]
	s_cbranch_vccz .LBB232_772
; %bb.732:
	s_cmp_gt_i32 s15, 22
	s_mov_b64 s[10:11], -1
	s_cbranch_scc0 .LBB232_764
; %bb.733:
	s_cmp_lt_i32 s15, 24
	s_mov_b64 s[8:9], -1
	s_cbranch_scc1 .LBB232_753
; %bb.734:
	s_cmp_gt_i32 s15, 24
	s_cbranch_scc0 .LBB232_742
; %bb.735:
	v_lshlrev_b32_e32 v5, 16, v2
	v_and_b32_e32 v4, 0x7fffffff, v5
	s_mov_b32 s8, 0x47800000
	v_cmp_gt_u32_e32 vcc, s8, v4
	v_mov_b32_e32 v6, 0x80
	s_and_saveexec_b64 s[8:9], vcc
	s_cbranch_execz .LBB232_741
; %bb.736:
	s_mov_b32 s10, 0x37ffffff
	v_and_b32_e32 v3, 0xffff, v2
	v_cmp_lt_u32_e32 vcc, s10, v4
	s_mov_b64 s[10:11], 0
                                        ; implicit-def: $vgpr4
	s_and_saveexec_b64 s[12:13], vcc
	s_xor_b64 s[12:13], exec, s[12:13]
	s_cbranch_execz .LBB232_848
; %bb.737:
	v_bfe_u32 v4, v3, 5, 1
	s_mov_b32 s16, 0x88fffff
	v_add3_u32 v4, v5, v4, s16
	s_mov_b64 s[10:11], exec
	v_lshrrev_b32_e32 v4, 21, v4
                                        ; implicit-def: $vgpr5
	s_andn2_saveexec_b64 s[12:13], s[12:13]
	s_cbranch_execnz .LBB232_849
.LBB232_738:
	s_or_b64 exec, exec, s[12:13]
	v_mov_b32_e32 v6, 0
	s_and_saveexec_b64 s[12:13], s[10:11]
.LBB232_739:
	v_lshrrev_b32_e32 v3, 8, v3
	s_movk_i32 s10, 0x80
	v_and_or_b32 v6, v3, s10, v4
.LBB232_740:
	s_or_b64 exec, exec, s[12:13]
.LBB232_741:
	s_or_b64 exec, exec, s[8:9]
	s_mov_b64 s[8:9], 0
	global_store_byte v[0:1], v6, off
.LBB232_742:
	s_and_b64 vcc, exec, s[8:9]
	s_cbranch_vccz .LBB232_752
; %bb.743:
	v_lshlrev_b32_e32 v5, 16, v2
	v_and_b32_e32 v6, 0x7fffffff, v5
	s_mov_b32 s8, 0x43f00000
	v_and_b32_e32 v3, 0xffff, v2
	v_cmp_gt_u32_e32 vcc, s8, v6
                                        ; implicit-def: $vgpr4
	s_and_saveexec_b64 s[8:9], vcc
	s_xor_b64 s[8:9], exec, s[8:9]
	s_cbranch_execz .LBB232_749
; %bb.744:
	s_mov_b32 s10, 0x3c7fffff
	v_cmp_lt_u32_e32 vcc, s10, v6
                                        ; implicit-def: $vgpr4
	s_and_saveexec_b64 s[10:11], vcc
	s_xor_b64 s[10:11], exec, s[10:11]
; %bb.745:
	v_bfe_u32 v4, v3, 4, 1
	s_mov_b32 s12, 0x407ffff
	v_add3_u32 v4, v5, v4, s12
	v_lshrrev_b32_e32 v5, 20, v4
	v_and_b32_e32 v4, 0xff00000, v4
	s_mov_b32 s12, 0x7f00000
	v_mov_b32_e32 v6, 0x7e
	v_cmp_ne_u32_e32 vcc, s12, v4
	v_cndmask_b32_e32 v4, v6, v5, vcc
                                        ; implicit-def: $vgpr5
; %bb.746:
	s_andn2_saveexec_b64 s[10:11], s[10:11]
; %bb.747:
	s_mov_b32 s12, 0x46800000
	v_add_f32_e64 v4, |v5|, s12
; %bb.748:
	s_or_b64 exec, exec, s[10:11]
                                        ; implicit-def: $vgpr6
.LBB232_749:
	s_andn2_saveexec_b64 s[8:9], s[8:9]
; %bb.750:
	s_mov_b32 s10, 0x7f800000
	v_mov_b32_e32 v4, 0x7e
	v_mov_b32_e32 v5, 0x7f
	v_cmp_lt_u32_e32 vcc, s10, v6
	v_cndmask_b32_e32 v4, v4, v5, vcc
; %bb.751:
	s_or_b64 exec, exec, s[8:9]
	v_lshrrev_b32_e32 v3, 8, v3
	s_movk_i32 s8, 0x80
	v_and_or_b32 v3, v3, s8, v4
	global_store_byte v[0:1], v3, off
.LBB232_752:
	s_mov_b64 s[8:9], 0
.LBB232_753:
	s_andn2_b64 vcc, exec, s[8:9]
	s_cbranch_vccnz .LBB232_763
; %bb.754:
	v_lshlrev_b32_e32 v5, 16, v2
	v_and_b32_e32 v6, 0x7fffffff, v5
	s_mov_b32 s8, 0x47800000
	v_and_b32_e32 v3, 0xffff, v2
	v_cmp_gt_u32_e32 vcc, s8, v6
                                        ; implicit-def: $vgpr4
	s_and_saveexec_b64 s[8:9], vcc
	s_xor_b64 s[8:9], exec, s[8:9]
	s_cbranch_execz .LBB232_760
; %bb.755:
	s_mov_b32 s10, 0x387fffff
	v_cmp_lt_u32_e32 vcc, s10, v6
                                        ; implicit-def: $vgpr4
	s_and_saveexec_b64 s[10:11], vcc
	s_xor_b64 s[10:11], exec, s[10:11]
; %bb.756:
	v_bfe_u32 v4, v3, 5, 1
	s_mov_b32 s12, 0x80fffff
	v_add3_u32 v4, v5, v4, s12
	v_lshrrev_b32_e32 v4, 21, v4
                                        ; implicit-def: $vgpr5
; %bb.757:
	s_andn2_saveexec_b64 s[10:11], s[10:11]
; %bb.758:
	s_mov_b32 s12, 0x43000000
	v_add_f32_e64 v4, |v5|, s12
; %bb.759:
	s_or_b64 exec, exec, s[10:11]
                                        ; implicit-def: $vgpr6
.LBB232_760:
	s_andn2_saveexec_b64 s[8:9], s[8:9]
; %bb.761:
	s_mov_b32 s10, 0x7f800000
	v_mov_b32_e32 v4, 0x7c
	v_mov_b32_e32 v5, 0x7f
	v_cmp_lt_u32_e32 vcc, s10, v6
	v_cndmask_b32_e32 v4, v4, v5, vcc
; %bb.762:
	s_or_b64 exec, exec, s[8:9]
	v_lshrrev_b32_e32 v3, 8, v3
	s_movk_i32 s8, 0x80
	v_and_or_b32 v3, v3, s8, v4
	global_store_byte v[0:1], v3, off
.LBB232_763:
	s_mov_b64 s[10:11], 0
	s_mov_b64 s[8:9], -1
.LBB232_764:
	s_andn2_b64 vcc, exec, s[10:11]
	s_cbranch_vccnz .LBB232_772
; %bb.765:
	s_cmp_gt_i32 s15, 14
	s_mov_b64 s[10:11], -1
	s_cbranch_scc0 .LBB232_769
; %bb.766:
	s_cmp_eq_u32 s15, 15
	s_mov_b64 s[0:1], -1
	s_cbranch_scc0 .LBB232_768
; %bb.767:
	global_store_short v[0:1], v2, off
	s_mov_b64 s[8:9], -1
	s_mov_b64 s[0:1], 0
.LBB232_768:
	s_mov_b64 s[10:11], 0
.LBB232_769:
	s_and_b64 vcc, exec, s[10:11]
	s_cbranch_vccz .LBB232_772
; %bb.770:
	s_cmp_eq_u32 s15, 11
	s_mov_b64 s[0:1], -1
	s_cbranch_scc0 .LBB232_772
; %bb.771:
	v_and_b32_e32 v3, 0x7fff, v2
	v_cmp_ne_u16_e32 vcc, 0, v3
	v_cndmask_b32_e64 v3, 0, 1, vcc
	s_mov_b64 s[8:9], -1
	s_mov_b64 s[0:1], 0
	global_store_byte v[0:1], v3, off
.LBB232_772:
	s_mov_b64 s[10:11], 0
.LBB232_773:
	s_and_b64 vcc, exec, s[10:11]
	s_cbranch_vccz .LBB232_812
; %bb.774:
	s_and_b32 s10, 0xffff, s14
	s_cmp_lt_i32 s10, 5
	s_mov_b64 s[8:9], -1
	s_cbranch_scc1 .LBB232_795
; %bb.775:
	s_cmp_lt_i32 s10, 8
	s_cbranch_scc1 .LBB232_785
; %bb.776:
	s_cmp_lt_i32 s10, 9
	s_cbranch_scc1 .LBB232_782
; %bb.777:
	s_cmp_gt_i32 s10, 9
	s_cbranch_scc0 .LBB232_779
; %bb.778:
	v_lshlrev_b32_e32 v3, 16, v2
	v_cvt_f64_f32_e32 v[3:4], v3
	v_mov_b32_e32 v5, 0
	v_mov_b32_e32 v6, v5
	s_mov_b64 s[8:9], 0
	global_store_dwordx4 v[0:1], v[3:6], off
.LBB232_779:
	s_andn2_b64 vcc, exec, s[8:9]
	s_cbranch_vccnz .LBB232_781
; %bb.780:
	v_lshlrev_b32_e32 v3, 16, v2
	v_mov_b32_e32 v4, 0
	global_store_dwordx2 v[0:1], v[3:4], off
.LBB232_781:
	s_mov_b64 s[8:9], 0
.LBB232_782:
	s_andn2_b64 vcc, exec, s[8:9]
	s_cbranch_vccnz .LBB232_784
; %bb.783:
	v_lshlrev_b32_e32 v3, 16, v2
	v_cvt_f16_f32_e32 v3, v3
	global_store_dword v[0:1], v3, off
.LBB232_784:
	s_mov_b64 s[8:9], 0
.LBB232_785:
	s_andn2_b64 vcc, exec, s[8:9]
	s_cbranch_vccnz .LBB232_794
; %bb.786:
	s_cmp_lt_i32 s10, 6
	s_mov_b64 s[8:9], -1
	s_cbranch_scc1 .LBB232_792
; %bb.787:
	s_cmp_gt_i32 s10, 6
	s_cbranch_scc0 .LBB232_789
; %bb.788:
	v_lshlrev_b32_e32 v3, 16, v2
	v_cvt_f64_f32_e32 v[3:4], v3
	s_mov_b64 s[8:9], 0
	global_store_dwordx2 v[0:1], v[3:4], off
.LBB232_789:
	s_andn2_b64 vcc, exec, s[8:9]
	s_cbranch_vccnz .LBB232_791
; %bb.790:
	v_lshlrev_b32_e32 v3, 16, v2
	global_store_dword v[0:1], v3, off
.LBB232_791:
	s_mov_b64 s[8:9], 0
.LBB232_792:
	s_andn2_b64 vcc, exec, s[8:9]
	s_cbranch_vccnz .LBB232_794
; %bb.793:
	v_lshlrev_b32_e32 v3, 16, v2
	v_cvt_f16_f32_e32 v3, v3
	global_store_short v[0:1], v3, off
.LBB232_794:
	s_mov_b64 s[8:9], 0
.LBB232_795:
	s_andn2_b64 vcc, exec, s[8:9]
	s_cbranch_vccnz .LBB232_811
; %bb.796:
	s_cmp_lt_i32 s10, 2
	s_mov_b64 s[8:9], -1
	s_cbranch_scc1 .LBB232_806
; %bb.797:
	s_cmp_lt_i32 s10, 3
	s_cbranch_scc1 .LBB232_803
; %bb.798:
	s_cmp_gt_i32 s10, 3
	s_cbranch_scc0 .LBB232_800
; %bb.799:
	v_lshlrev_b32_e32 v3, 16, v2
	v_trunc_f32_e32 v3, v3
	s_mov_b32 s8, 0x2f800000
	v_mul_f32_e64 v4, |v3|, s8
	v_floor_f32_e32 v4, v4
	s_mov_b32 s8, 0xcf800000
	v_cvt_u32_f32_e32 v5, v4
	v_fma_f32 v4, v4, s8, |v3|
	v_cvt_u32_f32_e32 v4, v4
	v_ashrrev_i32_e32 v6, 31, v3
	v_xor_b32_e32 v5, v5, v6
	s_mov_b64 s[8:9], 0
	v_xor_b32_e32 v3, v4, v6
	v_sub_co_u32_e32 v3, vcc, v3, v6
	v_subb_co_u32_e32 v4, vcc, v5, v6, vcc
	global_store_dwordx2 v[0:1], v[3:4], off
.LBB232_800:
	s_andn2_b64 vcc, exec, s[8:9]
	s_cbranch_vccnz .LBB232_802
; %bb.801:
	v_lshlrev_b32_e32 v3, 16, v2
	v_cvt_i32_f32_e32 v3, v3
	global_store_dword v[0:1], v3, off
.LBB232_802:
	s_mov_b64 s[8:9], 0
.LBB232_803:
	s_andn2_b64 vcc, exec, s[8:9]
	s_cbranch_vccnz .LBB232_805
; %bb.804:
	v_lshlrev_b32_e32 v3, 16, v2
	v_cvt_i32_f32_e32 v3, v3
	global_store_short v[0:1], v3, off
.LBB232_805:
	s_mov_b64 s[8:9], 0
.LBB232_806:
	s_andn2_b64 vcc, exec, s[8:9]
	s_cbranch_vccnz .LBB232_811
; %bb.807:
	s_mov_b64 s[8:9], -1
	s_cmp_gt_i32 s10, 0
	v_lshlrev_b32_e32 v2, 16, v2
	s_cbranch_scc0 .LBB232_809
; %bb.808:
	v_cvt_i32_f32_e32 v3, v2
	s_mov_b64 s[8:9], 0
	global_store_byte v[0:1], v3, off
.LBB232_809:
	s_andn2_b64 vcc, exec, s[8:9]
	s_cbranch_vccnz .LBB232_811
; %bb.810:
	v_trunc_f32_e32 v2, v2
	s_mov_b32 s8, 0x2f800000
	v_mul_f32_e64 v3, |v2|, s8
	v_floor_f32_e32 v3, v3
	s_mov_b32 s8, 0xcf800000
	v_fma_f32 v3, v3, s8, |v2|
	v_cvt_u32_f32_e32 v3, v3
	v_ashrrev_i32_e32 v2, 31, v2
	v_xor_b32_e32 v3, v3, v2
	v_sub_u32_e32 v2, v3, v2
	global_store_byte v[0:1], v2, off
.LBB232_811:
	s_mov_b64 s[8:9], -1
.LBB232_812:
	s_andn2_b64 vcc, exec, s[8:9]
	s_cbranch_vccnz .LBB232_814
; %bb.813:
	v_add_u32_e32 v8, 0x80, v8
	s_mov_b64 s[8:9], -1
	s_branch .LBB232_816
.LBB232_814:
	s_mov_b64 s[8:9], 0
.LBB232_815:
                                        ; implicit-def: $vgpr8
.LBB232_816:
	s_andn2_b64 s[10:11], s[62:63], exec
	s_and_b64 s[0:1], s[0:1], exec
	s_or_b64 s[70:71], s[10:11], s[0:1]
	s_andn2_b64 s[0:1], s[60:61], exec
	s_and_b64 s[2:3], s[2:3], exec
	s_or_b64 s[68:69], s[0:1], s[2:3]
	s_orn2_b64 s[2:3], s[8:9], exec
.LBB232_817:
	s_or_b64 exec, exec, s[66:67]
	s_mov_b64 s[0:1], 0
	s_mov_b64 s[8:9], 0
	;; [unrolled: 1-line block ×3, first 2 shown]
                                        ; implicit-def: $vgpr1_vgpr2
                                        ; implicit-def: $vgpr0
                                        ; implicit-def: $vgpr4
	s_and_saveexec_b64 s[66:67], s[2:3]
	s_cbranch_execz .LBB232_916
; %bb.818:
	v_cmp_gt_i32_e32 vcc, s72, v8
	s_mov_b64 s[2:3], 0
	s_mov_b64 s[12:13], s[68:69]
                                        ; implicit-def: $vgpr1_vgpr2
                                        ; implicit-def: $vgpr0
                                        ; implicit-def: $vgpr4
	s_and_saveexec_b64 s[72:73], vcc
	s_cbranch_execz .LBB232_915
; %bb.819:
	s_andn2_b64 vcc, exec, s[40:41]
	s_cbranch_vccnz .LBB232_824
; %bb.820:
	s_andn2_b64 vcc, exec, s[52:53]
	s_cbranch_vccnz .LBB232_825
; %bb.821:
	s_add_i32 s79, s78, 1
	s_cmp_eq_u32 s74, 2
	s_cbranch_scc1 .LBB232_826
; %bb.822:
	s_and_b32 s78, s79, 28
	v_mov_b32_e32 v2, 0
	s_mov_b32 s80, 0
	s_mov_b64 s[52:53], s[34:35]
	v_mov_b32_e32 v0, 0
	v_mov_b32_e32 v1, v8
.LBB232_823:                            ; =>This Inner Loop Header: Depth=1
	s_load_dwordx8 s[16:23], s[52:53], 0x4
	s_load_dwordx4 s[0:3], s[52:53], 0x24
	s_load_dwordx8 s[8:15], s[50:51], 0x0
	s_add_u32 s52, s52, 48
	s_addc_u32 s53, s53, 0
	s_waitcnt vmcnt(0) lgkmcnt(0)
	v_mul_hi_u32 v3, s17, v1
	s_add_i32 s80, s80, 4
	s_add_u32 s50, s50, 32
	s_addc_u32 s51, s51, 0
	v_add_u32_e32 v3, v1, v3
	v_lshrrev_b32_e32 v3, s18, v3
	v_mul_lo_u32 v4, v3, s16
	v_mul_hi_u32 v5, s20, v3
	s_cmp_eq_u32 s78, s80
	v_sub_u32_e32 v1, v1, v4
	v_add_u32_e32 v4, v3, v5
	v_mul_lo_u32 v5, v1, s8
	v_mul_lo_u32 v6, v1, s9
	v_lshrrev_b32_e32 v1, s21, v4
	v_mul_lo_u32 v4, v1, s19
	v_mul_hi_u32 v7, s23, v1
	v_sub_u32_e32 v3, v3, v4
	v_add_u32_e32 v4, v1, v7
	v_lshrrev_b32_e32 v4, s0, v4
	v_mul_hi_u32 v9, s2, v4
	v_mul_lo_u32 v10, v4, s22
	v_mul_lo_u32 v7, v3, s10
	;; [unrolled: 1-line block ×3, first 2 shown]
	v_sub_u32_e32 v10, v1, v10
	v_add_u32_e32 v1, v4, v9
	v_lshrrev_b32_e32 v1, s3, v1
	v_mul_lo_u32 v9, v1, s1
	v_mul_lo_u32 v11, v10, s12
	;; [unrolled: 1-line block ×3, first 2 shown]
	v_add3_u32 v0, v5, v0, v7
	v_sub_u32_e32 v4, v4, v9
	v_mul_lo_u32 v9, v4, s14
	v_mul_lo_u32 v4, v4, s15
	v_add3_u32 v2, v6, v2, v3
	v_add3_u32 v0, v11, v0, v9
	;; [unrolled: 1-line block ×3, first 2 shown]
	s_cbranch_scc0 .LBB232_823
	s_branch .LBB232_827
.LBB232_824:
	s_mov_b64 s[0:1], -1
                                        ; implicit-def: $vgpr0
                                        ; implicit-def: $vgpr2
	s_branch .LBB232_831
.LBB232_825:
	v_mov_b32_e32 v0, 0
	v_mov_b32_e32 v2, 0
	s_branch .LBB232_830
.LBB232_826:
	s_mov_b32 s78, 0
	v_mov_b32_e32 v0, 0
	v_mov_b32_e32 v2, 0
	;; [unrolled: 1-line block ×3, first 2 shown]
.LBB232_827:
	s_and_b32 s8, s79, 3
	s_cmp_eq_u32 s8, 0
	s_cbranch_scc1 .LBB232_830
; %bb.828:
	s_lshl_b32 s0, s78, 3
	s_add_u32 s0, s34, s0
	s_addc_u32 s1, s35, 0
	s_add_u32 s0, s0, 0xc4
	s_addc_u32 s1, s1, 0
	s_mul_i32 s2, s78, 12
	s_add_u32 s2, s34, s2
	s_addc_u32 s3, s35, 0
.LBB232_829:                            ; =>This Inner Loop Header: Depth=1
	s_load_dwordx2 s[10:11], s[2:3], 0x4
	s_load_dword s9, s[2:3], 0xc
	s_load_dwordx2 s[12:13], s[0:1], 0x0
	s_add_u32 s2, s2, 12
	s_addc_u32 s3, s3, 0
	s_waitcnt vmcnt(0) lgkmcnt(0)
	v_mul_hi_u32 v3, s11, v1
	s_add_u32 s0, s0, 8
	s_addc_u32 s1, s1, 0
	s_add_i32 s8, s8, -1
	v_add_u32_e32 v3, v1, v3
	v_lshrrev_b32_e32 v4, s9, v3
	v_mul_lo_u32 v3, v4, s10
	s_cmp_lg_u32 s8, 0
	v_sub_u32_e32 v3, v1, v3
	v_mad_u64_u32 v[0:1], s[10:11], v3, s12, v[0:1]
	v_mad_u64_u32 v[2:3], s[10:11], v3, s13, v[2:3]
	v_mov_b32_e32 v1, v4
	s_cbranch_scc1 .LBB232_829
.LBB232_830:
	s_mov_b64 s[0:1], 0
.LBB232_831:
	s_andn2_b64 vcc, exec, s[0:1]
	s_cbranch_vccnz .LBB232_834
; %bb.832:
	v_mul_hi_u32 v0, s29, v8
	s_andn2_b64 vcc, exec, s[48:49]
	v_add_u32_e32 v0, v8, v0
	v_lshrrev_b32_e32 v1, s30, v0
	v_mul_lo_u32 v0, v1, s28
	v_sub_u32_e32 v2, v8, v0
	v_mul_lo_u32 v0, v2, s36
	v_mul_lo_u32 v2, v2, s37
	s_cbranch_vccnz .LBB232_834
; %bb.833:
	s_waitcnt vmcnt(0)
	v_mul_hi_u32 v3, s46, v1
	v_add_u32_e32 v3, v1, v3
	v_lshrrev_b32_e32 v3, s47, v3
	v_mul_lo_u32 v3, v3, s31
	v_sub_u32_e32 v3, v1, v3
	v_mad_u64_u32 v[0:1], s[0:1], v3, s38, v[0:1]
	v_mad_u64_u32 v[2:3], s[0:1], v3, s39, v[2:3]
.LBB232_834:
	s_waitcnt vmcnt(0)
	v_mov_b32_e32 v3, s27
	s_and_b32 s14, 0xffff, s77
	v_add_co_u32_e32 v1, vcc, s26, v2
	s_cmp_lt_i32 s14, 11
	v_addc_co_u32_e32 v2, vcc, 0, v3, vcc
	s_cbranch_scc1 .LBB232_841
; %bb.835:
	s_cmp_gt_i32 s14, 25
	s_mov_b64 s[2:3], 0
	s_cbranch_scc0 .LBB232_842
; %bb.836:
	s_cmp_gt_i32 s14, 28
	s_cbranch_scc0 .LBB232_843
; %bb.837:
	s_cmp_gt_i32 s14, 43
	;; [unrolled: 3-line block ×3, first 2 shown]
	s_cbranch_scc0 .LBB232_847
; %bb.839:
	s_cmp_eq_u32 s14, 46
	s_mov_b64 s[10:11], 0
	s_cbranch_scc0 .LBB232_850
; %bb.840:
	global_load_dword v4, v[1:2], off
	s_mov_b64 s[0:1], 0
	s_mov_b64 s[8:9], -1
	s_branch .LBB232_851
.LBB232_841:
	s_mov_b64 s[12:13], -1
	s_mov_b64 s[8:9], 0
	s_mov_b64 s[2:3], 0
	;; [unrolled: 1-line block ×3, first 2 shown]
                                        ; implicit-def: $vgpr4
	s_branch .LBB232_914
.LBB232_842:
	s_mov_b64 s[10:11], -1
	s_mov_b64 s[8:9], 0
	s_mov_b64 s[0:1], s[68:69]
                                        ; implicit-def: $vgpr4
	s_branch .LBB232_880
.LBB232_843:
	s_mov_b64 s[10:11], -1
	s_mov_b64 s[8:9], 0
	s_mov_b64 s[0:1], s[68:69]
                                        ; implicit-def: $vgpr4
	s_branch .LBB232_861
.LBB232_844:
	s_mov_b64 s[10:11], -1
	s_mov_b64 s[8:9], 0
	s_mov_b64 s[0:1], s[68:69]
                                        ; implicit-def: $vgpr4
	s_branch .LBB232_856
.LBB232_845:
	s_andn2_saveexec_b64 s[12:13], s[12:13]
	s_cbranch_execz .LBB232_725
.LBB232_846:
	s_mov_b32 s16, 0x46000000
	v_add_f32_e64 v4, |v5|, s16
	v_and_b32_e32 v4, 0xff, v4
	v_cmp_ne_u32_e32 vcc, 0, v4
	s_andn2_b64 s[10:11], s[10:11], exec
	s_and_b64 s[16:17], vcc, exec
	s_or_b64 s[10:11], s[10:11], s[16:17]
	s_or_b64 exec, exec, s[12:13]
	v_mov_b32_e32 v6, 0
	s_and_saveexec_b64 s[12:13], s[10:11]
	s_cbranch_execnz .LBB232_726
	s_branch .LBB232_727
.LBB232_847:
	s_mov_b64 s[10:11], -1
	s_mov_b64 s[8:9], 0
	s_mov_b64 s[0:1], s[68:69]
                                        ; implicit-def: $vgpr4
	s_branch .LBB232_851
.LBB232_848:
	s_andn2_saveexec_b64 s[12:13], s[12:13]
	s_cbranch_execz .LBB232_738
.LBB232_849:
	s_mov_b32 s16, 0x42800000
	v_add_f32_e64 v4, |v5|, s16
	v_and_b32_e32 v4, 0xff, v4
	v_cmp_ne_u32_e32 vcc, 0, v4
	s_andn2_b64 s[10:11], s[10:11], exec
	s_and_b64 s[16:17], vcc, exec
	s_or_b64 s[10:11], s[10:11], s[16:17]
	s_or_b64 exec, exec, s[12:13]
	v_mov_b32_e32 v6, 0
	s_and_saveexec_b64 s[12:13], s[10:11]
	s_cbranch_execnz .LBB232_739
	s_branch .LBB232_740
.LBB232_850:
	s_mov_b64 s[0:1], -1
                                        ; implicit-def: $vgpr4
	s_mov_b64 s[8:9], 0
.LBB232_851:
	s_and_b64 vcc, exec, s[10:11]
	s_cbranch_vccz .LBB232_855
; %bb.852:
	s_cmp_eq_u32 s14, 44
	s_cbranch_scc0 .LBB232_854
; %bb.853:
	global_load_ubyte v3, v[1:2], off
	s_movk_i32 s8, 0xff
	s_waitcnt vmcnt(1)
	v_mov_b32_e32 v4, 0x7f800001
	v_mov_b32_e32 v5, 0x400000
	;; [unrolled: 1-line block ×3, first 2 shown]
	s_mov_b64 s[0:1], 0
	s_waitcnt vmcnt(0)
	v_lshlrev_b32_e32 v7, 23, v3
	v_cmp_ne_u32_e32 vcc, s8, v3
	v_cndmask_b32_e32 v4, v4, v7, vcc
	v_cmp_ne_u32_e32 vcc, 0, v3
	v_cndmask_b32_e32 v3, v5, v4, vcc
	v_add_u32_e32 v4, 0x7fff, v3
	v_cmp_o_f32_e32 vcc, v3, v3
	v_cndmask_b32_sdwa v4, v6, v4, vcc dst_sel:DWORD dst_unused:UNUSED_PAD src0_sel:DWORD src1_sel:WORD_1
	s_mov_b64 s[8:9], -1
	s_branch .LBB232_855
.LBB232_854:
	s_mov_b64 s[0:1], -1
                                        ; implicit-def: $vgpr4
.LBB232_855:
	s_mov_b64 s[10:11], 0
.LBB232_856:
	s_and_b64 vcc, exec, s[10:11]
	s_cbranch_vccz .LBB232_860
; %bb.857:
	s_cmp_eq_u32 s14, 29
	s_cbranch_scc0 .LBB232_859
; %bb.858:
	global_load_dwordx2 v[3:4], v[1:2], off
	s_movk_i32 s8, 0x7fff
	s_mov_b64 s[0:1], 0
	s_mov_b64 s[10:11], 0
	s_waitcnt vmcnt(0)
	v_ffbh_u32_e32 v5, v4
	v_min_u32_e32 v5, 32, v5
	v_lshlrev_b64 v[3:4], v5, v[3:4]
	v_min_u32_e32 v3, 1, v3
	v_or_b32_e32 v3, v4, v3
	v_cvt_f32_u32_e32 v3, v3
	v_sub_u32_e32 v4, 32, v5
	v_ldexp_f32 v3, v3, v4
	v_bfe_u32 v4, v3, 16, 1
	v_add3_u32 v3, v3, v4, s8
	v_lshrrev_b32_e32 v4, 16, v3
	s_mov_b64 s[8:9], -1
	s_branch .LBB232_861
.LBB232_859:
	s_mov_b64 s[0:1], -1
                                        ; implicit-def: $vgpr4
.LBB232_860:
	s_mov_b64 s[10:11], 0
.LBB232_861:
	s_and_b64 vcc, exec, s[10:11]
	s_cbranch_vccz .LBB232_879
; %bb.862:
	s_cmp_lt_i32 s14, 27
	s_cbranch_scc1 .LBB232_865
; %bb.863:
	s_cmp_gt_i32 s14, 27
	s_cbranch_scc0 .LBB232_866
; %bb.864:
	global_load_dword v3, v[1:2], off
	s_movk_i32 s8, 0x7fff
	s_waitcnt vmcnt(0)
	v_cvt_f32_u32_e32 v3, v3
	v_bfe_u32 v4, v3, 16, 1
	v_add3_u32 v3, v3, v4, s8
	v_lshrrev_b32_e32 v4, 16, v3
	s_mov_b64 s[8:9], 0
	s_branch .LBB232_867
.LBB232_865:
	s_mov_b64 s[8:9], -1
                                        ; implicit-def: $vgpr4
	s_branch .LBB232_870
.LBB232_866:
	s_mov_b64 s[8:9], -1
                                        ; implicit-def: $vgpr4
.LBB232_867:
	s_andn2_b64 vcc, exec, s[8:9]
	s_cbranch_vccnz .LBB232_869
; %bb.868:
	global_load_ushort v3, v[1:2], off
	s_movk_i32 s8, 0x7fff
	s_waitcnt vmcnt(0)
	v_cvt_f32_u32_e32 v3, v3
	v_bfe_u32 v4, v3, 16, 1
	v_add3_u32 v3, v3, v4, s8
	v_lshrrev_b32_e32 v4, 16, v3
.LBB232_869:
	s_mov_b64 s[8:9], 0
.LBB232_870:
	s_andn2_b64 vcc, exec, s[8:9]
	s_cbranch_vccnz .LBB232_878
; %bb.871:
	global_load_ubyte v3, v[1:2], off
	s_movk_i32 s8, 0x7f
	s_waitcnt vmcnt(0)
	v_cmp_lt_i16_e32 vcc, s8, v3
	s_mov_b64 s[8:9], 0
	s_and_saveexec_b64 s[10:11], vcc
	s_xor_b64 s[10:11], exec, s[10:11]
	s_cbranch_execz .LBB232_892
; %bb.872:
	s_movk_i32 s8, 0x80
	v_cmp_eq_u16_e32 vcc, s8, v3
	s_mov_b64 s[8:9], -1
	s_and_saveexec_b64 s[12:13], vcc
; %bb.873:
	s_xor_b64 s[8:9], exec, -1
; %bb.874:
	s_or_b64 exec, exec, s[12:13]
	s_and_b64 s[8:9], s[8:9], exec
	s_or_saveexec_b64 s[10:11], s[10:11]
	v_mov_b32_e32 v4, 0x7f800001
	s_xor_b64 exec, exec, s[10:11]
	s_cbranch_execnz .LBB232_893
.LBB232_875:
	s_or_b64 exec, exec, s[10:11]
	s_and_saveexec_b64 s[10:11], s[8:9]
	s_cbranch_execz .LBB232_877
.LBB232_876:
	v_lshlrev_b32_e32 v4, 24, v3
	v_and_b32_e32 v3, 0xffff, v3
	v_and_b32_e32 v5, 7, v3
	v_ffbh_u32_e32 v7, v5
	v_min_u32_e32 v7, 32, v7
	v_subrev_u32_e32 v8, 28, v7
	v_bfe_u32 v6, v3, 3, 4
	v_lshlrev_b32_e32 v3, v8, v3
	v_sub_u32_e32 v7, 29, v7
	v_and_b32_e32 v3, 7, v3
	v_cmp_eq_u32_e32 vcc, 0, v6
	v_cndmask_b32_e32 v6, v6, v7, vcc
	v_cndmask_b32_e32 v3, v5, v3, vcc
	v_mov_b32_e32 v5, 0x3b800000
	v_lshlrev_b32_e32 v3, 20, v3
	v_and_b32_e32 v4, 0x80000000, v4
	v_lshl_add_u32 v5, v6, 23, v5
	v_or3_b32 v4, v4, v5, v3
.LBB232_877:
	s_or_b64 exec, exec, s[10:11]
	v_bfe_u32 v3, v4, 16, 1
	s_movk_i32 s8, 0x7fff
	v_add3_u32 v3, v4, v3, s8
	v_cmp_o_f32_e32 vcc, v4, v4
	v_mov_b32_e32 v4, 0x7fc0
	v_cndmask_b32_sdwa v4, v4, v3, vcc dst_sel:DWORD dst_unused:UNUSED_PAD src0_sel:DWORD src1_sel:WORD_1
.LBB232_878:
	s_mov_b64 s[8:9], -1
.LBB232_879:
	s_mov_b64 s[10:11], 0
.LBB232_880:
	s_and_b64 vcc, exec, s[10:11]
	s_cbranch_vccz .LBB232_913
; %bb.881:
	s_cmp_gt_i32 s14, 22
	s_cbranch_scc0 .LBB232_891
; %bb.882:
	s_cmp_lt_i32 s14, 24
	s_cbranch_scc1 .LBB232_894
; %bb.883:
	s_cmp_gt_i32 s14, 24
	s_cbranch_scc0 .LBB232_895
; %bb.884:
	global_load_ubyte v3, v[1:2], off
	s_movk_i32 s2, 0x7f
	s_waitcnt vmcnt(0)
	v_cmp_lt_i16_e32 vcc, s2, v3
	s_mov_b64 s[2:3], 0
	s_and_saveexec_b64 s[8:9], vcc
	s_xor_b64 s[8:9], exec, s[8:9]
	s_cbranch_execz .LBB232_907
; %bb.885:
	s_movk_i32 s2, 0x80
	v_cmp_eq_u16_e32 vcc, s2, v3
	s_mov_b64 s[2:3], -1
	s_and_saveexec_b64 s[10:11], vcc
; %bb.886:
	s_xor_b64 s[2:3], exec, -1
; %bb.887:
	s_or_b64 exec, exec, s[10:11]
	s_and_b64 s[2:3], s[2:3], exec
	s_or_saveexec_b64 s[8:9], s[8:9]
	v_mov_b32_e32 v4, 0x7f800001
	s_xor_b64 exec, exec, s[8:9]
	s_cbranch_execnz .LBB232_908
.LBB232_888:
	s_or_b64 exec, exec, s[8:9]
	s_and_saveexec_b64 s[8:9], s[2:3]
	s_cbranch_execz .LBB232_890
.LBB232_889:
	v_lshlrev_b32_e32 v4, 24, v3
	v_and_b32_e32 v3, 0xffff, v3
	v_and_b32_e32 v5, 3, v3
	v_ffbh_u32_e32 v7, v5
	v_min_u32_e32 v7, 32, v7
	v_subrev_u32_e32 v8, 29, v7
	v_bfe_u32 v6, v3, 2, 5
	v_lshlrev_b32_e32 v3, v8, v3
	v_sub_u32_e32 v7, 30, v7
	v_and_b32_e32 v3, 3, v3
	v_cmp_eq_u32_e32 vcc, 0, v6
	v_cndmask_b32_e32 v6, v6, v7, vcc
	v_cndmask_b32_e32 v3, v5, v3, vcc
	v_mov_b32_e32 v5, 0x37800000
	v_lshlrev_b32_e32 v3, 21, v3
	v_and_b32_e32 v4, 0x80000000, v4
	v_lshl_add_u32 v5, v6, 23, v5
	v_or3_b32 v4, v4, v5, v3
.LBB232_890:
	s_or_b64 exec, exec, s[8:9]
	v_bfe_u32 v3, v4, 16, 1
	s_movk_i32 s2, 0x7fff
	v_add3_u32 v3, v4, v3, s2
	v_cmp_o_f32_e32 vcc, v4, v4
	v_mov_b32_e32 v4, 0x7fc0
	v_cndmask_b32_sdwa v4, v4, v3, vcc dst_sel:DWORD dst_unused:UNUSED_PAD src0_sel:DWORD src1_sel:WORD_1
	s_mov_b64 s[2:3], 0
	s_branch .LBB232_896
.LBB232_891:
	s_mov_b64 s[2:3], -1
                                        ; implicit-def: $vgpr4
	s_branch .LBB232_902
.LBB232_892:
	s_or_saveexec_b64 s[10:11], s[10:11]
	v_mov_b32_e32 v4, 0x7f800001
	s_xor_b64 exec, exec, s[10:11]
	s_cbranch_execz .LBB232_875
.LBB232_893:
	v_cmp_ne_u16_e32 vcc, 0, v3
	s_andn2_b64 s[8:9], s[8:9], exec
	s_and_b64 s[12:13], vcc, exec
	v_mov_b32_e32 v4, 0
	s_or_b64 s[8:9], s[8:9], s[12:13]
	s_or_b64 exec, exec, s[10:11]
	s_and_saveexec_b64 s[10:11], s[8:9]
	s_cbranch_execnz .LBB232_876
	s_branch .LBB232_877
.LBB232_894:
	s_mov_b64 s[2:3], -1
                                        ; implicit-def: $vgpr4
	s_branch .LBB232_899
.LBB232_895:
	s_mov_b64 s[2:3], -1
                                        ; implicit-def: $vgpr4
.LBB232_896:
	s_and_b64 vcc, exec, s[2:3]
	s_cbranch_vccz .LBB232_898
; %bb.897:
	global_load_ubyte v3, v[1:2], off
	s_mov_b32 s2, 0x7f800000
	s_brev_b32 s3, 1
	s_movk_i32 s8, 0x7fff
	s_waitcnt vmcnt(0)
	v_lshlrev_b32_e32 v3, 24, v3
	v_and_b32_e32 v4, 0x7f000000, v3
	v_ffbh_u32_e32 v5, v4
	v_min_u32_e32 v5, 32, v5
	v_sub_u32_e64 v5, v5, 4 clamp
	v_lshlrev_b32_e32 v7, v5, v4
	v_lshlrev_b32_e32 v5, 23, v5
	v_lshrrev_b32_e32 v7, 4, v7
	v_add_u32_e32 v6, 0x1000000, v4
	v_sub_u32_e32 v5, v7, v5
	v_ashrrev_i32_e32 v6, 8, v6
	v_add_u32_e32 v5, 0x3c000000, v5
	v_and_or_b32 v5, v6, s2, v5
	v_cmp_ne_u32_e32 vcc, 0, v4
	v_cndmask_b32_e32 v4, 0, v5, vcc
	v_and_or_b32 v3, v3, s3, v4
	v_bfe_u32 v4, v4, 16, 1
	v_add3_u32 v4, v3, v4, s8
	v_cmp_o_f32_e32 vcc, v3, v3
	v_mov_b32_e32 v3, 0x7fc0
	v_cndmask_b32_sdwa v4, v3, v4, vcc dst_sel:DWORD dst_unused:UNUSED_PAD src0_sel:DWORD src1_sel:WORD_1
.LBB232_898:
	s_mov_b64 s[2:3], 0
.LBB232_899:
	s_andn2_b64 vcc, exec, s[2:3]
	s_cbranch_vccnz .LBB232_901
; %bb.900:
	global_load_ubyte v3, v[1:2], off
	s_movk_i32 s2, 0x7f00
	s_brev_b32 s3, 16
	s_brev_b32 s8, 1
	s_movk_i32 s9, 0x7fff
	s_waitcnt vmcnt(0)
	v_lshlrev_b16_e32 v4, 8, v3
	v_lshlrev_b32_e32 v3, 25, v3
	v_lshrrev_b32_e32 v5, 4, v3
	v_and_or_b32 v6, v4, s2, 0.5
	v_or_b32_e32 v5, 0x70000000, v5
	v_add_f32_e32 v6, -0.5, v6
	v_mul_f32_e32 v5, 0x7800000, v5
	v_cmp_gt_u32_e32 vcc, s3, v3
	v_bfe_i32 v4, v4, 0, 16
	v_cndmask_b32_e32 v3, v5, v6, vcc
	v_and_or_b32 v4, v4, s8, v3
	v_bfe_u32 v3, v3, 16, 1
	v_add3_u32 v3, v4, v3, s9
	v_cmp_o_f32_e32 vcc, v4, v4
	v_mov_b32_e32 v4, 0x7fc0
	v_cndmask_b32_sdwa v4, v4, v3, vcc dst_sel:DWORD dst_unused:UNUSED_PAD src0_sel:DWORD src1_sel:WORD_1
.LBB232_901:
	s_mov_b64 s[2:3], 0
	s_mov_b64 s[8:9], -1
.LBB232_902:
	s_andn2_b64 vcc, exec, s[2:3]
	s_mov_b64 s[2:3], 0
	s_cbranch_vccnz .LBB232_913
; %bb.903:
	s_cmp_gt_i32 s14, 14
	s_cbranch_scc0 .LBB232_906
; %bb.904:
	s_cmp_eq_u32 s14, 15
	s_cbranch_scc0 .LBB232_909
; %bb.905:
	global_load_ushort v4, v[1:2], off
	s_mov_b64 s[0:1], 0
	s_mov_b64 s[8:9], -1
	s_branch .LBB232_910
.LBB232_906:
	s_mov_b64 s[10:11], -1
                                        ; implicit-def: $vgpr4
	s_branch .LBB232_911
.LBB232_907:
	s_or_saveexec_b64 s[8:9], s[8:9]
	v_mov_b32_e32 v4, 0x7f800001
	s_xor_b64 exec, exec, s[8:9]
	s_cbranch_execz .LBB232_888
.LBB232_908:
	v_cmp_ne_u16_e32 vcc, 0, v3
	s_andn2_b64 s[2:3], s[2:3], exec
	s_and_b64 s[10:11], vcc, exec
	v_mov_b32_e32 v4, 0
	s_or_b64 s[2:3], s[2:3], s[10:11]
	s_or_b64 exec, exec, s[8:9]
	s_and_saveexec_b64 s[8:9], s[2:3]
	s_cbranch_execnz .LBB232_889
	s_branch .LBB232_890
.LBB232_909:
	s_mov_b64 s[0:1], -1
                                        ; implicit-def: $vgpr4
.LBB232_910:
	s_mov_b64 s[10:11], 0
.LBB232_911:
	s_and_b64 vcc, exec, s[10:11]
	s_cbranch_vccz .LBB232_913
; %bb.912:
	s_cmp_lg_u32 s14, 11
	s_cselect_b64 s[10:11], -1, 0
	s_andn2_b64 s[0:1], s[0:1], exec
	s_and_b64 s[10:11], s[10:11], exec
	s_mov_b64 s[2:3], -1
	s_or_b64 s[0:1], s[0:1], s[10:11]
.LBB232_913:
	s_mov_b64 s[12:13], 0
.LBB232_914:
	s_and_b64 s[10:11], s[8:9], exec
	s_and_b64 s[8:9], s[12:13], exec
	s_andn2_b64 s[12:13], s[68:69], exec
	s_and_b64 s[0:1], s[0:1], exec
	s_and_b64 s[2:3], s[2:3], exec
	s_or_b64 s[12:13], s[12:13], s[0:1]
.LBB232_915:
	s_or_b64 exec, exec, s[72:73]
	s_and_b64 s[0:1], s[2:3], exec
	s_andn2_b64 s[2:3], s[68:69], exec
	s_and_b64 s[12:13], s[12:13], exec
	s_and_b64 s[10:11], s[10:11], exec
	;; [unrolled: 1-line block ×3, first 2 shown]
	s_or_b64 s[68:69], s[2:3], s[12:13]
.LBB232_916:
	s_or_b64 exec, exec, s[66:67]
	s_andn2_b64 s[2:3], s[62:63], exec
	s_and_b64 s[12:13], s[70:71], exec
	s_or_b64 s[62:63], s[2:3], s[12:13]
	s_and_b64 s[2:3], s[0:1], exec
	s_andn2_b64 s[0:1], s[60:61], exec
	s_and_b64 s[12:13], s[68:69], exec
	s_and_b64 s[10:11], s[10:11], exec
	;; [unrolled: 1-line block ×3, first 2 shown]
	s_or_b64 s[60:61], s[0:1], s[12:13]
.LBB232_917:
	s_or_b64 exec, exec, s[64:65]
	s_andn2_b64 s[0:1], s[54:55], exec
	s_and_b64 s[12:13], s[62:63], exec
	s_or_b64 s[54:55], s[0:1], s[12:13]
	s_and_b64 s[0:1], s[10:11], exec
	s_and_b64 s[10:11], s[8:9], exec
	;; [unrolled: 1-line block ×3, first 2 shown]
	s_andn2_b64 s[2:3], s[56:57], exec
	s_and_b64 s[8:9], s[60:61], exec
	s_or_b64 s[56:57], s[2:3], s[8:9]
	s_or_b64 exec, exec, s[58:59]
	s_mov_b64 s[2:3], 0
	s_and_saveexec_b64 s[8:9], s[56:57]
	s_cbranch_execz .LBB232_274
.LBB232_918:
	s_mov_b64 s[2:3], exec
	s_andn2_b64 s[62:63], s[62:63], exec
	s_trap 2
	s_or_b64 exec, exec, s[8:9]
	s_and_saveexec_b64 s[8:9], s[62:63]
	s_xor_b64 s[8:9], exec, s[8:9]
	s_cbranch_execnz .LBB232_275
.LBB232_919:
	s_or_b64 exec, exec, s[8:9]
	s_and_saveexec_b64 s[8:9], s[10:11]
	s_cbranch_execz .LBB232_965
.LBB232_920:
	s_sext_i32_i16 s10, s77
	s_cmp_lt_i32 s10, 5
	s_cbranch_scc1 .LBB232_925
; %bb.921:
	s_cmp_lt_i32 s10, 8
	s_cbranch_scc1 .LBB232_926
; %bb.922:
	;; [unrolled: 3-line block ×3, first 2 shown]
	s_cmp_gt_i32 s10, 9
	s_cbranch_scc0 .LBB232_928
; %bb.924:
	global_load_dwordx2 v[3:4], v[1:2], off
	s_movk_i32 s10, 0x7fff
	s_waitcnt vmcnt(0)
	v_cvt_f32_f64_e32 v3, v[3:4]
	v_mov_b32_e32 v4, 0x7fc0
	v_bfe_u32 v5, v3, 16, 1
	v_cmp_o_f32_e32 vcc, v3, v3
	v_add3_u32 v3, v3, v5, s10
	v_cndmask_b32_sdwa v4, v4, v3, vcc dst_sel:DWORD dst_unused:UNUSED_PAD src0_sel:DWORD src1_sel:WORD_1
	s_mov_b64 s[10:11], 0
	s_branch .LBB232_929
.LBB232_925:
                                        ; implicit-def: $vgpr4
	s_branch .LBB232_946
.LBB232_926:
                                        ; implicit-def: $vgpr4
	s_branch .LBB232_935
.LBB232_927:
	s_mov_b64 s[10:11], -1
                                        ; implicit-def: $vgpr4
	s_branch .LBB232_932
.LBB232_928:
	s_mov_b64 s[10:11], -1
                                        ; implicit-def: $vgpr4
.LBB232_929:
	s_andn2_b64 vcc, exec, s[10:11]
	s_cbranch_vccnz .LBB232_931
; %bb.930:
	global_load_dword v3, v[1:2], off
	s_movk_i32 s10, 0x7fff
	s_waitcnt vmcnt(1)
	v_mov_b32_e32 v4, 0x7fc0
	s_waitcnt vmcnt(0)
	v_bfe_u32 v5, v3, 16, 1
	v_cmp_o_f32_e32 vcc, v3, v3
	v_add3_u32 v3, v3, v5, s10
	v_cndmask_b32_sdwa v4, v4, v3, vcc dst_sel:DWORD dst_unused:UNUSED_PAD src0_sel:DWORD src1_sel:WORD_1
.LBB232_931:
	s_mov_b64 s[10:11], 0
.LBB232_932:
	s_andn2_b64 vcc, exec, s[10:11]
	s_cbranch_vccnz .LBB232_934
; %bb.933:
	global_load_dword v3, v[1:2], off
	s_movk_i32 s10, 0x7fff
	v_mov_b32_e32 v5, 0x7fc0
	s_waitcnt vmcnt(0)
	v_cvt_f32_f16_e32 v4, v3
	v_cmp_o_f16_e32 vcc, v3, v3
	v_bfe_u32 v3, v4, 16, 1
	v_add3_u32 v3, v4, v3, s10
	v_cndmask_b32_sdwa v4, v5, v3, vcc dst_sel:DWORD dst_unused:UNUSED_PAD src0_sel:DWORD src1_sel:WORD_1
.LBB232_934:
	s_cbranch_execnz .LBB232_945
.LBB232_935:
	s_sext_i32_i16 s10, s77
	s_cmp_lt_i32 s10, 6
	s_cbranch_scc1 .LBB232_938
; %bb.936:
	s_cmp_gt_i32 s10, 6
	s_cbranch_scc0 .LBB232_939
; %bb.937:
	global_load_dwordx2 v[3:4], v[1:2], off
	s_movk_i32 s10, 0x7fff
	s_waitcnt vmcnt(0)
	v_cvt_f32_f64_e32 v3, v[3:4]
	v_mov_b32_e32 v4, 0x7fc0
	v_bfe_u32 v5, v3, 16, 1
	v_cmp_o_f32_e32 vcc, v3, v3
	v_add3_u32 v3, v3, v5, s10
	v_cndmask_b32_sdwa v4, v4, v3, vcc dst_sel:DWORD dst_unused:UNUSED_PAD src0_sel:DWORD src1_sel:WORD_1
	s_mov_b64 s[10:11], 0
	s_branch .LBB232_940
.LBB232_938:
	s_mov_b64 s[10:11], -1
                                        ; implicit-def: $vgpr4
	s_branch .LBB232_943
.LBB232_939:
	s_mov_b64 s[10:11], -1
                                        ; implicit-def: $vgpr4
.LBB232_940:
	s_andn2_b64 vcc, exec, s[10:11]
	s_cbranch_vccnz .LBB232_942
; %bb.941:
	global_load_dword v3, v[1:2], off
	s_movk_i32 s10, 0x7fff
	s_waitcnt vmcnt(1)
	v_mov_b32_e32 v4, 0x7fc0
	s_waitcnt vmcnt(0)
	v_bfe_u32 v5, v3, 16, 1
	v_cmp_o_f32_e32 vcc, v3, v3
	v_add3_u32 v3, v3, v5, s10
	v_cndmask_b32_sdwa v4, v4, v3, vcc dst_sel:DWORD dst_unused:UNUSED_PAD src0_sel:DWORD src1_sel:WORD_1
.LBB232_942:
	s_mov_b64 s[10:11], 0
.LBB232_943:
	s_andn2_b64 vcc, exec, s[10:11]
	s_cbranch_vccnz .LBB232_945
; %bb.944:
	global_load_ushort v3, v[1:2], off
	s_movk_i32 s10, 0x7fff
	v_mov_b32_e32 v5, 0x7fc0
	s_waitcnt vmcnt(0)
	v_cvt_f32_f16_e32 v4, v3
	v_cmp_o_f16_e32 vcc, v3, v3
	v_bfe_u32 v3, v4, 16, 1
	v_add3_u32 v3, v4, v3, s10
	v_cndmask_b32_sdwa v4, v5, v3, vcc dst_sel:DWORD dst_unused:UNUSED_PAD src0_sel:DWORD src1_sel:WORD_1
.LBB232_945:
	s_cbranch_execnz .LBB232_964
.LBB232_946:
	s_sext_i32_i16 s10, s77
	s_cmp_lt_i32 s10, 2
	s_cbranch_scc1 .LBB232_950
; %bb.947:
	s_cmp_lt_i32 s10, 3
	s_cbranch_scc1 .LBB232_951
; %bb.948:
	s_cmp_gt_i32 s10, 3
	s_cbranch_scc0 .LBB232_952
; %bb.949:
	global_load_dwordx2 v[3:4], v[1:2], off
	s_movk_i32 s10, 0x7fff
	s_waitcnt vmcnt(0)
	v_xor_b32_e32 v6, v3, v4
	v_ffbh_i32_e32 v5, v4
	v_ashrrev_i32_e32 v6, 31, v6
	v_add_u32_e32 v5, -1, v5
	v_add_u32_e32 v6, 32, v6
	v_min_u32_e32 v5, v5, v6
	v_lshlrev_b64 v[3:4], v5, v[3:4]
	v_min_u32_e32 v3, 1, v3
	v_or_b32_e32 v3, v4, v3
	v_cvt_f32_i32_e32 v3, v3
	v_sub_u32_e32 v4, 32, v5
	v_ldexp_f32 v3, v3, v4
	v_bfe_u32 v4, v3, 16, 1
	v_add3_u32 v3, v3, v4, s10
	v_lshrrev_b32_e32 v4, 16, v3
	s_mov_b64 s[10:11], 0
	s_branch .LBB232_953
.LBB232_950:
                                        ; implicit-def: $vgpr4
	s_branch .LBB232_959
.LBB232_951:
	s_mov_b64 s[10:11], -1
                                        ; implicit-def: $vgpr4
	s_branch .LBB232_956
.LBB232_952:
	s_mov_b64 s[10:11], -1
                                        ; implicit-def: $vgpr4
.LBB232_953:
	s_andn2_b64 vcc, exec, s[10:11]
	s_cbranch_vccnz .LBB232_955
; %bb.954:
	global_load_dword v3, v[1:2], off
	s_movk_i32 s10, 0x7fff
	s_waitcnt vmcnt(0)
	v_cvt_f32_i32_e32 v3, v3
	v_bfe_u32 v4, v3, 16, 1
	v_add3_u32 v3, v3, v4, s10
	v_lshrrev_b32_e32 v4, 16, v3
.LBB232_955:
	s_mov_b64 s[10:11], 0
.LBB232_956:
	s_andn2_b64 vcc, exec, s[10:11]
	s_cbranch_vccnz .LBB232_958
; %bb.957:
	global_load_sshort v3, v[1:2], off
	s_movk_i32 s10, 0x7fff
	s_waitcnt vmcnt(0)
	v_cvt_f32_i32_e32 v3, v3
	v_bfe_u32 v4, v3, 16, 1
	v_add3_u32 v3, v3, v4, s10
	v_lshrrev_b32_e32 v4, 16, v3
.LBB232_958:
	s_cbranch_execnz .LBB232_964
.LBB232_959:
	s_sext_i32_i16 s10, s77
	s_cmp_gt_i32 s10, 0
	s_cbranch_scc0 .LBB232_961
; %bb.960:
	global_load_sbyte v3, v[1:2], off
	s_movk_i32 s10, 0x7fff
	s_waitcnt vmcnt(0)
	v_cvt_f32_i32_e32 v3, v3
	v_bfe_u32 v4, v3, 16, 1
	v_add3_u32 v3, v3, v4, s10
	v_lshrrev_b32_e32 v4, 16, v3
	s_mov_b64 s[10:11], 0
	s_branch .LBB232_962
.LBB232_961:
	s_mov_b64 s[10:11], -1
                                        ; implicit-def: $vgpr4
.LBB232_962:
	s_andn2_b64 vcc, exec, s[10:11]
	s_cbranch_vccnz .LBB232_964
; %bb.963:
	global_load_ubyte v1, v[1:2], off
	s_movk_i32 s10, 0x7fff
	s_waitcnt vmcnt(0)
	v_cvt_f32_ubyte0_e32 v1, v1
	v_bfe_u32 v2, v1, 16, 1
	v_add3_u32 v1, v1, v2, s10
	v_lshrrev_b32_e32 v4, 16, v1
.LBB232_964:
	s_or_b64 s[0:1], s[0:1], exec
.LBB232_965:
	s_or_b64 exec, exec, s[8:9]
	s_mov_b64 s[12:13], 0
	s_mov_b64 s[10:11], 0
                                        ; implicit-def: $sgpr18
                                        ; implicit-def: $vgpr1_vgpr2
                                        ; implicit-def: $vgpr3
	s_and_saveexec_b64 s[8:9], s[0:1]
	s_cbranch_execz .LBB232_983
; %bb.966:
	s_waitcnt vmcnt(0)
	v_lshlrev_b32_e32 v1, 16, v4
	v_mov_b32_e32 v2, s45
	v_mov_b32_e32 v3, s76
	v_cmp_ge_f32_e32 vcc, s44, v1
	v_cndmask_b32_e32 v3, v2, v3, vcc
	v_mov_b32_e32 v2, s25
	s_and_b32 s18, s75, 0xff
	v_add_co_u32_e32 v1, vcc, s24, v0
	s_cmp_lt_i32 s18, 11
	v_addc_co_u32_e32 v2, vcc, 0, v2, vcc
	s_cbranch_scc1 .LBB232_986
; %bb.967:
	s_and_b32 s19, 0xffff, s18
	s_mov_b64 s[12:13], -1
	s_cmp_gt_i32 s19, 25
	s_mov_b64 s[0:1], s[54:55]
	s_cbranch_scc0 .LBB232_1004
; %bb.968:
	s_mov_b64 s[10:11], -1
	s_cmp_gt_i32 s19, 28
	s_mov_b64 s[0:1], s[54:55]
	s_cbranch_scc0 .LBB232_988
; %bb.969:
	s_cmp_gt_i32 s19, 43
	s_mov_b64 s[0:1], s[54:55]
	s_cbranch_scc0 .LBB232_980
; %bb.970:
	;; [unrolled: 4-line block ×3, first 2 shown]
	s_cmp_eq_u32 s19, 46
	s_mov_b64 s[0:1], -1
	s_cbranch_scc0 .LBB232_973
; %bb.972:
	v_and_b32_e32 v0, 0xffff, v3
	global_store_dword v[1:2], v0, off
	s_mov_b64 s[0:1], 0
.LBB232_973:
	s_mov_b64 s[10:11], 0
.LBB232_974:
	s_and_b64 vcc, exec, s[10:11]
	s_cbranch_vccz .LBB232_979
; %bb.975:
	s_cmp_eq_u32 s19, 44
	s_mov_b64 s[0:1], -1
	s_cbranch_scc0 .LBB232_979
; %bb.976:
	v_and_b32_e32 v4, 0xffff, v3
	v_bfe_u32 v0, v4, 7, 8
	s_movk_i32 s0, 0xff
	v_cmp_ne_u32_e32 vcc, s0, v0
	v_mov_b32_e32 v5, 0xff
	s_and_saveexec_b64 s[10:11], vcc
	s_cbranch_execz .LBB232_978
; %bb.977:
	v_lshlrev_b32_e32 v6, 16, v4
	s_mov_b32 s0, 0x3f0000
	v_lshrrev_b32_e32 v5, 7, v4
	v_and_b32_e32 v4, 64, v4
	v_and_or_b32 v0, v6, s0, v0
	v_cmp_ne_u32_e32 vcc, 0, v4
	v_cmp_ne_u32_e64 s[0:1], 0, v0
	s_and_b64 s[0:1], vcc, s[0:1]
	v_cndmask_b32_e64 v0, 0, 1, s[0:1]
	v_add_u32_e32 v5, v5, v0
.LBB232_978:
	s_or_b64 exec, exec, s[10:11]
	s_mov_b64 s[0:1], 0
	global_store_byte v[1:2], v5, off
.LBB232_979:
	s_mov_b64 s[10:11], 0
.LBB232_980:
	s_and_b64 vcc, exec, s[10:11]
	s_cbranch_vccz .LBB232_987
; %bb.981:
	s_cmp_eq_u32 s19, 29
	s_mov_b64 s[0:1], -1
	s_cbranch_scc0 .LBB232_987
; %bb.982:
	v_lshlrev_b32_e32 v0, 16, v3
	v_trunc_f32_e32 v0, v0
	v_mul_f32_e32 v4, 0x2f800000, v0
	v_floor_f32_e32 v4, v4
	v_fmac_f32_e32 v0, 0xcf800000, v4
	v_cvt_u32_f32_e32 v5, v4
	v_cvt_u32_f32_e32 v4, v0
	s_mov_b64 s[0:1], 0
	s_mov_b64 s[10:11], 0
	global_store_dwordx2 v[1:2], v[4:5], off
	s_branch .LBB232_988
.LBB232_983:
	s_or_b64 exec, exec, s[8:9]
	s_and_saveexec_b64 s[0:1], s[54:55]
	s_cbranch_execnz .LBB232_1046
.LBB232_984:
	s_or_b64 exec, exec, s[0:1]
	s_and_saveexec_b64 s[0:1], s[12:13]
	s_xor_b64 s[0:1], exec, s[0:1]
	s_cbranch_execz .LBB232_1047
.LBB232_985:
	s_waitcnt vmcnt(0)
	v_and_b32_e32 v0, 0x7fff, v3
	v_cmp_ne_u16_e32 vcc, 0, v0
	v_cndmask_b32_e64 v0, 0, 1, vcc
	global_store_byte v[1:2], v0, off
	s_or_b64 exec, exec, s[0:1]
	s_and_saveexec_b64 s[0:1], s[10:11]
	s_xor_b64 s[0:1], exec, s[0:1]
	s_cbranch_execz .LBB232_1085
	s_branch .LBB232_1048
.LBB232_986:
	s_mov_b64 s[10:11], -1
	s_mov_b64 s[0:1], s[54:55]
	s_branch .LBB232_1045
.LBB232_987:
	s_mov_b64 s[10:11], 0
.LBB232_988:
	s_and_b64 vcc, exec, s[10:11]
	s_cbranch_vccz .LBB232_1003
; %bb.989:
	s_cmp_lt_i32 s19, 27
	s_mov_b64 s[10:11], -1
	s_cbranch_scc1 .LBB232_995
; %bb.990:
	s_cmp_gt_i32 s19, 27
	s_cbranch_scc0 .LBB232_992
; %bb.991:
	v_lshlrev_b32_e32 v0, 16, v3
	v_cvt_u32_f32_e32 v0, v0
	s_mov_b64 s[10:11], 0
	global_store_dword v[1:2], v0, off
.LBB232_992:
	s_andn2_b64 vcc, exec, s[10:11]
	s_cbranch_vccnz .LBB232_994
; %bb.993:
	v_lshlrev_b32_e32 v0, 16, v3
	v_cvt_u32_f32_e32 v0, v0
	global_store_short v[1:2], v0, off
.LBB232_994:
	s_mov_b64 s[10:11], 0
.LBB232_995:
	s_andn2_b64 vcc, exec, s[10:11]
	s_cbranch_vccnz .LBB232_1003
; %bb.996:
	v_lshlrev_b32_e32 v5, 16, v3
	v_and_b32_e32 v4, 0x7fffffff, v5
	s_mov_b32 s10, 0x43800000
	v_cmp_gt_u32_e32 vcc, s10, v4
	v_mov_b32_e32 v6, 0x80
	s_and_saveexec_b64 s[10:11], vcc
	s_cbranch_execz .LBB232_1002
; %bb.997:
	s_mov_b32 s12, 0x3bffffff
	v_and_b32_e32 v0, 0xffff, v3
	v_cmp_lt_u32_e32 vcc, s12, v4
	s_mov_b64 s[12:13], 0
                                        ; implicit-def: $vgpr4
	s_and_saveexec_b64 s[14:15], vcc
	s_xor_b64 s[14:15], exec, s[14:15]
	s_cbranch_execz .LBB232_1156
; %bb.998:
	v_bfe_u32 v4, v0, 4, 1
	s_mov_b32 s16, 0x487ffff
	v_add3_u32 v4, v5, v4, s16
	s_mov_b64 s[12:13], exec
	v_lshrrev_b32_e32 v4, 20, v4
                                        ; implicit-def: $vgpr5
	s_andn2_saveexec_b64 s[14:15], s[14:15]
	s_cbranch_execnz .LBB232_1157
.LBB232_999:
	s_or_b64 exec, exec, s[14:15]
	v_mov_b32_e32 v6, 0
	s_and_saveexec_b64 s[14:15], s[12:13]
.LBB232_1000:
	v_lshrrev_b32_e32 v0, 8, v0
	s_movk_i32 s12, 0x80
	v_and_or_b32 v6, v0, s12, v4
.LBB232_1001:
	s_or_b64 exec, exec, s[14:15]
.LBB232_1002:
	s_or_b64 exec, exec, s[10:11]
	global_store_byte v[1:2], v6, off
.LBB232_1003:
	s_mov_b64 s[12:13], 0
.LBB232_1004:
	s_mov_b64 s[10:11], 0
	s_and_b64 vcc, exec, s[12:13]
	s_cbranch_vccz .LBB232_1044
; %bb.1005:
	s_cmp_gt_i32 s19, 22
	s_mov_b64 s[12:13], -1
	s_cbranch_scc0 .LBB232_1037
; %bb.1006:
	s_cmp_lt_i32 s19, 24
	s_cbranch_scc1 .LBB232_1026
; %bb.1007:
	s_cmp_gt_i32 s19, 24
	s_cbranch_scc0 .LBB232_1015
; %bb.1008:
	v_lshlrev_b32_e32 v5, 16, v3
	v_and_b32_e32 v4, 0x7fffffff, v5
	s_mov_b32 s12, 0x47800000
	v_cmp_gt_u32_e32 vcc, s12, v4
	v_mov_b32_e32 v6, 0x80
	s_and_saveexec_b64 s[12:13], vcc
	s_cbranch_execz .LBB232_1014
; %bb.1009:
	s_mov_b32 s14, 0x37ffffff
	v_and_b32_e32 v0, 0xffff, v3
	v_cmp_lt_u32_e32 vcc, s14, v4
	s_mov_b64 s[14:15], 0
                                        ; implicit-def: $vgpr4
	s_and_saveexec_b64 s[16:17], vcc
	s_xor_b64 s[16:17], exec, s[16:17]
	s_cbranch_execz .LBB232_1280
; %bb.1010:
	v_bfe_u32 v4, v0, 5, 1
	s_mov_b32 s20, 0x88fffff
	v_add3_u32 v4, v5, v4, s20
	s_mov_b64 s[14:15], exec
	v_lshrrev_b32_e32 v4, 21, v4
                                        ; implicit-def: $vgpr5
	s_andn2_saveexec_b64 s[16:17], s[16:17]
	s_cbranch_execnz .LBB232_1281
.LBB232_1011:
	s_or_b64 exec, exec, s[16:17]
	v_mov_b32_e32 v6, 0
	s_and_saveexec_b64 s[16:17], s[14:15]
.LBB232_1012:
	v_lshrrev_b32_e32 v0, 8, v0
	s_movk_i32 s14, 0x80
	v_and_or_b32 v6, v0, s14, v4
.LBB232_1013:
	s_or_b64 exec, exec, s[16:17]
.LBB232_1014:
	s_or_b64 exec, exec, s[12:13]
	s_mov_b64 s[12:13], 0
	global_store_byte v[1:2], v6, off
.LBB232_1015:
	s_and_b64 vcc, exec, s[12:13]
	s_cbranch_vccz .LBB232_1025
; %bb.1016:
	v_lshlrev_b32_e32 v5, 16, v3
	v_and_b32_e32 v6, 0x7fffffff, v5
	s_mov_b32 s12, 0x43f00000
	v_and_b32_e32 v0, 0xffff, v3
	v_cmp_gt_u32_e32 vcc, s12, v6
                                        ; implicit-def: $vgpr4
	s_and_saveexec_b64 s[12:13], vcc
	s_xor_b64 s[12:13], exec, s[12:13]
	s_cbranch_execz .LBB232_1022
; %bb.1017:
	s_mov_b32 s14, 0x3c7fffff
	v_cmp_lt_u32_e32 vcc, s14, v6
                                        ; implicit-def: $vgpr4
	s_and_saveexec_b64 s[14:15], vcc
	s_xor_b64 s[14:15], exec, s[14:15]
; %bb.1018:
	v_bfe_u32 v4, v0, 4, 1
	s_mov_b32 s16, 0x407ffff
	v_add3_u32 v4, v5, v4, s16
	v_lshrrev_b32_e32 v5, 20, v4
	v_and_b32_e32 v4, 0xff00000, v4
	s_mov_b32 s16, 0x7f00000
	v_mov_b32_e32 v6, 0x7e
	v_cmp_ne_u32_e32 vcc, s16, v4
	v_cndmask_b32_e32 v4, v6, v5, vcc
                                        ; implicit-def: $vgpr5
; %bb.1019:
	s_andn2_saveexec_b64 s[14:15], s[14:15]
; %bb.1020:
	s_mov_b32 s16, 0x46800000
	v_add_f32_e64 v4, |v5|, s16
; %bb.1021:
	s_or_b64 exec, exec, s[14:15]
                                        ; implicit-def: $vgpr6
.LBB232_1022:
	s_andn2_saveexec_b64 s[12:13], s[12:13]
; %bb.1023:
	s_mov_b32 s14, 0x7f800000
	v_mov_b32_e32 v4, 0x7e
	v_mov_b32_e32 v5, 0x7f
	v_cmp_lt_u32_e32 vcc, s14, v6
	v_cndmask_b32_e32 v4, v4, v5, vcc
; %bb.1024:
	s_or_b64 exec, exec, s[12:13]
	v_lshrrev_b32_e32 v0, 8, v0
	s_movk_i32 s12, 0x80
	v_and_or_b32 v0, v0, s12, v4
	global_store_byte v[1:2], v0, off
.LBB232_1025:
	s_mov_b64 s[12:13], 0
.LBB232_1026:
	s_andn2_b64 vcc, exec, s[12:13]
	s_cbranch_vccnz .LBB232_1036
; %bb.1027:
	v_lshlrev_b32_e32 v5, 16, v3
	v_and_b32_e32 v6, 0x7fffffff, v5
	s_mov_b32 s12, 0x47800000
	v_and_b32_e32 v0, 0xffff, v3
	v_cmp_gt_u32_e32 vcc, s12, v6
                                        ; implicit-def: $vgpr4
	s_and_saveexec_b64 s[12:13], vcc
	s_xor_b64 s[12:13], exec, s[12:13]
	s_cbranch_execz .LBB232_1033
; %bb.1028:
	s_mov_b32 s14, 0x387fffff
	v_cmp_lt_u32_e32 vcc, s14, v6
                                        ; implicit-def: $vgpr4
	s_and_saveexec_b64 s[14:15], vcc
	s_xor_b64 s[14:15], exec, s[14:15]
; %bb.1029:
	v_bfe_u32 v4, v0, 5, 1
	s_mov_b32 s16, 0x80fffff
	v_add3_u32 v4, v5, v4, s16
	v_lshrrev_b32_e32 v4, 21, v4
                                        ; implicit-def: $vgpr5
; %bb.1030:
	s_andn2_saveexec_b64 s[14:15], s[14:15]
; %bb.1031:
	s_mov_b32 s16, 0x43000000
	v_add_f32_e64 v4, |v5|, s16
; %bb.1032:
	s_or_b64 exec, exec, s[14:15]
                                        ; implicit-def: $vgpr6
.LBB232_1033:
	s_andn2_saveexec_b64 s[12:13], s[12:13]
; %bb.1034:
	s_mov_b32 s14, 0x7f800000
	v_mov_b32_e32 v4, 0x7c
	v_mov_b32_e32 v5, 0x7f
	v_cmp_lt_u32_e32 vcc, s14, v6
	v_cndmask_b32_e32 v4, v4, v5, vcc
; %bb.1035:
	s_or_b64 exec, exec, s[12:13]
	v_lshrrev_b32_e32 v0, 8, v0
	s_movk_i32 s12, 0x80
	v_and_or_b32 v0, v0, s12, v4
	global_store_byte v[1:2], v0, off
.LBB232_1036:
	s_mov_b64 s[12:13], 0
.LBB232_1037:
	s_andn2_b64 vcc, exec, s[12:13]
	s_mov_b64 s[12:13], 0
	s_cbranch_vccnz .LBB232_1045
; %bb.1038:
	s_cmp_gt_i32 s19, 14
	s_mov_b64 s[14:15], -1
	s_cbranch_scc0 .LBB232_1042
; %bb.1039:
	s_cmp_eq_u32 s19, 15
	s_mov_b64 s[0:1], -1
	s_cbranch_scc0 .LBB232_1041
; %bb.1040:
	global_store_short v[1:2], v3, off
	s_mov_b64 s[0:1], 0
.LBB232_1041:
	s_mov_b64 s[14:15], 0
.LBB232_1042:
	s_and_b64 vcc, exec, s[14:15]
	s_cbranch_vccz .LBB232_1045
; %bb.1043:
	s_cmp_lg_u32 s19, 11
	s_cselect_b64 s[14:15], -1, 0
	s_andn2_b64 s[0:1], s[0:1], exec
	s_and_b64 s[14:15], s[14:15], exec
	s_mov_b64 s[12:13], -1
	s_or_b64 s[0:1], s[0:1], s[14:15]
	s_branch .LBB232_1045
.LBB232_1044:
	s_mov_b64 s[12:13], 0
.LBB232_1045:
	s_andn2_b64 s[14:15], s[54:55], exec
	s_and_b64 s[0:1], s[0:1], exec
	s_and_b64 s[10:11], s[10:11], exec
	;; [unrolled: 1-line block ×3, first 2 shown]
	s_or_b64 s[54:55], s[14:15], s[0:1]
	s_or_b64 exec, exec, s[8:9]
	s_and_saveexec_b64 s[0:1], s[54:55]
	s_cbranch_execz .LBB232_984
.LBB232_1046:
	s_or_b64 s[2:3], s[2:3], exec
	s_andn2_b64 s[12:13], s[12:13], exec
	s_trap 2
	s_or_b64 exec, exec, s[0:1]
	s_and_saveexec_b64 s[0:1], s[12:13]
	s_xor_b64 s[0:1], exec, s[0:1]
	s_cbranch_execnz .LBB232_985
.LBB232_1047:
	s_or_b64 exec, exec, s[0:1]
	s_and_saveexec_b64 s[0:1], s[10:11]
	s_xor_b64 s[0:1], exec, s[0:1]
	s_cbranch_execz .LBB232_1085
.LBB232_1048:
	s_sext_i32_i16 s10, s18
	s_cmp_lt_i32 s10, 5
	s_mov_b64 s[8:9], -1
	s_cbranch_scc1 .LBB232_1069
; %bb.1049:
	s_cmp_lt_i32 s10, 8
	s_cbranch_scc1 .LBB232_1059
; %bb.1050:
	s_cmp_lt_i32 s10, 9
	s_cbranch_scc1 .LBB232_1056
; %bb.1051:
	s_cmp_gt_i32 s10, 9
	s_cbranch_scc0 .LBB232_1053
; %bb.1052:
	s_waitcnt vmcnt(0)
	v_lshlrev_b32_e32 v0, 16, v3
	v_cvt_f64_f32_e32 v[4:5], v0
	v_mov_b32_e32 v6, 0
	v_mov_b32_e32 v7, v6
	s_mov_b64 s[8:9], 0
	global_store_dwordx4 v[1:2], v[4:7], off
.LBB232_1053:
	s_andn2_b64 vcc, exec, s[8:9]
	s_cbranch_vccnz .LBB232_1055
; %bb.1054:
	s_waitcnt vmcnt(0)
	v_lshlrev_b32_e32 v4, 16, v3
	v_mov_b32_e32 v5, 0
	global_store_dwordx2 v[1:2], v[4:5], off
.LBB232_1055:
	s_mov_b64 s[8:9], 0
.LBB232_1056:
	s_andn2_b64 vcc, exec, s[8:9]
	s_cbranch_vccnz .LBB232_1058
; %bb.1057:
	s_waitcnt vmcnt(0)
	v_lshlrev_b32_e32 v0, 16, v3
	v_cvt_f16_f32_e32 v0, v0
	global_store_dword v[1:2], v0, off
.LBB232_1058:
	s_mov_b64 s[8:9], 0
.LBB232_1059:
	s_andn2_b64 vcc, exec, s[8:9]
	s_cbranch_vccnz .LBB232_1068
; %bb.1060:
	s_sext_i32_i16 s10, s18
	s_cmp_lt_i32 s10, 6
	s_mov_b64 s[8:9], -1
	s_cbranch_scc1 .LBB232_1066
; %bb.1061:
	s_cmp_gt_i32 s10, 6
	s_cbranch_scc0 .LBB232_1063
; %bb.1062:
	s_waitcnt vmcnt(0)
	v_lshlrev_b32_e32 v0, 16, v3
	v_cvt_f64_f32_e32 v[4:5], v0
	s_mov_b64 s[8:9], 0
	global_store_dwordx2 v[1:2], v[4:5], off
.LBB232_1063:
	s_andn2_b64 vcc, exec, s[8:9]
	s_cbranch_vccnz .LBB232_1065
; %bb.1064:
	s_waitcnt vmcnt(0)
	v_lshlrev_b32_e32 v0, 16, v3
	global_store_dword v[1:2], v0, off
.LBB232_1065:
	s_mov_b64 s[8:9], 0
.LBB232_1066:
	s_andn2_b64 vcc, exec, s[8:9]
	s_cbranch_vccnz .LBB232_1068
; %bb.1067:
	s_waitcnt vmcnt(0)
	v_lshlrev_b32_e32 v0, 16, v3
	v_cvt_f16_f32_e32 v0, v0
	global_store_short v[1:2], v0, off
.LBB232_1068:
	s_mov_b64 s[8:9], 0
.LBB232_1069:
	s_andn2_b64 vcc, exec, s[8:9]
	s_cbranch_vccnz .LBB232_1085
; %bb.1070:
	s_sext_i32_i16 s10, s18
	s_cmp_lt_i32 s10, 2
	s_mov_b64 s[8:9], -1
	s_cbranch_scc1 .LBB232_1080
; %bb.1071:
	s_cmp_lt_i32 s10, 3
	s_cbranch_scc1 .LBB232_1077
; %bb.1072:
	s_cmp_gt_i32 s10, 3
	s_cbranch_scc0 .LBB232_1074
; %bb.1073:
	s_waitcnt vmcnt(0)
	v_lshlrev_b32_e32 v0, 16, v3
	v_trunc_f32_e32 v0, v0
	s_mov_b32 s8, 0x2f800000
	v_mul_f32_e64 v4, |v0|, s8
	v_floor_f32_e32 v4, v4
	s_mov_b32 s8, 0xcf800000
	v_cvt_u32_f32_e32 v5, v4
	v_fma_f32 v4, v4, s8, |v0|
	v_cvt_u32_f32_e32 v4, v4
	v_ashrrev_i32_e32 v0, 31, v0
	v_xor_b32_e32 v5, v5, v0
	s_mov_b64 s[8:9], 0
	v_xor_b32_e32 v4, v4, v0
	v_sub_co_u32_e32 v4, vcc, v4, v0
	v_subb_co_u32_e32 v5, vcc, v5, v0, vcc
	global_store_dwordx2 v[1:2], v[4:5], off
.LBB232_1074:
	s_andn2_b64 vcc, exec, s[8:9]
	s_cbranch_vccnz .LBB232_1076
; %bb.1075:
	s_waitcnt vmcnt(0)
	v_lshlrev_b32_e32 v0, 16, v3
	v_cvt_i32_f32_e32 v0, v0
	global_store_dword v[1:2], v0, off
.LBB232_1076:
	s_mov_b64 s[8:9], 0
.LBB232_1077:
	s_andn2_b64 vcc, exec, s[8:9]
	s_cbranch_vccnz .LBB232_1079
; %bb.1078:
	s_waitcnt vmcnt(0)
	v_lshlrev_b32_e32 v0, 16, v3
	v_cvt_i32_f32_e32 v0, v0
	global_store_short v[1:2], v0, off
.LBB232_1079:
	s_mov_b64 s[8:9], 0
.LBB232_1080:
	s_andn2_b64 vcc, exec, s[8:9]
	s_cbranch_vccnz .LBB232_1085
; %bb.1081:
	s_sext_i32_i16 s8, s18
	s_cmp_gt_i32 s8, 0
	s_mov_b64 s[8:9], -1
	s_cbranch_scc0 .LBB232_1083
; %bb.1082:
	s_waitcnt vmcnt(0)
	v_lshlrev_b32_e32 v0, 16, v3
	v_cvt_i32_f32_e32 v0, v0
	s_mov_b64 s[8:9], 0
	global_store_byte v[1:2], v0, off
.LBB232_1083:
	s_andn2_b64 vcc, exec, s[8:9]
	s_cbranch_vccnz .LBB232_1085
; %bb.1084:
	s_waitcnt vmcnt(0)
	v_lshlrev_b32_e32 v0, 16, v3
	v_trunc_f32_e32 v0, v0
	s_mov_b32 s8, 0x2f800000
	v_mul_f32_e64 v3, |v0|, s8
	v_floor_f32_e32 v3, v3
	s_mov_b32 s8, 0xcf800000
	v_fma_f32 v3, v3, s8, |v0|
	v_cvt_u32_f32_e32 v3, v3
	v_ashrrev_i32_e32 v0, 31, v0
	v_xor_b32_e32 v3, v3, v0
	v_sub_u32_e32 v0, v3, v0
	global_store_byte v[1:2], v0, off
.LBB232_1085:
	s_or_b64 exec, exec, s[0:1]
	s_and_b64 s[28:29], s[2:3], exec
                                        ; implicit-def: $vgpr15
                                        ; implicit-def: $vgpr8
.LBB232_1086:
	s_or_saveexec_b64 s[30:31], s[42:43]
	s_mov_b64 s[0:1], 0
                                        ; implicit-def: $vgpr0_vgpr1
                                        ; implicit-def: $sgpr16
                                        ; implicit-def: $vgpr2
	s_xor_b64 exec, exec, s[30:31]
	s_cbranch_execz .LBB232_2089
; %bb.1087:
	v_cndmask_b32_e64 v0, 0, 1, s[40:41]
	v_cmp_ne_u32_e64 s[0:1], 1, v0
	s_andn2_b64 vcc, exec, s[40:41]
	s_cbranch_vccnz .LBB232_1093
; %bb.1088:
	s_cmp_lg_u32 s33, 0
	s_mov_b32 s36, 0
	s_cbranch_scc0 .LBB232_1094
; %bb.1089:
	s_min_u32 s37, s74, 15
	s_add_i32 s37, s37, 1
	s_cmp_eq_u32 s74, 2
	s_cbranch_scc1 .LBB232_1095
; %bb.1090:
	s_and_b32 s36, s37, 28
	s_add_u32 s2, s34, 0xc4
	s_addc_u32 s3, s35, 0
	v_mov_b32_e32 v13, 0
	s_mov_b32 s38, 0
	s_mov_b64 s[6:7], s[34:35]
	v_mov_b32_e32 v6, 0
	v_mov_b32_e32 v0, v8
.LBB232_1091:                           ; =>This Inner Loop Header: Depth=1
	s_load_dwordx8 s[16:23], s[6:7], 0x4
	s_load_dwordx4 s[24:27], s[6:7], 0x24
	s_load_dwordx8 s[8:15], s[2:3], 0x0
	s_add_u32 s6, s6, 48
	s_addc_u32 s7, s7, 0
	s_waitcnt lgkmcnt(0)
	v_mul_hi_u32 v1, s17, v0
	s_add_i32 s38, s38, 4
	s_add_u32 s2, s2, 32
	s_addc_u32 s3, s3, 0
	v_add_u32_e32 v1, v0, v1
	v_lshrrev_b32_e32 v1, s18, v1
	v_mul_lo_u32 v2, v1, s16
	s_waitcnt vmcnt(0)
	v_mul_hi_u32 v3, s20, v1
	s_cmp_lg_u32 s36, s38
	v_sub_u32_e32 v0, v0, v2
	v_add_u32_e32 v2, v1, v3
	v_mul_lo_u32 v3, v0, s8
	v_mul_lo_u32 v4, v0, s9
	v_lshrrev_b32_e32 v0, s21, v2
	v_mul_lo_u32 v2, v0, s19
	v_mul_hi_u32 v5, s23, v0
	v_sub_u32_e32 v1, v1, v2
	v_add_u32_e32 v2, v0, v5
	v_lshrrev_b32_e32 v2, s24, v2
	v_mul_hi_u32 v7, s26, v2
	v_mul_lo_u32 v9, v2, s22
	v_mul_lo_u32 v5, v1, s10
	;; [unrolled: 1-line block ×3, first 2 shown]
	v_sub_u32_e32 v9, v0, v9
	v_add_u32_e32 v0, v2, v7
	v_lshrrev_b32_e32 v0, s27, v0
	v_mul_lo_u32 v7, v0, s25
	v_mul_lo_u32 v10, v9, s12
	;; [unrolled: 1-line block ×3, first 2 shown]
	v_add3_u32 v3, v3, v6, v5
	v_sub_u32_e32 v2, v2, v7
	v_mul_lo_u32 v7, v2, s14
	v_mul_lo_u32 v2, v2, s15
	v_add3_u32 v1, v4, v13, v1
	v_add3_u32 v6, v10, v3, v7
	;; [unrolled: 1-line block ×3, first 2 shown]
	s_cbranch_scc1 .LBB232_1091
; %bb.1092:
	s_and_b32 s8, s37, 3
	s_cmp_eq_u32 s8, 0
	s_cbranch_scc0 .LBB232_1096
	s_branch .LBB232_1098
.LBB232_1093:
                                        ; implicit-def: $vgpr6
                                        ; implicit-def: $vgpr13
	s_branch .LBB232_1099
.LBB232_1094:
	v_mov_b32_e32 v6, 0
	v_mov_b32_e32 v13, 0
	s_branch .LBB232_1098
.LBB232_1095:
	v_mov_b32_e32 v6, 0
	v_mov_b32_e32 v13, 0
	;; [unrolled: 1-line block ×3, first 2 shown]
	s_and_b32 s8, s37, 3
	s_cmp_eq_u32 s8, 0
	s_cbranch_scc1 .LBB232_1098
.LBB232_1096:
	s_lshl_b32 s2, s36, 3
	s_add_u32 s2, s34, s2
	s_addc_u32 s3, s35, 0
	s_add_u32 s2, s2, 0xc4
	s_addc_u32 s3, s3, 0
	s_mul_i32 s6, s36, 12
	s_add_u32 s6, s34, s6
	s_addc_u32 s7, s35, 0
.LBB232_1097:                           ; =>This Inner Loop Header: Depth=1
	s_load_dwordx2 s[10:11], s[6:7], 0x4
	s_load_dword s9, s[6:7], 0xc
	s_load_dwordx2 s[12:13], s[2:3], 0x0
	s_add_u32 s6, s6, 12
	s_addc_u32 s7, s7, 0
	s_waitcnt lgkmcnt(0)
	v_mul_hi_u32 v1, s11, v0
	s_add_u32 s2, s2, 8
	s_addc_u32 s3, s3, 0
	s_add_i32 s8, s8, -1
	v_add_u32_e32 v1, v0, v1
	v_lshrrev_b32_e32 v1, s9, v1
	v_mul_lo_u32 v2, v1, s10
	s_cmp_lg_u32 s8, 0
	v_sub_u32_e32 v0, v0, v2
	v_mad_u64_u32 v[6:7], s[10:11], v0, s12, v[6:7]
	v_mad_u64_u32 v[13:14], s[10:11], v0, s13, v[13:14]
	v_mov_b32_e32 v0, v1
	s_cbranch_scc1 .LBB232_1097
.LBB232_1098:
	s_cbranch_execnz .LBB232_1101
.LBB232_1099:
	s_load_dwordx4 s[8:11], s[34:35], 0x4
	s_load_dwordx2 s[2:3], s[34:35], 0xc4
	s_cmp_lt_u32 s33, 2
	s_waitcnt lgkmcnt(0)
	v_mul_hi_u32 v0, s9, v8
	v_add_u32_e32 v0, v8, v0
	v_lshrrev_b32_e32 v0, s10, v0
	v_mul_lo_u32 v1, v0, s8
	v_sub_u32_e32 v1, v8, v1
	v_mul_lo_u32 v6, v1, s2
	v_mul_lo_u32 v13, v1, s3
	s_cbranch_scc1 .LBB232_1101
; %bb.1100:
	s_load_dwordx4 s[8:11], s[34:35], 0x10
	s_load_dwordx2 s[2:3], s[34:35], 0xcc
	s_waitcnt lgkmcnt(0)
	v_mul_hi_u32 v1, s9, v0
	v_add_u32_e32 v1, v0, v1
	v_lshrrev_b32_e32 v1, s10, v1
	v_mul_lo_u32 v1, v1, s8
	v_sub_u32_e32 v0, v0, v1
	v_mad_u64_u32 v[6:7], s[6:7], v0, s2, v[6:7]
	v_mad_u64_u32 v[13:14], s[2:3], v0, s3, v[13:14]
.LBB232_1101:
	s_and_b64 vcc, exec, s[0:1]
	v_add_u32_e32 v0, 0x80, v8
	s_cbranch_vccnz .LBB232_1107
; %bb.1102:
	s_cmp_lg_u32 s33, 0
	s_mov_b32 s36, 0
	s_cbranch_scc0 .LBB232_1108
; %bb.1103:
	s_min_u32 s37, s74, 15
	s_add_i32 s37, s37, 1
	s_cmp_eq_u32 s74, 2
	s_cbranch_scc1 .LBB232_1109
; %bb.1104:
	s_and_b32 s36, s37, 28
	s_add_u32 s2, s34, 0xc4
	s_addc_u32 s3, s35, 0
	v_mov_b32_e32 v11, 0
	s_mov_b32 s38, 0
	s_mov_b64 s[6:7], s[34:35]
	s_waitcnt vmcnt(0)
	v_mov_b32_e32 v4, 0
	v_mov_b32_e32 v1, v0
.LBB232_1105:                           ; =>This Inner Loop Header: Depth=1
	s_load_dwordx8 s[16:23], s[6:7], 0x4
	s_load_dwordx4 s[24:27], s[6:7], 0x24
	s_load_dwordx8 s[8:15], s[2:3], 0x0
	s_add_u32 s6, s6, 48
	s_addc_u32 s7, s7, 0
	s_waitcnt lgkmcnt(0)
	v_mul_hi_u32 v2, s17, v1
	s_add_i32 s38, s38, 4
	s_add_u32 s2, s2, 32
	s_addc_u32 s3, s3, 0
	v_add_u32_e32 v2, v1, v2
	v_lshrrev_b32_e32 v2, s18, v2
	v_mul_lo_u32 v3, v2, s16
	v_mul_hi_u32 v5, s20, v2
	s_cmp_lg_u32 s36, s38
	v_sub_u32_e32 v1, v1, v3
	v_add_u32_e32 v3, v2, v5
	v_mul_lo_u32 v5, v1, s8
	v_mul_lo_u32 v7, v1, s9
	v_lshrrev_b32_e32 v1, s21, v3
	v_mul_lo_u32 v3, v1, s19
	v_mul_hi_u32 v9, s23, v1
	v_sub_u32_e32 v2, v2, v3
	v_add_u32_e32 v3, v1, v9
	v_lshrrev_b32_e32 v3, s24, v3
	v_mul_hi_u32 v10, s26, v3
	v_mul_lo_u32 v12, v3, s22
	v_mul_lo_u32 v9, v2, s10
	;; [unrolled: 1-line block ×3, first 2 shown]
	v_sub_u32_e32 v12, v1, v12
	v_add_u32_e32 v1, v3, v10
	v_lshrrev_b32_e32 v1, s27, v1
	v_mul_lo_u32 v10, v1, s25
	v_mul_lo_u32 v14, v12, s12
	v_mul_lo_u32 v12, v12, s13
	v_add3_u32 v4, v5, v4, v9
	v_sub_u32_e32 v3, v3, v10
	v_mul_lo_u32 v10, v3, s14
	v_mul_lo_u32 v3, v3, s15
	v_add3_u32 v2, v7, v11, v2
	v_add3_u32 v4, v14, v4, v10
	;; [unrolled: 1-line block ×3, first 2 shown]
	s_cbranch_scc1 .LBB232_1105
; %bb.1106:
	s_and_b32 s8, s37, 3
	s_cmp_eq_u32 s8, 0
	s_cbranch_scc0 .LBB232_1110
	s_branch .LBB232_1112
.LBB232_1107:
                                        ; implicit-def: $vgpr4
                                        ; implicit-def: $vgpr11
	s_branch .LBB232_1113
.LBB232_1108:
	s_waitcnt vmcnt(0)
	v_mov_b32_e32 v4, 0
	v_mov_b32_e32 v11, 0
	s_branch .LBB232_1112
.LBB232_1109:
	s_waitcnt vmcnt(0)
	v_mov_b32_e32 v4, 0
	v_mov_b32_e32 v11, 0
	;; [unrolled: 1-line block ×3, first 2 shown]
	s_and_b32 s8, s37, 3
	s_cmp_eq_u32 s8, 0
	s_cbranch_scc1 .LBB232_1112
.LBB232_1110:
	s_lshl_b32 s2, s36, 3
	s_add_u32 s2, s34, s2
	s_addc_u32 s3, s35, 0
	s_add_u32 s2, s2, 0xc4
	s_addc_u32 s3, s3, 0
	s_mul_i32 s6, s36, 12
	s_add_u32 s6, s34, s6
	s_addc_u32 s7, s35, 0
.LBB232_1111:                           ; =>This Inner Loop Header: Depth=1
	s_load_dwordx2 s[10:11], s[6:7], 0x4
	s_load_dword s9, s[6:7], 0xc
	s_load_dwordx2 s[12:13], s[2:3], 0x0
	s_add_u32 s6, s6, 12
	s_addc_u32 s7, s7, 0
	s_waitcnt lgkmcnt(0)
	v_mul_hi_u32 v2, s11, v1
	s_add_u32 s2, s2, 8
	s_addc_u32 s3, s3, 0
	s_add_i32 s8, s8, -1
	v_add_u32_e32 v2, v1, v2
	v_lshrrev_b32_e32 v2, s9, v2
	v_mul_lo_u32 v3, v2, s10
	s_cmp_lg_u32 s8, 0
	v_sub_u32_e32 v1, v1, v3
	v_mad_u64_u32 v[4:5], s[10:11], v1, s12, v[4:5]
	v_mad_u64_u32 v[11:12], s[10:11], v1, s13, v[11:12]
	v_mov_b32_e32 v1, v2
	s_cbranch_scc1 .LBB232_1111
.LBB232_1112:
	s_cbranch_execnz .LBB232_1115
.LBB232_1113:
	s_load_dwordx4 s[8:11], s[34:35], 0x4
	s_load_dwordx2 s[2:3], s[34:35], 0xc4
	s_cmp_lt_u32 s33, 2
	s_waitcnt lgkmcnt(0)
	v_mul_hi_u32 v1, s9, v0
	v_add_u32_e32 v1, v0, v1
	v_lshrrev_b32_e32 v1, s10, v1
	v_mul_lo_u32 v2, v1, s8
	v_sub_u32_e32 v0, v0, v2
	s_waitcnt vmcnt(0)
	v_mul_lo_u32 v4, v0, s2
	v_mul_lo_u32 v11, v0, s3
	s_cbranch_scc1 .LBB232_1115
; %bb.1114:
	s_load_dwordx4 s[8:11], s[34:35], 0x10
	s_load_dwordx2 s[2:3], s[34:35], 0xcc
	s_waitcnt lgkmcnt(0)
	v_mul_hi_u32 v0, s9, v1
	v_add_u32_e32 v0, v1, v0
	v_lshrrev_b32_e32 v0, s10, v0
	v_mul_lo_u32 v0, v0, s8
	v_sub_u32_e32 v0, v1, v0
	v_mad_u64_u32 v[4:5], s[6:7], v0, s2, v[4:5]
	v_mad_u64_u32 v[11:12], s[2:3], v0, s3, v[11:12]
.LBB232_1115:
	s_and_b64 vcc, exec, s[0:1]
	v_add_u32_e32 v0, 0x100, v8
	s_cbranch_vccnz .LBB232_1121
; %bb.1116:
	s_cmp_lg_u32 s33, 0
	s_mov_b32 s36, 0
	s_cbranch_scc0 .LBB232_1122
; %bb.1117:
	s_min_u32 s37, s74, 15
	s_add_i32 s37, s37, 1
	s_cmp_eq_u32 s74, 2
	s_cbranch_scc1 .LBB232_1123
; %bb.1118:
	s_and_b32 s36, s37, 28
	s_add_u32 s2, s34, 0xc4
	s_addc_u32 s3, s35, 0
	v_mov_b32_e32 v9, 0
	s_mov_b32 s38, 0
	s_mov_b64 s[6:7], s[34:35]
	v_mov_b32_e32 v2, 0
	v_mov_b32_e32 v1, v0
.LBB232_1119:                           ; =>This Inner Loop Header: Depth=1
	s_load_dwordx8 s[16:23], s[6:7], 0x4
	s_load_dwordx4 s[24:27], s[6:7], 0x24
	s_load_dwordx8 s[8:15], s[2:3], 0x0
	s_add_u32 s6, s6, 48
	s_addc_u32 s7, s7, 0
	s_waitcnt vmcnt(0) lgkmcnt(0)
	v_mul_hi_u32 v3, s17, v1
	s_add_i32 s38, s38, 4
	s_add_u32 s2, s2, 32
	s_addc_u32 s3, s3, 0
	v_add_u32_e32 v3, v1, v3
	v_lshrrev_b32_e32 v3, s18, v3
	v_mul_lo_u32 v5, v3, s16
	v_mul_hi_u32 v7, s20, v3
	s_cmp_lg_u32 s36, s38
	v_sub_u32_e32 v1, v1, v5
	v_add_u32_e32 v5, v3, v7
	v_mul_lo_u32 v7, v1, s8
	v_mul_lo_u32 v8, v1, s9
	v_lshrrev_b32_e32 v1, s21, v5
	v_mul_lo_u32 v5, v1, s19
	v_mul_hi_u32 v10, s23, v1
	v_sub_u32_e32 v3, v3, v5
	v_add_u32_e32 v5, v1, v10
	v_lshrrev_b32_e32 v5, s24, v5
	v_mul_hi_u32 v12, s26, v5
	v_mul_lo_u32 v14, v5, s22
	v_mul_lo_u32 v10, v3, s10
	;; [unrolled: 1-line block ×3, first 2 shown]
	v_sub_u32_e32 v14, v1, v14
	v_add_u32_e32 v1, v5, v12
	v_lshrrev_b32_e32 v1, s27, v1
	v_mul_lo_u32 v12, v1, s25
	v_mul_lo_u32 v16, v14, s12
	;; [unrolled: 1-line block ×3, first 2 shown]
	v_add3_u32 v2, v7, v2, v10
	v_sub_u32_e32 v5, v5, v12
	v_mul_lo_u32 v12, v5, s14
	v_mul_lo_u32 v5, v5, s15
	v_add3_u32 v3, v8, v9, v3
	v_add3_u32 v2, v16, v2, v12
	;; [unrolled: 1-line block ×3, first 2 shown]
	s_cbranch_scc1 .LBB232_1119
; %bb.1120:
	s_and_b32 s8, s37, 3
	s_cmp_eq_u32 s8, 0
	s_cbranch_scc0 .LBB232_1124
	s_branch .LBB232_1126
.LBB232_1121:
                                        ; implicit-def: $vgpr2
                                        ; implicit-def: $vgpr9
	s_branch .LBB232_1127
.LBB232_1122:
	v_mov_b32_e32 v2, 0
	v_mov_b32_e32 v9, 0
	s_branch .LBB232_1126
.LBB232_1123:
	v_mov_b32_e32 v2, 0
	v_mov_b32_e32 v9, 0
	v_mov_b32_e32 v1, v0
	s_and_b32 s8, s37, 3
	s_cmp_eq_u32 s8, 0
	s_cbranch_scc1 .LBB232_1126
.LBB232_1124:
	s_lshl_b32 s2, s36, 3
	s_add_u32 s2, s34, s2
	s_addc_u32 s3, s35, 0
	s_add_u32 s2, s2, 0xc4
	s_addc_u32 s3, s3, 0
	s_mul_i32 s6, s36, 12
	s_add_u32 s6, s34, s6
	s_addc_u32 s7, s35, 0
.LBB232_1125:                           ; =>This Inner Loop Header: Depth=1
	s_load_dwordx2 s[10:11], s[6:7], 0x4
	s_load_dword s9, s[6:7], 0xc
	s_load_dwordx2 s[12:13], s[2:3], 0x0
	s_add_u32 s6, s6, 12
	s_addc_u32 s7, s7, 0
	s_waitcnt vmcnt(0) lgkmcnt(0)
	v_mul_hi_u32 v3, s11, v1
	s_add_u32 s2, s2, 8
	s_addc_u32 s3, s3, 0
	s_add_i32 s8, s8, -1
	v_add_u32_e32 v3, v1, v3
	v_lshrrev_b32_e32 v5, s9, v3
	v_mul_lo_u32 v3, v5, s10
	s_cmp_lg_u32 s8, 0
	v_sub_u32_e32 v1, v1, v3
	v_mad_u64_u32 v[2:3], s[10:11], v1, s12, v[2:3]
	v_mad_u64_u32 v[9:10], s[10:11], v1, s13, v[9:10]
	v_mov_b32_e32 v1, v5
	s_cbranch_scc1 .LBB232_1125
.LBB232_1126:
	s_cbranch_execnz .LBB232_1129
.LBB232_1127:
	s_load_dwordx4 s[8:11], s[34:35], 0x4
	s_load_dwordx2 s[2:3], s[34:35], 0xc4
	s_cmp_lt_u32 s33, 2
	s_waitcnt lgkmcnt(0)
	v_mul_hi_u32 v1, s9, v0
	v_add_u32_e32 v1, v0, v1
	v_lshrrev_b32_e32 v1, s10, v1
	v_mul_lo_u32 v2, v1, s8
	v_sub_u32_e32 v0, v0, v2
	v_mul_lo_u32 v2, v0, s2
	v_mul_lo_u32 v9, v0, s3
	s_cbranch_scc1 .LBB232_1129
; %bb.1128:
	s_load_dwordx4 s[8:11], s[34:35], 0x10
	s_load_dwordx2 s[2:3], s[34:35], 0xcc
	s_waitcnt lgkmcnt(0)
	v_mul_hi_u32 v0, s9, v1
	v_add_u32_e32 v0, v1, v0
	v_lshrrev_b32_e32 v0, s10, v0
	v_mul_lo_u32 v0, v0, s8
	v_sub_u32_e32 v0, v1, v0
	s_waitcnt vmcnt(0)
	v_mad_u64_u32 v[2:3], s[6:7], v0, s2, v[2:3]
	v_mad_u64_u32 v[9:10], s[2:3], v0, s3, v[9:10]
.LBB232_1129:
	s_and_b64 vcc, exec, s[0:1]
	s_cbranch_vccnz .LBB232_1135
; %bb.1130:
	s_cmp_lg_u32 s33, 0
	s_mov_b32 s26, 0
	s_cbranch_scc0 .LBB232_1136
; %bb.1131:
	s_min_u32 s27, s74, 15
	s_add_i32 s27, s27, 1
	s_cmp_eq_u32 s74, 2
	s_cbranch_scc1 .LBB232_1137
; %bb.1132:
	s_and_b32 s26, s27, 28
	s_add_u32 s6, s34, 0xc4
	s_addc_u32 s7, s35, 0
	v_mov_b32_e32 v7, 0
	s_mov_b32 s36, 0
	s_mov_b64 s[24:25], s[34:35]
	v_mov_b32_e32 v0, 0
	v_mov_b32_e32 v1, v15
.LBB232_1133:                           ; =>This Inner Loop Header: Depth=1
	s_load_dwordx8 s[16:23], s[24:25], 0x4
	s_load_dwordx4 s[0:3], s[24:25], 0x24
	s_load_dwordx8 s[8:15], s[6:7], 0x0
	s_add_u32 s24, s24, 48
	s_addc_u32 s25, s25, 0
	s_waitcnt vmcnt(0) lgkmcnt(0)
	v_mul_hi_u32 v3, s17, v1
	s_add_i32 s36, s36, 4
	s_add_u32 s6, s6, 32
	s_addc_u32 s7, s7, 0
	v_add_u32_e32 v3, v1, v3
	v_lshrrev_b32_e32 v3, s18, v3
	v_mul_lo_u32 v5, v3, s16
	v_mul_hi_u32 v8, s20, v3
	s_cmp_lg_u32 s26, s36
	v_sub_u32_e32 v1, v1, v5
	v_add_u32_e32 v5, v3, v8
	v_mul_lo_u32 v8, v1, s8
	v_mul_lo_u32 v10, v1, s9
	v_lshrrev_b32_e32 v1, s21, v5
	v_mul_lo_u32 v5, v1, s19
	v_mul_hi_u32 v12, s23, v1
	v_sub_u32_e32 v3, v3, v5
	v_add_u32_e32 v5, v1, v12
	v_lshrrev_b32_e32 v5, s0, v5
	v_mul_hi_u32 v14, s2, v5
	v_mul_lo_u32 v16, v5, s22
	v_mul_lo_u32 v12, v3, s10
	;; [unrolled: 1-line block ×3, first 2 shown]
	v_sub_u32_e32 v16, v1, v16
	v_add_u32_e32 v1, v5, v14
	v_lshrrev_b32_e32 v1, s3, v1
	v_mul_lo_u32 v14, v1, s1
	v_mul_lo_u32 v17, v16, s12
	;; [unrolled: 1-line block ×3, first 2 shown]
	v_add3_u32 v0, v8, v0, v12
	v_sub_u32_e32 v5, v5, v14
	v_mul_lo_u32 v14, v5, s14
	v_mul_lo_u32 v5, v5, s15
	v_add3_u32 v3, v10, v7, v3
	v_add3_u32 v0, v17, v0, v14
	;; [unrolled: 1-line block ×3, first 2 shown]
	s_cbranch_scc1 .LBB232_1133
; %bb.1134:
	s_and_b32 s6, s27, 3
	s_cmp_eq_u32 s6, 0
	s_cbranch_scc0 .LBB232_1138
	s_branch .LBB232_1140
.LBB232_1135:
                                        ; implicit-def: $vgpr0
                                        ; implicit-def: $vgpr7
	s_branch .LBB232_1141
.LBB232_1136:
	v_mov_b32_e32 v0, 0
	v_mov_b32_e32 v7, 0
	s_branch .LBB232_1140
.LBB232_1137:
	v_mov_b32_e32 v0, 0
	v_mov_b32_e32 v7, 0
	;; [unrolled: 1-line block ×3, first 2 shown]
	s_and_b32 s6, s27, 3
	s_cmp_eq_u32 s6, 0
	s_cbranch_scc1 .LBB232_1140
.LBB232_1138:
	s_lshl_b32 s0, s26, 3
	s_add_u32 s0, s34, s0
	s_addc_u32 s1, s35, 0
	s_add_u32 s0, s0, 0xc4
	s_addc_u32 s1, s1, 0
	s_mul_i32 s2, s26, 12
	s_add_u32 s2, s34, s2
	s_addc_u32 s3, s35, 0
.LBB232_1139:                           ; =>This Inner Loop Header: Depth=1
	s_load_dwordx2 s[8:9], s[2:3], 0x4
	s_load_dword s7, s[2:3], 0xc
	s_load_dwordx2 s[10:11], s[0:1], 0x0
	s_add_u32 s2, s2, 12
	s_addc_u32 s3, s3, 0
	s_waitcnt vmcnt(0) lgkmcnt(0)
	v_mul_hi_u32 v3, s9, v1
	s_add_u32 s0, s0, 8
	s_addc_u32 s1, s1, 0
	s_add_i32 s6, s6, -1
	v_add_u32_e32 v3, v1, v3
	v_lshrrev_b32_e32 v3, s7, v3
	v_mul_lo_u32 v5, v3, s8
	s_cmp_lg_u32 s6, 0
	v_sub_u32_e32 v5, v1, v5
	v_mad_u64_u32 v[0:1], s[8:9], v5, s10, v[0:1]
	v_mad_u64_u32 v[7:8], s[8:9], v5, s11, v[7:8]
	v_mov_b32_e32 v1, v3
	s_cbranch_scc1 .LBB232_1139
.LBB232_1140:
	s_cbranch_execnz .LBB232_1143
.LBB232_1141:
	s_load_dwordx4 s[0:3], s[34:35], 0x4
	s_load_dwordx2 s[6:7], s[34:35], 0xc4
	s_cmp_lt_u32 s33, 2
	s_waitcnt lgkmcnt(0)
	v_mul_hi_u32 v0, s1, v15
	v_add_u32_e32 v0, v15, v0
	v_lshrrev_b32_e32 v1, s2, v0
	v_mul_lo_u32 v0, v1, s0
	s_waitcnt vmcnt(0)
	v_sub_u32_e32 v3, v15, v0
	v_mul_lo_u32 v0, v3, s6
	v_mul_lo_u32 v7, v3, s7
	s_cbranch_scc1 .LBB232_1143
; %bb.1142:
	s_load_dwordx4 s[0:3], s[34:35], 0x10
	s_load_dwordx2 s[6:7], s[34:35], 0xcc
	s_waitcnt lgkmcnt(0)
	v_mul_hi_u32 v3, s1, v1
	v_add_u32_e32 v3, v1, v3
	v_lshrrev_b32_e32 v3, s2, v3
	v_mul_lo_u32 v3, v3, s0
	v_sub_u32_e32 v3, v1, v3
	v_mad_u64_u32 v[0:1], s[0:1], v3, s6, v[0:1]
	v_mad_u64_u32 v[7:8], s[0:1], v3, s7, v[7:8]
.LBB232_1143:
	s_load_dword s16, s[4:5], 0x164
	s_load_dwordx4 s[8:11], s[34:35], 0x148
	s_waitcnt lgkmcnt(0)
	s_lshr_b32 s14, s16, 24
	v_mov_b32_e32 v1, s11
	v_add_co_u32_e32 v12, vcc, s10, v13
	s_cmp_lt_i32 s14, 11
	v_addc_co_u32_e32 v13, vcc, 0, v1, vcc
	s_cbranch_scc1 .LBB232_1150
; %bb.1144:
	s_and_b32 s15, 0xffff, s14
	s_cmp_gt_i32 s15, 25
	s_mov_b64 s[4:5], 0
	s_cbranch_scc0 .LBB232_1152
; %bb.1145:
	s_cmp_gt_i32 s15, 28
	s_cbranch_scc0 .LBB232_1153
; %bb.1146:
	s_cmp_gt_i32 s15, 43
	;; [unrolled: 3-line block ×3, first 2 shown]
	s_cbranch_scc0 .LBB232_1155
; %bb.1148:
	s_cmp_eq_u32 s15, 46
	s_mov_b64 s[2:3], 0
	s_cbranch_scc0 .LBB232_1158
; %bb.1149:
	global_load_dword v1, v[12:13], off
	s_mov_b64 s[0:1], 0
	s_mov_b64 s[6:7], -1
	s_branch .LBB232_1159
.LBB232_1150:
	s_mov_b64 s[6:7], 0
                                        ; implicit-def: $vgpr1
	s_mov_b64 s[2:3], s[28:29]
	s_cbranch_execnz .LBB232_1221
.LBB232_1151:
	s_andn2_b64 vcc, exec, s[6:7]
	s_cbranch_vccz .LBB232_1266
	s_branch .LBB232_2087
.LBB232_1152:
	s_mov_b64 s[6:7], 0
	s_mov_b64 s[0:1], 0
                                        ; implicit-def: $vgpr1
	s_cbranch_execnz .LBB232_1186
	s_branch .LBB232_1217
.LBB232_1153:
	s_mov_b64 s[6:7], 0
	s_mov_b64 s[0:1], 0
                                        ; implicit-def: $vgpr1
	s_cbranch_execz .LBB232_1185
	s_branch .LBB232_1168
.LBB232_1154:
	s_mov_b64 s[6:7], 0
	s_mov_b64 s[0:1], 0
                                        ; implicit-def: $vgpr1
	s_cbranch_execnz .LBB232_1164
	s_branch .LBB232_1167
.LBB232_1155:
	s_mov_b64 s[2:3], -1
	s_mov_b64 s[6:7], 0
	s_mov_b64 s[0:1], 0
                                        ; implicit-def: $vgpr1
	s_branch .LBB232_1159
.LBB232_1156:
	s_andn2_saveexec_b64 s[14:15], s[14:15]
	s_cbranch_execz .LBB232_999
.LBB232_1157:
	s_mov_b32 s16, 0x46000000
	v_add_f32_e64 v4, |v5|, s16
	v_and_b32_e32 v4, 0xff, v4
	v_cmp_ne_u32_e32 vcc, 0, v4
	s_andn2_b64 s[12:13], s[12:13], exec
	s_and_b64 s[16:17], vcc, exec
	s_or_b64 s[12:13], s[12:13], s[16:17]
	s_or_b64 exec, exec, s[14:15]
	v_mov_b32_e32 v6, 0
	s_and_saveexec_b64 s[14:15], s[12:13]
	s_cbranch_execnz .LBB232_1000
	s_branch .LBB232_1001
.LBB232_1158:
	s_mov_b64 s[0:1], -1
                                        ; implicit-def: $vgpr1
	s_mov_b64 s[6:7], 0
.LBB232_1159:
	s_and_b64 vcc, exec, s[2:3]
	s_cbranch_vccz .LBB232_1162
; %bb.1160:
	s_cmp_eq_u32 s15, 44
	s_cbranch_scc0 .LBB232_1163
; %bb.1161:
	global_load_ubyte v1, v[12:13], off
	s_movk_i32 s2, 0xff
	s_waitcnt vmcnt(1)
	v_mov_b32_e32 v3, 0x7f800001
	v_mov_b32_e32 v5, 0x400000
	;; [unrolled: 1-line block ×3, first 2 shown]
	s_mov_b64 s[0:1], 0
	s_mov_b64 s[6:7], -1
	s_waitcnt vmcnt(0)
	v_lshlrev_b32_e32 v10, 23, v1
	v_cmp_ne_u32_e32 vcc, s2, v1
	v_cndmask_b32_e32 v3, v3, v10, vcc
	v_cmp_ne_u32_e32 vcc, 0, v1
	v_cndmask_b32_e32 v1, v5, v3, vcc
	v_add_u32_e32 v3, 0x7fff, v1
	v_cmp_o_f32_e32 vcc, v1, v1
	v_cndmask_b32_sdwa v1, v8, v3, vcc dst_sel:DWORD dst_unused:UNUSED_PAD src0_sel:DWORD src1_sel:WORD_1
.LBB232_1162:
	s_branch .LBB232_1167
.LBB232_1163:
	s_mov_b64 s[0:1], -1
                                        ; implicit-def: $vgpr1
	s_branch .LBB232_1167
.LBB232_1164:
	s_cmp_eq_u32 s15, 29
	s_cbranch_scc0 .LBB232_1166
; %bb.1165:
	global_load_dwordx2 v[14:15], v[12:13], off
	s_movk_i32 s2, 0x7fff
	s_mov_b64 s[0:1], 0
	s_mov_b64 s[6:7], -1
	s_waitcnt vmcnt(0)
	v_ffbh_u32_e32 v1, v15
	v_min_u32_e32 v1, 32, v1
	v_lshlrev_b64 v[14:15], v1, v[14:15]
	v_sub_u32_e32 v1, 32, v1
	v_min_u32_e32 v3, 1, v14
	v_or_b32_e32 v3, v15, v3
	v_cvt_f32_u32_e32 v3, v3
	v_ldexp_f32 v1, v3, v1
	v_bfe_u32 v3, v1, 16, 1
	v_add3_u32 v1, v1, v3, s2
	v_lshrrev_b32_e32 v1, 16, v1
	s_branch .LBB232_1167
.LBB232_1166:
	s_mov_b64 s[0:1], -1
                                        ; implicit-def: $vgpr1
.LBB232_1167:
	s_branch .LBB232_1185
.LBB232_1168:
	s_cmp_lt_i32 s15, 27
	s_cbranch_scc1 .LBB232_1171
; %bb.1169:
	s_cmp_gt_i32 s15, 27
	s_cbranch_scc0 .LBB232_1172
; %bb.1170:
	global_load_dword v1, v[12:13], off
	s_movk_i32 s2, 0x7fff
	s_waitcnt vmcnt(0)
	v_cvt_f32_u32_e32 v1, v1
	v_bfe_u32 v3, v1, 16, 1
	v_add3_u32 v1, v1, v3, s2
	v_lshrrev_b32_e32 v1, 16, v1
	s_mov_b64 s[2:3], 0
	s_branch .LBB232_1173
.LBB232_1171:
	s_mov_b64 s[2:3], -1
                                        ; implicit-def: $vgpr1
	s_branch .LBB232_1176
.LBB232_1172:
	s_mov_b64 s[2:3], -1
                                        ; implicit-def: $vgpr1
.LBB232_1173:
	s_andn2_b64 vcc, exec, s[2:3]
	s_cbranch_vccnz .LBB232_1175
; %bb.1174:
	global_load_ushort v1, v[12:13], off
	s_movk_i32 s2, 0x7fff
	s_waitcnt vmcnt(0)
	v_cvt_f32_u32_e32 v1, v1
	v_bfe_u32 v3, v1, 16, 1
	v_add3_u32 v1, v1, v3, s2
	v_lshrrev_b32_e32 v1, 16, v1
.LBB232_1175:
	s_mov_b64 s[2:3], 0
.LBB232_1176:
	s_andn2_b64 vcc, exec, s[2:3]
	s_cbranch_vccnz .LBB232_1184
; %bb.1177:
	global_load_ubyte v1, v[12:13], off
	s_movk_i32 s2, 0x7f
	s_waitcnt vmcnt(0)
	v_cmp_lt_i16_e32 vcc, s2, v1
	s_mov_b64 s[2:3], 0
	s_and_saveexec_b64 s[6:7], vcc
	s_xor_b64 s[6:7], exec, s[6:7]
	s_cbranch_execz .LBB232_1197
; %bb.1178:
	s_movk_i32 s2, 0x80
	v_cmp_eq_u16_e32 vcc, s2, v1
	s_mov_b64 s[2:3], -1
	s_and_saveexec_b64 s[12:13], vcc
; %bb.1179:
	s_xor_b64 s[2:3], exec, -1
; %bb.1180:
	s_or_b64 exec, exec, s[12:13]
	s_and_b64 s[2:3], s[2:3], exec
	s_or_saveexec_b64 s[6:7], s[6:7]
	v_mov_b32_e32 v3, 0x7f800001
	s_xor_b64 exec, exec, s[6:7]
	s_cbranch_execnz .LBB232_1198
.LBB232_1181:
	s_or_b64 exec, exec, s[6:7]
	s_and_saveexec_b64 s[6:7], s[2:3]
	s_cbranch_execz .LBB232_1183
.LBB232_1182:
	v_lshlrev_b32_e32 v3, 24, v1
	v_and_b32_e32 v1, 0xffff, v1
	v_and_b32_e32 v5, 7, v1
	v_ffbh_u32_e32 v10, v5
	v_min_u32_e32 v10, 32, v10
	v_subrev_u32_e32 v14, 28, v10
	v_bfe_u32 v8, v1, 3, 4
	v_lshlrev_b32_e32 v1, v14, v1
	v_sub_u32_e32 v10, 29, v10
	v_and_b32_e32 v1, 7, v1
	v_cmp_eq_u32_e32 vcc, 0, v8
	v_cndmask_b32_e32 v8, v8, v10, vcc
	v_cndmask_b32_e32 v1, v5, v1, vcc
	v_mov_b32_e32 v5, 0x3b800000
	v_lshlrev_b32_e32 v1, 20, v1
	v_and_b32_e32 v3, 0x80000000, v3
	v_lshl_add_u32 v5, v8, 23, v5
	v_or3_b32 v3, v3, v5, v1
.LBB232_1183:
	s_or_b64 exec, exec, s[6:7]
	v_bfe_u32 v1, v3, 16, 1
	s_movk_i32 s2, 0x7fff
	v_add3_u32 v1, v3, v1, s2
	v_cmp_o_f32_e32 vcc, v3, v3
	v_mov_b32_e32 v3, 0x7fc0
	v_cndmask_b32_sdwa v1, v3, v1, vcc dst_sel:DWORD dst_unused:UNUSED_PAD src0_sel:DWORD src1_sel:WORD_1
.LBB232_1184:
	s_mov_b64 s[6:7], -1
.LBB232_1185:
	s_branch .LBB232_1217
.LBB232_1186:
	s_cmp_gt_i32 s15, 22
	s_cbranch_scc0 .LBB232_1196
; %bb.1187:
	s_cmp_lt_i32 s15, 24
	s_cbranch_scc1 .LBB232_1199
; %bb.1188:
	s_cmp_gt_i32 s15, 24
	s_cbranch_scc0 .LBB232_1200
; %bb.1189:
	global_load_ubyte v1, v[12:13], off
	s_movk_i32 s2, 0x7f
	s_waitcnt vmcnt(0)
	v_cmp_lt_i16_e32 vcc, s2, v1
	s_mov_b64 s[2:3], 0
	s_and_saveexec_b64 s[4:5], vcc
	s_xor_b64 s[4:5], exec, s[4:5]
	s_cbranch_execz .LBB232_1211
; %bb.1190:
	s_movk_i32 s2, 0x80
	v_cmp_eq_u16_e32 vcc, s2, v1
	s_mov_b64 s[2:3], -1
	s_and_saveexec_b64 s[6:7], vcc
; %bb.1191:
	s_xor_b64 s[2:3], exec, -1
; %bb.1192:
	s_or_b64 exec, exec, s[6:7]
	s_and_b64 s[2:3], s[2:3], exec
	s_or_saveexec_b64 s[4:5], s[4:5]
	v_mov_b32_e32 v3, 0x7f800001
	s_xor_b64 exec, exec, s[4:5]
	s_cbranch_execnz .LBB232_1212
.LBB232_1193:
	s_or_b64 exec, exec, s[4:5]
	s_and_saveexec_b64 s[4:5], s[2:3]
	s_cbranch_execz .LBB232_1195
.LBB232_1194:
	v_lshlrev_b32_e32 v3, 24, v1
	v_and_b32_e32 v1, 0xffff, v1
	v_and_b32_e32 v5, 3, v1
	v_ffbh_u32_e32 v10, v5
	v_min_u32_e32 v10, 32, v10
	v_subrev_u32_e32 v14, 29, v10
	v_bfe_u32 v8, v1, 2, 5
	v_lshlrev_b32_e32 v1, v14, v1
	v_sub_u32_e32 v10, 30, v10
	v_and_b32_e32 v1, 3, v1
	v_cmp_eq_u32_e32 vcc, 0, v8
	v_cndmask_b32_e32 v8, v8, v10, vcc
	v_cndmask_b32_e32 v1, v5, v1, vcc
	v_mov_b32_e32 v5, 0x37800000
	v_lshlrev_b32_e32 v1, 21, v1
	v_and_b32_e32 v3, 0x80000000, v3
	v_lshl_add_u32 v5, v8, 23, v5
	v_or3_b32 v3, v3, v5, v1
.LBB232_1195:
	s_or_b64 exec, exec, s[4:5]
	v_bfe_u32 v1, v3, 16, 1
	s_movk_i32 s2, 0x7fff
	v_add3_u32 v1, v3, v1, s2
	v_cmp_o_f32_e32 vcc, v3, v3
	v_mov_b32_e32 v3, 0x7fc0
	v_cndmask_b32_sdwa v1, v3, v1, vcc dst_sel:DWORD dst_unused:UNUSED_PAD src0_sel:DWORD src1_sel:WORD_1
	s_mov_b64 s[2:3], 0
	s_branch .LBB232_1201
.LBB232_1196:
                                        ; implicit-def: $vgpr1
	s_mov_b64 s[4:5], 0
	s_branch .LBB232_1207
.LBB232_1197:
	s_or_saveexec_b64 s[6:7], s[6:7]
	v_mov_b32_e32 v3, 0x7f800001
	s_xor_b64 exec, exec, s[6:7]
	s_cbranch_execz .LBB232_1181
.LBB232_1198:
	v_cmp_ne_u16_e32 vcc, 0, v1
	s_andn2_b64 s[2:3], s[2:3], exec
	s_and_b64 s[12:13], vcc, exec
	v_mov_b32_e32 v3, 0
	s_or_b64 s[2:3], s[2:3], s[12:13]
	s_or_b64 exec, exec, s[6:7]
	s_and_saveexec_b64 s[6:7], s[2:3]
	s_cbranch_execnz .LBB232_1182
	s_branch .LBB232_1183
.LBB232_1199:
	s_mov_b64 s[2:3], -1
                                        ; implicit-def: $vgpr1
	s_branch .LBB232_1204
.LBB232_1200:
	s_mov_b64 s[2:3], -1
                                        ; implicit-def: $vgpr1
.LBB232_1201:
	s_and_b64 vcc, exec, s[2:3]
	s_cbranch_vccz .LBB232_1203
; %bb.1202:
	global_load_ubyte v1, v[12:13], off
	s_mov_b32 s2, 0x7f800000
	s_brev_b32 s3, 1
	s_movk_i32 s4, 0x7fff
	s_waitcnt vmcnt(0)
	v_lshlrev_b32_e32 v1, 24, v1
	v_and_b32_e32 v3, 0x7f000000, v1
	v_ffbh_u32_e32 v5, v3
	v_min_u32_e32 v5, 32, v5
	v_sub_u32_e64 v5, v5, 4 clamp
	v_lshlrev_b32_e32 v10, v5, v3
	v_lshlrev_b32_e32 v5, 23, v5
	v_lshrrev_b32_e32 v10, 4, v10
	v_add_u32_e32 v8, 0x1000000, v3
	v_sub_u32_e32 v5, v10, v5
	v_ashrrev_i32_e32 v8, 8, v8
	v_add_u32_e32 v5, 0x3c000000, v5
	v_and_or_b32 v5, v8, s2, v5
	v_cmp_ne_u32_e32 vcc, 0, v3
	v_cndmask_b32_e32 v3, 0, v5, vcc
	v_and_or_b32 v1, v1, s3, v3
	v_bfe_u32 v3, v3, 16, 1
	v_add3_u32 v3, v1, v3, s4
	v_cmp_o_f32_e32 vcc, v1, v1
	v_mov_b32_e32 v1, 0x7fc0
	v_cndmask_b32_sdwa v1, v1, v3, vcc dst_sel:DWORD dst_unused:UNUSED_PAD src0_sel:DWORD src1_sel:WORD_1
.LBB232_1203:
	s_mov_b64 s[2:3], 0
.LBB232_1204:
	s_andn2_b64 vcc, exec, s[2:3]
	s_cbranch_vccnz .LBB232_1206
; %bb.1205:
	global_load_ubyte v1, v[12:13], off
	s_movk_i32 s2, 0x7f00
	s_brev_b32 s3, 16
	s_brev_b32 s4, 1
	s_movk_i32 s5, 0x7fff
	s_waitcnt vmcnt(0)
	v_lshlrev_b16_e32 v3, 8, v1
	v_lshlrev_b32_e32 v1, 25, v1
	v_lshrrev_b32_e32 v5, 4, v1
	v_and_or_b32 v8, v3, s2, 0.5
	v_or_b32_e32 v5, 0x70000000, v5
	v_add_f32_e32 v8, -0.5, v8
	v_mul_f32_e32 v5, 0x7800000, v5
	v_cmp_gt_u32_e32 vcc, s3, v1
	v_bfe_i32 v3, v3, 0, 16
	v_cndmask_b32_e32 v1, v5, v8, vcc
	v_and_or_b32 v3, v3, s4, v1
	v_bfe_u32 v1, v1, 16, 1
	v_add3_u32 v1, v3, v1, s5
	v_cmp_o_f32_e32 vcc, v3, v3
	v_mov_b32_e32 v3, 0x7fc0
	v_cndmask_b32_sdwa v1, v3, v1, vcc dst_sel:DWORD dst_unused:UNUSED_PAD src0_sel:DWORD src1_sel:WORD_1
.LBB232_1206:
	s_mov_b64 s[6:7], -1
	s_mov_b64 s[4:5], 0
	s_cbranch_execnz .LBB232_1217
.LBB232_1207:
	s_cmp_gt_i32 s15, 14
	s_cbranch_scc0 .LBB232_1210
; %bb.1208:
	s_cmp_eq_u32 s15, 15
	s_cbranch_scc0 .LBB232_1213
; %bb.1209:
	global_load_ushort v1, v[12:13], off
	s_mov_b64 s[0:1], 0
	s_mov_b64 s[6:7], -1
	s_branch .LBB232_1214
.LBB232_1210:
	s_mov_b64 s[2:3], -1
                                        ; implicit-def: $vgpr1
	s_branch .LBB232_1215
.LBB232_1211:
	s_or_saveexec_b64 s[4:5], s[4:5]
	v_mov_b32_e32 v3, 0x7f800001
	s_xor_b64 exec, exec, s[4:5]
	s_cbranch_execz .LBB232_1193
.LBB232_1212:
	v_cmp_ne_u16_e32 vcc, 0, v1
	s_andn2_b64 s[2:3], s[2:3], exec
	s_and_b64 s[6:7], vcc, exec
	v_mov_b32_e32 v3, 0
	s_or_b64 s[2:3], s[2:3], s[6:7]
	s_or_b64 exec, exec, s[4:5]
	s_and_saveexec_b64 s[4:5], s[2:3]
	s_cbranch_execnz .LBB232_1194
	s_branch .LBB232_1195
.LBB232_1213:
	s_mov_b64 s[0:1], -1
                                        ; implicit-def: $vgpr1
.LBB232_1214:
	s_mov_b64 s[2:3], 0
.LBB232_1215:
	s_and_b64 vcc, exec, s[2:3]
	s_cbranch_vccz .LBB232_1217
; %bb.1216:
	s_cmp_lg_u32 s15, 11
	s_mov_b64 s[4:5], -1
	s_cselect_b64 s[0:1], -1, 0
.LBB232_1217:
	s_and_b64 vcc, exec, s[0:1]
	s_mov_b64 s[2:3], s[28:29]
	s_cbranch_vccnz .LBB232_1278
; %bb.1218:
	s_andn2_b64 vcc, exec, s[4:5]
	s_cbranch_vccnz .LBB232_1220
.LBB232_1219:
	global_load_ubyte v1, v[12:13], off
	s_mov_b64 s[6:7], -1
	s_waitcnt vmcnt(0)
	v_cmp_ne_u16_e32 vcc, 0, v1
	v_cndmask_b32_e64 v1, 0, 1.0, vcc
	v_lshrrev_b32_e32 v1, 16, v1
.LBB232_1220:
	s_branch .LBB232_1151
.LBB232_1221:
	s_and_b32 s4, 0xffff, s14
	s_cmp_lt_i32 s4, 5
	s_cbranch_scc1 .LBB232_1226
; %bb.1222:
	s_cmp_lt_i32 s4, 8
	s_cbranch_scc1 .LBB232_1227
; %bb.1223:
	s_cmp_lt_i32 s4, 9
	s_cbranch_scc1 .LBB232_1228
; %bb.1224:
	s_cmp_gt_i32 s4, 9
	s_cbranch_scc0 .LBB232_1229
; %bb.1225:
	global_load_dwordx2 v[14:15], v[12:13], off
	s_movk_i32 s0, 0x7fff
	s_waitcnt vmcnt(1)
	v_mov_b32_e32 v3, 0x7fc0
	s_waitcnt vmcnt(0)
	v_cvt_f32_f64_e32 v1, v[14:15]
	v_bfe_u32 v5, v1, 16, 1
	v_cmp_o_f32_e32 vcc, v1, v1
	v_add3_u32 v1, v1, v5, s0
	v_cndmask_b32_sdwa v1, v3, v1, vcc dst_sel:DWORD dst_unused:UNUSED_PAD src0_sel:DWORD src1_sel:WORD_1
	s_mov_b64 s[0:1], 0
	s_branch .LBB232_1230
.LBB232_1226:
                                        ; implicit-def: $vgpr1
	s_branch .LBB232_1247
.LBB232_1227:
                                        ; implicit-def: $vgpr1
	s_branch .LBB232_1236
.LBB232_1228:
	s_mov_b64 s[0:1], -1
                                        ; implicit-def: $vgpr1
	s_branch .LBB232_1233
.LBB232_1229:
	s_mov_b64 s[0:1], -1
                                        ; implicit-def: $vgpr1
.LBB232_1230:
	s_andn2_b64 vcc, exec, s[0:1]
	s_cbranch_vccnz .LBB232_1232
; %bb.1231:
	global_load_dword v1, v[12:13], off
	s_movk_i32 s0, 0x7fff
	s_waitcnt vmcnt(1)
	v_mov_b32_e32 v3, 0x7fc0
	s_waitcnt vmcnt(0)
	v_bfe_u32 v5, v1, 16, 1
	v_cmp_o_f32_e32 vcc, v1, v1
	v_add3_u32 v1, v1, v5, s0
	v_cndmask_b32_sdwa v1, v3, v1, vcc dst_sel:DWORD dst_unused:UNUSED_PAD src0_sel:DWORD src1_sel:WORD_1
.LBB232_1232:
	s_mov_b64 s[0:1], 0
.LBB232_1233:
	s_andn2_b64 vcc, exec, s[0:1]
	s_cbranch_vccnz .LBB232_1235
; %bb.1234:
	global_load_dword v1, v[12:13], off
	s_movk_i32 s0, 0x7fff
	v_mov_b32_e32 v5, 0x7fc0
	s_waitcnt vmcnt(0)
	v_cvt_f32_f16_e32 v3, v1
	v_cmp_o_f16_e32 vcc, v1, v1
	v_bfe_u32 v1, v3, 16, 1
	v_add3_u32 v1, v3, v1, s0
	v_cndmask_b32_sdwa v1, v5, v1, vcc dst_sel:DWORD dst_unused:UNUSED_PAD src0_sel:DWORD src1_sel:WORD_1
.LBB232_1235:
	s_cbranch_execnz .LBB232_1246
.LBB232_1236:
	s_cmp_lt_i32 s4, 6
	s_cbranch_scc1 .LBB232_1239
; %bb.1237:
	s_cmp_gt_i32 s4, 6
	s_cbranch_scc0 .LBB232_1240
; %bb.1238:
	global_load_dwordx2 v[14:15], v[12:13], off
	s_movk_i32 s0, 0x7fff
	s_waitcnt vmcnt(1)
	v_mov_b32_e32 v3, 0x7fc0
	s_waitcnt vmcnt(0)
	v_cvt_f32_f64_e32 v1, v[14:15]
	v_bfe_u32 v5, v1, 16, 1
	v_cmp_o_f32_e32 vcc, v1, v1
	v_add3_u32 v1, v1, v5, s0
	v_cndmask_b32_sdwa v1, v3, v1, vcc dst_sel:DWORD dst_unused:UNUSED_PAD src0_sel:DWORD src1_sel:WORD_1
	s_mov_b64 s[0:1], 0
	s_branch .LBB232_1241
.LBB232_1239:
	s_mov_b64 s[0:1], -1
                                        ; implicit-def: $vgpr1
	s_branch .LBB232_1244
.LBB232_1240:
	s_mov_b64 s[0:1], -1
                                        ; implicit-def: $vgpr1
.LBB232_1241:
	s_andn2_b64 vcc, exec, s[0:1]
	s_cbranch_vccnz .LBB232_1243
; %bb.1242:
	global_load_dword v1, v[12:13], off
	s_movk_i32 s0, 0x7fff
	s_waitcnt vmcnt(1)
	v_mov_b32_e32 v3, 0x7fc0
	s_waitcnt vmcnt(0)
	v_bfe_u32 v5, v1, 16, 1
	v_cmp_o_f32_e32 vcc, v1, v1
	v_add3_u32 v1, v1, v5, s0
	v_cndmask_b32_sdwa v1, v3, v1, vcc dst_sel:DWORD dst_unused:UNUSED_PAD src0_sel:DWORD src1_sel:WORD_1
.LBB232_1243:
	s_mov_b64 s[0:1], 0
.LBB232_1244:
	s_andn2_b64 vcc, exec, s[0:1]
	s_cbranch_vccnz .LBB232_1246
; %bb.1245:
	global_load_ushort v1, v[12:13], off
	s_movk_i32 s0, 0x7fff
	v_mov_b32_e32 v5, 0x7fc0
	s_waitcnt vmcnt(0)
	v_cvt_f32_f16_e32 v3, v1
	v_cmp_o_f16_e32 vcc, v1, v1
	v_bfe_u32 v1, v3, 16, 1
	v_add3_u32 v1, v3, v1, s0
	v_cndmask_b32_sdwa v1, v5, v1, vcc dst_sel:DWORD dst_unused:UNUSED_PAD src0_sel:DWORD src1_sel:WORD_1
.LBB232_1246:
	s_cbranch_execnz .LBB232_1265
.LBB232_1247:
	s_cmp_lt_i32 s4, 2
	s_cbranch_scc1 .LBB232_1251
; %bb.1248:
	s_cmp_lt_i32 s4, 3
	s_cbranch_scc1 .LBB232_1252
; %bb.1249:
	s_cmp_gt_i32 s4, 3
	s_cbranch_scc0 .LBB232_1253
; %bb.1250:
	global_load_dwordx2 v[14:15], v[12:13], off
	s_movk_i32 s0, 0x7fff
	s_waitcnt vmcnt(0)
	v_xor_b32_e32 v3, v14, v15
	v_ffbh_i32_e32 v1, v15
	v_ashrrev_i32_e32 v3, 31, v3
	v_add_u32_e32 v1, -1, v1
	v_add_u32_e32 v3, 32, v3
	v_min_u32_e32 v1, v1, v3
	v_lshlrev_b64 v[14:15], v1, v[14:15]
	v_sub_u32_e32 v1, 32, v1
	v_min_u32_e32 v3, 1, v14
	v_or_b32_e32 v3, v15, v3
	v_cvt_f32_i32_e32 v3, v3
	v_ldexp_f32 v1, v3, v1
	v_bfe_u32 v3, v1, 16, 1
	v_add3_u32 v1, v1, v3, s0
	v_lshrrev_b32_e32 v1, 16, v1
	s_mov_b64 s[0:1], 0
	s_branch .LBB232_1254
.LBB232_1251:
                                        ; implicit-def: $vgpr1
	s_branch .LBB232_1260
.LBB232_1252:
	s_mov_b64 s[0:1], -1
                                        ; implicit-def: $vgpr1
	s_branch .LBB232_1257
.LBB232_1253:
	s_mov_b64 s[0:1], -1
                                        ; implicit-def: $vgpr1
.LBB232_1254:
	s_andn2_b64 vcc, exec, s[0:1]
	s_cbranch_vccnz .LBB232_1256
; %bb.1255:
	global_load_dword v1, v[12:13], off
	s_movk_i32 s0, 0x7fff
	s_waitcnt vmcnt(0)
	v_cvt_f32_i32_e32 v1, v1
	v_bfe_u32 v3, v1, 16, 1
	v_add3_u32 v1, v1, v3, s0
	v_lshrrev_b32_e32 v1, 16, v1
.LBB232_1256:
	s_mov_b64 s[0:1], 0
.LBB232_1257:
	s_andn2_b64 vcc, exec, s[0:1]
	s_cbranch_vccnz .LBB232_1259
; %bb.1258:
	global_load_sshort v1, v[12:13], off
	s_movk_i32 s0, 0x7fff
	s_waitcnt vmcnt(0)
	v_cvt_f32_i32_e32 v1, v1
	v_bfe_u32 v3, v1, 16, 1
	v_add3_u32 v1, v1, v3, s0
	v_lshrrev_b32_e32 v1, 16, v1
.LBB232_1259:
	s_cbranch_execnz .LBB232_1265
.LBB232_1260:
	s_cmp_gt_i32 s4, 0
	s_cbranch_scc0 .LBB232_1262
; %bb.1261:
	global_load_sbyte v1, v[12:13], off
	s_movk_i32 s0, 0x7fff
	s_waitcnt vmcnt(0)
	v_cvt_f32_i32_e32 v1, v1
	v_bfe_u32 v3, v1, 16, 1
	v_add3_u32 v1, v1, v3, s0
	v_lshrrev_b32_e32 v1, 16, v1
	s_mov_b64 s[0:1], 0
	s_branch .LBB232_1263
.LBB232_1262:
	s_mov_b64 s[0:1], -1
                                        ; implicit-def: $vgpr1
.LBB232_1263:
	s_andn2_b64 vcc, exec, s[0:1]
	s_cbranch_vccnz .LBB232_1265
; %bb.1264:
	global_load_ubyte v1, v[12:13], off
	s_movk_i32 s0, 0x7fff
	s_waitcnt vmcnt(0)
	v_cvt_f32_ubyte0_e32 v1, v1
	v_bfe_u32 v3, v1, 16, 1
	v_add3_u32 v1, v1, v3, s0
	v_lshrrev_b32_e32 v1, 16, v1
.LBB232_1265:
.LBB232_1266:
	s_waitcnt vmcnt(0)
	v_mov_b32_e32 v3, s11
	s_and_b32 s17, 0xffff, s14
	v_add_co_u32_e32 v10, vcc, s10, v11
	s_cmp_lt_i32 s17, 11
	v_addc_co_u32_e32 v11, vcc, 0, v3, vcc
	s_cbranch_scc1 .LBB232_1273
; %bb.1267:
	s_cmp_gt_i32 s17, 25
	s_mov_b64 s[4:5], 0
	s_cbranch_scc0 .LBB232_1275
; %bb.1268:
	s_cmp_gt_i32 s17, 28
	s_cbranch_scc0 .LBB232_1276
; %bb.1269:
	s_cmp_gt_i32 s17, 43
	;; [unrolled: 3-line block ×3, first 2 shown]
	s_cbranch_scc0 .LBB232_1279
; %bb.1271:
	s_cmp_eq_u32 s17, 46
	s_mov_b64 s[12:13], 0
	s_cbranch_scc0 .LBB232_1282
; %bb.1272:
	global_load_dword v3, v[10:11], off
	s_mov_b64 s[0:1], 0
	s_mov_b64 s[6:7], -1
	s_branch .LBB232_1283
.LBB232_1273:
	s_mov_b64 s[6:7], 0
                                        ; implicit-def: $vgpr3
	s_cbranch_execnz .LBB232_1348
.LBB232_1274:
	s_andn2_b64 vcc, exec, s[6:7]
	s_cbranch_vccnz .LBB232_2087
	s_branch .LBB232_1395
.LBB232_1275:
	s_mov_b64 s[6:7], 0
	s_mov_b64 s[0:1], 0
                                        ; implicit-def: $vgpr3
	s_cbranch_execnz .LBB232_1312
	s_branch .LBB232_1344
.LBB232_1276:
	s_mov_b64 s[12:13], -1
	s_mov_b64 s[6:7], 0
	s_mov_b64 s[0:1], 0
                                        ; implicit-def: $vgpr3
	s_branch .LBB232_1293
.LBB232_1277:
	s_mov_b64 s[12:13], -1
	s_mov_b64 s[6:7], 0
	s_mov_b64 s[0:1], 0
                                        ; implicit-def: $vgpr3
	s_branch .LBB232_1288
.LBB232_1278:
	s_or_b64 s[2:3], s[28:29], exec
	s_trap 2
	s_cbranch_execz .LBB232_1219
	s_branch .LBB232_1220
.LBB232_1279:
	s_mov_b64 s[12:13], -1
	s_mov_b64 s[6:7], 0
	s_mov_b64 s[0:1], 0
                                        ; implicit-def: $vgpr3
	s_branch .LBB232_1283
.LBB232_1280:
	s_andn2_saveexec_b64 s[16:17], s[16:17]
	s_cbranch_execz .LBB232_1011
.LBB232_1281:
	s_mov_b32 s20, 0x42800000
	v_add_f32_e64 v4, |v5|, s20
	v_and_b32_e32 v4, 0xff, v4
	v_cmp_ne_u32_e32 vcc, 0, v4
	s_andn2_b64 s[14:15], s[14:15], exec
	s_and_b64 s[20:21], vcc, exec
	s_or_b64 s[14:15], s[14:15], s[20:21]
	s_or_b64 exec, exec, s[16:17]
	v_mov_b32_e32 v6, 0
	s_and_saveexec_b64 s[16:17], s[14:15]
	s_cbranch_execnz .LBB232_1012
	s_branch .LBB232_1013
.LBB232_1282:
	s_mov_b64 s[0:1], -1
                                        ; implicit-def: $vgpr3
	s_mov_b64 s[6:7], 0
.LBB232_1283:
	s_and_b64 vcc, exec, s[12:13]
	s_cbranch_vccz .LBB232_1287
; %bb.1284:
	s_cmp_eq_u32 s17, 44
	s_cbranch_scc0 .LBB232_1286
; %bb.1285:
	global_load_ubyte v3, v[10:11], off
	s_movk_i32 s6, 0xff
	v_mov_b32_e32 v5, 0x7f800001
	v_mov_b32_e32 v8, 0x400000
	;; [unrolled: 1-line block ×3, first 2 shown]
	s_mov_b64 s[0:1], 0
	s_waitcnt vmcnt(0)
	v_lshlrev_b32_e32 v13, 23, v3
	v_cmp_ne_u32_e32 vcc, s6, v3
	v_cndmask_b32_e32 v5, v5, v13, vcc
	v_cmp_ne_u32_e32 vcc, 0, v3
	v_cndmask_b32_e32 v3, v8, v5, vcc
	v_add_u32_e32 v5, 0x7fff, v3
	v_cmp_o_f32_e32 vcc, v3, v3
	v_cndmask_b32_sdwa v3, v12, v5, vcc dst_sel:DWORD dst_unused:UNUSED_PAD src0_sel:DWORD src1_sel:WORD_1
	s_mov_b64 s[6:7], -1
	s_branch .LBB232_1287
.LBB232_1286:
	s_mov_b64 s[0:1], -1
                                        ; implicit-def: $vgpr3
.LBB232_1287:
	s_mov_b64 s[12:13], 0
.LBB232_1288:
	s_and_b64 vcc, exec, s[12:13]
	s_cbranch_vccz .LBB232_1292
; %bb.1289:
	s_cmp_eq_u32 s17, 29
	s_cbranch_scc0 .LBB232_1291
; %bb.1290:
	global_load_dwordx2 v[12:13], v[10:11], off
	s_movk_i32 s6, 0x7fff
	s_mov_b64 s[0:1], 0
	s_mov_b64 s[12:13], 0
	s_waitcnt vmcnt(0)
	v_ffbh_u32_e32 v3, v13
	v_min_u32_e32 v3, 32, v3
	v_lshlrev_b64 v[12:13], v3, v[12:13]
	v_sub_u32_e32 v3, 32, v3
	v_min_u32_e32 v5, 1, v12
	v_or_b32_e32 v5, v13, v5
	v_cvt_f32_u32_e32 v5, v5
	v_ldexp_f32 v3, v5, v3
	v_bfe_u32 v5, v3, 16, 1
	v_add3_u32 v3, v3, v5, s6
	v_lshrrev_b32_e32 v3, 16, v3
	s_mov_b64 s[6:7], -1
	s_branch .LBB232_1293
.LBB232_1291:
	s_mov_b64 s[0:1], -1
                                        ; implicit-def: $vgpr3
.LBB232_1292:
	s_mov_b64 s[12:13], 0
.LBB232_1293:
	s_and_b64 vcc, exec, s[12:13]
	s_cbranch_vccz .LBB232_1311
; %bb.1294:
	s_cmp_lt_i32 s17, 27
	s_cbranch_scc1 .LBB232_1297
; %bb.1295:
	s_cmp_gt_i32 s17, 27
	s_cbranch_scc0 .LBB232_1298
; %bb.1296:
	global_load_dword v3, v[10:11], off
	s_movk_i32 s6, 0x7fff
	s_waitcnt vmcnt(0)
	v_cvt_f32_u32_e32 v3, v3
	v_bfe_u32 v5, v3, 16, 1
	v_add3_u32 v3, v3, v5, s6
	v_lshrrev_b32_e32 v3, 16, v3
	s_mov_b64 s[6:7], 0
	s_branch .LBB232_1299
.LBB232_1297:
	s_mov_b64 s[6:7], -1
                                        ; implicit-def: $vgpr3
	s_branch .LBB232_1302
.LBB232_1298:
	s_mov_b64 s[6:7], -1
                                        ; implicit-def: $vgpr3
.LBB232_1299:
	s_andn2_b64 vcc, exec, s[6:7]
	s_cbranch_vccnz .LBB232_1301
; %bb.1300:
	global_load_ushort v3, v[10:11], off
	s_movk_i32 s6, 0x7fff
	s_waitcnt vmcnt(0)
	v_cvt_f32_u32_e32 v3, v3
	v_bfe_u32 v5, v3, 16, 1
	v_add3_u32 v3, v3, v5, s6
	v_lshrrev_b32_e32 v3, 16, v3
.LBB232_1301:
	s_mov_b64 s[6:7], 0
.LBB232_1302:
	s_andn2_b64 vcc, exec, s[6:7]
	s_cbranch_vccnz .LBB232_1310
; %bb.1303:
	global_load_ubyte v3, v[10:11], off
	s_movk_i32 s6, 0x7f
	s_waitcnt vmcnt(0)
	v_cmp_lt_i16_e32 vcc, s6, v3
	s_mov_b64 s[6:7], 0
	s_and_saveexec_b64 s[12:13], vcc
	s_xor_b64 s[12:13], exec, s[12:13]
	s_cbranch_execz .LBB232_1323
; %bb.1304:
	s_movk_i32 s6, 0x80
	v_cmp_eq_u16_e32 vcc, s6, v3
	s_mov_b64 s[6:7], -1
	s_and_saveexec_b64 s[14:15], vcc
; %bb.1305:
	s_xor_b64 s[6:7], exec, -1
; %bb.1306:
	s_or_b64 exec, exec, s[14:15]
	s_and_b64 s[6:7], s[6:7], exec
	s_or_saveexec_b64 s[12:13], s[12:13]
	v_mov_b32_e32 v5, 0x7f800001
	s_xor_b64 exec, exec, s[12:13]
	s_cbranch_execnz .LBB232_1324
.LBB232_1307:
	s_or_b64 exec, exec, s[12:13]
	s_and_saveexec_b64 s[12:13], s[6:7]
	s_cbranch_execz .LBB232_1309
.LBB232_1308:
	v_lshlrev_b32_e32 v5, 24, v3
	v_and_b32_e32 v3, 0xffff, v3
	v_and_b32_e32 v8, 7, v3
	v_ffbh_u32_e32 v13, v8
	v_min_u32_e32 v13, 32, v13
	v_subrev_u32_e32 v14, 28, v13
	v_bfe_u32 v12, v3, 3, 4
	v_lshlrev_b32_e32 v3, v14, v3
	v_sub_u32_e32 v13, 29, v13
	v_and_b32_e32 v3, 7, v3
	v_cmp_eq_u32_e32 vcc, 0, v12
	v_cndmask_b32_e32 v12, v12, v13, vcc
	v_cndmask_b32_e32 v3, v8, v3, vcc
	v_mov_b32_e32 v8, 0x3b800000
	v_lshlrev_b32_e32 v3, 20, v3
	v_and_b32_e32 v5, 0x80000000, v5
	v_lshl_add_u32 v8, v12, 23, v8
	v_or3_b32 v5, v5, v8, v3
.LBB232_1309:
	s_or_b64 exec, exec, s[12:13]
	v_bfe_u32 v3, v5, 16, 1
	s_movk_i32 s6, 0x7fff
	v_add3_u32 v3, v5, v3, s6
	v_cmp_o_f32_e32 vcc, v5, v5
	v_mov_b32_e32 v5, 0x7fc0
	v_cndmask_b32_sdwa v3, v5, v3, vcc dst_sel:DWORD dst_unused:UNUSED_PAD src0_sel:DWORD src1_sel:WORD_1
.LBB232_1310:
	s_mov_b64 s[6:7], -1
.LBB232_1311:
	s_branch .LBB232_1344
.LBB232_1312:
	s_cmp_gt_i32 s17, 22
	s_cbranch_scc0 .LBB232_1322
; %bb.1313:
	s_cmp_lt_i32 s17, 24
	s_cbranch_scc1 .LBB232_1325
; %bb.1314:
	s_cmp_gt_i32 s17, 24
	s_cbranch_scc0 .LBB232_1326
; %bb.1315:
	global_load_ubyte v3, v[10:11], off
	s_movk_i32 s4, 0x7f
	s_waitcnt vmcnt(0)
	v_cmp_lt_i16_e32 vcc, s4, v3
	s_mov_b64 s[4:5], 0
	s_and_saveexec_b64 s[6:7], vcc
	s_xor_b64 s[6:7], exec, s[6:7]
	s_cbranch_execz .LBB232_1338
; %bb.1316:
	s_movk_i32 s4, 0x80
	v_cmp_eq_u16_e32 vcc, s4, v3
	s_mov_b64 s[4:5], -1
	s_and_saveexec_b64 s[12:13], vcc
; %bb.1317:
	s_xor_b64 s[4:5], exec, -1
; %bb.1318:
	s_or_b64 exec, exec, s[12:13]
	s_and_b64 s[4:5], s[4:5], exec
	s_or_saveexec_b64 s[6:7], s[6:7]
	v_mov_b32_e32 v5, 0x7f800001
	s_xor_b64 exec, exec, s[6:7]
	s_cbranch_execnz .LBB232_1339
.LBB232_1319:
	s_or_b64 exec, exec, s[6:7]
	s_and_saveexec_b64 s[6:7], s[4:5]
	s_cbranch_execz .LBB232_1321
.LBB232_1320:
	v_lshlrev_b32_e32 v5, 24, v3
	v_and_b32_e32 v3, 0xffff, v3
	v_and_b32_e32 v8, 3, v3
	v_ffbh_u32_e32 v13, v8
	v_min_u32_e32 v13, 32, v13
	v_subrev_u32_e32 v14, 29, v13
	v_bfe_u32 v12, v3, 2, 5
	v_lshlrev_b32_e32 v3, v14, v3
	v_sub_u32_e32 v13, 30, v13
	v_and_b32_e32 v3, 3, v3
	v_cmp_eq_u32_e32 vcc, 0, v12
	v_cndmask_b32_e32 v12, v12, v13, vcc
	v_cndmask_b32_e32 v3, v8, v3, vcc
	v_mov_b32_e32 v8, 0x37800000
	v_lshlrev_b32_e32 v3, 21, v3
	v_and_b32_e32 v5, 0x80000000, v5
	v_lshl_add_u32 v8, v12, 23, v8
	v_or3_b32 v5, v5, v8, v3
.LBB232_1321:
	s_or_b64 exec, exec, s[6:7]
	v_bfe_u32 v3, v5, 16, 1
	s_movk_i32 s4, 0x7fff
	v_add3_u32 v3, v5, v3, s4
	v_cmp_o_f32_e32 vcc, v5, v5
	v_mov_b32_e32 v5, 0x7fc0
	v_cndmask_b32_sdwa v3, v5, v3, vcc dst_sel:DWORD dst_unused:UNUSED_PAD src0_sel:DWORD src1_sel:WORD_1
	s_mov_b64 s[4:5], 0
	s_branch .LBB232_1327
.LBB232_1322:
	s_mov_b64 s[4:5], -1
                                        ; implicit-def: $vgpr3
	s_branch .LBB232_1333
.LBB232_1323:
	s_or_saveexec_b64 s[12:13], s[12:13]
	v_mov_b32_e32 v5, 0x7f800001
	s_xor_b64 exec, exec, s[12:13]
	s_cbranch_execz .LBB232_1307
.LBB232_1324:
	v_cmp_ne_u16_e32 vcc, 0, v3
	s_andn2_b64 s[6:7], s[6:7], exec
	s_and_b64 s[14:15], vcc, exec
	v_mov_b32_e32 v5, 0
	s_or_b64 s[6:7], s[6:7], s[14:15]
	s_or_b64 exec, exec, s[12:13]
	s_and_saveexec_b64 s[12:13], s[6:7]
	s_cbranch_execnz .LBB232_1308
	s_branch .LBB232_1309
.LBB232_1325:
	s_mov_b64 s[4:5], -1
                                        ; implicit-def: $vgpr3
	s_branch .LBB232_1330
.LBB232_1326:
	s_mov_b64 s[4:5], -1
                                        ; implicit-def: $vgpr3
.LBB232_1327:
	s_and_b64 vcc, exec, s[4:5]
	s_cbranch_vccz .LBB232_1329
; %bb.1328:
	global_load_ubyte v3, v[10:11], off
	s_mov_b32 s4, 0x7f800000
	s_brev_b32 s5, 1
	s_movk_i32 s6, 0x7fff
	s_waitcnt vmcnt(0)
	v_lshlrev_b32_e32 v3, 24, v3
	v_and_b32_e32 v5, 0x7f000000, v3
	v_ffbh_u32_e32 v8, v5
	v_min_u32_e32 v8, 32, v8
	v_sub_u32_e64 v8, v8, 4 clamp
	v_lshlrev_b32_e32 v13, v8, v5
	v_lshlrev_b32_e32 v8, 23, v8
	v_lshrrev_b32_e32 v13, 4, v13
	v_add_u32_e32 v12, 0x1000000, v5
	v_sub_u32_e32 v8, v13, v8
	v_ashrrev_i32_e32 v12, 8, v12
	v_add_u32_e32 v8, 0x3c000000, v8
	v_and_or_b32 v8, v12, s4, v8
	v_cmp_ne_u32_e32 vcc, 0, v5
	v_cndmask_b32_e32 v5, 0, v8, vcc
	v_and_or_b32 v3, v3, s5, v5
	v_bfe_u32 v5, v5, 16, 1
	v_add3_u32 v5, v3, v5, s6
	v_cmp_o_f32_e32 vcc, v3, v3
	v_mov_b32_e32 v3, 0x7fc0
	v_cndmask_b32_sdwa v3, v3, v5, vcc dst_sel:DWORD dst_unused:UNUSED_PAD src0_sel:DWORD src1_sel:WORD_1
.LBB232_1329:
	s_mov_b64 s[4:5], 0
.LBB232_1330:
	s_andn2_b64 vcc, exec, s[4:5]
	s_cbranch_vccnz .LBB232_1332
; %bb.1331:
	global_load_ubyte v3, v[10:11], off
	s_movk_i32 s4, 0x7f00
	s_brev_b32 s5, 16
	s_brev_b32 s6, 1
	s_movk_i32 s7, 0x7fff
	s_waitcnt vmcnt(0)
	v_lshlrev_b16_e32 v5, 8, v3
	v_lshlrev_b32_e32 v3, 25, v3
	v_lshrrev_b32_e32 v8, 4, v3
	v_and_or_b32 v12, v5, s4, 0.5
	v_or_b32_e32 v8, 0x70000000, v8
	v_add_f32_e32 v12, -0.5, v12
	v_mul_f32_e32 v8, 0x7800000, v8
	v_cmp_gt_u32_e32 vcc, s5, v3
	v_bfe_i32 v5, v5, 0, 16
	v_cndmask_b32_e32 v3, v8, v12, vcc
	v_and_or_b32 v5, v5, s6, v3
	v_bfe_u32 v3, v3, 16, 1
	v_add3_u32 v3, v5, v3, s7
	v_cmp_o_f32_e32 vcc, v5, v5
	v_mov_b32_e32 v5, 0x7fc0
	v_cndmask_b32_sdwa v3, v5, v3, vcc dst_sel:DWORD dst_unused:UNUSED_PAD src0_sel:DWORD src1_sel:WORD_1
.LBB232_1332:
	s_mov_b64 s[4:5], 0
	s_mov_b64 s[6:7], -1
.LBB232_1333:
	s_andn2_b64 vcc, exec, s[4:5]
	s_mov_b64 s[4:5], 0
	s_cbranch_vccnz .LBB232_1344
; %bb.1334:
	s_cmp_gt_i32 s17, 14
	s_cbranch_scc0 .LBB232_1337
; %bb.1335:
	s_cmp_eq_u32 s17, 15
	s_cbranch_scc0 .LBB232_1340
; %bb.1336:
	global_load_ushort v3, v[10:11], off
	s_mov_b64 s[0:1], 0
	s_mov_b64 s[6:7], -1
	s_branch .LBB232_1341
.LBB232_1337:
	s_mov_b64 s[12:13], -1
                                        ; implicit-def: $vgpr3
	s_branch .LBB232_1342
.LBB232_1338:
	s_or_saveexec_b64 s[6:7], s[6:7]
	v_mov_b32_e32 v5, 0x7f800001
	s_xor_b64 exec, exec, s[6:7]
	s_cbranch_execz .LBB232_1319
.LBB232_1339:
	v_cmp_ne_u16_e32 vcc, 0, v3
	s_andn2_b64 s[4:5], s[4:5], exec
	s_and_b64 s[12:13], vcc, exec
	v_mov_b32_e32 v5, 0
	s_or_b64 s[4:5], s[4:5], s[12:13]
	s_or_b64 exec, exec, s[6:7]
	s_and_saveexec_b64 s[6:7], s[4:5]
	s_cbranch_execnz .LBB232_1320
	s_branch .LBB232_1321
.LBB232_1340:
	s_mov_b64 s[0:1], -1
                                        ; implicit-def: $vgpr3
.LBB232_1341:
	s_mov_b64 s[12:13], 0
.LBB232_1342:
	s_and_b64 vcc, exec, s[12:13]
	s_cbranch_vccz .LBB232_1344
; %bb.1343:
	s_cmp_lg_u32 s17, 11
	s_mov_b64 s[4:5], -1
	s_cselect_b64 s[0:1], -1, 0
.LBB232_1344:
	s_and_b64 vcc, exec, s[0:1]
	s_cbranch_vccnz .LBB232_1407
; %bb.1345:
	s_andn2_b64 vcc, exec, s[4:5]
	s_cbranch_vccnz .LBB232_1347
.LBB232_1346:
	global_load_ubyte v3, v[10:11], off
	s_mov_b64 s[6:7], -1
	s_waitcnt vmcnt(0)
	v_cmp_ne_u16_e32 vcc, 0, v3
	v_cndmask_b32_e64 v3, 0, 1.0, vcc
	v_lshrrev_b32_e32 v3, 16, v3
.LBB232_1347:
	s_branch .LBB232_1274
.LBB232_1348:
	s_cmp_lt_i32 s17, 5
	s_cbranch_scc1 .LBB232_1353
; %bb.1349:
	s_cmp_lt_i32 s17, 8
	s_cbranch_scc1 .LBB232_1354
; %bb.1350:
	s_cmp_lt_i32 s17, 9
	s_cbranch_scc1 .LBB232_1355
; %bb.1351:
	s_cmp_gt_i32 s17, 9
	s_cbranch_scc0 .LBB232_1356
; %bb.1352:
	global_load_dwordx2 v[12:13], v[10:11], off
	s_movk_i32 s0, 0x7fff
	v_mov_b32_e32 v5, 0x7fc0
	s_waitcnt vmcnt(0)
	v_cvt_f32_f64_e32 v3, v[12:13]
	v_bfe_u32 v8, v3, 16, 1
	v_cmp_o_f32_e32 vcc, v3, v3
	v_add3_u32 v3, v3, v8, s0
	v_cndmask_b32_sdwa v3, v5, v3, vcc dst_sel:DWORD dst_unused:UNUSED_PAD src0_sel:DWORD src1_sel:WORD_1
	s_mov_b64 s[0:1], 0
	s_branch .LBB232_1357
.LBB232_1353:
                                        ; implicit-def: $vgpr3
	s_branch .LBB232_1375
.LBB232_1354:
	s_mov_b64 s[0:1], -1
                                        ; implicit-def: $vgpr3
	s_branch .LBB232_1363
.LBB232_1355:
	s_mov_b64 s[0:1], -1
                                        ; implicit-def: $vgpr3
	s_branch .LBB232_1360
.LBB232_1356:
	s_mov_b64 s[0:1], -1
                                        ; implicit-def: $vgpr3
.LBB232_1357:
	s_andn2_b64 vcc, exec, s[0:1]
	s_cbranch_vccnz .LBB232_1359
; %bb.1358:
	global_load_dword v3, v[10:11], off
	s_movk_i32 s0, 0x7fff
	v_mov_b32_e32 v5, 0x7fc0
	s_waitcnt vmcnt(0)
	v_bfe_u32 v8, v3, 16, 1
	v_cmp_o_f32_e32 vcc, v3, v3
	v_add3_u32 v3, v3, v8, s0
	v_cndmask_b32_sdwa v3, v5, v3, vcc dst_sel:DWORD dst_unused:UNUSED_PAD src0_sel:DWORD src1_sel:WORD_1
.LBB232_1359:
	s_mov_b64 s[0:1], 0
.LBB232_1360:
	s_andn2_b64 vcc, exec, s[0:1]
	s_cbranch_vccnz .LBB232_1362
; %bb.1361:
	global_load_dword v3, v[10:11], off
	s_movk_i32 s0, 0x7fff
	v_mov_b32_e32 v8, 0x7fc0
	s_waitcnt vmcnt(0)
	v_cvt_f32_f16_e32 v5, v3
	v_cmp_o_f16_e32 vcc, v3, v3
	v_bfe_u32 v3, v5, 16, 1
	v_add3_u32 v3, v5, v3, s0
	v_cndmask_b32_sdwa v3, v8, v3, vcc dst_sel:DWORD dst_unused:UNUSED_PAD src0_sel:DWORD src1_sel:WORD_1
.LBB232_1362:
	s_mov_b64 s[0:1], 0
.LBB232_1363:
	s_andn2_b64 vcc, exec, s[0:1]
	s_cbranch_vccnz .LBB232_1374
; %bb.1364:
	s_cmp_lt_i32 s17, 6
	s_cbranch_scc1 .LBB232_1367
; %bb.1365:
	s_cmp_gt_i32 s17, 6
	s_cbranch_scc0 .LBB232_1368
; %bb.1366:
	global_load_dwordx2 v[12:13], v[10:11], off
	s_movk_i32 s0, 0x7fff
	v_mov_b32_e32 v5, 0x7fc0
	s_waitcnt vmcnt(0)
	v_cvt_f32_f64_e32 v3, v[12:13]
	v_bfe_u32 v8, v3, 16, 1
	v_cmp_o_f32_e32 vcc, v3, v3
	v_add3_u32 v3, v3, v8, s0
	v_cndmask_b32_sdwa v3, v5, v3, vcc dst_sel:DWORD dst_unused:UNUSED_PAD src0_sel:DWORD src1_sel:WORD_1
	s_mov_b64 s[0:1], 0
	s_branch .LBB232_1369
.LBB232_1367:
	s_mov_b64 s[0:1], -1
                                        ; implicit-def: $vgpr3
	s_branch .LBB232_1372
.LBB232_1368:
	s_mov_b64 s[0:1], -1
                                        ; implicit-def: $vgpr3
.LBB232_1369:
	s_andn2_b64 vcc, exec, s[0:1]
	s_cbranch_vccnz .LBB232_1371
; %bb.1370:
	global_load_dword v3, v[10:11], off
	s_movk_i32 s0, 0x7fff
	v_mov_b32_e32 v5, 0x7fc0
	s_waitcnt vmcnt(0)
	v_bfe_u32 v8, v3, 16, 1
	v_cmp_o_f32_e32 vcc, v3, v3
	v_add3_u32 v3, v3, v8, s0
	v_cndmask_b32_sdwa v3, v5, v3, vcc dst_sel:DWORD dst_unused:UNUSED_PAD src0_sel:DWORD src1_sel:WORD_1
.LBB232_1371:
	s_mov_b64 s[0:1], 0
.LBB232_1372:
	s_andn2_b64 vcc, exec, s[0:1]
	s_cbranch_vccnz .LBB232_1374
; %bb.1373:
	global_load_ushort v3, v[10:11], off
	s_movk_i32 s0, 0x7fff
	v_mov_b32_e32 v8, 0x7fc0
	s_waitcnt vmcnt(0)
	v_cvt_f32_f16_e32 v5, v3
	v_cmp_o_f16_e32 vcc, v3, v3
	v_bfe_u32 v3, v5, 16, 1
	v_add3_u32 v3, v5, v3, s0
	v_cndmask_b32_sdwa v3, v8, v3, vcc dst_sel:DWORD dst_unused:UNUSED_PAD src0_sel:DWORD src1_sel:WORD_1
.LBB232_1374:
	s_cbranch_execnz .LBB232_1394
.LBB232_1375:
	s_cmp_lt_i32 s17, 2
	s_cbranch_scc1 .LBB232_1379
; %bb.1376:
	s_cmp_lt_i32 s17, 3
	s_cbranch_scc1 .LBB232_1380
; %bb.1377:
	s_cmp_gt_i32 s17, 3
	s_cbranch_scc0 .LBB232_1381
; %bb.1378:
	global_load_dwordx2 v[12:13], v[10:11], off
	s_movk_i32 s0, 0x7fff
	s_waitcnt vmcnt(0)
	v_xor_b32_e32 v5, v12, v13
	v_ffbh_i32_e32 v3, v13
	v_ashrrev_i32_e32 v5, 31, v5
	v_add_u32_e32 v3, -1, v3
	v_add_u32_e32 v5, 32, v5
	v_min_u32_e32 v3, v3, v5
	v_lshlrev_b64 v[12:13], v3, v[12:13]
	v_sub_u32_e32 v3, 32, v3
	v_min_u32_e32 v5, 1, v12
	v_or_b32_e32 v5, v13, v5
	v_cvt_f32_i32_e32 v5, v5
	v_ldexp_f32 v3, v5, v3
	v_bfe_u32 v5, v3, 16, 1
	v_add3_u32 v3, v3, v5, s0
	v_lshrrev_b32_e32 v3, 16, v3
	s_mov_b64 s[0:1], 0
	s_branch .LBB232_1382
.LBB232_1379:
	s_mov_b64 s[0:1], -1
                                        ; implicit-def: $vgpr3
	s_branch .LBB232_1388
.LBB232_1380:
	s_mov_b64 s[0:1], -1
                                        ; implicit-def: $vgpr3
	s_branch .LBB232_1385
.LBB232_1381:
	s_mov_b64 s[0:1], -1
                                        ; implicit-def: $vgpr3
.LBB232_1382:
	s_andn2_b64 vcc, exec, s[0:1]
	s_cbranch_vccnz .LBB232_1384
; %bb.1383:
	global_load_dword v3, v[10:11], off
	s_movk_i32 s0, 0x7fff
	s_waitcnt vmcnt(0)
	v_cvt_f32_i32_e32 v3, v3
	v_bfe_u32 v5, v3, 16, 1
	v_add3_u32 v3, v3, v5, s0
	v_lshrrev_b32_e32 v3, 16, v3
.LBB232_1384:
	s_mov_b64 s[0:1], 0
.LBB232_1385:
	s_andn2_b64 vcc, exec, s[0:1]
	s_cbranch_vccnz .LBB232_1387
; %bb.1386:
	global_load_sshort v3, v[10:11], off
	s_movk_i32 s0, 0x7fff
	s_waitcnt vmcnt(0)
	v_cvt_f32_i32_e32 v3, v3
	v_bfe_u32 v5, v3, 16, 1
	v_add3_u32 v3, v3, v5, s0
	v_lshrrev_b32_e32 v3, 16, v3
.LBB232_1387:
	s_mov_b64 s[0:1], 0
.LBB232_1388:
	s_andn2_b64 vcc, exec, s[0:1]
	s_cbranch_vccnz .LBB232_1394
; %bb.1389:
	s_cmp_gt_i32 s17, 0
	s_cbranch_scc0 .LBB232_1391
; %bb.1390:
	global_load_sbyte v3, v[10:11], off
	s_movk_i32 s0, 0x7fff
	s_waitcnt vmcnt(0)
	v_cvt_f32_i32_e32 v3, v3
	v_bfe_u32 v5, v3, 16, 1
	v_add3_u32 v3, v3, v5, s0
	v_lshrrev_b32_e32 v3, 16, v3
	s_mov_b64 s[0:1], 0
	s_branch .LBB232_1392
.LBB232_1391:
	s_mov_b64 s[0:1], -1
                                        ; implicit-def: $vgpr3
.LBB232_1392:
	s_andn2_b64 vcc, exec, s[0:1]
	s_cbranch_vccnz .LBB232_1394
; %bb.1393:
	global_load_ubyte v3, v[10:11], off
	s_movk_i32 s0, 0x7fff
	s_waitcnt vmcnt(0)
	v_cvt_f32_ubyte0_e32 v3, v3
	v_bfe_u32 v5, v3, 16, 1
	v_add3_u32 v3, v3, v5, s0
	v_lshrrev_b32_e32 v3, 16, v3
.LBB232_1394:
.LBB232_1395:
	v_mov_b32_e32 v5, s11
	v_add_co_u32_e32 v8, vcc, s10, v9
	s_cmp_lt_i32 s17, 11
	v_addc_co_u32_e32 v9, vcc, 0, v5, vcc
	s_cbranch_scc1 .LBB232_1402
; %bb.1396:
	s_cmp_gt_i32 s17, 25
	s_mov_b64 s[4:5], 0
	s_cbranch_scc0 .LBB232_1404
; %bb.1397:
	s_cmp_gt_i32 s17, 28
	s_cbranch_scc0 .LBB232_1405
; %bb.1398:
	s_cmp_gt_i32 s17, 43
	;; [unrolled: 3-line block ×3, first 2 shown]
	s_cbranch_scc0 .LBB232_1408
; %bb.1400:
	s_cmp_eq_u32 s17, 46
	s_mov_b64 s[12:13], 0
	s_cbranch_scc0 .LBB232_1409
; %bb.1401:
	global_load_dword v10, v[8:9], off
	s_mov_b64 s[0:1], 0
	s_mov_b64 s[6:7], -1
	s_branch .LBB232_1410
.LBB232_1402:
	s_mov_b64 s[6:7], 0
                                        ; implicit-def: $vgpr10
	s_cbranch_execnz .LBB232_1476
.LBB232_1403:
	s_andn2_b64 vcc, exec, s[6:7]
	s_cbranch_vccnz .LBB232_2087
	s_branch .LBB232_1524
.LBB232_1404:
	s_mov_b64 s[12:13], -1
	s_mov_b64 s[6:7], 0
	s_mov_b64 s[0:1], 0
                                        ; implicit-def: $vgpr10
	s_branch .LBB232_1439
.LBB232_1405:
	s_mov_b64 s[12:13], -1
	s_mov_b64 s[6:7], 0
	s_mov_b64 s[0:1], 0
                                        ; implicit-def: $vgpr10
	s_branch .LBB232_1420
.LBB232_1406:
	s_mov_b64 s[12:13], -1
	s_mov_b64 s[6:7], 0
	s_mov_b64 s[0:1], 0
                                        ; implicit-def: $vgpr10
	s_branch .LBB232_1415
.LBB232_1407:
	s_trap 2
	s_or_b64 s[2:3], s[2:3], exec
	s_cbranch_execz .LBB232_1346
	s_branch .LBB232_1347
.LBB232_1408:
	s_mov_b64 s[12:13], -1
	s_mov_b64 s[6:7], 0
	s_mov_b64 s[0:1], 0
                                        ; implicit-def: $vgpr10
	s_branch .LBB232_1410
.LBB232_1409:
	s_mov_b64 s[0:1], -1
                                        ; implicit-def: $vgpr10
	s_mov_b64 s[6:7], 0
.LBB232_1410:
	s_and_b64 vcc, exec, s[12:13]
	s_cbranch_vccz .LBB232_1414
; %bb.1411:
	s_cmp_eq_u32 s17, 44
	s_cbranch_scc0 .LBB232_1413
; %bb.1412:
	global_load_ubyte v5, v[8:9], off
	s_movk_i32 s6, 0xff
	s_waitcnt vmcnt(1)
	v_mov_b32_e32 v10, 0x7f800001
	v_mov_b32_e32 v11, 0x400000
	;; [unrolled: 1-line block ×3, first 2 shown]
	s_mov_b64 s[0:1], 0
	s_waitcnt vmcnt(0)
	v_lshlrev_b32_e32 v13, 23, v5
	v_cmp_ne_u32_e32 vcc, s6, v5
	v_cndmask_b32_e32 v10, v10, v13, vcc
	v_cmp_ne_u32_e32 vcc, 0, v5
	v_cndmask_b32_e32 v5, v11, v10, vcc
	v_add_u32_e32 v10, 0x7fff, v5
	v_cmp_o_f32_e32 vcc, v5, v5
	v_cndmask_b32_sdwa v10, v12, v10, vcc dst_sel:DWORD dst_unused:UNUSED_PAD src0_sel:DWORD src1_sel:WORD_1
	s_mov_b64 s[6:7], -1
	s_branch .LBB232_1414
.LBB232_1413:
	s_mov_b64 s[0:1], -1
                                        ; implicit-def: $vgpr10
.LBB232_1414:
	s_mov_b64 s[12:13], 0
.LBB232_1415:
	s_and_b64 vcc, exec, s[12:13]
	s_cbranch_vccz .LBB232_1419
; %bb.1416:
	s_cmp_eq_u32 s17, 29
	s_cbranch_scc0 .LBB232_1418
; %bb.1417:
	global_load_dwordx2 v[10:11], v[8:9], off
	s_movk_i32 s6, 0x7fff
	s_mov_b64 s[0:1], 0
	s_mov_b64 s[12:13], 0
	s_waitcnt vmcnt(0)
	v_ffbh_u32_e32 v5, v11
	v_min_u32_e32 v5, 32, v5
	v_lshlrev_b64 v[10:11], v5, v[10:11]
	v_sub_u32_e32 v5, 32, v5
	v_min_u32_e32 v10, 1, v10
	v_or_b32_e32 v10, v11, v10
	v_cvt_f32_u32_e32 v10, v10
	v_ldexp_f32 v5, v10, v5
	v_bfe_u32 v10, v5, 16, 1
	v_add3_u32 v5, v5, v10, s6
	v_lshrrev_b32_e32 v10, 16, v5
	s_mov_b64 s[6:7], -1
	s_branch .LBB232_1420
.LBB232_1418:
	s_mov_b64 s[0:1], -1
                                        ; implicit-def: $vgpr10
.LBB232_1419:
	s_mov_b64 s[12:13], 0
.LBB232_1420:
	s_and_b64 vcc, exec, s[12:13]
	s_cbranch_vccz .LBB232_1438
; %bb.1421:
	s_cmp_lt_i32 s17, 27
	s_cbranch_scc1 .LBB232_1424
; %bb.1422:
	s_cmp_gt_i32 s17, 27
	s_cbranch_scc0 .LBB232_1425
; %bb.1423:
	global_load_dword v5, v[8:9], off
	s_movk_i32 s6, 0x7fff
	s_waitcnt vmcnt(0)
	v_cvt_f32_u32_e32 v5, v5
	v_bfe_u32 v10, v5, 16, 1
	v_add3_u32 v5, v5, v10, s6
	v_lshrrev_b32_e32 v10, 16, v5
	s_mov_b64 s[6:7], 0
	s_branch .LBB232_1426
.LBB232_1424:
	s_mov_b64 s[6:7], -1
                                        ; implicit-def: $vgpr10
	s_branch .LBB232_1429
.LBB232_1425:
	s_mov_b64 s[6:7], -1
                                        ; implicit-def: $vgpr10
.LBB232_1426:
	s_andn2_b64 vcc, exec, s[6:7]
	s_cbranch_vccnz .LBB232_1428
; %bb.1427:
	global_load_ushort v5, v[8:9], off
	s_movk_i32 s6, 0x7fff
	s_waitcnt vmcnt(0)
	v_cvt_f32_u32_e32 v5, v5
	v_bfe_u32 v10, v5, 16, 1
	v_add3_u32 v5, v5, v10, s6
	v_lshrrev_b32_e32 v10, 16, v5
.LBB232_1428:
	s_mov_b64 s[6:7], 0
.LBB232_1429:
	s_andn2_b64 vcc, exec, s[6:7]
	s_cbranch_vccnz .LBB232_1437
; %bb.1430:
	global_load_ubyte v5, v[8:9], off
	s_movk_i32 s6, 0x7f
	s_waitcnt vmcnt(0)
	v_cmp_lt_i16_e32 vcc, s6, v5
	s_mov_b64 s[6:7], 0
	s_and_saveexec_b64 s[12:13], vcc
	s_xor_b64 s[12:13], exec, s[12:13]
	s_cbranch_execz .LBB232_1451
; %bb.1431:
	s_movk_i32 s6, 0x80
	v_cmp_eq_u16_e32 vcc, s6, v5
	s_mov_b64 s[6:7], -1
	s_and_saveexec_b64 s[14:15], vcc
; %bb.1432:
	s_xor_b64 s[6:7], exec, -1
; %bb.1433:
	s_or_b64 exec, exec, s[14:15]
	s_and_b64 s[6:7], s[6:7], exec
	s_or_saveexec_b64 s[12:13], s[12:13]
	v_mov_b32_e32 v10, 0x7f800001
	s_xor_b64 exec, exec, s[12:13]
	s_cbranch_execnz .LBB232_1452
.LBB232_1434:
	s_or_b64 exec, exec, s[12:13]
	s_and_saveexec_b64 s[12:13], s[6:7]
	s_cbranch_execz .LBB232_1436
.LBB232_1435:
	v_lshlrev_b32_e32 v10, 24, v5
	v_and_b32_e32 v5, 0xffff, v5
	v_and_b32_e32 v11, 7, v5
	v_ffbh_u32_e32 v13, v11
	v_min_u32_e32 v13, 32, v13
	v_subrev_u32_e32 v14, 28, v13
	v_bfe_u32 v12, v5, 3, 4
	v_lshlrev_b32_e32 v5, v14, v5
	v_sub_u32_e32 v13, 29, v13
	v_and_b32_e32 v5, 7, v5
	v_cmp_eq_u32_e32 vcc, 0, v12
	v_cndmask_b32_e32 v12, v12, v13, vcc
	v_cndmask_b32_e32 v5, v11, v5, vcc
	v_mov_b32_e32 v11, 0x3b800000
	v_lshlrev_b32_e32 v5, 20, v5
	v_and_b32_e32 v10, 0x80000000, v10
	v_lshl_add_u32 v11, v12, 23, v11
	v_or3_b32 v10, v10, v11, v5
.LBB232_1436:
	s_or_b64 exec, exec, s[12:13]
	v_bfe_u32 v5, v10, 16, 1
	s_movk_i32 s6, 0x7fff
	v_add3_u32 v5, v10, v5, s6
	v_cmp_o_f32_e32 vcc, v10, v10
	v_mov_b32_e32 v10, 0x7fc0
	v_cndmask_b32_sdwa v10, v10, v5, vcc dst_sel:DWORD dst_unused:UNUSED_PAD src0_sel:DWORD src1_sel:WORD_1
.LBB232_1437:
	s_mov_b64 s[6:7], -1
.LBB232_1438:
	s_mov_b64 s[12:13], 0
.LBB232_1439:
	s_and_b64 vcc, exec, s[12:13]
	s_cbranch_vccz .LBB232_1472
; %bb.1440:
	s_cmp_gt_i32 s17, 22
	s_cbranch_scc0 .LBB232_1450
; %bb.1441:
	s_cmp_lt_i32 s17, 24
	s_cbranch_scc1 .LBB232_1453
; %bb.1442:
	s_cmp_gt_i32 s17, 24
	s_cbranch_scc0 .LBB232_1454
; %bb.1443:
	global_load_ubyte v5, v[8:9], off
	s_movk_i32 s4, 0x7f
	s_waitcnt vmcnt(0)
	v_cmp_lt_i16_e32 vcc, s4, v5
	s_mov_b64 s[4:5], 0
	s_and_saveexec_b64 s[6:7], vcc
	s_xor_b64 s[6:7], exec, s[6:7]
	s_cbranch_execz .LBB232_1466
; %bb.1444:
	s_movk_i32 s4, 0x80
	v_cmp_eq_u16_e32 vcc, s4, v5
	s_mov_b64 s[4:5], -1
	s_and_saveexec_b64 s[12:13], vcc
; %bb.1445:
	s_xor_b64 s[4:5], exec, -1
; %bb.1446:
	s_or_b64 exec, exec, s[12:13]
	s_and_b64 s[4:5], s[4:5], exec
	s_or_saveexec_b64 s[6:7], s[6:7]
	v_mov_b32_e32 v10, 0x7f800001
	s_xor_b64 exec, exec, s[6:7]
	s_cbranch_execnz .LBB232_1467
.LBB232_1447:
	s_or_b64 exec, exec, s[6:7]
	s_and_saveexec_b64 s[6:7], s[4:5]
	s_cbranch_execz .LBB232_1449
.LBB232_1448:
	v_lshlrev_b32_e32 v10, 24, v5
	v_and_b32_e32 v5, 0xffff, v5
	v_and_b32_e32 v11, 3, v5
	v_ffbh_u32_e32 v13, v11
	v_min_u32_e32 v13, 32, v13
	v_subrev_u32_e32 v14, 29, v13
	v_bfe_u32 v12, v5, 2, 5
	v_lshlrev_b32_e32 v5, v14, v5
	v_sub_u32_e32 v13, 30, v13
	v_and_b32_e32 v5, 3, v5
	v_cmp_eq_u32_e32 vcc, 0, v12
	v_cndmask_b32_e32 v12, v12, v13, vcc
	v_cndmask_b32_e32 v5, v11, v5, vcc
	v_mov_b32_e32 v11, 0x37800000
	v_lshlrev_b32_e32 v5, 21, v5
	v_and_b32_e32 v10, 0x80000000, v10
	v_lshl_add_u32 v11, v12, 23, v11
	v_or3_b32 v10, v10, v11, v5
.LBB232_1449:
	s_or_b64 exec, exec, s[6:7]
	v_bfe_u32 v5, v10, 16, 1
	s_movk_i32 s4, 0x7fff
	v_add3_u32 v5, v10, v5, s4
	v_cmp_o_f32_e32 vcc, v10, v10
	v_mov_b32_e32 v10, 0x7fc0
	v_cndmask_b32_sdwa v10, v10, v5, vcc dst_sel:DWORD dst_unused:UNUSED_PAD src0_sel:DWORD src1_sel:WORD_1
	s_mov_b64 s[4:5], 0
	s_branch .LBB232_1455
.LBB232_1450:
	s_mov_b64 s[4:5], -1
                                        ; implicit-def: $vgpr10
	s_branch .LBB232_1461
.LBB232_1451:
	s_or_saveexec_b64 s[12:13], s[12:13]
	v_mov_b32_e32 v10, 0x7f800001
	s_xor_b64 exec, exec, s[12:13]
	s_cbranch_execz .LBB232_1434
.LBB232_1452:
	v_cmp_ne_u16_e32 vcc, 0, v5
	s_andn2_b64 s[6:7], s[6:7], exec
	s_and_b64 s[14:15], vcc, exec
	v_mov_b32_e32 v10, 0
	s_or_b64 s[6:7], s[6:7], s[14:15]
	s_or_b64 exec, exec, s[12:13]
	s_and_saveexec_b64 s[12:13], s[6:7]
	s_cbranch_execnz .LBB232_1435
	s_branch .LBB232_1436
.LBB232_1453:
	s_mov_b64 s[4:5], -1
                                        ; implicit-def: $vgpr10
	s_branch .LBB232_1458
.LBB232_1454:
	s_mov_b64 s[4:5], -1
                                        ; implicit-def: $vgpr10
.LBB232_1455:
	s_and_b64 vcc, exec, s[4:5]
	s_cbranch_vccz .LBB232_1457
; %bb.1456:
	global_load_ubyte v5, v[8:9], off
	s_mov_b32 s4, 0x7f800000
	s_brev_b32 s5, 1
	s_movk_i32 s6, 0x7fff
	s_waitcnt vmcnt(0)
	v_lshlrev_b32_e32 v5, 24, v5
	v_and_b32_e32 v10, 0x7f000000, v5
	v_ffbh_u32_e32 v11, v10
	v_min_u32_e32 v11, 32, v11
	v_sub_u32_e64 v11, v11, 4 clamp
	v_lshlrev_b32_e32 v13, v11, v10
	v_lshlrev_b32_e32 v11, 23, v11
	v_lshrrev_b32_e32 v13, 4, v13
	v_add_u32_e32 v12, 0x1000000, v10
	v_sub_u32_e32 v11, v13, v11
	v_ashrrev_i32_e32 v12, 8, v12
	v_add_u32_e32 v11, 0x3c000000, v11
	v_and_or_b32 v11, v12, s4, v11
	v_cmp_ne_u32_e32 vcc, 0, v10
	v_cndmask_b32_e32 v10, 0, v11, vcc
	v_and_or_b32 v5, v5, s5, v10
	v_bfe_u32 v10, v10, 16, 1
	v_add3_u32 v10, v5, v10, s6
	v_cmp_o_f32_e32 vcc, v5, v5
	v_mov_b32_e32 v5, 0x7fc0
	v_cndmask_b32_sdwa v10, v5, v10, vcc dst_sel:DWORD dst_unused:UNUSED_PAD src0_sel:DWORD src1_sel:WORD_1
.LBB232_1457:
	s_mov_b64 s[4:5], 0
.LBB232_1458:
	s_andn2_b64 vcc, exec, s[4:5]
	s_cbranch_vccnz .LBB232_1460
; %bb.1459:
	global_load_ubyte v5, v[8:9], off
	s_movk_i32 s4, 0x7f00
	s_brev_b32 s5, 16
	s_brev_b32 s6, 1
	s_movk_i32 s7, 0x7fff
	s_waitcnt vmcnt(0)
	v_lshlrev_b16_e32 v10, 8, v5
	v_lshlrev_b32_e32 v5, 25, v5
	v_lshrrev_b32_e32 v11, 4, v5
	v_and_or_b32 v12, v10, s4, 0.5
	v_or_b32_e32 v11, 0x70000000, v11
	v_add_f32_e32 v12, -0.5, v12
	v_mul_f32_e32 v11, 0x7800000, v11
	v_cmp_gt_u32_e32 vcc, s5, v5
	v_bfe_i32 v10, v10, 0, 16
	v_cndmask_b32_e32 v5, v11, v12, vcc
	v_and_or_b32 v10, v10, s6, v5
	v_bfe_u32 v5, v5, 16, 1
	v_add3_u32 v5, v10, v5, s7
	v_cmp_o_f32_e32 vcc, v10, v10
	v_mov_b32_e32 v10, 0x7fc0
	v_cndmask_b32_sdwa v10, v10, v5, vcc dst_sel:DWORD dst_unused:UNUSED_PAD src0_sel:DWORD src1_sel:WORD_1
.LBB232_1460:
	s_mov_b64 s[4:5], 0
	s_mov_b64 s[6:7], -1
.LBB232_1461:
	s_andn2_b64 vcc, exec, s[4:5]
	s_mov_b64 s[4:5], 0
	s_cbranch_vccnz .LBB232_1472
; %bb.1462:
	s_cmp_gt_i32 s17, 14
	s_cbranch_scc0 .LBB232_1465
; %bb.1463:
	s_cmp_eq_u32 s17, 15
	s_cbranch_scc0 .LBB232_1468
; %bb.1464:
	global_load_ushort v10, v[8:9], off
	s_mov_b64 s[0:1], 0
	s_mov_b64 s[6:7], -1
	s_branch .LBB232_1469
.LBB232_1465:
	s_mov_b64 s[12:13], -1
                                        ; implicit-def: $vgpr10
	s_branch .LBB232_1470
.LBB232_1466:
	s_or_saveexec_b64 s[6:7], s[6:7]
	v_mov_b32_e32 v10, 0x7f800001
	s_xor_b64 exec, exec, s[6:7]
	s_cbranch_execz .LBB232_1447
.LBB232_1467:
	v_cmp_ne_u16_e32 vcc, 0, v5
	s_andn2_b64 s[4:5], s[4:5], exec
	s_and_b64 s[12:13], vcc, exec
	v_mov_b32_e32 v10, 0
	s_or_b64 s[4:5], s[4:5], s[12:13]
	s_or_b64 exec, exec, s[6:7]
	s_and_saveexec_b64 s[6:7], s[4:5]
	s_cbranch_execnz .LBB232_1448
	s_branch .LBB232_1449
.LBB232_1468:
	s_mov_b64 s[0:1], -1
                                        ; implicit-def: $vgpr10
.LBB232_1469:
	s_mov_b64 s[12:13], 0
.LBB232_1470:
	s_and_b64 vcc, exec, s[12:13]
	s_cbranch_vccz .LBB232_1472
; %bb.1471:
	s_cmp_lg_u32 s17, 11
	s_mov_b64 s[4:5], -1
	s_cselect_b64 s[0:1], -1, 0
.LBB232_1472:
	s_and_b64 vcc, exec, s[0:1]
	s_cbranch_vccnz .LBB232_1535
; %bb.1473:
	s_andn2_b64 vcc, exec, s[4:5]
	s_cbranch_vccnz .LBB232_1475
.LBB232_1474:
	global_load_ubyte v5, v[8:9], off
	s_mov_b64 s[6:7], -1
	s_waitcnt vmcnt(0)
	v_cmp_ne_u16_e32 vcc, 0, v5
	v_cndmask_b32_e64 v5, 0, 1.0, vcc
	v_lshrrev_b32_e32 v10, 16, v5
.LBB232_1475:
	s_branch .LBB232_1403
.LBB232_1476:
	s_cmp_lt_i32 s17, 5
	s_cbranch_scc1 .LBB232_1481
; %bb.1477:
	s_cmp_lt_i32 s17, 8
	s_cbranch_scc1 .LBB232_1482
; %bb.1478:
	;; [unrolled: 3-line block ×3, first 2 shown]
	s_cmp_gt_i32 s17, 9
	s_cbranch_scc0 .LBB232_1484
; %bb.1480:
	global_load_dwordx2 v[10:11], v[8:9], off
	s_movk_i32 s0, 0x7fff
	s_waitcnt vmcnt(0)
	v_cvt_f32_f64_e32 v5, v[10:11]
	v_mov_b32_e32 v10, 0x7fc0
	v_bfe_u32 v11, v5, 16, 1
	v_cmp_o_f32_e32 vcc, v5, v5
	v_add3_u32 v5, v5, v11, s0
	v_cndmask_b32_sdwa v10, v10, v5, vcc dst_sel:DWORD dst_unused:UNUSED_PAD src0_sel:DWORD src1_sel:WORD_1
	s_mov_b64 s[0:1], 0
	s_branch .LBB232_1485
.LBB232_1481:
	s_mov_b64 s[0:1], -1
                                        ; implicit-def: $vgpr10
	s_branch .LBB232_1503
.LBB232_1482:
	s_mov_b64 s[0:1], -1
                                        ; implicit-def: $vgpr10
	s_branch .LBB232_1491
.LBB232_1483:
	s_mov_b64 s[0:1], -1
                                        ; implicit-def: $vgpr10
	s_branch .LBB232_1488
.LBB232_1484:
	s_mov_b64 s[0:1], -1
                                        ; implicit-def: $vgpr10
.LBB232_1485:
	s_andn2_b64 vcc, exec, s[0:1]
	s_cbranch_vccnz .LBB232_1487
; %bb.1486:
	global_load_dword v5, v[8:9], off
	s_movk_i32 s0, 0x7fff
	s_waitcnt vmcnt(1)
	v_mov_b32_e32 v10, 0x7fc0
	s_waitcnt vmcnt(0)
	v_bfe_u32 v11, v5, 16, 1
	v_cmp_o_f32_e32 vcc, v5, v5
	v_add3_u32 v5, v5, v11, s0
	v_cndmask_b32_sdwa v10, v10, v5, vcc dst_sel:DWORD dst_unused:UNUSED_PAD src0_sel:DWORD src1_sel:WORD_1
.LBB232_1487:
	s_mov_b64 s[0:1], 0
.LBB232_1488:
	s_andn2_b64 vcc, exec, s[0:1]
	s_cbranch_vccnz .LBB232_1490
; %bb.1489:
	global_load_dword v5, v[8:9], off
	s_movk_i32 s0, 0x7fff
	v_mov_b32_e32 v11, 0x7fc0
	s_waitcnt vmcnt(0)
	v_cvt_f32_f16_e32 v10, v5
	v_cmp_o_f16_e32 vcc, v5, v5
	v_bfe_u32 v5, v10, 16, 1
	v_add3_u32 v5, v10, v5, s0
	v_cndmask_b32_sdwa v10, v11, v5, vcc dst_sel:DWORD dst_unused:UNUSED_PAD src0_sel:DWORD src1_sel:WORD_1
.LBB232_1490:
	s_mov_b64 s[0:1], 0
.LBB232_1491:
	s_andn2_b64 vcc, exec, s[0:1]
	s_cbranch_vccnz .LBB232_1502
; %bb.1492:
	s_cmp_lt_i32 s17, 6
	s_cbranch_scc1 .LBB232_1495
; %bb.1493:
	s_cmp_gt_i32 s17, 6
	s_cbranch_scc0 .LBB232_1496
; %bb.1494:
	global_load_dwordx2 v[10:11], v[8:9], off
	s_movk_i32 s0, 0x7fff
	s_waitcnt vmcnt(0)
	v_cvt_f32_f64_e32 v5, v[10:11]
	v_mov_b32_e32 v10, 0x7fc0
	v_bfe_u32 v11, v5, 16, 1
	v_cmp_o_f32_e32 vcc, v5, v5
	v_add3_u32 v5, v5, v11, s0
	v_cndmask_b32_sdwa v10, v10, v5, vcc dst_sel:DWORD dst_unused:UNUSED_PAD src0_sel:DWORD src1_sel:WORD_1
	s_mov_b64 s[0:1], 0
	s_branch .LBB232_1497
.LBB232_1495:
	s_mov_b64 s[0:1], -1
                                        ; implicit-def: $vgpr10
	s_branch .LBB232_1500
.LBB232_1496:
	s_mov_b64 s[0:1], -1
                                        ; implicit-def: $vgpr10
.LBB232_1497:
	s_andn2_b64 vcc, exec, s[0:1]
	s_cbranch_vccnz .LBB232_1499
; %bb.1498:
	global_load_dword v5, v[8:9], off
	s_movk_i32 s0, 0x7fff
	s_waitcnt vmcnt(1)
	v_mov_b32_e32 v10, 0x7fc0
	s_waitcnt vmcnt(0)
	v_bfe_u32 v11, v5, 16, 1
	v_cmp_o_f32_e32 vcc, v5, v5
	v_add3_u32 v5, v5, v11, s0
	v_cndmask_b32_sdwa v10, v10, v5, vcc dst_sel:DWORD dst_unused:UNUSED_PAD src0_sel:DWORD src1_sel:WORD_1
.LBB232_1499:
	s_mov_b64 s[0:1], 0
.LBB232_1500:
	s_andn2_b64 vcc, exec, s[0:1]
	s_cbranch_vccnz .LBB232_1502
; %bb.1501:
	global_load_ushort v5, v[8:9], off
	s_movk_i32 s0, 0x7fff
	v_mov_b32_e32 v11, 0x7fc0
	s_waitcnt vmcnt(0)
	v_cvt_f32_f16_e32 v10, v5
	v_cmp_o_f16_e32 vcc, v5, v5
	v_bfe_u32 v5, v10, 16, 1
	v_add3_u32 v5, v10, v5, s0
	v_cndmask_b32_sdwa v10, v11, v5, vcc dst_sel:DWORD dst_unused:UNUSED_PAD src0_sel:DWORD src1_sel:WORD_1
.LBB232_1502:
	s_mov_b64 s[0:1], 0
.LBB232_1503:
	s_andn2_b64 vcc, exec, s[0:1]
	s_cbranch_vccnz .LBB232_1523
; %bb.1504:
	s_cmp_lt_i32 s17, 2
	s_cbranch_scc1 .LBB232_1508
; %bb.1505:
	s_cmp_lt_i32 s17, 3
	s_cbranch_scc1 .LBB232_1509
; %bb.1506:
	s_cmp_gt_i32 s17, 3
	s_cbranch_scc0 .LBB232_1510
; %bb.1507:
	global_load_dwordx2 v[10:11], v[8:9], off
	s_movk_i32 s0, 0x7fff
	s_waitcnt vmcnt(0)
	v_xor_b32_e32 v12, v10, v11
	v_ffbh_i32_e32 v5, v11
	v_ashrrev_i32_e32 v12, 31, v12
	v_add_u32_e32 v5, -1, v5
	v_add_u32_e32 v12, 32, v12
	v_min_u32_e32 v5, v5, v12
	v_lshlrev_b64 v[10:11], v5, v[10:11]
	v_sub_u32_e32 v5, 32, v5
	v_min_u32_e32 v10, 1, v10
	v_or_b32_e32 v10, v11, v10
	v_cvt_f32_i32_e32 v10, v10
	v_ldexp_f32 v5, v10, v5
	v_bfe_u32 v10, v5, 16, 1
	v_add3_u32 v5, v5, v10, s0
	v_lshrrev_b32_e32 v10, 16, v5
	s_mov_b64 s[0:1], 0
	s_branch .LBB232_1511
.LBB232_1508:
	s_mov_b64 s[0:1], -1
                                        ; implicit-def: $vgpr10
	s_branch .LBB232_1517
.LBB232_1509:
	s_mov_b64 s[0:1], -1
                                        ; implicit-def: $vgpr10
	s_branch .LBB232_1514
.LBB232_1510:
	s_mov_b64 s[0:1], -1
                                        ; implicit-def: $vgpr10
.LBB232_1511:
	s_andn2_b64 vcc, exec, s[0:1]
	s_cbranch_vccnz .LBB232_1513
; %bb.1512:
	global_load_dword v5, v[8:9], off
	s_movk_i32 s0, 0x7fff
	s_waitcnt vmcnt(0)
	v_cvt_f32_i32_e32 v5, v5
	v_bfe_u32 v10, v5, 16, 1
	v_add3_u32 v5, v5, v10, s0
	v_lshrrev_b32_e32 v10, 16, v5
.LBB232_1513:
	s_mov_b64 s[0:1], 0
.LBB232_1514:
	s_andn2_b64 vcc, exec, s[0:1]
	s_cbranch_vccnz .LBB232_1516
; %bb.1515:
	global_load_sshort v5, v[8:9], off
	s_movk_i32 s0, 0x7fff
	s_waitcnt vmcnt(0)
	v_cvt_f32_i32_e32 v5, v5
	v_bfe_u32 v10, v5, 16, 1
	v_add3_u32 v5, v5, v10, s0
	v_lshrrev_b32_e32 v10, 16, v5
.LBB232_1516:
	s_mov_b64 s[0:1], 0
.LBB232_1517:
	s_andn2_b64 vcc, exec, s[0:1]
	s_cbranch_vccnz .LBB232_1523
; %bb.1518:
	s_cmp_gt_i32 s17, 0
	s_cbranch_scc0 .LBB232_1520
; %bb.1519:
	global_load_sbyte v5, v[8:9], off
	s_movk_i32 s0, 0x7fff
	s_waitcnt vmcnt(0)
	v_cvt_f32_i32_e32 v5, v5
	v_bfe_u32 v10, v5, 16, 1
	v_add3_u32 v5, v5, v10, s0
	v_lshrrev_b32_e32 v10, 16, v5
	s_mov_b64 s[0:1], 0
	s_branch .LBB232_1521
.LBB232_1520:
	s_mov_b64 s[0:1], -1
                                        ; implicit-def: $vgpr10
.LBB232_1521:
	s_andn2_b64 vcc, exec, s[0:1]
	s_cbranch_vccnz .LBB232_1523
; %bb.1522:
	global_load_ubyte v5, v[8:9], off
	s_movk_i32 s0, 0x7fff
	s_waitcnt vmcnt(0)
	v_cvt_f32_ubyte0_e32 v5, v5
	v_bfe_u32 v8, v5, 16, 1
	v_add3_u32 v5, v5, v8, s0
	v_lshrrev_b32_e32 v10, 16, v5
.LBB232_1523:
.LBB232_1524:
	v_mov_b32_e32 v5, s11
	v_add_co_u32_e32 v7, vcc, s10, v7
	s_cmp_lt_i32 s17, 11
	v_addc_co_u32_e32 v8, vcc, 0, v5, vcc
	s_cbranch_scc1 .LBB232_1531
; %bb.1525:
	s_cmp_gt_i32 s17, 25
	s_mov_b64 s[4:5], 0
	s_cbranch_scc0 .LBB232_1532
; %bb.1526:
	s_cmp_gt_i32 s17, 28
	s_cbranch_scc0 .LBB232_1533
; %bb.1527:
	s_cmp_gt_i32 s17, 43
	;; [unrolled: 3-line block ×3, first 2 shown]
	s_cbranch_scc0 .LBB232_1536
; %bb.1529:
	s_cmp_eq_u32 s17, 46
	s_mov_b64 s[10:11], 0
	s_cbranch_scc0 .LBB232_1537
; %bb.1530:
	global_load_dword v9, v[7:8], off
	s_mov_b64 s[0:1], 0
	s_mov_b64 s[6:7], -1
	s_branch .LBB232_1538
.LBB232_1531:
	s_mov_b64 s[0:1], -1
	s_mov_b64 s[6:7], 0
                                        ; implicit-def: $vgpr9
	s_branch .LBB232_1604
.LBB232_1532:
	s_mov_b64 s[10:11], -1
	s_mov_b64 s[6:7], 0
	s_mov_b64 s[0:1], 0
                                        ; implicit-def: $vgpr9
	s_branch .LBB232_1567
.LBB232_1533:
	s_mov_b64 s[10:11], -1
	s_mov_b64 s[6:7], 0
	s_mov_b64 s[0:1], 0
                                        ; implicit-def: $vgpr9
	s_branch .LBB232_1548
.LBB232_1534:
	s_mov_b64 s[10:11], -1
	s_mov_b64 s[6:7], 0
	s_mov_b64 s[0:1], 0
                                        ; implicit-def: $vgpr9
	s_branch .LBB232_1543
.LBB232_1535:
	s_trap 2
	s_or_b64 s[2:3], s[2:3], exec
	s_cbranch_execz .LBB232_1474
	s_branch .LBB232_1475
.LBB232_1536:
	s_mov_b64 s[10:11], -1
	s_mov_b64 s[6:7], 0
	s_mov_b64 s[0:1], 0
                                        ; implicit-def: $vgpr9
	s_branch .LBB232_1538
.LBB232_1537:
	s_mov_b64 s[0:1], -1
                                        ; implicit-def: $vgpr9
	s_mov_b64 s[6:7], 0
.LBB232_1538:
	s_and_b64 vcc, exec, s[10:11]
	s_cbranch_vccz .LBB232_1542
; %bb.1539:
	s_cmp_eq_u32 s17, 44
	s_cbranch_scc0 .LBB232_1541
; %bb.1540:
	global_load_ubyte v5, v[7:8], off
	s_movk_i32 s6, 0xff
	s_waitcnt vmcnt(1)
	v_mov_b32_e32 v9, 0x7f800001
	v_mov_b32_e32 v11, 0x400000
	;; [unrolled: 1-line block ×3, first 2 shown]
	s_mov_b64 s[0:1], 0
	s_waitcnt vmcnt(0)
	v_lshlrev_b32_e32 v13, 23, v5
	v_cmp_ne_u32_e32 vcc, s6, v5
	v_cndmask_b32_e32 v9, v9, v13, vcc
	v_cmp_ne_u32_e32 vcc, 0, v5
	v_cndmask_b32_e32 v5, v11, v9, vcc
	v_add_u32_e32 v9, 0x7fff, v5
	v_cmp_o_f32_e32 vcc, v5, v5
	v_cndmask_b32_sdwa v9, v12, v9, vcc dst_sel:DWORD dst_unused:UNUSED_PAD src0_sel:DWORD src1_sel:WORD_1
	s_mov_b64 s[6:7], -1
	s_branch .LBB232_1542
.LBB232_1541:
	s_mov_b64 s[0:1], -1
                                        ; implicit-def: $vgpr9
.LBB232_1542:
	s_mov_b64 s[10:11], 0
.LBB232_1543:
	s_and_b64 vcc, exec, s[10:11]
	s_cbranch_vccz .LBB232_1547
; %bb.1544:
	s_cmp_eq_u32 s17, 29
	s_cbranch_scc0 .LBB232_1546
; %bb.1545:
	global_load_dwordx2 v[11:12], v[7:8], off
	s_movk_i32 s6, 0x7fff
	s_mov_b64 s[0:1], 0
	s_mov_b64 s[10:11], 0
	s_waitcnt vmcnt(0)
	v_ffbh_u32_e32 v5, v12
	v_min_u32_e32 v5, 32, v5
	v_lshlrev_b64 v[11:12], v5, v[11:12]
	v_sub_u32_e32 v5, 32, v5
	v_min_u32_e32 v9, 1, v11
	v_or_b32_e32 v9, v12, v9
	v_cvt_f32_u32_e32 v9, v9
	v_ldexp_f32 v5, v9, v5
	v_bfe_u32 v9, v5, 16, 1
	v_add3_u32 v5, v5, v9, s6
	v_lshrrev_b32_e32 v9, 16, v5
	s_mov_b64 s[6:7], -1
	s_branch .LBB232_1548
.LBB232_1546:
	s_mov_b64 s[0:1], -1
                                        ; implicit-def: $vgpr9
.LBB232_1547:
	s_mov_b64 s[10:11], 0
.LBB232_1548:
	s_and_b64 vcc, exec, s[10:11]
	s_cbranch_vccz .LBB232_1566
; %bb.1549:
	s_cmp_lt_i32 s17, 27
	s_cbranch_scc1 .LBB232_1552
; %bb.1550:
	s_cmp_gt_i32 s17, 27
	s_cbranch_scc0 .LBB232_1553
; %bb.1551:
	global_load_dword v5, v[7:8], off
	s_movk_i32 s6, 0x7fff
	s_waitcnt vmcnt(0)
	v_cvt_f32_u32_e32 v5, v5
	v_bfe_u32 v9, v5, 16, 1
	v_add3_u32 v5, v5, v9, s6
	v_lshrrev_b32_e32 v9, 16, v5
	s_mov_b64 s[6:7], 0
	s_branch .LBB232_1554
.LBB232_1552:
	s_mov_b64 s[6:7], -1
                                        ; implicit-def: $vgpr9
	s_branch .LBB232_1557
.LBB232_1553:
	s_mov_b64 s[6:7], -1
                                        ; implicit-def: $vgpr9
.LBB232_1554:
	s_andn2_b64 vcc, exec, s[6:7]
	s_cbranch_vccnz .LBB232_1556
; %bb.1555:
	global_load_ushort v5, v[7:8], off
	s_movk_i32 s6, 0x7fff
	s_waitcnt vmcnt(0)
	v_cvt_f32_u32_e32 v5, v5
	v_bfe_u32 v9, v5, 16, 1
	v_add3_u32 v5, v5, v9, s6
	v_lshrrev_b32_e32 v9, 16, v5
.LBB232_1556:
	s_mov_b64 s[6:7], 0
.LBB232_1557:
	s_andn2_b64 vcc, exec, s[6:7]
	s_cbranch_vccnz .LBB232_1565
; %bb.1558:
	global_load_ubyte v5, v[7:8], off
	s_movk_i32 s6, 0x7f
	s_waitcnt vmcnt(0)
	v_cmp_lt_i16_e32 vcc, s6, v5
	s_mov_b64 s[6:7], 0
	s_and_saveexec_b64 s[10:11], vcc
	s_xor_b64 s[10:11], exec, s[10:11]
	s_cbranch_execz .LBB232_1579
; %bb.1559:
	s_movk_i32 s6, 0x80
	v_cmp_eq_u16_e32 vcc, s6, v5
	s_mov_b64 s[6:7], -1
	s_and_saveexec_b64 s[12:13], vcc
; %bb.1560:
	s_xor_b64 s[6:7], exec, -1
; %bb.1561:
	s_or_b64 exec, exec, s[12:13]
	s_and_b64 s[6:7], s[6:7], exec
	s_or_saveexec_b64 s[10:11], s[10:11]
	v_mov_b32_e32 v9, 0x7f800001
	s_xor_b64 exec, exec, s[10:11]
	s_cbranch_execnz .LBB232_1580
.LBB232_1562:
	s_or_b64 exec, exec, s[10:11]
	s_and_saveexec_b64 s[10:11], s[6:7]
	s_cbranch_execz .LBB232_1564
.LBB232_1563:
	v_lshlrev_b32_e32 v9, 24, v5
	v_and_b32_e32 v5, 0xffff, v5
	v_and_b32_e32 v11, 7, v5
	v_ffbh_u32_e32 v13, v11
	v_min_u32_e32 v13, 32, v13
	v_subrev_u32_e32 v14, 28, v13
	v_bfe_u32 v12, v5, 3, 4
	v_lshlrev_b32_e32 v5, v14, v5
	v_sub_u32_e32 v13, 29, v13
	v_and_b32_e32 v5, 7, v5
	v_cmp_eq_u32_e32 vcc, 0, v12
	v_cndmask_b32_e32 v12, v12, v13, vcc
	v_cndmask_b32_e32 v5, v11, v5, vcc
	v_mov_b32_e32 v11, 0x3b800000
	v_lshlrev_b32_e32 v5, 20, v5
	v_and_b32_e32 v9, 0x80000000, v9
	v_lshl_add_u32 v11, v12, 23, v11
	v_or3_b32 v9, v9, v11, v5
.LBB232_1564:
	s_or_b64 exec, exec, s[10:11]
	v_bfe_u32 v5, v9, 16, 1
	s_movk_i32 s6, 0x7fff
	v_add3_u32 v5, v9, v5, s6
	v_cmp_o_f32_e32 vcc, v9, v9
	v_mov_b32_e32 v9, 0x7fc0
	v_cndmask_b32_sdwa v9, v9, v5, vcc dst_sel:DWORD dst_unused:UNUSED_PAD src0_sel:DWORD src1_sel:WORD_1
.LBB232_1565:
	s_mov_b64 s[6:7], -1
.LBB232_1566:
	s_mov_b64 s[10:11], 0
.LBB232_1567:
	s_and_b64 vcc, exec, s[10:11]
	s_cbranch_vccz .LBB232_1600
; %bb.1568:
	s_cmp_gt_i32 s17, 22
	s_cbranch_scc0 .LBB232_1578
; %bb.1569:
	s_cmp_lt_i32 s17, 24
	s_cbranch_scc1 .LBB232_1581
; %bb.1570:
	s_cmp_gt_i32 s17, 24
	s_cbranch_scc0 .LBB232_1582
; %bb.1571:
	global_load_ubyte v5, v[7:8], off
	s_movk_i32 s4, 0x7f
	s_waitcnt vmcnt(0)
	v_cmp_lt_i16_e32 vcc, s4, v5
	s_mov_b64 s[4:5], 0
	s_and_saveexec_b64 s[6:7], vcc
	s_xor_b64 s[6:7], exec, s[6:7]
	s_cbranch_execz .LBB232_1594
; %bb.1572:
	s_movk_i32 s4, 0x80
	v_cmp_eq_u16_e32 vcc, s4, v5
	s_mov_b64 s[4:5], -1
	s_and_saveexec_b64 s[10:11], vcc
; %bb.1573:
	s_xor_b64 s[4:5], exec, -1
; %bb.1574:
	s_or_b64 exec, exec, s[10:11]
	s_and_b64 s[4:5], s[4:5], exec
	s_or_saveexec_b64 s[6:7], s[6:7]
	v_mov_b32_e32 v9, 0x7f800001
	s_xor_b64 exec, exec, s[6:7]
	s_cbranch_execnz .LBB232_1595
.LBB232_1575:
	s_or_b64 exec, exec, s[6:7]
	s_and_saveexec_b64 s[6:7], s[4:5]
	s_cbranch_execz .LBB232_1577
.LBB232_1576:
	v_lshlrev_b32_e32 v9, 24, v5
	v_and_b32_e32 v5, 0xffff, v5
	v_and_b32_e32 v11, 3, v5
	v_ffbh_u32_e32 v13, v11
	v_min_u32_e32 v13, 32, v13
	v_subrev_u32_e32 v14, 29, v13
	v_bfe_u32 v12, v5, 2, 5
	v_lshlrev_b32_e32 v5, v14, v5
	v_sub_u32_e32 v13, 30, v13
	v_and_b32_e32 v5, 3, v5
	v_cmp_eq_u32_e32 vcc, 0, v12
	v_cndmask_b32_e32 v12, v12, v13, vcc
	v_cndmask_b32_e32 v5, v11, v5, vcc
	v_mov_b32_e32 v11, 0x37800000
	v_lshlrev_b32_e32 v5, 21, v5
	v_and_b32_e32 v9, 0x80000000, v9
	v_lshl_add_u32 v11, v12, 23, v11
	v_or3_b32 v9, v9, v11, v5
.LBB232_1577:
	s_or_b64 exec, exec, s[6:7]
	v_bfe_u32 v5, v9, 16, 1
	s_movk_i32 s4, 0x7fff
	v_add3_u32 v5, v9, v5, s4
	v_cmp_o_f32_e32 vcc, v9, v9
	v_mov_b32_e32 v9, 0x7fc0
	v_cndmask_b32_sdwa v9, v9, v5, vcc dst_sel:DWORD dst_unused:UNUSED_PAD src0_sel:DWORD src1_sel:WORD_1
	s_mov_b64 s[4:5], 0
	s_branch .LBB232_1583
.LBB232_1578:
	s_mov_b64 s[4:5], -1
                                        ; implicit-def: $vgpr9
	s_branch .LBB232_1589
.LBB232_1579:
	s_or_saveexec_b64 s[10:11], s[10:11]
	v_mov_b32_e32 v9, 0x7f800001
	s_xor_b64 exec, exec, s[10:11]
	s_cbranch_execz .LBB232_1562
.LBB232_1580:
	v_cmp_ne_u16_e32 vcc, 0, v5
	s_andn2_b64 s[6:7], s[6:7], exec
	s_and_b64 s[12:13], vcc, exec
	v_mov_b32_e32 v9, 0
	s_or_b64 s[6:7], s[6:7], s[12:13]
	s_or_b64 exec, exec, s[10:11]
	s_and_saveexec_b64 s[10:11], s[6:7]
	s_cbranch_execnz .LBB232_1563
	s_branch .LBB232_1564
.LBB232_1581:
	s_mov_b64 s[4:5], -1
                                        ; implicit-def: $vgpr9
	s_branch .LBB232_1586
.LBB232_1582:
	s_mov_b64 s[4:5], -1
                                        ; implicit-def: $vgpr9
.LBB232_1583:
	s_and_b64 vcc, exec, s[4:5]
	s_cbranch_vccz .LBB232_1585
; %bb.1584:
	global_load_ubyte v5, v[7:8], off
	s_mov_b32 s4, 0x7f800000
	s_brev_b32 s5, 1
	s_movk_i32 s6, 0x7fff
	s_waitcnt vmcnt(0)
	v_lshlrev_b32_e32 v5, 24, v5
	v_and_b32_e32 v9, 0x7f000000, v5
	v_ffbh_u32_e32 v11, v9
	v_min_u32_e32 v11, 32, v11
	v_sub_u32_e64 v11, v11, 4 clamp
	v_lshlrev_b32_e32 v13, v11, v9
	v_lshlrev_b32_e32 v11, 23, v11
	v_lshrrev_b32_e32 v13, 4, v13
	v_add_u32_e32 v12, 0x1000000, v9
	v_sub_u32_e32 v11, v13, v11
	v_ashrrev_i32_e32 v12, 8, v12
	v_add_u32_e32 v11, 0x3c000000, v11
	v_and_or_b32 v11, v12, s4, v11
	v_cmp_ne_u32_e32 vcc, 0, v9
	v_cndmask_b32_e32 v9, 0, v11, vcc
	v_and_or_b32 v5, v5, s5, v9
	v_bfe_u32 v9, v9, 16, 1
	v_add3_u32 v9, v5, v9, s6
	v_cmp_o_f32_e32 vcc, v5, v5
	v_mov_b32_e32 v5, 0x7fc0
	v_cndmask_b32_sdwa v9, v5, v9, vcc dst_sel:DWORD dst_unused:UNUSED_PAD src0_sel:DWORD src1_sel:WORD_1
.LBB232_1585:
	s_mov_b64 s[4:5], 0
.LBB232_1586:
	s_andn2_b64 vcc, exec, s[4:5]
	s_cbranch_vccnz .LBB232_1588
; %bb.1587:
	global_load_ubyte v5, v[7:8], off
	s_movk_i32 s4, 0x7f00
	s_brev_b32 s5, 16
	s_brev_b32 s6, 1
	s_movk_i32 s7, 0x7fff
	s_waitcnt vmcnt(0)
	v_lshlrev_b16_e32 v9, 8, v5
	v_lshlrev_b32_e32 v5, 25, v5
	v_lshrrev_b32_e32 v11, 4, v5
	v_and_or_b32 v12, v9, s4, 0.5
	v_or_b32_e32 v11, 0x70000000, v11
	v_add_f32_e32 v12, -0.5, v12
	v_mul_f32_e32 v11, 0x7800000, v11
	v_cmp_gt_u32_e32 vcc, s5, v5
	v_bfe_i32 v9, v9, 0, 16
	v_cndmask_b32_e32 v5, v11, v12, vcc
	v_and_or_b32 v9, v9, s6, v5
	v_bfe_u32 v5, v5, 16, 1
	v_add3_u32 v5, v9, v5, s7
	v_cmp_o_f32_e32 vcc, v9, v9
	v_mov_b32_e32 v9, 0x7fc0
	v_cndmask_b32_sdwa v9, v9, v5, vcc dst_sel:DWORD dst_unused:UNUSED_PAD src0_sel:DWORD src1_sel:WORD_1
.LBB232_1588:
	s_mov_b64 s[4:5], 0
	s_mov_b64 s[6:7], -1
.LBB232_1589:
	s_andn2_b64 vcc, exec, s[4:5]
	s_mov_b64 s[4:5], 0
	s_cbranch_vccnz .LBB232_1600
; %bb.1590:
	s_cmp_gt_i32 s17, 14
	s_cbranch_scc0 .LBB232_1593
; %bb.1591:
	s_cmp_eq_u32 s17, 15
	s_cbranch_scc0 .LBB232_1596
; %bb.1592:
	global_load_ushort v9, v[7:8], off
	s_mov_b64 s[0:1], 0
	s_mov_b64 s[6:7], -1
	s_branch .LBB232_1597
.LBB232_1593:
	s_mov_b64 s[10:11], -1
                                        ; implicit-def: $vgpr9
	s_branch .LBB232_1598
.LBB232_1594:
	s_or_saveexec_b64 s[6:7], s[6:7]
	v_mov_b32_e32 v9, 0x7f800001
	s_xor_b64 exec, exec, s[6:7]
	s_cbranch_execz .LBB232_1575
.LBB232_1595:
	v_cmp_ne_u16_e32 vcc, 0, v5
	s_andn2_b64 s[4:5], s[4:5], exec
	s_and_b64 s[10:11], vcc, exec
	v_mov_b32_e32 v9, 0
	s_or_b64 s[4:5], s[4:5], s[10:11]
	s_or_b64 exec, exec, s[6:7]
	s_and_saveexec_b64 s[6:7], s[4:5]
	s_cbranch_execnz .LBB232_1576
	s_branch .LBB232_1577
.LBB232_1596:
	s_mov_b64 s[0:1], -1
                                        ; implicit-def: $vgpr9
.LBB232_1597:
	s_mov_b64 s[10:11], 0
.LBB232_1598:
	s_and_b64 vcc, exec, s[10:11]
	s_cbranch_vccz .LBB232_1600
; %bb.1599:
	s_cmp_lg_u32 s17, 11
	s_mov_b64 s[4:5], -1
	s_cselect_b64 s[0:1], -1, 0
.LBB232_1600:
	s_and_b64 vcc, exec, s[0:1]
	s_cbranch_vccnz .LBB232_2133
; %bb.1601:
	s_andn2_b64 vcc, exec, s[4:5]
	s_cbranch_vccnz .LBB232_1603
.LBB232_1602:
	global_load_ubyte v5, v[7:8], off
	s_mov_b64 s[6:7], -1
	s_waitcnt vmcnt(0)
	v_cmp_ne_u16_e32 vcc, 0, v5
	v_cndmask_b32_e64 v5, 0, 1.0, vcc
	v_lshrrev_b32_e32 v9, 16, v5
.LBB232_1603:
	s_mov_b64 s[0:1], 0
.LBB232_1604:
	s_and_b64 vcc, exec, s[0:1]
	s_cbranch_vccz .LBB232_1653
; %bb.1605:
	s_cmp_lt_i32 s17, 5
	s_cbranch_scc1 .LBB232_1610
; %bb.1606:
	s_cmp_lt_i32 s17, 8
	s_cbranch_scc1 .LBB232_1611
; %bb.1607:
	s_cmp_lt_i32 s17, 9
	s_cbranch_scc1 .LBB232_1612
; %bb.1608:
	s_cmp_gt_i32 s17, 9
	s_cbranch_scc0 .LBB232_1613
; %bb.1609:
	global_load_dwordx2 v[11:12], v[7:8], off
	s_movk_i32 s0, 0x7fff
	s_waitcnt vmcnt(1)
	v_mov_b32_e32 v9, 0x7fc0
	s_waitcnt vmcnt(0)
	v_cvt_f32_f64_e32 v5, v[11:12]
	v_bfe_u32 v11, v5, 16, 1
	v_cmp_o_f32_e32 vcc, v5, v5
	v_add3_u32 v5, v5, v11, s0
	v_cndmask_b32_sdwa v9, v9, v5, vcc dst_sel:DWORD dst_unused:UNUSED_PAD src0_sel:DWORD src1_sel:WORD_1
	s_mov_b64 s[0:1], 0
	s_branch .LBB232_1614
.LBB232_1610:
	s_mov_b64 s[0:1], -1
                                        ; implicit-def: $vgpr9
	s_branch .LBB232_1632
.LBB232_1611:
	s_mov_b64 s[0:1], -1
                                        ; implicit-def: $vgpr9
	s_branch .LBB232_1620
.LBB232_1612:
	s_mov_b64 s[0:1], -1
                                        ; implicit-def: $vgpr9
	s_branch .LBB232_1617
.LBB232_1613:
	s_mov_b64 s[0:1], -1
                                        ; implicit-def: $vgpr9
.LBB232_1614:
	s_andn2_b64 vcc, exec, s[0:1]
	s_cbranch_vccnz .LBB232_1616
; %bb.1615:
	global_load_dword v5, v[7:8], off
	s_movk_i32 s0, 0x7fff
	s_waitcnt vmcnt(1)
	v_mov_b32_e32 v9, 0x7fc0
	s_waitcnt vmcnt(0)
	v_bfe_u32 v11, v5, 16, 1
	v_cmp_o_f32_e32 vcc, v5, v5
	v_add3_u32 v5, v5, v11, s0
	v_cndmask_b32_sdwa v9, v9, v5, vcc dst_sel:DWORD dst_unused:UNUSED_PAD src0_sel:DWORD src1_sel:WORD_1
.LBB232_1616:
	s_mov_b64 s[0:1], 0
.LBB232_1617:
	s_andn2_b64 vcc, exec, s[0:1]
	s_cbranch_vccnz .LBB232_1619
; %bb.1618:
	global_load_dword v5, v[7:8], off
	s_movk_i32 s0, 0x7fff
	v_mov_b32_e32 v11, 0x7fc0
	s_waitcnt vmcnt(0)
	v_cvt_f32_f16_e32 v9, v5
	v_cmp_o_f16_e32 vcc, v5, v5
	v_bfe_u32 v5, v9, 16, 1
	v_add3_u32 v5, v9, v5, s0
	v_cndmask_b32_sdwa v9, v11, v5, vcc dst_sel:DWORD dst_unused:UNUSED_PAD src0_sel:DWORD src1_sel:WORD_1
.LBB232_1619:
	s_mov_b64 s[0:1], 0
.LBB232_1620:
	s_andn2_b64 vcc, exec, s[0:1]
	s_cbranch_vccnz .LBB232_1631
; %bb.1621:
	s_cmp_lt_i32 s17, 6
	s_cbranch_scc1 .LBB232_1624
; %bb.1622:
	s_cmp_gt_i32 s17, 6
	s_cbranch_scc0 .LBB232_1625
; %bb.1623:
	global_load_dwordx2 v[11:12], v[7:8], off
	s_movk_i32 s0, 0x7fff
	s_waitcnt vmcnt(1)
	v_mov_b32_e32 v9, 0x7fc0
	s_waitcnt vmcnt(0)
	v_cvt_f32_f64_e32 v5, v[11:12]
	v_bfe_u32 v11, v5, 16, 1
	v_cmp_o_f32_e32 vcc, v5, v5
	v_add3_u32 v5, v5, v11, s0
	v_cndmask_b32_sdwa v9, v9, v5, vcc dst_sel:DWORD dst_unused:UNUSED_PAD src0_sel:DWORD src1_sel:WORD_1
	s_mov_b64 s[0:1], 0
	s_branch .LBB232_1626
.LBB232_1624:
	s_mov_b64 s[0:1], -1
                                        ; implicit-def: $vgpr9
	s_branch .LBB232_1629
.LBB232_1625:
	s_mov_b64 s[0:1], -1
                                        ; implicit-def: $vgpr9
.LBB232_1626:
	s_andn2_b64 vcc, exec, s[0:1]
	s_cbranch_vccnz .LBB232_1628
; %bb.1627:
	global_load_dword v5, v[7:8], off
	s_movk_i32 s0, 0x7fff
	s_waitcnt vmcnt(1)
	v_mov_b32_e32 v9, 0x7fc0
	s_waitcnt vmcnt(0)
	v_bfe_u32 v11, v5, 16, 1
	v_cmp_o_f32_e32 vcc, v5, v5
	v_add3_u32 v5, v5, v11, s0
	v_cndmask_b32_sdwa v9, v9, v5, vcc dst_sel:DWORD dst_unused:UNUSED_PAD src0_sel:DWORD src1_sel:WORD_1
.LBB232_1628:
	s_mov_b64 s[0:1], 0
.LBB232_1629:
	s_andn2_b64 vcc, exec, s[0:1]
	s_cbranch_vccnz .LBB232_1631
; %bb.1630:
	global_load_ushort v5, v[7:8], off
	s_movk_i32 s0, 0x7fff
	v_mov_b32_e32 v11, 0x7fc0
	s_waitcnt vmcnt(0)
	v_cvt_f32_f16_e32 v9, v5
	v_cmp_o_f16_e32 vcc, v5, v5
	v_bfe_u32 v5, v9, 16, 1
	v_add3_u32 v5, v9, v5, s0
	v_cndmask_b32_sdwa v9, v11, v5, vcc dst_sel:DWORD dst_unused:UNUSED_PAD src0_sel:DWORD src1_sel:WORD_1
.LBB232_1631:
	s_mov_b64 s[0:1], 0
.LBB232_1632:
	s_andn2_b64 vcc, exec, s[0:1]
	s_cbranch_vccnz .LBB232_1652
; %bb.1633:
	s_cmp_lt_i32 s17, 2
	s_cbranch_scc1 .LBB232_1637
; %bb.1634:
	s_cmp_lt_i32 s17, 3
	s_cbranch_scc1 .LBB232_1638
; %bb.1635:
	s_cmp_gt_i32 s17, 3
	s_cbranch_scc0 .LBB232_1639
; %bb.1636:
	global_load_dwordx2 v[11:12], v[7:8], off
	s_movk_i32 s0, 0x7fff
	s_waitcnt vmcnt(0)
	v_xor_b32_e32 v9, v11, v12
	v_ffbh_i32_e32 v5, v12
	v_ashrrev_i32_e32 v9, 31, v9
	v_add_u32_e32 v5, -1, v5
	v_add_u32_e32 v9, 32, v9
	v_min_u32_e32 v5, v5, v9
	v_lshlrev_b64 v[11:12], v5, v[11:12]
	v_sub_u32_e32 v5, 32, v5
	v_min_u32_e32 v9, 1, v11
	v_or_b32_e32 v9, v12, v9
	v_cvt_f32_i32_e32 v9, v9
	v_ldexp_f32 v5, v9, v5
	v_bfe_u32 v9, v5, 16, 1
	v_add3_u32 v5, v5, v9, s0
	v_lshrrev_b32_e32 v9, 16, v5
	s_mov_b64 s[0:1], 0
	s_branch .LBB232_1640
.LBB232_1637:
	s_mov_b64 s[0:1], -1
                                        ; implicit-def: $vgpr9
	s_branch .LBB232_1646
.LBB232_1638:
	s_mov_b64 s[0:1], -1
                                        ; implicit-def: $vgpr9
	s_branch .LBB232_1643
.LBB232_1639:
	s_mov_b64 s[0:1], -1
                                        ; implicit-def: $vgpr9
.LBB232_1640:
	s_andn2_b64 vcc, exec, s[0:1]
	s_cbranch_vccnz .LBB232_1642
; %bb.1641:
	global_load_dword v5, v[7:8], off
	s_movk_i32 s0, 0x7fff
	s_waitcnt vmcnt(0)
	v_cvt_f32_i32_e32 v5, v5
	v_bfe_u32 v9, v5, 16, 1
	v_add3_u32 v5, v5, v9, s0
	v_lshrrev_b32_e32 v9, 16, v5
.LBB232_1642:
	s_mov_b64 s[0:1], 0
.LBB232_1643:
	s_andn2_b64 vcc, exec, s[0:1]
	s_cbranch_vccnz .LBB232_1645
; %bb.1644:
	global_load_sshort v5, v[7:8], off
	s_movk_i32 s0, 0x7fff
	s_waitcnt vmcnt(0)
	v_cvt_f32_i32_e32 v5, v5
	v_bfe_u32 v9, v5, 16, 1
	v_add3_u32 v5, v5, v9, s0
	v_lshrrev_b32_e32 v9, 16, v5
.LBB232_1645:
	s_mov_b64 s[0:1], 0
.LBB232_1646:
	s_andn2_b64 vcc, exec, s[0:1]
	s_cbranch_vccnz .LBB232_1652
; %bb.1647:
	s_cmp_gt_i32 s17, 0
	s_cbranch_scc0 .LBB232_1649
; %bb.1648:
	global_load_sbyte v5, v[7:8], off
	s_movk_i32 s0, 0x7fff
	s_waitcnt vmcnt(0)
	v_cvt_f32_i32_e32 v5, v5
	v_bfe_u32 v9, v5, 16, 1
	v_add3_u32 v5, v5, v9, s0
	v_lshrrev_b32_e32 v9, 16, v5
	s_mov_b64 s[0:1], 0
	s_branch .LBB232_1650
.LBB232_1649:
	s_mov_b64 s[0:1], -1
                                        ; implicit-def: $vgpr9
.LBB232_1650:
	s_andn2_b64 vcc, exec, s[0:1]
	s_cbranch_vccnz .LBB232_1652
; %bb.1651:
	global_load_ubyte v5, v[7:8], off
	s_movk_i32 s0, 0x7fff
	s_waitcnt vmcnt(0)
	v_cvt_f32_ubyte0_e32 v5, v5
	v_bfe_u32 v7, v5, 16, 1
	v_add3_u32 v5, v5, v7, s0
	v_lshrrev_b32_e32 v9, 16, v5
.LBB232_1652:
	s_mov_b64 s[6:7], -1
.LBB232_1653:
	s_andn2_b64 vcc, exec, s[6:7]
	s_cbranch_vccnz .LBB232_2087
; %bb.1654:
	s_load_dwordx2 s[4:5], s[34:35], 0x158
	v_lshlrev_b32_e32 v1, 16, v1
	s_bfe_u32 s18, s16, 0x80010
	s_waitcnt lgkmcnt(0)
	s_lshr_b32 s17, s4, 16
	s_lshl_b32 s4, s4, 16
	v_mov_b32_e32 v5, s5
	v_mov_b32_e32 v7, s17
	v_cmp_ge_f32_e32 vcc, s4, v1
	v_cndmask_b32_e32 v1, v5, v7, vcc
	v_mov_b32_e32 v7, s9
	v_add_co_u32_e32 v5, vcc, s8, v6
	s_cmp_lt_i32 s18, 11
	v_addc_co_u32_e32 v6, vcc, 0, v7, vcc
	s_cbranch_scc1 .LBB232_1732
; %bb.1655:
	s_and_b32 s19, 0xffff, s18
	s_mov_b64 s[12:13], -1
	s_mov_b64 s[6:7], 0
	s_cmp_gt_i32 s19, 25
	s_mov_b64 s[10:11], 0
	s_mov_b64 s[0:1], 0
	s_cbranch_scc0 .LBB232_1688
; %bb.1656:
	s_cmp_gt_i32 s19, 28
	s_cbranch_scc0 .LBB232_1671
; %bb.1657:
	s_cmp_gt_i32 s19, 43
	;; [unrolled: 3-line block ×3, first 2 shown]
	s_cbranch_scc0 .LBB232_1661
; %bb.1659:
	s_mov_b64 s[0:1], -1
	s_mov_b64 s[12:13], 0
	s_cmp_eq_u32 s19, 46
	s_cbranch_scc0 .LBB232_1661
; %bb.1660:
	v_and_b32_e32 v7, 0xffff, v1
	global_store_dword v[5:6], v7, off
	s_mov_b64 s[0:1], 0
	s_mov_b64 s[10:11], -1
.LBB232_1661:
	s_and_b64 vcc, exec, s[12:13]
	s_cbranch_vccz .LBB232_1666
; %bb.1662:
	s_cmp_eq_u32 s19, 44
	s_mov_b64 s[0:1], -1
	s_cbranch_scc0 .LBB232_1666
; %bb.1663:
	v_and_b32_e32 v8, 0xffff, v1
	v_bfe_u32 v7, v8, 7, 8
	s_movk_i32 s0, 0xff
	v_cmp_ne_u32_e32 vcc, s0, v7
	v_mov_b32_e32 v11, 0xff
	s_and_saveexec_b64 s[10:11], vcc
	s_cbranch_execz .LBB232_1665
; %bb.1664:
	v_lshlrev_b32_e32 v12, 16, v8
	s_mov_b32 s0, 0x3f0000
	v_lshrrev_b32_e32 v11, 7, v8
	v_and_b32_e32 v8, 64, v8
	v_and_or_b32 v7, v12, s0, v7
	v_cmp_ne_u32_e32 vcc, 0, v8
	v_cmp_ne_u32_e64 s[0:1], 0, v7
	s_and_b64 s[0:1], vcc, s[0:1]
	v_cndmask_b32_e64 v7, 0, 1, s[0:1]
	v_add_u32_e32 v11, v11, v7
.LBB232_1665:
	s_or_b64 exec, exec, s[10:11]
	s_mov_b64 s[0:1], 0
	s_mov_b64 s[10:11], -1
	global_store_byte v[5:6], v11, off
.LBB232_1666:
	s_mov_b64 s[12:13], 0
.LBB232_1667:
	s_and_b64 vcc, exec, s[12:13]
	s_cbranch_vccz .LBB232_1670
; %bb.1668:
	s_cmp_eq_u32 s19, 29
	s_mov_b64 s[0:1], -1
	s_cbranch_scc0 .LBB232_1670
; %bb.1669:
	v_lshlrev_b32_e32 v7, 16, v1
	v_trunc_f32_e32 v7, v7
	v_mul_f32_e32 v8, 0x2f800000, v7
	v_floor_f32_e32 v11, v8
	v_fmac_f32_e32 v7, 0xcf800000, v11
	v_cvt_u32_f32_e32 v8, v11
	v_cvt_u32_f32_e32 v7, v7
	s_mov_b64 s[0:1], 0
	s_mov_b64 s[10:11], -1
	global_store_dwordx2 v[5:6], v[7:8], off
.LBB232_1670:
	s_mov_b64 s[12:13], 0
.LBB232_1671:
	s_and_b64 vcc, exec, s[12:13]
	s_cbranch_vccz .LBB232_1687
; %bb.1672:
	s_cmp_lt_i32 s19, 27
	s_mov_b64 s[10:11], -1
	s_cbranch_scc1 .LBB232_1678
; %bb.1673:
	s_cmp_gt_i32 s19, 27
	s_cbranch_scc0 .LBB232_1675
; %bb.1674:
	v_lshlrev_b32_e32 v7, 16, v1
	v_cvt_u32_f32_e32 v7, v7
	s_mov_b64 s[10:11], 0
	global_store_dword v[5:6], v7, off
.LBB232_1675:
	s_andn2_b64 vcc, exec, s[10:11]
	s_cbranch_vccnz .LBB232_1677
; %bb.1676:
	v_lshlrev_b32_e32 v7, 16, v1
	v_cvt_u32_f32_e32 v7, v7
	global_store_short v[5:6], v7, off
.LBB232_1677:
	s_mov_b64 s[10:11], 0
.LBB232_1678:
	s_andn2_b64 vcc, exec, s[10:11]
	s_cbranch_vccnz .LBB232_1686
; %bb.1679:
	v_lshlrev_b32_e32 v11, 16, v1
	v_and_b32_e32 v8, 0x7fffffff, v11
	s_mov_b32 s10, 0x43800000
	v_cmp_gt_u32_e32 vcc, s10, v8
	v_mov_b32_e32 v12, 0x80
	s_and_saveexec_b64 s[10:11], vcc
	s_cbranch_execz .LBB232_1685
; %bb.1680:
	s_mov_b32 s12, 0x3bffffff
	v_and_b32_e32 v7, 0xffff, v1
	v_cmp_lt_u32_e32 vcc, s12, v8
	s_mov_b64 s[12:13], 0
                                        ; implicit-def: $vgpr8
	s_and_saveexec_b64 s[14:15], vcc
	s_xor_b64 s[14:15], exec, s[14:15]
	s_cbranch_execz .LBB232_2134
; %bb.1681:
	v_bfe_u32 v8, v7, 4, 1
	s_mov_b32 s20, 0x487ffff
	v_add3_u32 v8, v11, v8, s20
	s_mov_b64 s[12:13], exec
	v_lshrrev_b32_e32 v8, 20, v8
                                        ; implicit-def: $vgpr11
	s_andn2_saveexec_b64 s[14:15], s[14:15]
	s_cbranch_execnz .LBB232_2135
.LBB232_1682:
	s_or_b64 exec, exec, s[14:15]
	v_mov_b32_e32 v12, 0
	s_and_saveexec_b64 s[14:15], s[12:13]
.LBB232_1683:
	v_lshrrev_b32_e32 v7, 8, v7
	s_movk_i32 s12, 0x80
	v_and_or_b32 v12, v7, s12, v8
.LBB232_1684:
	s_or_b64 exec, exec, s[14:15]
.LBB232_1685:
	s_or_b64 exec, exec, s[10:11]
	global_store_byte v[5:6], v12, off
.LBB232_1686:
	s_mov_b64 s[10:11], -1
.LBB232_1687:
	s_mov_b64 s[12:13], 0
.LBB232_1688:
	s_and_b64 vcc, exec, s[12:13]
	s_cbranch_vccz .LBB232_1728
; %bb.1689:
	s_cmp_gt_i32 s19, 22
	s_mov_b64 s[6:7], -1
	s_cbranch_scc0 .LBB232_1721
; %bb.1690:
	s_cmp_lt_i32 s19, 24
	s_cbranch_scc1 .LBB232_1710
; %bb.1691:
	s_cmp_gt_i32 s19, 24
	s_cbranch_scc0 .LBB232_1699
; %bb.1692:
	v_lshlrev_b32_e32 v11, 16, v1
	v_and_b32_e32 v8, 0x7fffffff, v11
	s_mov_b32 s6, 0x47800000
	v_cmp_gt_u32_e32 vcc, s6, v8
	v_mov_b32_e32 v12, 0x80
	s_and_saveexec_b64 s[6:7], vcc
	s_cbranch_execz .LBB232_1698
; %bb.1693:
	s_mov_b32 s10, 0x37ffffff
	v_and_b32_e32 v7, 0xffff, v1
	v_cmp_lt_u32_e32 vcc, s10, v8
	s_mov_b64 s[10:11], 0
                                        ; implicit-def: $vgpr8
	s_and_saveexec_b64 s[12:13], vcc
	s_xor_b64 s[12:13], exec, s[12:13]
	s_cbranch_execz .LBB232_2137
; %bb.1694:
	v_bfe_u32 v8, v7, 5, 1
	s_mov_b32 s14, 0x88fffff
	v_add3_u32 v8, v11, v8, s14
	s_mov_b64 s[10:11], exec
	v_lshrrev_b32_e32 v8, 21, v8
                                        ; implicit-def: $vgpr11
	s_andn2_saveexec_b64 s[12:13], s[12:13]
	s_cbranch_execnz .LBB232_2138
.LBB232_1695:
	s_or_b64 exec, exec, s[12:13]
	v_mov_b32_e32 v12, 0
	s_and_saveexec_b64 s[12:13], s[10:11]
.LBB232_1696:
	v_lshrrev_b32_e32 v7, 8, v7
	s_movk_i32 s10, 0x80
	v_and_or_b32 v12, v7, s10, v8
.LBB232_1697:
	s_or_b64 exec, exec, s[12:13]
.LBB232_1698:
	s_or_b64 exec, exec, s[6:7]
	s_mov_b64 s[6:7], 0
	global_store_byte v[5:6], v12, off
.LBB232_1699:
	s_and_b64 vcc, exec, s[6:7]
	s_cbranch_vccz .LBB232_1709
; %bb.1700:
	v_lshlrev_b32_e32 v11, 16, v1
	v_and_b32_e32 v12, 0x7fffffff, v11
	s_mov_b32 s6, 0x43f00000
	v_and_b32_e32 v7, 0xffff, v1
	v_cmp_gt_u32_e32 vcc, s6, v12
                                        ; implicit-def: $vgpr8
	s_and_saveexec_b64 s[6:7], vcc
	s_xor_b64 s[6:7], exec, s[6:7]
	s_cbranch_execz .LBB232_1706
; %bb.1701:
	s_mov_b32 s10, 0x3c7fffff
	v_cmp_lt_u32_e32 vcc, s10, v12
                                        ; implicit-def: $vgpr8
	s_and_saveexec_b64 s[10:11], vcc
	s_xor_b64 s[10:11], exec, s[10:11]
; %bb.1702:
	v_bfe_u32 v8, v7, 4, 1
	s_mov_b32 s12, 0x407ffff
	v_add3_u32 v8, v11, v8, s12
	v_lshrrev_b32_e32 v11, 20, v8
	v_and_b32_e32 v8, 0xff00000, v8
	s_mov_b32 s12, 0x7f00000
	v_mov_b32_e32 v12, 0x7e
	v_cmp_ne_u32_e32 vcc, s12, v8
	v_cndmask_b32_e32 v8, v12, v11, vcc
                                        ; implicit-def: $vgpr11
; %bb.1703:
	s_andn2_saveexec_b64 s[10:11], s[10:11]
; %bb.1704:
	s_mov_b32 s12, 0x46800000
	v_add_f32_e64 v8, |v11|, s12
; %bb.1705:
	s_or_b64 exec, exec, s[10:11]
                                        ; implicit-def: $vgpr12
.LBB232_1706:
	s_andn2_saveexec_b64 s[6:7], s[6:7]
; %bb.1707:
	s_mov_b32 s10, 0x7f800000
	v_mov_b32_e32 v8, 0x7e
	v_mov_b32_e32 v11, 0x7f
	v_cmp_lt_u32_e32 vcc, s10, v12
	v_cndmask_b32_e32 v8, v8, v11, vcc
; %bb.1708:
	s_or_b64 exec, exec, s[6:7]
	v_lshrrev_b32_e32 v7, 8, v7
	s_movk_i32 s6, 0x80
	v_and_or_b32 v7, v7, s6, v8
	global_store_byte v[5:6], v7, off
.LBB232_1709:
	s_mov_b64 s[6:7], 0
.LBB232_1710:
	s_andn2_b64 vcc, exec, s[6:7]
	s_cbranch_vccnz .LBB232_1720
; %bb.1711:
	v_lshlrev_b32_e32 v11, 16, v1
	v_and_b32_e32 v12, 0x7fffffff, v11
	s_mov_b32 s6, 0x47800000
	v_and_b32_e32 v7, 0xffff, v1
	v_cmp_gt_u32_e32 vcc, s6, v12
                                        ; implicit-def: $vgpr8
	s_and_saveexec_b64 s[6:7], vcc
	s_xor_b64 s[6:7], exec, s[6:7]
	s_cbranch_execz .LBB232_1717
; %bb.1712:
	s_mov_b32 s10, 0x387fffff
	v_cmp_lt_u32_e32 vcc, s10, v12
                                        ; implicit-def: $vgpr8
	s_and_saveexec_b64 s[10:11], vcc
	s_xor_b64 s[10:11], exec, s[10:11]
; %bb.1713:
	v_bfe_u32 v8, v7, 5, 1
	s_mov_b32 s12, 0x80fffff
	v_add3_u32 v8, v11, v8, s12
	v_lshrrev_b32_e32 v8, 21, v8
                                        ; implicit-def: $vgpr11
; %bb.1714:
	s_andn2_saveexec_b64 s[10:11], s[10:11]
; %bb.1715:
	s_mov_b32 s12, 0x43000000
	v_add_f32_e64 v8, |v11|, s12
; %bb.1716:
	s_or_b64 exec, exec, s[10:11]
                                        ; implicit-def: $vgpr12
.LBB232_1717:
	s_andn2_saveexec_b64 s[6:7], s[6:7]
; %bb.1718:
	s_mov_b32 s10, 0x7f800000
	v_mov_b32_e32 v8, 0x7c
	v_mov_b32_e32 v11, 0x7f
	v_cmp_lt_u32_e32 vcc, s10, v12
	v_cndmask_b32_e32 v8, v8, v11, vcc
; %bb.1719:
	s_or_b64 exec, exec, s[6:7]
	v_lshrrev_b32_e32 v7, 8, v7
	s_movk_i32 s6, 0x80
	v_and_or_b32 v7, v7, s6, v8
	global_store_byte v[5:6], v7, off
.LBB232_1720:
	s_mov_b64 s[6:7], 0
	s_mov_b64 s[10:11], -1
.LBB232_1721:
	s_andn2_b64 vcc, exec, s[6:7]
	s_mov_b64 s[6:7], 0
	s_cbranch_vccnz .LBB232_1728
; %bb.1722:
	s_cmp_gt_i32 s19, 14
	s_mov_b64 s[12:13], -1
	s_cbranch_scc0 .LBB232_1726
; %bb.1723:
	s_cmp_eq_u32 s19, 15
	s_mov_b64 s[0:1], -1
	s_cbranch_scc0 .LBB232_1725
; %bb.1724:
	global_store_short v[5:6], v1, off
	s_mov_b64 s[0:1], 0
	s_mov_b64 s[10:11], -1
.LBB232_1725:
	s_mov_b64 s[12:13], 0
.LBB232_1726:
	s_and_b64 vcc, exec, s[12:13]
	s_cbranch_vccz .LBB232_1728
; %bb.1727:
	s_cmp_lg_u32 s19, 11
	s_mov_b64 s[6:7], -1
	s_cselect_b64 s[0:1], -1, 0
.LBB232_1728:
	s_and_b64 vcc, exec, s[0:1]
	s_cbranch_vccnz .LBB232_2136
; %bb.1729:
	s_andn2_b64 vcc, exec, s[6:7]
	s_cbranch_vccnz .LBB232_1731
.LBB232_1730:
	v_and_b32_e32 v7, 0x7fff, v1
	v_cmp_ne_u16_e32 vcc, 0, v7
	v_cndmask_b32_e64 v7, 0, 1, vcc
	s_mov_b64 s[10:11], -1
	global_store_byte v[5:6], v7, off
.LBB232_1731:
	s_mov_b64 s[0:1], 0
	s_branch .LBB232_1733
.LBB232_1732:
	s_mov_b64 s[0:1], -1
	s_mov_b64 s[10:11], 0
.LBB232_1733:
	s_and_b64 vcc, exec, s[0:1]
	s_cbranch_vccz .LBB232_1772
; %bb.1734:
	s_and_b32 s6, 0xffff, s18
	s_cmp_lt_i32 s6, 5
	s_mov_b64 s[0:1], -1
	s_cbranch_scc1 .LBB232_1755
; %bb.1735:
	s_cmp_lt_i32 s6, 8
	s_cbranch_scc1 .LBB232_1745
; %bb.1736:
	s_cmp_lt_i32 s6, 9
	s_cbranch_scc1 .LBB232_1742
; %bb.1737:
	s_cmp_gt_i32 s6, 9
	s_cbranch_scc0 .LBB232_1739
; %bb.1738:
	v_lshlrev_b32_e32 v7, 16, v1
	v_cvt_f64_f32_e32 v[11:12], v7
	v_mov_b32_e32 v13, 0
	v_mov_b32_e32 v14, v13
	s_mov_b64 s[0:1], 0
	global_store_dwordx4 v[5:6], v[11:14], off
.LBB232_1739:
	s_andn2_b64 vcc, exec, s[0:1]
	s_cbranch_vccnz .LBB232_1741
; %bb.1740:
	v_lshlrev_b32_e32 v7, 16, v1
	v_mov_b32_e32 v8, 0
	global_store_dwordx2 v[5:6], v[7:8], off
.LBB232_1741:
	s_mov_b64 s[0:1], 0
.LBB232_1742:
	s_andn2_b64 vcc, exec, s[0:1]
	s_cbranch_vccnz .LBB232_1744
; %bb.1743:
	v_lshlrev_b32_e32 v7, 16, v1
	v_cvt_f16_f32_e32 v7, v7
	global_store_dword v[5:6], v7, off
.LBB232_1744:
	s_mov_b64 s[0:1], 0
.LBB232_1745:
	s_andn2_b64 vcc, exec, s[0:1]
	s_cbranch_vccnz .LBB232_1754
; %bb.1746:
	s_cmp_lt_i32 s6, 6
	s_mov_b64 s[0:1], -1
	s_cbranch_scc1 .LBB232_1752
; %bb.1747:
	s_cmp_gt_i32 s6, 6
	s_cbranch_scc0 .LBB232_1749
; %bb.1748:
	v_lshlrev_b32_e32 v7, 16, v1
	v_cvt_f64_f32_e32 v[7:8], v7
	s_mov_b64 s[0:1], 0
	global_store_dwordx2 v[5:6], v[7:8], off
.LBB232_1749:
	s_andn2_b64 vcc, exec, s[0:1]
	s_cbranch_vccnz .LBB232_1751
; %bb.1750:
	v_lshlrev_b32_e32 v7, 16, v1
	global_store_dword v[5:6], v7, off
.LBB232_1751:
	s_mov_b64 s[0:1], 0
.LBB232_1752:
	s_andn2_b64 vcc, exec, s[0:1]
	s_cbranch_vccnz .LBB232_1754
; %bb.1753:
	v_lshlrev_b32_e32 v7, 16, v1
	v_cvt_f16_f32_e32 v7, v7
	global_store_short v[5:6], v7, off
.LBB232_1754:
	s_mov_b64 s[0:1], 0
.LBB232_1755:
	s_andn2_b64 vcc, exec, s[0:1]
	s_cbranch_vccnz .LBB232_1771
; %bb.1756:
	s_cmp_lt_i32 s6, 2
	s_mov_b64 s[0:1], -1
	s_cbranch_scc1 .LBB232_1766
; %bb.1757:
	s_cmp_lt_i32 s6, 3
	s_cbranch_scc1 .LBB232_1763
; %bb.1758:
	s_cmp_gt_i32 s6, 3
	s_cbranch_scc0 .LBB232_1760
; %bb.1759:
	v_lshlrev_b32_e32 v7, 16, v1
	v_trunc_f32_e32 v7, v7
	s_mov_b32 s0, 0x2f800000
	v_mul_f32_e64 v8, |v7|, s0
	v_floor_f32_e32 v8, v8
	s_mov_b32 s0, 0xcf800000
	v_cvt_u32_f32_e32 v11, v8
	v_fma_f32 v8, v8, s0, |v7|
	v_cvt_u32_f32_e32 v8, v8
	v_ashrrev_i32_e32 v12, 31, v7
	v_xor_b32_e32 v11, v11, v12
	s_mov_b64 s[0:1], 0
	v_xor_b32_e32 v7, v8, v12
	v_sub_co_u32_e32 v7, vcc, v7, v12
	v_subb_co_u32_e32 v8, vcc, v11, v12, vcc
	global_store_dwordx2 v[5:6], v[7:8], off
.LBB232_1760:
	s_andn2_b64 vcc, exec, s[0:1]
	s_cbranch_vccnz .LBB232_1762
; %bb.1761:
	v_lshlrev_b32_e32 v7, 16, v1
	v_cvt_i32_f32_e32 v7, v7
	global_store_dword v[5:6], v7, off
.LBB232_1762:
	s_mov_b64 s[0:1], 0
.LBB232_1763:
	s_andn2_b64 vcc, exec, s[0:1]
	s_cbranch_vccnz .LBB232_1765
; %bb.1764:
	v_lshlrev_b32_e32 v7, 16, v1
	v_cvt_i32_f32_e32 v7, v7
	global_store_short v[5:6], v7, off
.LBB232_1765:
	s_mov_b64 s[0:1], 0
.LBB232_1766:
	s_andn2_b64 vcc, exec, s[0:1]
	s_cbranch_vccnz .LBB232_1771
; %bb.1767:
	s_mov_b64 s[0:1], -1
	s_cmp_gt_i32 s6, 0
	v_lshlrev_b32_e32 v1, 16, v1
	s_cbranch_scc0 .LBB232_1769
; %bb.1768:
	v_cvt_i32_f32_e32 v7, v1
	s_mov_b64 s[0:1], 0
	global_store_byte v[5:6], v7, off
.LBB232_1769:
	s_andn2_b64 vcc, exec, s[0:1]
	s_cbranch_vccnz .LBB232_1771
; %bb.1770:
	v_trunc_f32_e32 v1, v1
	s_mov_b32 s0, 0x2f800000
	v_mul_f32_e64 v7, |v1|, s0
	v_floor_f32_e32 v7, v7
	s_mov_b32 s0, 0xcf800000
	v_fma_f32 v7, v7, s0, |v1|
	v_cvt_u32_f32_e32 v7, v7
	v_ashrrev_i32_e32 v1, 31, v1
	v_xor_b32_e32 v7, v7, v1
	v_sub_u32_e32 v1, v7, v1
	global_store_byte v[5:6], v1, off
.LBB232_1771:
	s_mov_b64 s[10:11], -1
.LBB232_1772:
	s_andn2_b64 vcc, exec, s[10:11]
	s_cbranch_vccnz .LBB232_2087
; %bb.1773:
	s_waitcnt vmcnt(0)
	v_lshlrev_b32_e32 v1, 16, v3
	s_lshr_b32 s0, s16, 16
	v_mov_b32_e32 v3, s5
	v_mov_b32_e32 v5, s17
	v_cmp_ge_f32_e32 vcc, s4, v1
	s_and_b32 s16, s0, 0xff
	v_cndmask_b32_e32 v1, v3, v5, vcc
	v_mov_b32_e32 v5, s9
	v_add_co_u32_e32 v3, vcc, s8, v4
	s_cmp_lt_i32 s16, 11
	v_addc_co_u32_e32 v4, vcc, 0, v5, vcc
	s_cbranch_scc1 .LBB232_1851
; %bb.1774:
	s_and_b32 s18, 0xffff, s16
	s_mov_b64 s[12:13], -1
	s_mov_b64 s[6:7], 0
	s_cmp_gt_i32 s18, 25
	s_mov_b64 s[10:11], 0
	s_mov_b64 s[0:1], 0
	s_cbranch_scc0 .LBB232_1807
; %bb.1775:
	s_cmp_gt_i32 s18, 28
	s_cbranch_scc0 .LBB232_1790
; %bb.1776:
	s_cmp_gt_i32 s18, 43
	;; [unrolled: 3-line block ×3, first 2 shown]
	s_cbranch_scc0 .LBB232_1780
; %bb.1778:
	s_mov_b64 s[0:1], -1
	s_mov_b64 s[12:13], 0
	s_cmp_eq_u32 s18, 46
	s_cbranch_scc0 .LBB232_1780
; %bb.1779:
	v_and_b32_e32 v5, 0xffff, v1
	global_store_dword v[3:4], v5, off
	s_mov_b64 s[0:1], 0
	s_mov_b64 s[10:11], -1
.LBB232_1780:
	s_and_b64 vcc, exec, s[12:13]
	s_cbranch_vccz .LBB232_1785
; %bb.1781:
	s_cmp_eq_u32 s18, 44
	s_mov_b64 s[0:1], -1
	s_cbranch_scc0 .LBB232_1785
; %bb.1782:
	v_and_b32_e32 v6, 0xffff, v1
	v_bfe_u32 v5, v6, 7, 8
	s_movk_i32 s0, 0xff
	v_cmp_ne_u32_e32 vcc, s0, v5
	v_mov_b32_e32 v7, 0xff
	s_and_saveexec_b64 s[10:11], vcc
	s_cbranch_execz .LBB232_1784
; %bb.1783:
	v_lshlrev_b32_e32 v8, 16, v6
	s_mov_b32 s0, 0x3f0000
	v_lshrrev_b32_e32 v7, 7, v6
	v_and_b32_e32 v6, 64, v6
	v_and_or_b32 v5, v8, s0, v5
	v_cmp_ne_u32_e32 vcc, 0, v6
	v_cmp_ne_u32_e64 s[0:1], 0, v5
	s_and_b64 s[0:1], vcc, s[0:1]
	v_cndmask_b32_e64 v5, 0, 1, s[0:1]
	v_add_u32_e32 v7, v7, v5
.LBB232_1784:
	s_or_b64 exec, exec, s[10:11]
	s_mov_b64 s[0:1], 0
	s_mov_b64 s[10:11], -1
	global_store_byte v[3:4], v7, off
.LBB232_1785:
	s_mov_b64 s[12:13], 0
.LBB232_1786:
	s_and_b64 vcc, exec, s[12:13]
	s_cbranch_vccz .LBB232_1789
; %bb.1787:
	s_cmp_eq_u32 s18, 29
	s_mov_b64 s[0:1], -1
	s_cbranch_scc0 .LBB232_1789
; %bb.1788:
	v_lshlrev_b32_e32 v5, 16, v1
	v_trunc_f32_e32 v5, v5
	v_mul_f32_e32 v6, 0x2f800000, v5
	v_floor_f32_e32 v7, v6
	v_fmac_f32_e32 v5, 0xcf800000, v7
	v_cvt_u32_f32_e32 v6, v7
	v_cvt_u32_f32_e32 v5, v5
	s_mov_b64 s[0:1], 0
	s_mov_b64 s[10:11], -1
	global_store_dwordx2 v[3:4], v[5:6], off
.LBB232_1789:
	s_mov_b64 s[12:13], 0
.LBB232_1790:
	s_and_b64 vcc, exec, s[12:13]
	s_cbranch_vccz .LBB232_1806
; %bb.1791:
	s_cmp_lt_i32 s18, 27
	s_mov_b64 s[10:11], -1
	s_cbranch_scc1 .LBB232_1797
; %bb.1792:
	s_cmp_gt_i32 s18, 27
	s_cbranch_scc0 .LBB232_1794
; %bb.1793:
	v_lshlrev_b32_e32 v5, 16, v1
	v_cvt_u32_f32_e32 v5, v5
	s_mov_b64 s[10:11], 0
	global_store_dword v[3:4], v5, off
.LBB232_1794:
	s_andn2_b64 vcc, exec, s[10:11]
	s_cbranch_vccnz .LBB232_1796
; %bb.1795:
	v_lshlrev_b32_e32 v5, 16, v1
	v_cvt_u32_f32_e32 v5, v5
	global_store_short v[3:4], v5, off
.LBB232_1796:
	s_mov_b64 s[10:11], 0
.LBB232_1797:
	s_andn2_b64 vcc, exec, s[10:11]
	s_cbranch_vccnz .LBB232_1805
; %bb.1798:
	v_lshlrev_b32_e32 v7, 16, v1
	v_and_b32_e32 v6, 0x7fffffff, v7
	s_mov_b32 s10, 0x43800000
	v_cmp_gt_u32_e32 vcc, s10, v6
	v_mov_b32_e32 v8, 0x80
	s_and_saveexec_b64 s[10:11], vcc
	s_cbranch_execz .LBB232_1804
; %bb.1799:
	s_mov_b32 s12, 0x3bffffff
	v_and_b32_e32 v5, 0xffff, v1
	v_cmp_lt_u32_e32 vcc, s12, v6
	s_mov_b64 s[12:13], 0
                                        ; implicit-def: $vgpr6
	s_and_saveexec_b64 s[14:15], vcc
	s_xor_b64 s[14:15], exec, s[14:15]
	s_cbranch_execz .LBB232_2139
; %bb.1800:
	v_bfe_u32 v6, v5, 4, 1
	s_mov_b32 s19, 0x487ffff
	v_add3_u32 v6, v7, v6, s19
	s_mov_b64 s[12:13], exec
	v_lshrrev_b32_e32 v6, 20, v6
                                        ; implicit-def: $vgpr7
	s_andn2_saveexec_b64 s[14:15], s[14:15]
	s_cbranch_execnz .LBB232_2140
.LBB232_1801:
	s_or_b64 exec, exec, s[14:15]
	v_mov_b32_e32 v8, 0
	s_and_saveexec_b64 s[14:15], s[12:13]
.LBB232_1802:
	v_lshrrev_b32_e32 v5, 8, v5
	s_movk_i32 s12, 0x80
	v_and_or_b32 v8, v5, s12, v6
.LBB232_1803:
	s_or_b64 exec, exec, s[14:15]
.LBB232_1804:
	s_or_b64 exec, exec, s[10:11]
	global_store_byte v[3:4], v8, off
.LBB232_1805:
	s_mov_b64 s[10:11], -1
.LBB232_1806:
	s_mov_b64 s[12:13], 0
.LBB232_1807:
	s_and_b64 vcc, exec, s[12:13]
	s_cbranch_vccz .LBB232_1847
; %bb.1808:
	s_cmp_gt_i32 s18, 22
	s_mov_b64 s[6:7], -1
	s_cbranch_scc0 .LBB232_1840
; %bb.1809:
	s_cmp_lt_i32 s18, 24
	s_cbranch_scc1 .LBB232_1829
; %bb.1810:
	s_cmp_gt_i32 s18, 24
	s_cbranch_scc0 .LBB232_1818
; %bb.1811:
	v_lshlrev_b32_e32 v7, 16, v1
	v_and_b32_e32 v6, 0x7fffffff, v7
	s_mov_b32 s6, 0x47800000
	v_cmp_gt_u32_e32 vcc, s6, v6
	v_mov_b32_e32 v8, 0x80
	s_and_saveexec_b64 s[6:7], vcc
	s_cbranch_execz .LBB232_1817
; %bb.1812:
	s_mov_b32 s10, 0x37ffffff
	v_and_b32_e32 v5, 0xffff, v1
	v_cmp_lt_u32_e32 vcc, s10, v6
	s_mov_b64 s[10:11], 0
                                        ; implicit-def: $vgpr6
	s_and_saveexec_b64 s[12:13], vcc
	s_xor_b64 s[12:13], exec, s[12:13]
	s_cbranch_execz .LBB232_2142
; %bb.1813:
	v_bfe_u32 v6, v5, 5, 1
	s_mov_b32 s14, 0x88fffff
	v_add3_u32 v6, v7, v6, s14
	s_mov_b64 s[10:11], exec
	v_lshrrev_b32_e32 v6, 21, v6
                                        ; implicit-def: $vgpr7
	s_andn2_saveexec_b64 s[12:13], s[12:13]
	s_cbranch_execnz .LBB232_2143
.LBB232_1814:
	s_or_b64 exec, exec, s[12:13]
	v_mov_b32_e32 v8, 0
	s_and_saveexec_b64 s[12:13], s[10:11]
.LBB232_1815:
	v_lshrrev_b32_e32 v5, 8, v5
	s_movk_i32 s10, 0x80
	v_and_or_b32 v8, v5, s10, v6
.LBB232_1816:
	s_or_b64 exec, exec, s[12:13]
.LBB232_1817:
	s_or_b64 exec, exec, s[6:7]
	s_mov_b64 s[6:7], 0
	global_store_byte v[3:4], v8, off
.LBB232_1818:
	s_and_b64 vcc, exec, s[6:7]
	s_cbranch_vccz .LBB232_1828
; %bb.1819:
	v_lshlrev_b32_e32 v7, 16, v1
	v_and_b32_e32 v8, 0x7fffffff, v7
	s_mov_b32 s6, 0x43f00000
	v_and_b32_e32 v5, 0xffff, v1
	v_cmp_gt_u32_e32 vcc, s6, v8
                                        ; implicit-def: $vgpr6
	s_and_saveexec_b64 s[6:7], vcc
	s_xor_b64 s[6:7], exec, s[6:7]
	s_cbranch_execz .LBB232_1825
; %bb.1820:
	s_mov_b32 s10, 0x3c7fffff
	v_cmp_lt_u32_e32 vcc, s10, v8
                                        ; implicit-def: $vgpr6
	s_and_saveexec_b64 s[10:11], vcc
	s_xor_b64 s[10:11], exec, s[10:11]
; %bb.1821:
	v_bfe_u32 v6, v5, 4, 1
	s_mov_b32 s12, 0x407ffff
	v_add3_u32 v6, v7, v6, s12
	v_lshrrev_b32_e32 v7, 20, v6
	v_and_b32_e32 v6, 0xff00000, v6
	s_mov_b32 s12, 0x7f00000
	v_mov_b32_e32 v8, 0x7e
	v_cmp_ne_u32_e32 vcc, s12, v6
	v_cndmask_b32_e32 v6, v8, v7, vcc
                                        ; implicit-def: $vgpr7
; %bb.1822:
	s_andn2_saveexec_b64 s[10:11], s[10:11]
; %bb.1823:
	s_mov_b32 s12, 0x46800000
	v_add_f32_e64 v6, |v7|, s12
; %bb.1824:
	s_or_b64 exec, exec, s[10:11]
                                        ; implicit-def: $vgpr8
.LBB232_1825:
	s_andn2_saveexec_b64 s[6:7], s[6:7]
; %bb.1826:
	s_mov_b32 s10, 0x7f800000
	v_mov_b32_e32 v6, 0x7e
	v_mov_b32_e32 v7, 0x7f
	v_cmp_lt_u32_e32 vcc, s10, v8
	v_cndmask_b32_e32 v6, v6, v7, vcc
; %bb.1827:
	s_or_b64 exec, exec, s[6:7]
	v_lshrrev_b32_e32 v5, 8, v5
	s_movk_i32 s6, 0x80
	v_and_or_b32 v5, v5, s6, v6
	global_store_byte v[3:4], v5, off
.LBB232_1828:
	s_mov_b64 s[6:7], 0
.LBB232_1829:
	s_andn2_b64 vcc, exec, s[6:7]
	s_cbranch_vccnz .LBB232_1839
; %bb.1830:
	v_lshlrev_b32_e32 v7, 16, v1
	v_and_b32_e32 v8, 0x7fffffff, v7
	s_mov_b32 s6, 0x47800000
	v_and_b32_e32 v5, 0xffff, v1
	v_cmp_gt_u32_e32 vcc, s6, v8
                                        ; implicit-def: $vgpr6
	s_and_saveexec_b64 s[6:7], vcc
	s_xor_b64 s[6:7], exec, s[6:7]
	s_cbranch_execz .LBB232_1836
; %bb.1831:
	s_mov_b32 s10, 0x387fffff
	v_cmp_lt_u32_e32 vcc, s10, v8
                                        ; implicit-def: $vgpr6
	s_and_saveexec_b64 s[10:11], vcc
	s_xor_b64 s[10:11], exec, s[10:11]
; %bb.1832:
	v_bfe_u32 v6, v5, 5, 1
	s_mov_b32 s12, 0x80fffff
	v_add3_u32 v6, v7, v6, s12
	v_lshrrev_b32_e32 v6, 21, v6
                                        ; implicit-def: $vgpr7
; %bb.1833:
	s_andn2_saveexec_b64 s[10:11], s[10:11]
; %bb.1834:
	s_mov_b32 s12, 0x43000000
	v_add_f32_e64 v6, |v7|, s12
; %bb.1835:
	s_or_b64 exec, exec, s[10:11]
                                        ; implicit-def: $vgpr8
.LBB232_1836:
	s_andn2_saveexec_b64 s[6:7], s[6:7]
; %bb.1837:
	s_mov_b32 s10, 0x7f800000
	v_mov_b32_e32 v6, 0x7c
	v_mov_b32_e32 v7, 0x7f
	v_cmp_lt_u32_e32 vcc, s10, v8
	v_cndmask_b32_e32 v6, v6, v7, vcc
; %bb.1838:
	s_or_b64 exec, exec, s[6:7]
	v_lshrrev_b32_e32 v5, 8, v5
	s_movk_i32 s6, 0x80
	v_and_or_b32 v5, v5, s6, v6
	global_store_byte v[3:4], v5, off
.LBB232_1839:
	s_mov_b64 s[6:7], 0
	s_mov_b64 s[10:11], -1
.LBB232_1840:
	s_andn2_b64 vcc, exec, s[6:7]
	s_mov_b64 s[6:7], 0
	s_cbranch_vccnz .LBB232_1847
; %bb.1841:
	s_cmp_gt_i32 s18, 14
	s_mov_b64 s[12:13], -1
	s_cbranch_scc0 .LBB232_1845
; %bb.1842:
	s_cmp_eq_u32 s18, 15
	s_mov_b64 s[0:1], -1
	s_cbranch_scc0 .LBB232_1844
; %bb.1843:
	global_store_short v[3:4], v1, off
	s_mov_b64 s[0:1], 0
	s_mov_b64 s[10:11], -1
.LBB232_1844:
	s_mov_b64 s[12:13], 0
.LBB232_1845:
	s_and_b64 vcc, exec, s[12:13]
	s_cbranch_vccz .LBB232_1847
; %bb.1846:
	s_cmp_lg_u32 s18, 11
	s_mov_b64 s[6:7], -1
	s_cselect_b64 s[0:1], -1, 0
.LBB232_1847:
	s_and_b64 vcc, exec, s[0:1]
	s_cbranch_vccnz .LBB232_2141
; %bb.1848:
	s_andn2_b64 vcc, exec, s[6:7]
	s_cbranch_vccnz .LBB232_1850
.LBB232_1849:
	v_and_b32_e32 v5, 0x7fff, v1
	v_cmp_ne_u16_e32 vcc, 0, v5
	v_cndmask_b32_e64 v5, 0, 1, vcc
	s_mov_b64 s[10:11], -1
	global_store_byte v[3:4], v5, off
.LBB232_1850:
	s_mov_b64 s[0:1], 0
	s_branch .LBB232_1852
.LBB232_1851:
	s_mov_b64 s[0:1], -1
	s_mov_b64 s[10:11], 0
.LBB232_1852:
	s_and_b64 vcc, exec, s[0:1]
	s_cbranch_vccz .LBB232_1891
; %bb.1853:
	s_and_b32 s6, 0xffff, s16
	s_cmp_lt_i32 s6, 5
	s_mov_b64 s[0:1], -1
	s_cbranch_scc1 .LBB232_1874
; %bb.1854:
	s_cmp_lt_i32 s6, 8
	s_cbranch_scc1 .LBB232_1864
; %bb.1855:
	s_cmp_lt_i32 s6, 9
	s_cbranch_scc1 .LBB232_1861
; %bb.1856:
	s_cmp_gt_i32 s6, 9
	s_cbranch_scc0 .LBB232_1858
; %bb.1857:
	v_lshlrev_b32_e32 v5, 16, v1
	v_cvt_f64_f32_e32 v[5:6], v5
	v_mov_b32_e32 v7, 0
	v_mov_b32_e32 v8, v7
	s_mov_b64 s[0:1], 0
	global_store_dwordx4 v[3:4], v[5:8], off
.LBB232_1858:
	s_andn2_b64 vcc, exec, s[0:1]
	s_cbranch_vccnz .LBB232_1860
; %bb.1859:
	v_lshlrev_b32_e32 v5, 16, v1
	v_mov_b32_e32 v6, 0
	global_store_dwordx2 v[3:4], v[5:6], off
.LBB232_1860:
	s_mov_b64 s[0:1], 0
.LBB232_1861:
	s_andn2_b64 vcc, exec, s[0:1]
	s_cbranch_vccnz .LBB232_1863
; %bb.1862:
	v_lshlrev_b32_e32 v5, 16, v1
	v_cvt_f16_f32_e32 v5, v5
	global_store_dword v[3:4], v5, off
.LBB232_1863:
	s_mov_b64 s[0:1], 0
.LBB232_1864:
	s_andn2_b64 vcc, exec, s[0:1]
	s_cbranch_vccnz .LBB232_1873
; %bb.1865:
	s_cmp_lt_i32 s6, 6
	s_mov_b64 s[0:1], -1
	s_cbranch_scc1 .LBB232_1871
; %bb.1866:
	s_cmp_gt_i32 s6, 6
	s_cbranch_scc0 .LBB232_1868
; %bb.1867:
	v_lshlrev_b32_e32 v5, 16, v1
	v_cvt_f64_f32_e32 v[5:6], v5
	s_mov_b64 s[0:1], 0
	global_store_dwordx2 v[3:4], v[5:6], off
.LBB232_1868:
	s_andn2_b64 vcc, exec, s[0:1]
	s_cbranch_vccnz .LBB232_1870
; %bb.1869:
	v_lshlrev_b32_e32 v5, 16, v1
	global_store_dword v[3:4], v5, off
.LBB232_1870:
	s_mov_b64 s[0:1], 0
.LBB232_1871:
	s_andn2_b64 vcc, exec, s[0:1]
	s_cbranch_vccnz .LBB232_1873
; %bb.1872:
	v_lshlrev_b32_e32 v5, 16, v1
	v_cvt_f16_f32_e32 v5, v5
	global_store_short v[3:4], v5, off
.LBB232_1873:
	s_mov_b64 s[0:1], 0
.LBB232_1874:
	s_andn2_b64 vcc, exec, s[0:1]
	s_cbranch_vccnz .LBB232_1890
; %bb.1875:
	s_cmp_lt_i32 s6, 2
	s_mov_b64 s[0:1], -1
	s_cbranch_scc1 .LBB232_1885
; %bb.1876:
	s_cmp_lt_i32 s6, 3
	s_cbranch_scc1 .LBB232_1882
; %bb.1877:
	s_cmp_gt_i32 s6, 3
	s_cbranch_scc0 .LBB232_1879
; %bb.1878:
	v_lshlrev_b32_e32 v5, 16, v1
	v_trunc_f32_e32 v5, v5
	s_mov_b32 s0, 0x2f800000
	v_mul_f32_e64 v6, |v5|, s0
	v_floor_f32_e32 v6, v6
	s_mov_b32 s0, 0xcf800000
	v_cvt_u32_f32_e32 v7, v6
	v_fma_f32 v6, v6, s0, |v5|
	v_cvt_u32_f32_e32 v6, v6
	v_ashrrev_i32_e32 v8, 31, v5
	v_xor_b32_e32 v7, v7, v8
	s_mov_b64 s[0:1], 0
	v_xor_b32_e32 v5, v6, v8
	v_sub_co_u32_e32 v5, vcc, v5, v8
	v_subb_co_u32_e32 v6, vcc, v7, v8, vcc
	global_store_dwordx2 v[3:4], v[5:6], off
.LBB232_1879:
	s_andn2_b64 vcc, exec, s[0:1]
	s_cbranch_vccnz .LBB232_1881
; %bb.1880:
	v_lshlrev_b32_e32 v5, 16, v1
	v_cvt_i32_f32_e32 v5, v5
	global_store_dword v[3:4], v5, off
.LBB232_1881:
	s_mov_b64 s[0:1], 0
.LBB232_1882:
	s_andn2_b64 vcc, exec, s[0:1]
	s_cbranch_vccnz .LBB232_1884
; %bb.1883:
	v_lshlrev_b32_e32 v5, 16, v1
	v_cvt_i32_f32_e32 v5, v5
	global_store_short v[3:4], v5, off
.LBB232_1884:
	s_mov_b64 s[0:1], 0
.LBB232_1885:
	s_andn2_b64 vcc, exec, s[0:1]
	s_cbranch_vccnz .LBB232_1890
; %bb.1886:
	s_mov_b64 s[0:1], -1
	s_cmp_gt_i32 s6, 0
	v_lshlrev_b32_e32 v1, 16, v1
	s_cbranch_scc0 .LBB232_1888
; %bb.1887:
	v_cvt_i32_f32_e32 v5, v1
	s_mov_b64 s[0:1], 0
	global_store_byte v[3:4], v5, off
.LBB232_1888:
	s_andn2_b64 vcc, exec, s[0:1]
	s_cbranch_vccnz .LBB232_1890
; %bb.1889:
	v_trunc_f32_e32 v1, v1
	s_mov_b32 s0, 0x2f800000
	v_mul_f32_e64 v5, |v1|, s0
	v_floor_f32_e32 v5, v5
	s_mov_b32 s0, 0xcf800000
	v_fma_f32 v5, v5, s0, |v1|
	v_cvt_u32_f32_e32 v5, v5
	v_ashrrev_i32_e32 v1, 31, v1
	v_xor_b32_e32 v5, v5, v1
	v_sub_u32_e32 v1, v5, v1
	global_store_byte v[3:4], v1, off
.LBB232_1890:
	s_mov_b64 s[10:11], -1
.LBB232_1891:
	s_andn2_b64 vcc, exec, s[10:11]
	s_cbranch_vccnz .LBB232_2087
; %bb.1892:
	v_lshlrev_b32_e32 v1, 16, v10
	v_mov_b32_e32 v3, s5
	v_mov_b32_e32 v4, s17
	v_cmp_ge_f32_e32 vcc, s4, v1
	v_cndmask_b32_e32 v3, v3, v4, vcc
	v_mov_b32_e32 v4, s9
	v_add_co_u32_e32 v1, vcc, s8, v2
	s_cmp_lt_i32 s16, 11
	v_addc_co_u32_e32 v2, vcc, 0, v4, vcc
	s_cbranch_scc1 .LBB232_1970
; %bb.1893:
	s_and_b32 s18, 0xffff, s16
	s_mov_b64 s[12:13], -1
	s_mov_b64 s[6:7], 0
	s_cmp_gt_i32 s18, 25
	s_mov_b64 s[10:11], 0
	s_mov_b64 s[0:1], 0
	s_cbranch_scc0 .LBB232_1926
; %bb.1894:
	s_cmp_gt_i32 s18, 28
	s_cbranch_scc0 .LBB232_1909
; %bb.1895:
	s_cmp_gt_i32 s18, 43
	;; [unrolled: 3-line block ×3, first 2 shown]
	s_cbranch_scc0 .LBB232_1899
; %bb.1897:
	s_mov_b64 s[0:1], -1
	s_mov_b64 s[12:13], 0
	s_cmp_eq_u32 s18, 46
	s_cbranch_scc0 .LBB232_1899
; %bb.1898:
	v_and_b32_e32 v4, 0xffff, v3
	global_store_dword v[1:2], v4, off
	s_mov_b64 s[0:1], 0
	s_mov_b64 s[10:11], -1
.LBB232_1899:
	s_and_b64 vcc, exec, s[12:13]
	s_cbranch_vccz .LBB232_1904
; %bb.1900:
	s_cmp_eq_u32 s18, 44
	s_mov_b64 s[0:1], -1
	s_cbranch_scc0 .LBB232_1904
; %bb.1901:
	v_and_b32_e32 v5, 0xffff, v3
	v_bfe_u32 v4, v5, 7, 8
	s_movk_i32 s0, 0xff
	v_cmp_ne_u32_e32 vcc, s0, v4
	v_mov_b32_e32 v6, 0xff
	s_and_saveexec_b64 s[10:11], vcc
	s_cbranch_execz .LBB232_1903
; %bb.1902:
	v_lshlrev_b32_e32 v7, 16, v5
	s_mov_b32 s0, 0x3f0000
	v_lshrrev_b32_e32 v6, 7, v5
	v_and_b32_e32 v5, 64, v5
	v_and_or_b32 v4, v7, s0, v4
	v_cmp_ne_u32_e32 vcc, 0, v5
	v_cmp_ne_u32_e64 s[0:1], 0, v4
	s_and_b64 s[0:1], vcc, s[0:1]
	v_cndmask_b32_e64 v4, 0, 1, s[0:1]
	v_add_u32_e32 v6, v6, v4
.LBB232_1903:
	s_or_b64 exec, exec, s[10:11]
	s_mov_b64 s[0:1], 0
	s_mov_b64 s[10:11], -1
	global_store_byte v[1:2], v6, off
.LBB232_1904:
	s_mov_b64 s[12:13], 0
.LBB232_1905:
	s_and_b64 vcc, exec, s[12:13]
	s_cbranch_vccz .LBB232_1908
; %bb.1906:
	s_cmp_eq_u32 s18, 29
	s_mov_b64 s[0:1], -1
	s_cbranch_scc0 .LBB232_1908
; %bb.1907:
	v_lshlrev_b32_e32 v4, 16, v3
	v_trunc_f32_e32 v4, v4
	v_mul_f32_e32 v5, 0x2f800000, v4
	v_floor_f32_e32 v6, v5
	v_fmac_f32_e32 v4, 0xcf800000, v6
	v_cvt_u32_f32_e32 v5, v6
	v_cvt_u32_f32_e32 v4, v4
	s_mov_b64 s[0:1], 0
	s_mov_b64 s[10:11], -1
	global_store_dwordx2 v[1:2], v[4:5], off
.LBB232_1908:
	s_mov_b64 s[12:13], 0
.LBB232_1909:
	s_and_b64 vcc, exec, s[12:13]
	s_cbranch_vccz .LBB232_1925
; %bb.1910:
	s_cmp_lt_i32 s18, 27
	s_mov_b64 s[10:11], -1
	s_cbranch_scc1 .LBB232_1916
; %bb.1911:
	s_cmp_gt_i32 s18, 27
	s_cbranch_scc0 .LBB232_1913
; %bb.1912:
	v_lshlrev_b32_e32 v4, 16, v3
	v_cvt_u32_f32_e32 v4, v4
	s_mov_b64 s[10:11], 0
	global_store_dword v[1:2], v4, off
.LBB232_1913:
	s_andn2_b64 vcc, exec, s[10:11]
	s_cbranch_vccnz .LBB232_1915
; %bb.1914:
	v_lshlrev_b32_e32 v4, 16, v3
	v_cvt_u32_f32_e32 v4, v4
	global_store_short v[1:2], v4, off
.LBB232_1915:
	s_mov_b64 s[10:11], 0
.LBB232_1916:
	s_andn2_b64 vcc, exec, s[10:11]
	s_cbranch_vccnz .LBB232_1924
; %bb.1917:
	v_lshlrev_b32_e32 v6, 16, v3
	v_and_b32_e32 v5, 0x7fffffff, v6
	s_mov_b32 s10, 0x43800000
	v_cmp_gt_u32_e32 vcc, s10, v5
	v_mov_b32_e32 v7, 0x80
	s_and_saveexec_b64 s[10:11], vcc
	s_cbranch_execz .LBB232_1923
; %bb.1918:
	s_mov_b32 s12, 0x3bffffff
	v_and_b32_e32 v4, 0xffff, v3
	v_cmp_lt_u32_e32 vcc, s12, v5
	s_mov_b64 s[12:13], 0
                                        ; implicit-def: $vgpr5
	s_and_saveexec_b64 s[14:15], vcc
	s_xor_b64 s[14:15], exec, s[14:15]
	s_cbranch_execz .LBB232_2144
; %bb.1919:
	v_bfe_u32 v5, v4, 4, 1
	s_mov_b32 s19, 0x487ffff
	v_add3_u32 v5, v6, v5, s19
	s_mov_b64 s[12:13], exec
	v_lshrrev_b32_e32 v5, 20, v5
                                        ; implicit-def: $vgpr6
	s_andn2_saveexec_b64 s[14:15], s[14:15]
	s_cbranch_execnz .LBB232_2145
.LBB232_1920:
	s_or_b64 exec, exec, s[14:15]
	v_mov_b32_e32 v7, 0
	s_and_saveexec_b64 s[14:15], s[12:13]
.LBB232_1921:
	v_lshrrev_b32_e32 v4, 8, v4
	s_movk_i32 s12, 0x80
	v_and_or_b32 v7, v4, s12, v5
.LBB232_1922:
	s_or_b64 exec, exec, s[14:15]
.LBB232_1923:
	s_or_b64 exec, exec, s[10:11]
	global_store_byte v[1:2], v7, off
.LBB232_1924:
	s_mov_b64 s[10:11], -1
.LBB232_1925:
	s_mov_b64 s[12:13], 0
.LBB232_1926:
	s_and_b64 vcc, exec, s[12:13]
	s_cbranch_vccz .LBB232_1966
; %bb.1927:
	s_cmp_gt_i32 s18, 22
	s_mov_b64 s[6:7], -1
	s_cbranch_scc0 .LBB232_1959
; %bb.1928:
	s_cmp_lt_i32 s18, 24
	s_cbranch_scc1 .LBB232_1948
; %bb.1929:
	s_cmp_gt_i32 s18, 24
	s_cbranch_scc0 .LBB232_1937
; %bb.1930:
	v_lshlrev_b32_e32 v6, 16, v3
	v_and_b32_e32 v5, 0x7fffffff, v6
	s_mov_b32 s6, 0x47800000
	v_cmp_gt_u32_e32 vcc, s6, v5
	v_mov_b32_e32 v7, 0x80
	s_and_saveexec_b64 s[6:7], vcc
	s_cbranch_execz .LBB232_1936
; %bb.1931:
	s_mov_b32 s10, 0x37ffffff
	v_and_b32_e32 v4, 0xffff, v3
	v_cmp_lt_u32_e32 vcc, s10, v5
	s_mov_b64 s[10:11], 0
                                        ; implicit-def: $vgpr5
	s_and_saveexec_b64 s[12:13], vcc
	s_xor_b64 s[12:13], exec, s[12:13]
	s_cbranch_execz .LBB232_2147
; %bb.1932:
	v_bfe_u32 v5, v4, 5, 1
	s_mov_b32 s14, 0x88fffff
	v_add3_u32 v5, v6, v5, s14
	s_mov_b64 s[10:11], exec
	v_lshrrev_b32_e32 v5, 21, v5
                                        ; implicit-def: $vgpr6
	s_andn2_saveexec_b64 s[12:13], s[12:13]
	s_cbranch_execnz .LBB232_2148
.LBB232_1933:
	s_or_b64 exec, exec, s[12:13]
	v_mov_b32_e32 v7, 0
	s_and_saveexec_b64 s[12:13], s[10:11]
.LBB232_1934:
	v_lshrrev_b32_e32 v4, 8, v4
	s_movk_i32 s10, 0x80
	v_and_or_b32 v7, v4, s10, v5
.LBB232_1935:
	s_or_b64 exec, exec, s[12:13]
.LBB232_1936:
	s_or_b64 exec, exec, s[6:7]
	s_mov_b64 s[6:7], 0
	global_store_byte v[1:2], v7, off
.LBB232_1937:
	s_and_b64 vcc, exec, s[6:7]
	s_cbranch_vccz .LBB232_1947
; %bb.1938:
	v_lshlrev_b32_e32 v6, 16, v3
	v_and_b32_e32 v7, 0x7fffffff, v6
	s_mov_b32 s6, 0x43f00000
	v_and_b32_e32 v4, 0xffff, v3
	v_cmp_gt_u32_e32 vcc, s6, v7
                                        ; implicit-def: $vgpr5
	s_and_saveexec_b64 s[6:7], vcc
	s_xor_b64 s[6:7], exec, s[6:7]
	s_cbranch_execz .LBB232_1944
; %bb.1939:
	s_mov_b32 s10, 0x3c7fffff
	v_cmp_lt_u32_e32 vcc, s10, v7
                                        ; implicit-def: $vgpr5
	s_and_saveexec_b64 s[10:11], vcc
	s_xor_b64 s[10:11], exec, s[10:11]
; %bb.1940:
	v_bfe_u32 v5, v4, 4, 1
	s_mov_b32 s12, 0x407ffff
	v_add3_u32 v5, v6, v5, s12
	v_lshrrev_b32_e32 v6, 20, v5
	v_and_b32_e32 v5, 0xff00000, v5
	s_mov_b32 s12, 0x7f00000
	v_mov_b32_e32 v7, 0x7e
	v_cmp_ne_u32_e32 vcc, s12, v5
	v_cndmask_b32_e32 v5, v7, v6, vcc
                                        ; implicit-def: $vgpr6
; %bb.1941:
	s_andn2_saveexec_b64 s[10:11], s[10:11]
; %bb.1942:
	s_mov_b32 s12, 0x46800000
	v_add_f32_e64 v5, |v6|, s12
; %bb.1943:
	s_or_b64 exec, exec, s[10:11]
                                        ; implicit-def: $vgpr7
.LBB232_1944:
	s_andn2_saveexec_b64 s[6:7], s[6:7]
; %bb.1945:
	s_mov_b32 s10, 0x7f800000
	v_mov_b32_e32 v5, 0x7e
	v_mov_b32_e32 v6, 0x7f
	v_cmp_lt_u32_e32 vcc, s10, v7
	v_cndmask_b32_e32 v5, v5, v6, vcc
; %bb.1946:
	s_or_b64 exec, exec, s[6:7]
	v_lshrrev_b32_e32 v4, 8, v4
	s_movk_i32 s6, 0x80
	v_and_or_b32 v4, v4, s6, v5
	global_store_byte v[1:2], v4, off
.LBB232_1947:
	s_mov_b64 s[6:7], 0
.LBB232_1948:
	s_andn2_b64 vcc, exec, s[6:7]
	s_cbranch_vccnz .LBB232_1958
; %bb.1949:
	v_lshlrev_b32_e32 v6, 16, v3
	v_and_b32_e32 v7, 0x7fffffff, v6
	s_mov_b32 s6, 0x47800000
	v_and_b32_e32 v4, 0xffff, v3
	v_cmp_gt_u32_e32 vcc, s6, v7
                                        ; implicit-def: $vgpr5
	s_and_saveexec_b64 s[6:7], vcc
	s_xor_b64 s[6:7], exec, s[6:7]
	s_cbranch_execz .LBB232_1955
; %bb.1950:
	s_mov_b32 s10, 0x387fffff
	v_cmp_lt_u32_e32 vcc, s10, v7
                                        ; implicit-def: $vgpr5
	s_and_saveexec_b64 s[10:11], vcc
	s_xor_b64 s[10:11], exec, s[10:11]
; %bb.1951:
	v_bfe_u32 v5, v4, 5, 1
	s_mov_b32 s12, 0x80fffff
	v_add3_u32 v5, v6, v5, s12
	v_lshrrev_b32_e32 v5, 21, v5
                                        ; implicit-def: $vgpr6
; %bb.1952:
	s_andn2_saveexec_b64 s[10:11], s[10:11]
; %bb.1953:
	s_mov_b32 s12, 0x43000000
	v_add_f32_e64 v5, |v6|, s12
; %bb.1954:
	s_or_b64 exec, exec, s[10:11]
                                        ; implicit-def: $vgpr7
.LBB232_1955:
	s_andn2_saveexec_b64 s[6:7], s[6:7]
; %bb.1956:
	s_mov_b32 s10, 0x7f800000
	v_mov_b32_e32 v5, 0x7c
	v_mov_b32_e32 v6, 0x7f
	v_cmp_lt_u32_e32 vcc, s10, v7
	v_cndmask_b32_e32 v5, v5, v6, vcc
; %bb.1957:
	s_or_b64 exec, exec, s[6:7]
	v_lshrrev_b32_e32 v4, 8, v4
	s_movk_i32 s6, 0x80
	v_and_or_b32 v4, v4, s6, v5
	global_store_byte v[1:2], v4, off
.LBB232_1958:
	s_mov_b64 s[6:7], 0
	s_mov_b64 s[10:11], -1
.LBB232_1959:
	s_andn2_b64 vcc, exec, s[6:7]
	s_mov_b64 s[6:7], 0
	s_cbranch_vccnz .LBB232_1966
; %bb.1960:
	s_cmp_gt_i32 s18, 14
	s_mov_b64 s[12:13], -1
	s_cbranch_scc0 .LBB232_1964
; %bb.1961:
	s_cmp_eq_u32 s18, 15
	s_mov_b64 s[0:1], -1
	s_cbranch_scc0 .LBB232_1963
; %bb.1962:
	global_store_short v[1:2], v3, off
	s_mov_b64 s[0:1], 0
	s_mov_b64 s[10:11], -1
.LBB232_1963:
	s_mov_b64 s[12:13], 0
.LBB232_1964:
	s_and_b64 vcc, exec, s[12:13]
	s_cbranch_vccz .LBB232_1966
; %bb.1965:
	s_cmp_lg_u32 s18, 11
	s_mov_b64 s[6:7], -1
	s_cselect_b64 s[0:1], -1, 0
.LBB232_1966:
	s_and_b64 vcc, exec, s[0:1]
	s_cbranch_vccnz .LBB232_2146
; %bb.1967:
	s_andn2_b64 vcc, exec, s[6:7]
	s_cbranch_vccnz .LBB232_1969
.LBB232_1968:
	v_and_b32_e32 v4, 0x7fff, v3
	v_cmp_ne_u16_e32 vcc, 0, v4
	v_cndmask_b32_e64 v4, 0, 1, vcc
	s_mov_b64 s[10:11], -1
	global_store_byte v[1:2], v4, off
.LBB232_1969:
	s_mov_b64 s[0:1], 0
	s_branch .LBB232_1971
.LBB232_1970:
	s_mov_b64 s[0:1], -1
	s_mov_b64 s[10:11], 0
.LBB232_1971:
	s_and_b64 vcc, exec, s[0:1]
	s_cbranch_vccz .LBB232_2010
; %bb.1972:
	s_and_b32 s6, 0xffff, s16
	s_cmp_lt_i32 s6, 5
	s_mov_b64 s[0:1], -1
	s_cbranch_scc1 .LBB232_1993
; %bb.1973:
	s_cmp_lt_i32 s6, 8
	s_cbranch_scc1 .LBB232_1983
; %bb.1974:
	s_cmp_lt_i32 s6, 9
	s_cbranch_scc1 .LBB232_1980
; %bb.1975:
	s_cmp_gt_i32 s6, 9
	s_cbranch_scc0 .LBB232_1977
; %bb.1976:
	v_lshlrev_b32_e32 v4, 16, v3
	v_cvt_f64_f32_e32 v[4:5], v4
	v_mov_b32_e32 v6, 0
	v_mov_b32_e32 v7, v6
	s_mov_b64 s[0:1], 0
	global_store_dwordx4 v[1:2], v[4:7], off
.LBB232_1977:
	s_andn2_b64 vcc, exec, s[0:1]
	s_cbranch_vccnz .LBB232_1979
; %bb.1978:
	v_lshlrev_b32_e32 v4, 16, v3
	v_mov_b32_e32 v5, 0
	global_store_dwordx2 v[1:2], v[4:5], off
.LBB232_1979:
	s_mov_b64 s[0:1], 0
.LBB232_1980:
	s_andn2_b64 vcc, exec, s[0:1]
	s_cbranch_vccnz .LBB232_1982
; %bb.1981:
	v_lshlrev_b32_e32 v4, 16, v3
	v_cvt_f16_f32_e32 v4, v4
	global_store_dword v[1:2], v4, off
.LBB232_1982:
	s_mov_b64 s[0:1], 0
.LBB232_1983:
	s_andn2_b64 vcc, exec, s[0:1]
	s_cbranch_vccnz .LBB232_1992
; %bb.1984:
	s_cmp_lt_i32 s6, 6
	s_mov_b64 s[0:1], -1
	s_cbranch_scc1 .LBB232_1990
; %bb.1985:
	s_cmp_gt_i32 s6, 6
	s_cbranch_scc0 .LBB232_1987
; %bb.1986:
	v_lshlrev_b32_e32 v4, 16, v3
	v_cvt_f64_f32_e32 v[4:5], v4
	s_mov_b64 s[0:1], 0
	global_store_dwordx2 v[1:2], v[4:5], off
.LBB232_1987:
	s_andn2_b64 vcc, exec, s[0:1]
	s_cbranch_vccnz .LBB232_1989
; %bb.1988:
	v_lshlrev_b32_e32 v4, 16, v3
	global_store_dword v[1:2], v4, off
.LBB232_1989:
	s_mov_b64 s[0:1], 0
.LBB232_1990:
	s_andn2_b64 vcc, exec, s[0:1]
	s_cbranch_vccnz .LBB232_1992
; %bb.1991:
	v_lshlrev_b32_e32 v4, 16, v3
	v_cvt_f16_f32_e32 v4, v4
	global_store_short v[1:2], v4, off
.LBB232_1992:
	s_mov_b64 s[0:1], 0
.LBB232_1993:
	s_andn2_b64 vcc, exec, s[0:1]
	s_cbranch_vccnz .LBB232_2009
; %bb.1994:
	s_cmp_lt_i32 s6, 2
	s_mov_b64 s[0:1], -1
	s_cbranch_scc1 .LBB232_2004
; %bb.1995:
	s_cmp_lt_i32 s6, 3
	s_cbranch_scc1 .LBB232_2001
; %bb.1996:
	s_cmp_gt_i32 s6, 3
	s_cbranch_scc0 .LBB232_1998
; %bb.1997:
	v_lshlrev_b32_e32 v4, 16, v3
	v_trunc_f32_e32 v4, v4
	s_mov_b32 s0, 0x2f800000
	v_mul_f32_e64 v5, |v4|, s0
	v_floor_f32_e32 v5, v5
	s_mov_b32 s0, 0xcf800000
	v_cvt_u32_f32_e32 v6, v5
	v_fma_f32 v5, v5, s0, |v4|
	v_cvt_u32_f32_e32 v5, v5
	v_ashrrev_i32_e32 v7, 31, v4
	v_xor_b32_e32 v6, v6, v7
	s_mov_b64 s[0:1], 0
	v_xor_b32_e32 v4, v5, v7
	v_sub_co_u32_e32 v4, vcc, v4, v7
	v_subb_co_u32_e32 v5, vcc, v6, v7, vcc
	global_store_dwordx2 v[1:2], v[4:5], off
.LBB232_1998:
	s_andn2_b64 vcc, exec, s[0:1]
	s_cbranch_vccnz .LBB232_2000
; %bb.1999:
	v_lshlrev_b32_e32 v4, 16, v3
	v_cvt_i32_f32_e32 v4, v4
	global_store_dword v[1:2], v4, off
.LBB232_2000:
	s_mov_b64 s[0:1], 0
.LBB232_2001:
	s_andn2_b64 vcc, exec, s[0:1]
	s_cbranch_vccnz .LBB232_2003
; %bb.2002:
	v_lshlrev_b32_e32 v4, 16, v3
	v_cvt_i32_f32_e32 v4, v4
	global_store_short v[1:2], v4, off
.LBB232_2003:
	s_mov_b64 s[0:1], 0
.LBB232_2004:
	s_andn2_b64 vcc, exec, s[0:1]
	s_cbranch_vccnz .LBB232_2009
; %bb.2005:
	s_cmp_gt_i32 s6, 0
	s_mov_b64 s[0:1], -1
	s_cbranch_scc0 .LBB232_2007
; %bb.2006:
	v_lshlrev_b32_e32 v4, 16, v3
	v_cvt_i32_f32_e32 v4, v4
	s_mov_b64 s[0:1], 0
	global_store_byte v[1:2], v4, off
.LBB232_2007:
	s_andn2_b64 vcc, exec, s[0:1]
	s_cbranch_vccnz .LBB232_2009
; %bb.2008:
	v_lshlrev_b32_e32 v3, 16, v3
	v_trunc_f32_e32 v3, v3
	s_mov_b32 s0, 0x2f800000
	v_mul_f32_e64 v4, |v3|, s0
	v_floor_f32_e32 v4, v4
	s_mov_b32 s0, 0xcf800000
	v_fma_f32 v4, v4, s0, |v3|
	v_cvt_u32_f32_e32 v4, v4
	v_ashrrev_i32_e32 v3, 31, v3
	v_xor_b32_e32 v4, v4, v3
	v_sub_u32_e32 v3, v4, v3
	global_store_byte v[1:2], v3, off
.LBB232_2009:
	s_mov_b64 s[10:11], -1
.LBB232_2010:
	s_andn2_b64 vcc, exec, s[10:11]
	s_cbranch_vccnz .LBB232_2087
; %bb.2011:
	v_lshlrev_b32_e32 v1, 16, v9
	v_mov_b32_e32 v2, s5
	v_mov_b32_e32 v3, s17
	v_cmp_ge_f32_e32 vcc, s4, v1
	v_cndmask_b32_e32 v2, v2, v3, vcc
	v_mov_b32_e32 v1, s9
	v_add_co_u32_e32 v0, vcc, s8, v0
	s_cmp_lt_i32 s16, 11
	v_addc_co_u32_e32 v1, vcc, 0, v1, vcc
	s_cbranch_scc1 .LBB232_2132
; %bb.2012:
	s_and_b32 s12, 0xffff, s16
	s_mov_b64 s[6:7], -1
	s_mov_b64 s[4:5], 0
	s_cmp_gt_i32 s12, 25
	s_mov_b64 s[0:1], 0
	s_cbranch_scc0 .LBB232_2045
; %bb.2013:
	s_cmp_gt_i32 s12, 28
	s_cbranch_scc0 .LBB232_2029
; %bb.2014:
	s_cmp_gt_i32 s12, 43
	;; [unrolled: 3-line block ×3, first 2 shown]
	s_cbranch_scc0 .LBB232_2019
; %bb.2016:
	s_cmp_eq_u32 s12, 46
	s_mov_b64 s[0:1], -1
	s_cbranch_scc0 .LBB232_2018
; %bb.2017:
	v_and_b32_e32 v3, 0xffff, v2
	global_store_dword v[0:1], v3, off
	s_mov_b64 s[0:1], 0
.LBB232_2018:
	s_mov_b64 s[6:7], 0
.LBB232_2019:
	s_and_b64 vcc, exec, s[6:7]
	s_cbranch_vccz .LBB232_2024
; %bb.2020:
	s_cmp_eq_u32 s12, 44
	s_mov_b64 s[0:1], -1
	s_cbranch_scc0 .LBB232_2024
; %bb.2021:
	v_and_b32_e32 v4, 0xffff, v2
	v_bfe_u32 v3, v4, 7, 8
	s_movk_i32 s0, 0xff
	v_cmp_ne_u32_e32 vcc, s0, v3
	v_mov_b32_e32 v5, 0xff
	s_and_saveexec_b64 s[6:7], vcc
	s_cbranch_execz .LBB232_2023
; %bb.2022:
	v_lshlrev_b32_e32 v6, 16, v4
	s_mov_b32 s0, 0x3f0000
	v_lshrrev_b32_e32 v5, 7, v4
	v_and_b32_e32 v4, 64, v4
	v_and_or_b32 v3, v6, s0, v3
	v_cmp_ne_u32_e32 vcc, 0, v4
	v_cmp_ne_u32_e64 s[0:1], 0, v3
	s_and_b64 s[0:1], vcc, s[0:1]
	v_cndmask_b32_e64 v3, 0, 1, s[0:1]
	v_add_u32_e32 v5, v5, v3
.LBB232_2023:
	s_or_b64 exec, exec, s[6:7]
	s_mov_b64 s[0:1], 0
	global_store_byte v[0:1], v5, off
.LBB232_2024:
	s_mov_b64 s[6:7], 0
.LBB232_2025:
	s_and_b64 vcc, exec, s[6:7]
	s_cbranch_vccz .LBB232_2028
; %bb.2026:
	s_cmp_eq_u32 s12, 29
	s_mov_b64 s[0:1], -1
	s_cbranch_scc0 .LBB232_2028
; %bb.2027:
	v_lshlrev_b32_e32 v3, 16, v2
	v_trunc_f32_e32 v3, v3
	v_mul_f32_e32 v4, 0x2f800000, v3
	v_floor_f32_e32 v5, v4
	v_fmac_f32_e32 v3, 0xcf800000, v5
	v_cvt_u32_f32_e32 v4, v5
	v_cvt_u32_f32_e32 v3, v3
	s_mov_b64 s[0:1], 0
	global_store_dwordx2 v[0:1], v[3:4], off
.LBB232_2028:
	s_mov_b64 s[6:7], 0
.LBB232_2029:
	s_and_b64 vcc, exec, s[6:7]
	s_cbranch_vccz .LBB232_2044
; %bb.2030:
	s_cmp_lt_i32 s12, 27
	s_mov_b64 s[6:7], -1
	s_cbranch_scc1 .LBB232_2036
; %bb.2031:
	s_cmp_gt_i32 s12, 27
	s_cbranch_scc0 .LBB232_2033
; %bb.2032:
	v_lshlrev_b32_e32 v3, 16, v2
	v_cvt_u32_f32_e32 v3, v3
	s_mov_b64 s[6:7], 0
	global_store_dword v[0:1], v3, off
.LBB232_2033:
	s_andn2_b64 vcc, exec, s[6:7]
	s_cbranch_vccnz .LBB232_2035
; %bb.2034:
	v_lshlrev_b32_e32 v3, 16, v2
	v_cvt_u32_f32_e32 v3, v3
	global_store_short v[0:1], v3, off
.LBB232_2035:
	s_mov_b64 s[6:7], 0
.LBB232_2036:
	s_andn2_b64 vcc, exec, s[6:7]
	s_cbranch_vccnz .LBB232_2044
; %bb.2037:
	v_lshlrev_b32_e32 v5, 16, v2
	v_and_b32_e32 v4, 0x7fffffff, v5
	s_mov_b32 s6, 0x43800000
	v_cmp_gt_u32_e32 vcc, s6, v4
	v_mov_b32_e32 v6, 0x80
	s_and_saveexec_b64 s[6:7], vcc
	s_cbranch_execz .LBB232_2043
; %bb.2038:
	s_mov_b32 s8, 0x3bffffff
	v_and_b32_e32 v3, 0xffff, v2
	v_cmp_lt_u32_e32 vcc, s8, v4
	s_mov_b64 s[8:9], 0
                                        ; implicit-def: $vgpr4
	s_and_saveexec_b64 s[10:11], vcc
	s_xor_b64 s[10:11], exec, s[10:11]
	s_cbranch_execz .LBB232_2149
; %bb.2039:
	v_bfe_u32 v4, v3, 4, 1
	s_mov_b32 s13, 0x487ffff
	v_add3_u32 v4, v5, v4, s13
	s_mov_b64 s[8:9], exec
	v_lshrrev_b32_e32 v4, 20, v4
                                        ; implicit-def: $vgpr5
	s_andn2_saveexec_b64 s[10:11], s[10:11]
	s_cbranch_execnz .LBB232_2150
.LBB232_2040:
	s_or_b64 exec, exec, s[10:11]
	v_mov_b32_e32 v6, 0
	s_and_saveexec_b64 s[10:11], s[8:9]
.LBB232_2041:
	v_lshrrev_b32_e32 v3, 8, v3
	s_movk_i32 s8, 0x80
	v_and_or_b32 v6, v3, s8, v4
.LBB232_2042:
	s_or_b64 exec, exec, s[10:11]
.LBB232_2043:
	s_or_b64 exec, exec, s[6:7]
	global_store_byte v[0:1], v6, off
.LBB232_2044:
	s_mov_b64 s[6:7], 0
.LBB232_2045:
	s_and_b64 vcc, exec, s[6:7]
	s_cbranch_vccz .LBB232_2085
; %bb.2046:
	s_cmp_gt_i32 s12, 22
	s_mov_b64 s[4:5], -1
	s_cbranch_scc0 .LBB232_2078
; %bb.2047:
	s_cmp_lt_i32 s12, 24
	s_cbranch_scc1 .LBB232_2067
; %bb.2048:
	s_cmp_gt_i32 s12, 24
	s_cbranch_scc0 .LBB232_2056
; %bb.2049:
	v_lshlrev_b32_e32 v5, 16, v2
	v_and_b32_e32 v4, 0x7fffffff, v5
	s_mov_b32 s4, 0x47800000
	v_cmp_gt_u32_e32 vcc, s4, v4
	v_mov_b32_e32 v6, 0x80
	s_and_saveexec_b64 s[4:5], vcc
	s_cbranch_execz .LBB232_2055
; %bb.2050:
	s_mov_b32 s6, 0x37ffffff
	v_and_b32_e32 v3, 0xffff, v2
	v_cmp_lt_u32_e32 vcc, s6, v4
	s_mov_b64 s[6:7], 0
                                        ; implicit-def: $vgpr4
	s_and_saveexec_b64 s[8:9], vcc
	s_xor_b64 s[8:9], exec, s[8:9]
	s_cbranch_execz .LBB232_2152
; %bb.2051:
	v_bfe_u32 v4, v3, 5, 1
	s_mov_b32 s10, 0x88fffff
	v_add3_u32 v4, v5, v4, s10
	s_mov_b64 s[6:7], exec
	v_lshrrev_b32_e32 v4, 21, v4
                                        ; implicit-def: $vgpr5
	s_andn2_saveexec_b64 s[8:9], s[8:9]
	s_cbranch_execnz .LBB232_2153
.LBB232_2052:
	s_or_b64 exec, exec, s[8:9]
	v_mov_b32_e32 v6, 0
	s_and_saveexec_b64 s[8:9], s[6:7]
.LBB232_2053:
	v_lshrrev_b32_e32 v3, 8, v3
	s_movk_i32 s6, 0x80
	v_and_or_b32 v6, v3, s6, v4
.LBB232_2054:
	s_or_b64 exec, exec, s[8:9]
.LBB232_2055:
	s_or_b64 exec, exec, s[4:5]
	s_mov_b64 s[4:5], 0
	global_store_byte v[0:1], v6, off
.LBB232_2056:
	s_and_b64 vcc, exec, s[4:5]
	s_cbranch_vccz .LBB232_2066
; %bb.2057:
	v_lshlrev_b32_e32 v5, 16, v2
	v_and_b32_e32 v6, 0x7fffffff, v5
	s_mov_b32 s4, 0x43f00000
	v_and_b32_e32 v3, 0xffff, v2
	v_cmp_gt_u32_e32 vcc, s4, v6
                                        ; implicit-def: $vgpr4
	s_and_saveexec_b64 s[4:5], vcc
	s_xor_b64 s[4:5], exec, s[4:5]
	s_cbranch_execz .LBB232_2063
; %bb.2058:
	s_mov_b32 s6, 0x3c7fffff
	v_cmp_lt_u32_e32 vcc, s6, v6
                                        ; implicit-def: $vgpr4
	s_and_saveexec_b64 s[6:7], vcc
	s_xor_b64 s[6:7], exec, s[6:7]
; %bb.2059:
	v_bfe_u32 v4, v3, 4, 1
	s_mov_b32 s8, 0x407ffff
	v_add3_u32 v4, v5, v4, s8
	v_lshrrev_b32_e32 v5, 20, v4
	v_and_b32_e32 v4, 0xff00000, v4
	s_mov_b32 s8, 0x7f00000
	v_mov_b32_e32 v6, 0x7e
	v_cmp_ne_u32_e32 vcc, s8, v4
	v_cndmask_b32_e32 v4, v6, v5, vcc
                                        ; implicit-def: $vgpr5
; %bb.2060:
	s_andn2_saveexec_b64 s[6:7], s[6:7]
; %bb.2061:
	s_mov_b32 s8, 0x46800000
	v_add_f32_e64 v4, |v5|, s8
; %bb.2062:
	s_or_b64 exec, exec, s[6:7]
                                        ; implicit-def: $vgpr6
.LBB232_2063:
	s_andn2_saveexec_b64 s[4:5], s[4:5]
; %bb.2064:
	s_mov_b32 s6, 0x7f800000
	v_mov_b32_e32 v4, 0x7e
	v_mov_b32_e32 v5, 0x7f
	v_cmp_lt_u32_e32 vcc, s6, v6
	v_cndmask_b32_e32 v4, v4, v5, vcc
; %bb.2065:
	s_or_b64 exec, exec, s[4:5]
	v_lshrrev_b32_e32 v3, 8, v3
	s_movk_i32 s4, 0x80
	v_and_or_b32 v3, v3, s4, v4
	global_store_byte v[0:1], v3, off
.LBB232_2066:
	s_mov_b64 s[4:5], 0
.LBB232_2067:
	s_andn2_b64 vcc, exec, s[4:5]
	s_cbranch_vccnz .LBB232_2077
; %bb.2068:
	v_lshlrev_b32_e32 v5, 16, v2
	v_and_b32_e32 v6, 0x7fffffff, v5
	s_mov_b32 s4, 0x47800000
	v_and_b32_e32 v3, 0xffff, v2
	v_cmp_gt_u32_e32 vcc, s4, v6
                                        ; implicit-def: $vgpr4
	s_and_saveexec_b64 s[4:5], vcc
	s_xor_b64 s[4:5], exec, s[4:5]
	s_cbranch_execz .LBB232_2074
; %bb.2069:
	s_mov_b32 s6, 0x387fffff
	v_cmp_lt_u32_e32 vcc, s6, v6
                                        ; implicit-def: $vgpr4
	s_and_saveexec_b64 s[6:7], vcc
	s_xor_b64 s[6:7], exec, s[6:7]
; %bb.2070:
	v_bfe_u32 v4, v3, 5, 1
	s_mov_b32 s8, 0x80fffff
	v_add3_u32 v4, v5, v4, s8
	v_lshrrev_b32_e32 v4, 21, v4
                                        ; implicit-def: $vgpr5
; %bb.2071:
	s_andn2_saveexec_b64 s[6:7], s[6:7]
; %bb.2072:
	s_mov_b32 s8, 0x43000000
	v_add_f32_e64 v4, |v5|, s8
; %bb.2073:
	s_or_b64 exec, exec, s[6:7]
                                        ; implicit-def: $vgpr6
.LBB232_2074:
	s_andn2_saveexec_b64 s[4:5], s[4:5]
; %bb.2075:
	s_mov_b32 s6, 0x7f800000
	v_mov_b32_e32 v4, 0x7c
	v_mov_b32_e32 v5, 0x7f
	v_cmp_lt_u32_e32 vcc, s6, v6
	v_cndmask_b32_e32 v4, v4, v5, vcc
; %bb.2076:
	s_or_b64 exec, exec, s[4:5]
	v_lshrrev_b32_e32 v3, 8, v3
	s_movk_i32 s4, 0x80
	v_and_or_b32 v3, v3, s4, v4
	global_store_byte v[0:1], v3, off
.LBB232_2077:
	s_mov_b64 s[4:5], 0
.LBB232_2078:
	s_andn2_b64 vcc, exec, s[4:5]
	s_mov_b64 s[4:5], 0
	s_cbranch_vccnz .LBB232_2085
; %bb.2079:
	s_cmp_gt_i32 s12, 14
	s_mov_b64 s[6:7], -1
	s_cbranch_scc0 .LBB232_2083
; %bb.2080:
	s_cmp_eq_u32 s12, 15
	s_mov_b64 s[0:1], -1
	s_cbranch_scc0 .LBB232_2082
; %bb.2081:
	global_store_short v[0:1], v2, off
	s_mov_b64 s[0:1], 0
.LBB232_2082:
	s_mov_b64 s[6:7], 0
.LBB232_2083:
	s_and_b64 vcc, exec, s[6:7]
	s_cbranch_vccz .LBB232_2085
; %bb.2084:
	s_cmp_lg_u32 s12, 11
	s_mov_b64 s[4:5], -1
	s_cselect_b64 s[0:1], -1, 0
.LBB232_2085:
	s_and_b64 vcc, exec, s[0:1]
	s_cbranch_vccnz .LBB232_2151
.LBB232_2086:
	s_mov_b64 s[0:1], 0
	s_branch .LBB232_2088
.LBB232_2087:
	s_mov_b64 s[0:1], 0
	s_mov_b64 s[4:5], 0
                                        ; implicit-def: $vgpr0_vgpr1
                                        ; implicit-def: $sgpr16
                                        ; implicit-def: $vgpr2
.LBB232_2088:
	s_and_b64 s[6:7], s[4:5], exec
	s_andn2_b64 s[4:5], s[28:29], exec
	s_and_b64 s[2:3], s[2:3], exec
	s_and_b64 s[0:1], s[0:1], exec
	s_or_b64 s[28:29], s[4:5], s[2:3]
.LBB232_2089:
	s_or_b64 exec, exec, s[30:31]
	s_and_saveexec_b64 s[2:3], s[28:29]
	s_cbranch_execz .LBB232_2092
; %bb.2090:
	; divergent unreachable
	s_or_b64 exec, exec, s[2:3]
	s_and_saveexec_b64 s[2:3], s[6:7]
	s_xor_b64 s[2:3], exec, s[2:3]
	s_cbranch_execnz .LBB232_2093
.LBB232_2091:
	s_or_b64 exec, exec, s[2:3]
	s_and_saveexec_b64 s[2:3], s[0:1]
	s_cbranch_execnz .LBB232_2094
	s_branch .LBB232_2131
.LBB232_2092:
	s_or_b64 exec, exec, s[2:3]
	s_and_saveexec_b64 s[2:3], s[6:7]
	s_xor_b64 s[2:3], exec, s[2:3]
	s_cbranch_execz .LBB232_2091
.LBB232_2093:
	s_waitcnt vmcnt(0)
	v_and_b32_e32 v3, 0x7fff, v2
	v_cmp_ne_u16_e32 vcc, 0, v3
	v_cndmask_b32_e64 v3, 0, 1, vcc
	global_store_byte v[0:1], v3, off
	s_or_b64 exec, exec, s[2:3]
	s_and_saveexec_b64 s[2:3], s[0:1]
	s_cbranch_execz .LBB232_2131
.LBB232_2094:
	s_sext_i32_i16 s2, s16
	s_cmp_lt_i32 s2, 5
	s_mov_b64 s[0:1], -1
	s_cbranch_scc1 .LBB232_2115
; %bb.2095:
	s_cmp_lt_i32 s2, 8
	s_cbranch_scc1 .LBB232_2105
; %bb.2096:
	s_cmp_lt_i32 s2, 9
	s_cbranch_scc1 .LBB232_2102
; %bb.2097:
	s_cmp_gt_i32 s2, 9
	s_cbranch_scc0 .LBB232_2099
; %bb.2098:
	s_waitcnt vmcnt(0)
	v_lshlrev_b32_e32 v3, 16, v2
	v_cvt_f64_f32_e32 v[3:4], v3
	v_mov_b32_e32 v5, 0
	v_mov_b32_e32 v6, v5
	s_mov_b64 s[0:1], 0
	global_store_dwordx4 v[0:1], v[3:6], off
.LBB232_2099:
	s_andn2_b64 vcc, exec, s[0:1]
	s_cbranch_vccnz .LBB232_2101
; %bb.2100:
	s_waitcnt vmcnt(0)
	v_lshlrev_b32_e32 v3, 16, v2
	v_mov_b32_e32 v4, 0
	global_store_dwordx2 v[0:1], v[3:4], off
.LBB232_2101:
	s_mov_b64 s[0:1], 0
.LBB232_2102:
	s_andn2_b64 vcc, exec, s[0:1]
	s_cbranch_vccnz .LBB232_2104
; %bb.2103:
	s_waitcnt vmcnt(0)
	v_lshlrev_b32_e32 v3, 16, v2
	v_cvt_f16_f32_e32 v3, v3
	global_store_dword v[0:1], v3, off
.LBB232_2104:
	s_mov_b64 s[0:1], 0
.LBB232_2105:
	s_andn2_b64 vcc, exec, s[0:1]
	s_cbranch_vccnz .LBB232_2114
; %bb.2106:
	s_sext_i32_i16 s2, s16
	s_cmp_lt_i32 s2, 6
	s_mov_b64 s[0:1], -1
	s_cbranch_scc1 .LBB232_2112
; %bb.2107:
	s_cmp_gt_i32 s2, 6
	s_cbranch_scc0 .LBB232_2109
; %bb.2108:
	s_waitcnt vmcnt(0)
	v_lshlrev_b32_e32 v3, 16, v2
	v_cvt_f64_f32_e32 v[3:4], v3
	s_mov_b64 s[0:1], 0
	global_store_dwordx2 v[0:1], v[3:4], off
.LBB232_2109:
	s_andn2_b64 vcc, exec, s[0:1]
	s_cbranch_vccnz .LBB232_2111
; %bb.2110:
	s_waitcnt vmcnt(0)
	v_lshlrev_b32_e32 v3, 16, v2
	global_store_dword v[0:1], v3, off
.LBB232_2111:
	s_mov_b64 s[0:1], 0
.LBB232_2112:
	s_andn2_b64 vcc, exec, s[0:1]
	s_cbranch_vccnz .LBB232_2114
; %bb.2113:
	s_waitcnt vmcnt(0)
	v_lshlrev_b32_e32 v3, 16, v2
	v_cvt_f16_f32_e32 v3, v3
	global_store_short v[0:1], v3, off
.LBB232_2114:
	s_mov_b64 s[0:1], 0
.LBB232_2115:
	s_andn2_b64 vcc, exec, s[0:1]
	s_cbranch_vccnz .LBB232_2131
; %bb.2116:
	s_sext_i32_i16 s2, s16
	s_cmp_lt_i32 s2, 2
	s_mov_b64 s[0:1], -1
	s_cbranch_scc1 .LBB232_2126
; %bb.2117:
	s_cmp_lt_i32 s2, 3
	s_cbranch_scc1 .LBB232_2123
; %bb.2118:
	s_cmp_gt_i32 s2, 3
	s_cbranch_scc0 .LBB232_2120
; %bb.2119:
	s_waitcnt vmcnt(0)
	v_lshlrev_b32_e32 v3, 16, v2
	v_trunc_f32_e32 v3, v3
	s_mov_b32 s0, 0x2f800000
	v_mul_f32_e64 v4, |v3|, s0
	v_floor_f32_e32 v4, v4
	s_mov_b32 s0, 0xcf800000
	v_cvt_u32_f32_e32 v5, v4
	v_fma_f32 v4, v4, s0, |v3|
	v_cvt_u32_f32_e32 v4, v4
	v_ashrrev_i32_e32 v6, 31, v3
	v_xor_b32_e32 v5, v5, v6
	s_mov_b64 s[0:1], 0
	v_xor_b32_e32 v3, v4, v6
	v_sub_co_u32_e32 v3, vcc, v3, v6
	v_subb_co_u32_e32 v4, vcc, v5, v6, vcc
	global_store_dwordx2 v[0:1], v[3:4], off
.LBB232_2120:
	s_andn2_b64 vcc, exec, s[0:1]
	s_cbranch_vccnz .LBB232_2122
; %bb.2121:
	s_waitcnt vmcnt(0)
	v_lshlrev_b32_e32 v3, 16, v2
	v_cvt_i32_f32_e32 v3, v3
	global_store_dword v[0:1], v3, off
.LBB232_2122:
	s_mov_b64 s[0:1], 0
.LBB232_2123:
	s_andn2_b64 vcc, exec, s[0:1]
	s_cbranch_vccnz .LBB232_2125
; %bb.2124:
	s_waitcnt vmcnt(0)
	v_lshlrev_b32_e32 v3, 16, v2
	v_cvt_i32_f32_e32 v3, v3
	global_store_short v[0:1], v3, off
.LBB232_2125:
	s_mov_b64 s[0:1], 0
.LBB232_2126:
	s_andn2_b64 vcc, exec, s[0:1]
	s_cbranch_vccnz .LBB232_2131
; %bb.2127:
	s_sext_i32_i16 s0, s16
	s_cmp_gt_i32 s0, 0
	s_mov_b64 s[0:1], -1
	s_cbranch_scc0 .LBB232_2129
; %bb.2128:
	s_waitcnt vmcnt(0)
	v_lshlrev_b32_e32 v3, 16, v2
	v_cvt_i32_f32_e32 v3, v3
	s_mov_b64 s[0:1], 0
	global_store_byte v[0:1], v3, off
.LBB232_2129:
	s_andn2_b64 vcc, exec, s[0:1]
	s_cbranch_vccnz .LBB232_2131
; %bb.2130:
	v_lshlrev_b32_e32 v2, 16, v2
	v_trunc_f32_e32 v2, v2
	s_mov_b32 s0, 0x2f800000
	s_waitcnt vmcnt(0)
	v_mul_f32_e64 v3, |v2|, s0
	v_floor_f32_e32 v3, v3
	s_mov_b32 s0, 0xcf800000
	v_fma_f32 v3, v3, s0, |v2|
	v_cvt_u32_f32_e32 v3, v3
	v_ashrrev_i32_e32 v2, 31, v2
	v_xor_b32_e32 v3, v3, v2
	v_sub_u32_e32 v2, v3, v2
	global_store_byte v[0:1], v2, off
	s_endpgm
.LBB232_2131:
	s_endpgm
.LBB232_2132:
	s_mov_b64 s[4:5], 0
	s_mov_b64 s[0:1], -1
	s_branch .LBB232_2088
.LBB232_2133:
	s_trap 2
	s_or_b64 s[2:3], s[2:3], exec
	s_cbranch_execz .LBB232_1602
	s_branch .LBB232_1603
.LBB232_2134:
	s_andn2_saveexec_b64 s[14:15], s[14:15]
	s_cbranch_execz .LBB232_1682
.LBB232_2135:
	s_mov_b32 s20, 0x46000000
	v_add_f32_e64 v8, |v11|, s20
	v_and_b32_e32 v8, 0xff, v8
	v_cmp_ne_u32_e32 vcc, 0, v8
	s_andn2_b64 s[12:13], s[12:13], exec
	s_and_b64 s[20:21], vcc, exec
	s_or_b64 s[12:13], s[12:13], s[20:21]
	s_or_b64 exec, exec, s[14:15]
	v_mov_b32_e32 v12, 0
	s_and_saveexec_b64 s[14:15], s[12:13]
	s_cbranch_execnz .LBB232_1683
	s_branch .LBB232_1684
.LBB232_2136:
	s_trap 2
	s_or_b64 s[2:3], s[2:3], exec
	s_cbranch_execz .LBB232_1730
	s_branch .LBB232_1731
.LBB232_2137:
	s_andn2_saveexec_b64 s[12:13], s[12:13]
	s_cbranch_execz .LBB232_1695
.LBB232_2138:
	s_mov_b32 s14, 0x42800000
	v_add_f32_e64 v8, |v11|, s14
	v_and_b32_e32 v8, 0xff, v8
	v_cmp_ne_u32_e32 vcc, 0, v8
	s_andn2_b64 s[10:11], s[10:11], exec
	s_and_b64 s[14:15], vcc, exec
	s_or_b64 s[10:11], s[10:11], s[14:15]
	s_or_b64 exec, exec, s[12:13]
	v_mov_b32_e32 v12, 0
	s_and_saveexec_b64 s[12:13], s[10:11]
	s_cbranch_execnz .LBB232_1696
	s_branch .LBB232_1697
.LBB232_2139:
	s_andn2_saveexec_b64 s[14:15], s[14:15]
	s_cbranch_execz .LBB232_1801
.LBB232_2140:
	s_mov_b32 s19, 0x46000000
	v_add_f32_e64 v6, |v7|, s19
	v_and_b32_e32 v6, 0xff, v6
	v_cmp_ne_u32_e32 vcc, 0, v6
	s_andn2_b64 s[12:13], s[12:13], exec
	s_and_b64 s[20:21], vcc, exec
	s_or_b64 s[12:13], s[12:13], s[20:21]
	s_or_b64 exec, exec, s[14:15]
	v_mov_b32_e32 v8, 0
	s_and_saveexec_b64 s[14:15], s[12:13]
	s_cbranch_execnz .LBB232_1802
	s_branch .LBB232_1803
.LBB232_2141:
	s_trap 2
	s_or_b64 s[2:3], s[2:3], exec
	s_cbranch_execz .LBB232_1849
	s_branch .LBB232_1850
.LBB232_2142:
	s_andn2_saveexec_b64 s[12:13], s[12:13]
	s_cbranch_execz .LBB232_1814
.LBB232_2143:
	s_mov_b32 s14, 0x42800000
	v_add_f32_e64 v6, |v7|, s14
	v_and_b32_e32 v6, 0xff, v6
	v_cmp_ne_u32_e32 vcc, 0, v6
	s_andn2_b64 s[10:11], s[10:11], exec
	s_and_b64 s[14:15], vcc, exec
	s_or_b64 s[10:11], s[10:11], s[14:15]
	s_or_b64 exec, exec, s[12:13]
	v_mov_b32_e32 v8, 0
	s_and_saveexec_b64 s[12:13], s[10:11]
	s_cbranch_execnz .LBB232_1815
	s_branch .LBB232_1816
.LBB232_2144:
	s_andn2_saveexec_b64 s[14:15], s[14:15]
	s_cbranch_execz .LBB232_1920
.LBB232_2145:
	s_mov_b32 s19, 0x46000000
	v_add_f32_e64 v5, |v6|, s19
	v_and_b32_e32 v5, 0xff, v5
	v_cmp_ne_u32_e32 vcc, 0, v5
	s_andn2_b64 s[12:13], s[12:13], exec
	s_and_b64 s[20:21], vcc, exec
	s_or_b64 s[12:13], s[12:13], s[20:21]
	s_or_b64 exec, exec, s[14:15]
	v_mov_b32_e32 v7, 0
	s_and_saveexec_b64 s[14:15], s[12:13]
	s_cbranch_execnz .LBB232_1921
	s_branch .LBB232_1922
.LBB232_2146:
	s_trap 2
	s_or_b64 s[2:3], s[2:3], exec
	s_cbranch_execz .LBB232_1968
	s_branch .LBB232_1969
.LBB232_2147:
	s_andn2_saveexec_b64 s[12:13], s[12:13]
	s_cbranch_execz .LBB232_1933
.LBB232_2148:
	s_mov_b32 s14, 0x42800000
	v_add_f32_e64 v5, |v6|, s14
	v_and_b32_e32 v5, 0xff, v5
	v_cmp_ne_u32_e32 vcc, 0, v5
	s_andn2_b64 s[10:11], s[10:11], exec
	s_and_b64 s[14:15], vcc, exec
	s_or_b64 s[10:11], s[10:11], s[14:15]
	s_or_b64 exec, exec, s[12:13]
	v_mov_b32_e32 v7, 0
	s_and_saveexec_b64 s[12:13], s[10:11]
	s_cbranch_execnz .LBB232_1934
	s_branch .LBB232_1935
.LBB232_2149:
	s_andn2_saveexec_b64 s[10:11], s[10:11]
	s_cbranch_execz .LBB232_2040
.LBB232_2150:
	s_mov_b32 s13, 0x46000000
	v_add_f32_e64 v4, |v5|, s13
	v_and_b32_e32 v4, 0xff, v4
	v_cmp_ne_u32_e32 vcc, 0, v4
	s_andn2_b64 s[8:9], s[8:9], exec
	s_and_b64 s[14:15], vcc, exec
	s_or_b64 s[8:9], s[8:9], s[14:15]
	s_or_b64 exec, exec, s[10:11]
	v_mov_b32_e32 v6, 0
	s_and_saveexec_b64 s[10:11], s[8:9]
	s_cbranch_execnz .LBB232_2041
	s_branch .LBB232_2042
.LBB232_2151:
	s_mov_b64 s[4:5], 0
	s_or_b64 s[2:3], s[2:3], exec
	s_trap 2
	s_branch .LBB232_2086
.LBB232_2152:
	s_andn2_saveexec_b64 s[8:9], s[8:9]
	s_cbranch_execz .LBB232_2052
.LBB232_2153:
	s_mov_b32 s10, 0x42800000
	v_add_f32_e64 v4, |v5|, s10
	v_and_b32_e32 v4, 0xff, v4
	v_cmp_ne_u32_e32 vcc, 0, v4
	s_andn2_b64 s[6:7], s[6:7], exec
	s_and_b64 s[10:11], vcc, exec
	s_or_b64 s[6:7], s[6:7], s[10:11]
	s_or_b64 exec, exec, s[8:9]
	v_mov_b32_e32 v6, 0
	s_and_saveexec_b64 s[8:9], s[6:7]
	s_cbranch_execnz .LBB232_2053
	s_branch .LBB232_2054
	.section	.rodata,"a",@progbits
	.p2align	6, 0x0
	.amdhsa_kernel _ZN2at6native32elementwise_kernel_manual_unrollILi128ELi4EZNS0_15gpu_kernel_implINS0_13BUnaryFunctorIN3c108BFloat16ES5_S5_ZNS0_12_GLOBAL__N_121threshold_kernel_implIS5_EEvRNS_18TensorIteratorBaseET_SA_EUlS5_S5_E_EEEEvS9_RKSA_EUlibE0_EEviT1_
		.amdhsa_group_segment_fixed_size 0
		.amdhsa_private_segment_fixed_size 0
		.amdhsa_kernarg_size 360
		.amdhsa_user_sgpr_count 6
		.amdhsa_user_sgpr_private_segment_buffer 1
		.amdhsa_user_sgpr_dispatch_ptr 0
		.amdhsa_user_sgpr_queue_ptr 0
		.amdhsa_user_sgpr_kernarg_segment_ptr 1
		.amdhsa_user_sgpr_dispatch_id 0
		.amdhsa_user_sgpr_flat_scratch_init 0
		.amdhsa_user_sgpr_private_segment_size 0
		.amdhsa_uses_dynamic_stack 0
		.amdhsa_system_sgpr_private_segment_wavefront_offset 0
		.amdhsa_system_sgpr_workgroup_id_x 1
		.amdhsa_system_sgpr_workgroup_id_y 0
		.amdhsa_system_sgpr_workgroup_id_z 0
		.amdhsa_system_sgpr_workgroup_info 0
		.amdhsa_system_vgpr_workitem_id 0
		.amdhsa_next_free_vgpr 18
		.amdhsa_next_free_sgpr 81
		.amdhsa_reserve_vcc 1
		.amdhsa_reserve_flat_scratch 0
		.amdhsa_float_round_mode_32 0
		.amdhsa_float_round_mode_16_64 0
		.amdhsa_float_denorm_mode_32 3
		.amdhsa_float_denorm_mode_16_64 3
		.amdhsa_dx10_clamp 1
		.amdhsa_ieee_mode 1
		.amdhsa_fp16_overflow 0
		.amdhsa_exception_fp_ieee_invalid_op 0
		.amdhsa_exception_fp_denorm_src 0
		.amdhsa_exception_fp_ieee_div_zero 0
		.amdhsa_exception_fp_ieee_overflow 0
		.amdhsa_exception_fp_ieee_underflow 0
		.amdhsa_exception_fp_ieee_inexact 0
		.amdhsa_exception_int_div_zero 0
	.end_amdhsa_kernel
	.section	.text._ZN2at6native32elementwise_kernel_manual_unrollILi128ELi4EZNS0_15gpu_kernel_implINS0_13BUnaryFunctorIN3c108BFloat16ES5_S5_ZNS0_12_GLOBAL__N_121threshold_kernel_implIS5_EEvRNS_18TensorIteratorBaseET_SA_EUlS5_S5_E_EEEEvS9_RKSA_EUlibE0_EEviT1_,"axG",@progbits,_ZN2at6native32elementwise_kernel_manual_unrollILi128ELi4EZNS0_15gpu_kernel_implINS0_13BUnaryFunctorIN3c108BFloat16ES5_S5_ZNS0_12_GLOBAL__N_121threshold_kernel_implIS5_EEvRNS_18TensorIteratorBaseET_SA_EUlS5_S5_E_EEEEvS9_RKSA_EUlibE0_EEviT1_,comdat
.Lfunc_end232:
	.size	_ZN2at6native32elementwise_kernel_manual_unrollILi128ELi4EZNS0_15gpu_kernel_implINS0_13BUnaryFunctorIN3c108BFloat16ES5_S5_ZNS0_12_GLOBAL__N_121threshold_kernel_implIS5_EEvRNS_18TensorIteratorBaseET_SA_EUlS5_S5_E_EEEEvS9_RKSA_EUlibE0_EEviT1_, .Lfunc_end232-_ZN2at6native32elementwise_kernel_manual_unrollILi128ELi4EZNS0_15gpu_kernel_implINS0_13BUnaryFunctorIN3c108BFloat16ES5_S5_ZNS0_12_GLOBAL__N_121threshold_kernel_implIS5_EEvRNS_18TensorIteratorBaseET_SA_EUlS5_S5_E_EEEEvS9_RKSA_EUlibE0_EEviT1_
                                        ; -- End function
	.set _ZN2at6native32elementwise_kernel_manual_unrollILi128ELi4EZNS0_15gpu_kernel_implINS0_13BUnaryFunctorIN3c108BFloat16ES5_S5_ZNS0_12_GLOBAL__N_121threshold_kernel_implIS5_EEvRNS_18TensorIteratorBaseET_SA_EUlS5_S5_E_EEEEvS9_RKSA_EUlibE0_EEviT1_.num_vgpr, 18
	.set _ZN2at6native32elementwise_kernel_manual_unrollILi128ELi4EZNS0_15gpu_kernel_implINS0_13BUnaryFunctorIN3c108BFloat16ES5_S5_ZNS0_12_GLOBAL__N_121threshold_kernel_implIS5_EEvRNS_18TensorIteratorBaseET_SA_EUlS5_S5_E_EEEEvS9_RKSA_EUlibE0_EEviT1_.num_agpr, 0
	.set _ZN2at6native32elementwise_kernel_manual_unrollILi128ELi4EZNS0_15gpu_kernel_implINS0_13BUnaryFunctorIN3c108BFloat16ES5_S5_ZNS0_12_GLOBAL__N_121threshold_kernel_implIS5_EEvRNS_18TensorIteratorBaseET_SA_EUlS5_S5_E_EEEEvS9_RKSA_EUlibE0_EEviT1_.numbered_sgpr, 81
	.set _ZN2at6native32elementwise_kernel_manual_unrollILi128ELi4EZNS0_15gpu_kernel_implINS0_13BUnaryFunctorIN3c108BFloat16ES5_S5_ZNS0_12_GLOBAL__N_121threshold_kernel_implIS5_EEvRNS_18TensorIteratorBaseET_SA_EUlS5_S5_E_EEEEvS9_RKSA_EUlibE0_EEviT1_.num_named_barrier, 0
	.set _ZN2at6native32elementwise_kernel_manual_unrollILi128ELi4EZNS0_15gpu_kernel_implINS0_13BUnaryFunctorIN3c108BFloat16ES5_S5_ZNS0_12_GLOBAL__N_121threshold_kernel_implIS5_EEvRNS_18TensorIteratorBaseET_SA_EUlS5_S5_E_EEEEvS9_RKSA_EUlibE0_EEviT1_.private_seg_size, 0
	.set _ZN2at6native32elementwise_kernel_manual_unrollILi128ELi4EZNS0_15gpu_kernel_implINS0_13BUnaryFunctorIN3c108BFloat16ES5_S5_ZNS0_12_GLOBAL__N_121threshold_kernel_implIS5_EEvRNS_18TensorIteratorBaseET_SA_EUlS5_S5_E_EEEEvS9_RKSA_EUlibE0_EEviT1_.uses_vcc, 1
	.set _ZN2at6native32elementwise_kernel_manual_unrollILi128ELi4EZNS0_15gpu_kernel_implINS0_13BUnaryFunctorIN3c108BFloat16ES5_S5_ZNS0_12_GLOBAL__N_121threshold_kernel_implIS5_EEvRNS_18TensorIteratorBaseET_SA_EUlS5_S5_E_EEEEvS9_RKSA_EUlibE0_EEviT1_.uses_flat_scratch, 0
	.set _ZN2at6native32elementwise_kernel_manual_unrollILi128ELi4EZNS0_15gpu_kernel_implINS0_13BUnaryFunctorIN3c108BFloat16ES5_S5_ZNS0_12_GLOBAL__N_121threshold_kernel_implIS5_EEvRNS_18TensorIteratorBaseET_SA_EUlS5_S5_E_EEEEvS9_RKSA_EUlibE0_EEviT1_.has_dyn_sized_stack, 0
	.set _ZN2at6native32elementwise_kernel_manual_unrollILi128ELi4EZNS0_15gpu_kernel_implINS0_13BUnaryFunctorIN3c108BFloat16ES5_S5_ZNS0_12_GLOBAL__N_121threshold_kernel_implIS5_EEvRNS_18TensorIteratorBaseET_SA_EUlS5_S5_E_EEEEvS9_RKSA_EUlibE0_EEviT1_.has_recursion, 0
	.set _ZN2at6native32elementwise_kernel_manual_unrollILi128ELi4EZNS0_15gpu_kernel_implINS0_13BUnaryFunctorIN3c108BFloat16ES5_S5_ZNS0_12_GLOBAL__N_121threshold_kernel_implIS5_EEvRNS_18TensorIteratorBaseET_SA_EUlS5_S5_E_EEEEvS9_RKSA_EUlibE0_EEviT1_.has_indirect_call, 0
	.section	.AMDGPU.csdata,"",@progbits
; Kernel info:
; codeLenInByte = 43044
; TotalNumSgprs: 85
; NumVgprs: 18
; ScratchSize: 0
; MemoryBound: 0
; FloatMode: 240
; IeeeMode: 1
; LDSByteSize: 0 bytes/workgroup (compile time only)
; SGPRBlocks: 10
; VGPRBlocks: 4
; NumSGPRsForWavesPerEU: 85
; NumVGPRsForWavesPerEU: 18
; Occupancy: 9
; WaveLimiterHint : 1
; COMPUTE_PGM_RSRC2:SCRATCH_EN: 0
; COMPUTE_PGM_RSRC2:USER_SGPR: 6
; COMPUTE_PGM_RSRC2:TRAP_HANDLER: 0
; COMPUTE_PGM_RSRC2:TGID_X_EN: 1
; COMPUTE_PGM_RSRC2:TGID_Y_EN: 0
; COMPUTE_PGM_RSRC2:TGID_Z_EN: 0
; COMPUTE_PGM_RSRC2:TIDIG_COMP_CNT: 0
	.section	.text._ZN2at6native29vectorized_elementwise_kernelILi16ENS0_13BinaryFunctorIN3c108BFloat16ES4_S4_ZNS0_12_GLOBAL__N_121threshold_kernel_implIS4_EEvRNS_18TensorIteratorBaseET_S9_EUlS4_S4_E_EESt5arrayIPcLm3EEEEviT0_T1_,"axG",@progbits,_ZN2at6native29vectorized_elementwise_kernelILi16ENS0_13BinaryFunctorIN3c108BFloat16ES4_S4_ZNS0_12_GLOBAL__N_121threshold_kernel_implIS4_EEvRNS_18TensorIteratorBaseET_S9_EUlS4_S4_E_EESt5arrayIPcLm3EEEEviT0_T1_,comdat
	.globl	_ZN2at6native29vectorized_elementwise_kernelILi16ENS0_13BinaryFunctorIN3c108BFloat16ES4_S4_ZNS0_12_GLOBAL__N_121threshold_kernel_implIS4_EEvRNS_18TensorIteratorBaseET_S9_EUlS4_S4_E_EESt5arrayIPcLm3EEEEviT0_T1_ ; -- Begin function _ZN2at6native29vectorized_elementwise_kernelILi16ENS0_13BinaryFunctorIN3c108BFloat16ES4_S4_ZNS0_12_GLOBAL__N_121threshold_kernel_implIS4_EEvRNS_18TensorIteratorBaseET_S9_EUlS4_S4_E_EESt5arrayIPcLm3EEEEviT0_T1_
	.p2align	8
	.type	_ZN2at6native29vectorized_elementwise_kernelILi16ENS0_13BinaryFunctorIN3c108BFloat16ES4_S4_ZNS0_12_GLOBAL__N_121threshold_kernel_implIS4_EEvRNS_18TensorIteratorBaseET_S9_EUlS4_S4_E_EESt5arrayIPcLm3EEEEviT0_T1_,@function
_ZN2at6native29vectorized_elementwise_kernelILi16ENS0_13BinaryFunctorIN3c108BFloat16ES4_S4_ZNS0_12_GLOBAL__N_121threshold_kernel_implIS4_EEvRNS_18TensorIteratorBaseET_S9_EUlS4_S4_E_EESt5arrayIPcLm3EEEEviT0_T1_: ; @_ZN2at6native29vectorized_elementwise_kernelILi16ENS0_13BinaryFunctorIN3c108BFloat16ES4_S4_ZNS0_12_GLOBAL__N_121threshold_kernel_implIS4_EEvRNS_18TensorIteratorBaseET_S9_EUlS4_S4_E_EESt5arrayIPcLm3EEEEviT0_T1_
; %bb.0:
	s_load_dwordx2 s[12:13], s[4:5], 0x0
	s_load_dwordx4 s[8:11], s[4:5], 0x8
	s_load_dwordx2 s[14:15], s[4:5], 0x18
	s_lshl_b32 s2, s6, 11
	s_mov_b64 s[0:1], -1
	s_waitcnt lgkmcnt(0)
	s_sub_i32 s7, s12, s2
	s_lshr_b32 s6, s13, 16
	s_cmpk_gt_i32 s7, 0x7ff
	s_cbranch_scc0 .LBB233_2
; %bb.1:
	s_ashr_i32 s3, s2, 31
	s_lshl_b64 s[0:1], s[2:3], 1
	s_add_u32 s4, s10, s0
	s_addc_u32 s5, s11, s1
	v_lshlrev_b32_e32 v9, 4, v0
	global_load_dwordx4 v[1:4], v9, s[4:5]
	s_add_u32 s4, s14, s0
	s_addc_u32 s5, s15, s1
	global_load_dwordx4 v[5:8], v9, s[4:5]
	s_lshl_b32 s4, s13, 16
	v_mov_b32_e32 v10, s6
	s_mov_b32 s3, 0x5040100
	s_add_u32 s0, s8, s0
	s_addc_u32 s1, s9, s1
	s_waitcnt vmcnt(1)
	v_and_b32_e32 v11, 0xffff0000, v1
	v_lshlrev_b32_e32 v1, 16, v1
	v_and_b32_e32 v12, 0xffff0000, v2
	v_lshlrev_b32_e32 v2, 16, v2
	v_cmp_ge_f32_e32 vcc, s4, v1
	v_and_b32_e32 v13, 0xffff0000, v3
	v_lshlrev_b32_e32 v3, 16, v3
	s_waitcnt vmcnt(0)
	v_cndmask_b32_e32 v1, v5, v10, vcc
	v_cmp_ge_f32_e32 vcc, s4, v2
	v_and_b32_e32 v14, 0xffff0000, v4
	v_lshlrev_b32_e32 v4, 16, v4
	v_cndmask_b32_e32 v2, v6, v10, vcc
	v_cmp_ge_f32_e32 vcc, s4, v3
	v_cndmask_b32_e32 v3, v7, v10, vcc
	v_cmp_ge_f32_e32 vcc, s4, v4
	v_lshrrev_b32_e32 v15, 16, v5
	v_cndmask_b32_e32 v4, v8, v10, vcc
	v_cmp_ge_f32_e32 vcc, s4, v11
	v_lshrrev_b32_e32 v5, 16, v6
	v_lshrrev_b32_e32 v6, 16, v7
	;; [unrolled: 1-line block ×3, first 2 shown]
	v_cndmask_b32_e32 v8, v15, v10, vcc
	v_cmp_ge_f32_e32 vcc, s4, v12
	v_cndmask_b32_e32 v5, v5, v10, vcc
	v_cmp_ge_f32_e32 vcc, s4, v13
	;; [unrolled: 2-line block ×3, first 2 shown]
	v_cndmask_b32_e32 v7, v7, v10, vcc
	v_perm_b32 v4, v7, v4, s3
	v_perm_b32 v3, v6, v3, s3
	;; [unrolled: 1-line block ×4, first 2 shown]
	global_store_dwordx4 v9, v[1:4], s[0:1]
	s_mov_b64 s[0:1], 0
.LBB233_2:
	s_andn2_b64 vcc, exec, s[0:1]
	s_cbranch_vccnz .LBB233_27
; %bb.3:
	v_cmp_gt_i32_e32 vcc, s7, v0
	v_mov_b32_e32 v2, 0
	v_mov_b32_e32 v3, 0
	v_or_b32_e32 v1, s2, v0
	v_mov_b32_e32 v4, 0
	v_mov_b32_e32 v14, v0
	s_and_saveexec_b64 s[4:5], vcc
	s_cbranch_execz .LBB233_5
; %bb.4:
	v_mov_b32_e32 v2, 0
	v_lshlrev_b64 v[4:5], 1, v[1:2]
	v_mov_b32_e32 v2, s15
	v_add_co_u32_e64 v6, s[0:1], s14, v4
	v_addc_co_u32_e64 v7, s[0:1], v2, v5, s[0:1]
	v_mov_b32_e32 v2, s11
	v_add_co_u32_e64 v4, s[0:1], s10, v4
	v_addc_co_u32_e64 v5, s[0:1], v2, v5, s[0:1]
	global_load_ushort v8, v[4:5], off
	global_load_ushort v2, v[6:7], off
	v_or_b32_e32 v14, 0x100, v0
	s_waitcnt vmcnt(1)
	v_lshlrev_b32_e32 v4, 16, v8
.LBB233_5:
	s_or_b64 exec, exec, s[4:5]
	v_cmp_gt_i32_e64 s[0:1], s7, v14
	v_mov_b32_e32 v6, 0
	s_and_saveexec_b64 s[4:5], s[0:1]
	s_cbranch_execz .LBB233_7
; %bb.6:
	v_add_u32_e32 v5, s2, v14
	v_mov_b32_e32 v6, 0
	v_lshlrev_b64 v[5:6], 1, v[5:6]
	v_mov_b32_e32 v8, s11
	v_add_co_u32_e64 v7, s[0:1], s10, v5
	v_addc_co_u32_e64 v8, s[0:1], v8, v6, s[0:1]
	v_mov_b32_e32 v3, s15
	v_add_co_u32_e64 v5, s[0:1], s14, v5
	global_load_ushort v7, v[7:8], off
	v_addc_co_u32_e64 v6, s[0:1], v3, v6, s[0:1]
	global_load_ushort v6, v[5:6], off
	v_add_u32_e32 v14, 0x100, v14
	s_waitcnt vmcnt(1)
	v_lshlrev_b32_e32 v3, 16, v7
.LBB233_7:
	s_or_b64 exec, exec, s[4:5]
	v_cmp_gt_i32_e64 s[0:1], s7, v14
	v_mov_b32_e32 v7, 0
	v_mov_b32_e32 v5, 0
	v_mov_b32_e32 v9, 0
	s_and_saveexec_b64 s[4:5], s[0:1]
	s_cbranch_execz .LBB233_9
; %bb.8:
	v_add_u32_e32 v7, s2, v14
	v_mov_b32_e32 v8, 0
	v_lshlrev_b64 v[7:8], 1, v[7:8]
	v_mov_b32_e32 v10, s11
	v_add_co_u32_e64 v9, s[0:1], s10, v7
	v_addc_co_u32_e64 v10, s[0:1], v10, v8, s[0:1]
	v_mov_b32_e32 v11, s15
	v_add_co_u32_e64 v7, s[0:1], s14, v7
	global_load_ushort v9, v[9:10], off
	v_addc_co_u32_e64 v8, s[0:1], v11, v8, s[0:1]
	global_load_ushort v7, v[7:8], off
	v_add_u32_e32 v14, 0x100, v14
	s_waitcnt vmcnt(1)
	v_lshlrev_b32_e32 v9, 16, v9
.LBB233_9:
	s_or_b64 exec, exec, s[4:5]
	v_cmp_gt_i32_e64 s[0:1], s7, v14
	v_mov_b32_e32 v10, 0
	s_and_saveexec_b64 s[4:5], s[0:1]
	s_cbranch_execz .LBB233_11
; %bb.10:
	v_add_u32_e32 v10, s2, v14
	v_mov_b32_e32 v11, 0
	v_lshlrev_b64 v[10:11], 1, v[10:11]
	v_mov_b32_e32 v8, s11
	v_add_co_u32_e64 v12, s[0:1], s10, v10
	v_addc_co_u32_e64 v13, s[0:1], v8, v11, s[0:1]
	v_mov_b32_e32 v5, s15
	v_add_co_u32_e64 v10, s[0:1], s14, v10
	global_load_ushort v8, v[12:13], off
	v_addc_co_u32_e64 v11, s[0:1], v5, v11, s[0:1]
	global_load_ushort v10, v[10:11], off
	v_add_u32_e32 v14, 0x100, v14
	s_waitcnt vmcnt(1)
	v_lshlrev_b32_e32 v5, 16, v8
.LBB233_11:
	s_or_b64 exec, exec, s[4:5]
	v_cmp_gt_i32_e64 s[0:1], s7, v14
	v_mov_b32_e32 v11, 0
	v_mov_b32_e32 v8, 0
	v_mov_b32_e32 v13, 0
	s_and_saveexec_b64 s[4:5], s[0:1]
	s_cbranch_execz .LBB233_13
; %bb.12:
	v_add_u32_e32 v11, s2, v14
	v_mov_b32_e32 v12, 0
	v_lshlrev_b64 v[11:12], 1, v[11:12]
	v_mov_b32_e32 v16, s11
	v_add_co_u32_e64 v15, s[0:1], s10, v11
	v_addc_co_u32_e64 v16, s[0:1], v16, v12, s[0:1]
	v_mov_b32_e32 v13, s15
	v_add_co_u32_e64 v11, s[0:1], s14, v11
	global_load_ushort v15, v[15:16], off
	v_addc_co_u32_e64 v12, s[0:1], v13, v12, s[0:1]
	global_load_ushort v11, v[11:12], off
	v_add_u32_e32 v14, 0x100, v14
	s_waitcnt vmcnt(1)
	v_lshlrev_b32_e32 v13, 16, v15
.LBB233_13:
	;; [unrolled: 44-line block ×3, first 2 shown]
	s_or_b64 exec, exec, s[4:5]
	v_cmp_gt_i32_e64 s[0:1], s7, v14
	v_mov_b32_e32 v18, 0
	s_and_saveexec_b64 s[4:5], s[0:1]
	s_cbranch_execnz .LBB233_28
; %bb.18:
	s_or_b64 exec, exec, s[4:5]
	s_lshl_b32 s3, s13, 16
	s_and_saveexec_b64 s[0:1], vcc
	s_cbranch_execnz .LBB233_29
.LBB233_19:
	s_or_b64 exec, exec, s[0:1]
	v_cmp_gt_i32_e32 vcc, s7, v0
	s_and_saveexec_b64 s[0:1], vcc
	s_cbranch_execnz .LBB233_30
.LBB233_20:
	s_or_b64 exec, exec, s[0:1]
	v_cmp_gt_i32_e32 vcc, s7, v0
	s_and_saveexec_b64 s[0:1], vcc
	s_cbranch_execnz .LBB233_31
.LBB233_21:
	s_or_b64 exec, exec, s[0:1]
	v_cmp_gt_i32_e32 vcc, s7, v0
	s_and_saveexec_b64 s[0:1], vcc
	s_cbranch_execnz .LBB233_32
.LBB233_22:
	s_or_b64 exec, exec, s[0:1]
	v_cmp_gt_i32_e32 vcc, s7, v0
	s_and_saveexec_b64 s[0:1], vcc
	s_cbranch_execnz .LBB233_33
.LBB233_23:
	s_or_b64 exec, exec, s[0:1]
	v_cmp_gt_i32_e32 vcc, s7, v0
	s_and_saveexec_b64 s[0:1], vcc
	s_cbranch_execnz .LBB233_34
.LBB233_24:
	s_or_b64 exec, exec, s[0:1]
	v_cmp_gt_i32_e32 vcc, s7, v0
	s_and_saveexec_b64 s[0:1], vcc
	s_cbranch_execnz .LBB233_35
.LBB233_25:
	s_or_b64 exec, exec, s[0:1]
	v_cmp_gt_i32_e32 vcc, s7, v0
	s_and_saveexec_b64 s[0:1], vcc
	s_cbranch_execz .LBB233_27
.LBB233_26:
	v_mov_b32_e32 v1, s6
	v_cmp_ge_f32_e32 vcc, s3, v12
	s_waitcnt vmcnt(0)
	v_cndmask_b32_e32 v2, v18, v1, vcc
	v_add_u32_e32 v0, s2, v0
	v_mov_b32_e32 v1, 0
	v_lshlrev_b64 v[0:1], 1, v[0:1]
	v_mov_b32_e32 v3, s9
	v_add_co_u32_e32 v0, vcc, s8, v0
	v_addc_co_u32_e32 v1, vcc, v3, v1, vcc
	global_store_short v[0:1], v2, off
.LBB233_27:
	s_endpgm
.LBB233_28:
	v_add_u32_e32 v18, s2, v14
	v_mov_b32_e32 v19, 0
	v_lshlrev_b64 v[18:19], 1, v[18:19]
	v_mov_b32_e32 v12, s15
	v_add_co_u32_e64 v20, s[0:1], s14, v18
	v_addc_co_u32_e64 v21, s[0:1], v12, v19, s[0:1]
	v_mov_b32_e32 v12, s11
	v_add_co_u32_e64 v22, s[0:1], s10, v18
	v_addc_co_u32_e64 v23, s[0:1], v12, v19, s[0:1]
	global_load_ushort v12, v[22:23], off
	global_load_ushort v18, v[20:21], off
	s_waitcnt vmcnt(1)
	v_lshlrev_b32_e32 v12, 16, v12
	s_or_b64 exec, exec, s[4:5]
	s_lshl_b32 s3, s13, 16
	s_and_saveexec_b64 s[0:1], vcc
	s_cbranch_execz .LBB233_19
.LBB233_29:
	v_mov_b32_e32 v14, s6
	v_cmp_ge_f32_e32 vcc, s3, v4
	s_waitcnt vmcnt(0)
	v_cndmask_b32_e32 v4, v2, v14, vcc
	v_mov_b32_e32 v2, 0
	v_lshlrev_b64 v[1:2], 1, v[1:2]
	v_mov_b32_e32 v14, s9
	v_add_co_u32_e32 v1, vcc, s8, v1
	v_or_b32_e32 v0, 0x100, v0
	v_addc_co_u32_e32 v2, vcc, v14, v2, vcc
	global_store_short v[1:2], v4, off
	s_or_b64 exec, exec, s[0:1]
	v_cmp_gt_i32_e32 vcc, s7, v0
	s_and_saveexec_b64 s[0:1], vcc
	s_cbranch_execz .LBB233_20
.LBB233_30:
	v_mov_b32_e32 v1, s6
	v_cmp_ge_f32_e32 vcc, s3, v3
	s_waitcnt vmcnt(0)
	v_cndmask_b32_e32 v3, v6, v1, vcc
	v_add_u32_e32 v1, s2, v0
	v_mov_b32_e32 v2, 0
	v_lshlrev_b64 v[1:2], 1, v[1:2]
	v_mov_b32_e32 v4, s9
	v_add_co_u32_e32 v1, vcc, s8, v1
	v_addc_co_u32_e32 v2, vcc, v4, v2, vcc
	v_add_u32_e32 v0, 0x100, v0
	global_store_short v[1:2], v3, off
	s_or_b64 exec, exec, s[0:1]
	v_cmp_gt_i32_e32 vcc, s7, v0
	s_and_saveexec_b64 s[0:1], vcc
	s_cbranch_execz .LBB233_21
.LBB233_31:
	v_mov_b32_e32 v1, s6
	v_cmp_ge_f32_e32 vcc, s3, v9
	s_waitcnt vmcnt(0)
	v_cndmask_b32_e32 v3, v7, v1, vcc
	v_add_u32_e32 v1, s2, v0
	v_mov_b32_e32 v2, 0
	v_lshlrev_b64 v[1:2], 1, v[1:2]
	v_mov_b32_e32 v4, s9
	v_add_co_u32_e32 v1, vcc, s8, v1
	v_addc_co_u32_e32 v2, vcc, v4, v2, vcc
	v_add_u32_e32 v0, 0x100, v0
	global_store_short v[1:2], v3, off
	s_or_b64 exec, exec, s[0:1]
	v_cmp_gt_i32_e32 vcc, s7, v0
	s_and_saveexec_b64 s[0:1], vcc
	s_cbranch_execz .LBB233_22
.LBB233_32:
	v_mov_b32_e32 v1, s6
	v_cmp_ge_f32_e32 vcc, s3, v5
	s_waitcnt vmcnt(0)
	v_cndmask_b32_e32 v3, v10, v1, vcc
	v_add_u32_e32 v1, s2, v0
	v_mov_b32_e32 v2, 0
	v_lshlrev_b64 v[1:2], 1, v[1:2]
	v_mov_b32_e32 v4, s9
	v_add_co_u32_e32 v1, vcc, s8, v1
	v_addc_co_u32_e32 v2, vcc, v4, v2, vcc
	v_add_u32_e32 v0, 0x100, v0
	global_store_short v[1:2], v3, off
	s_or_b64 exec, exec, s[0:1]
	v_cmp_gt_i32_e32 vcc, s7, v0
	s_and_saveexec_b64 s[0:1], vcc
	s_cbranch_execz .LBB233_23
.LBB233_33:
	v_mov_b32_e32 v1, s6
	v_cmp_ge_f32_e32 vcc, s3, v13
	s_waitcnt vmcnt(0)
	v_cndmask_b32_e32 v3, v11, v1, vcc
	v_add_u32_e32 v1, s2, v0
	v_mov_b32_e32 v2, 0
	v_lshlrev_b64 v[1:2], 1, v[1:2]
	v_mov_b32_e32 v4, s9
	v_add_co_u32_e32 v1, vcc, s8, v1
	v_addc_co_u32_e32 v2, vcc, v4, v2, vcc
	v_add_u32_e32 v0, 0x100, v0
	global_store_short v[1:2], v3, off
	s_or_b64 exec, exec, s[0:1]
	v_cmp_gt_i32_e32 vcc, s7, v0
	s_and_saveexec_b64 s[0:1], vcc
	s_cbranch_execz .LBB233_24
.LBB233_34:
	v_mov_b32_e32 v1, s6
	v_cmp_ge_f32_e32 vcc, s3, v8
	s_waitcnt vmcnt(0)
	v_cndmask_b32_e32 v3, v15, v1, vcc
	v_add_u32_e32 v1, s2, v0
	v_mov_b32_e32 v2, 0
	v_lshlrev_b64 v[1:2], 1, v[1:2]
	v_mov_b32_e32 v4, s9
	v_add_co_u32_e32 v1, vcc, s8, v1
	v_addc_co_u32_e32 v2, vcc, v4, v2, vcc
	v_add_u32_e32 v0, 0x100, v0
	global_store_short v[1:2], v3, off
	s_or_b64 exec, exec, s[0:1]
	v_cmp_gt_i32_e32 vcc, s7, v0
	s_and_saveexec_b64 s[0:1], vcc
	s_cbranch_execz .LBB233_25
.LBB233_35:
	v_mov_b32_e32 v1, s6
	v_cmp_ge_f32_e32 vcc, s3, v17
	s_waitcnt vmcnt(0)
	v_cndmask_b32_e32 v3, v16, v1, vcc
	v_add_u32_e32 v1, s2, v0
	v_mov_b32_e32 v2, 0
	v_lshlrev_b64 v[1:2], 1, v[1:2]
	v_mov_b32_e32 v4, s9
	v_add_co_u32_e32 v1, vcc, s8, v1
	v_addc_co_u32_e32 v2, vcc, v4, v2, vcc
	v_add_u32_e32 v0, 0x100, v0
	global_store_short v[1:2], v3, off
	s_or_b64 exec, exec, s[0:1]
	v_cmp_gt_i32_e32 vcc, s7, v0
	s_and_saveexec_b64 s[0:1], vcc
	s_cbranch_execnz .LBB233_26
	s_branch .LBB233_27
	.section	.rodata,"a",@progbits
	.p2align	6, 0x0
	.amdhsa_kernel _ZN2at6native29vectorized_elementwise_kernelILi16ENS0_13BinaryFunctorIN3c108BFloat16ES4_S4_ZNS0_12_GLOBAL__N_121threshold_kernel_implIS4_EEvRNS_18TensorIteratorBaseET_S9_EUlS4_S4_E_EESt5arrayIPcLm3EEEEviT0_T1_
		.amdhsa_group_segment_fixed_size 0
		.amdhsa_private_segment_fixed_size 0
		.amdhsa_kernarg_size 32
		.amdhsa_user_sgpr_count 6
		.amdhsa_user_sgpr_private_segment_buffer 1
		.amdhsa_user_sgpr_dispatch_ptr 0
		.amdhsa_user_sgpr_queue_ptr 0
		.amdhsa_user_sgpr_kernarg_segment_ptr 1
		.amdhsa_user_sgpr_dispatch_id 0
		.amdhsa_user_sgpr_flat_scratch_init 0
		.amdhsa_user_sgpr_private_segment_size 0
		.amdhsa_uses_dynamic_stack 0
		.amdhsa_system_sgpr_private_segment_wavefront_offset 0
		.amdhsa_system_sgpr_workgroup_id_x 1
		.amdhsa_system_sgpr_workgroup_id_y 0
		.amdhsa_system_sgpr_workgroup_id_z 0
		.amdhsa_system_sgpr_workgroup_info 0
		.amdhsa_system_vgpr_workitem_id 0
		.amdhsa_next_free_vgpr 24
		.amdhsa_next_free_sgpr 16
		.amdhsa_reserve_vcc 1
		.amdhsa_reserve_flat_scratch 0
		.amdhsa_float_round_mode_32 0
		.amdhsa_float_round_mode_16_64 0
		.amdhsa_float_denorm_mode_32 3
		.amdhsa_float_denorm_mode_16_64 3
		.amdhsa_dx10_clamp 1
		.amdhsa_ieee_mode 1
		.amdhsa_fp16_overflow 0
		.amdhsa_exception_fp_ieee_invalid_op 0
		.amdhsa_exception_fp_denorm_src 0
		.amdhsa_exception_fp_ieee_div_zero 0
		.amdhsa_exception_fp_ieee_overflow 0
		.amdhsa_exception_fp_ieee_underflow 0
		.amdhsa_exception_fp_ieee_inexact 0
		.amdhsa_exception_int_div_zero 0
	.end_amdhsa_kernel
	.section	.text._ZN2at6native29vectorized_elementwise_kernelILi16ENS0_13BinaryFunctorIN3c108BFloat16ES4_S4_ZNS0_12_GLOBAL__N_121threshold_kernel_implIS4_EEvRNS_18TensorIteratorBaseET_S9_EUlS4_S4_E_EESt5arrayIPcLm3EEEEviT0_T1_,"axG",@progbits,_ZN2at6native29vectorized_elementwise_kernelILi16ENS0_13BinaryFunctorIN3c108BFloat16ES4_S4_ZNS0_12_GLOBAL__N_121threshold_kernel_implIS4_EEvRNS_18TensorIteratorBaseET_S9_EUlS4_S4_E_EESt5arrayIPcLm3EEEEviT0_T1_,comdat
.Lfunc_end233:
	.size	_ZN2at6native29vectorized_elementwise_kernelILi16ENS0_13BinaryFunctorIN3c108BFloat16ES4_S4_ZNS0_12_GLOBAL__N_121threshold_kernel_implIS4_EEvRNS_18TensorIteratorBaseET_S9_EUlS4_S4_E_EESt5arrayIPcLm3EEEEviT0_T1_, .Lfunc_end233-_ZN2at6native29vectorized_elementwise_kernelILi16ENS0_13BinaryFunctorIN3c108BFloat16ES4_S4_ZNS0_12_GLOBAL__N_121threshold_kernel_implIS4_EEvRNS_18TensorIteratorBaseET_S9_EUlS4_S4_E_EESt5arrayIPcLm3EEEEviT0_T1_
                                        ; -- End function
	.set _ZN2at6native29vectorized_elementwise_kernelILi16ENS0_13BinaryFunctorIN3c108BFloat16ES4_S4_ZNS0_12_GLOBAL__N_121threshold_kernel_implIS4_EEvRNS_18TensorIteratorBaseET_S9_EUlS4_S4_E_EESt5arrayIPcLm3EEEEviT0_T1_.num_vgpr, 24
	.set _ZN2at6native29vectorized_elementwise_kernelILi16ENS0_13BinaryFunctorIN3c108BFloat16ES4_S4_ZNS0_12_GLOBAL__N_121threshold_kernel_implIS4_EEvRNS_18TensorIteratorBaseET_S9_EUlS4_S4_E_EESt5arrayIPcLm3EEEEviT0_T1_.num_agpr, 0
	.set _ZN2at6native29vectorized_elementwise_kernelILi16ENS0_13BinaryFunctorIN3c108BFloat16ES4_S4_ZNS0_12_GLOBAL__N_121threshold_kernel_implIS4_EEvRNS_18TensorIteratorBaseET_S9_EUlS4_S4_E_EESt5arrayIPcLm3EEEEviT0_T1_.numbered_sgpr, 16
	.set _ZN2at6native29vectorized_elementwise_kernelILi16ENS0_13BinaryFunctorIN3c108BFloat16ES4_S4_ZNS0_12_GLOBAL__N_121threshold_kernel_implIS4_EEvRNS_18TensorIteratorBaseET_S9_EUlS4_S4_E_EESt5arrayIPcLm3EEEEviT0_T1_.num_named_barrier, 0
	.set _ZN2at6native29vectorized_elementwise_kernelILi16ENS0_13BinaryFunctorIN3c108BFloat16ES4_S4_ZNS0_12_GLOBAL__N_121threshold_kernel_implIS4_EEvRNS_18TensorIteratorBaseET_S9_EUlS4_S4_E_EESt5arrayIPcLm3EEEEviT0_T1_.private_seg_size, 0
	.set _ZN2at6native29vectorized_elementwise_kernelILi16ENS0_13BinaryFunctorIN3c108BFloat16ES4_S4_ZNS0_12_GLOBAL__N_121threshold_kernel_implIS4_EEvRNS_18TensorIteratorBaseET_S9_EUlS4_S4_E_EESt5arrayIPcLm3EEEEviT0_T1_.uses_vcc, 1
	.set _ZN2at6native29vectorized_elementwise_kernelILi16ENS0_13BinaryFunctorIN3c108BFloat16ES4_S4_ZNS0_12_GLOBAL__N_121threshold_kernel_implIS4_EEvRNS_18TensorIteratorBaseET_S9_EUlS4_S4_E_EESt5arrayIPcLm3EEEEviT0_T1_.uses_flat_scratch, 0
	.set _ZN2at6native29vectorized_elementwise_kernelILi16ENS0_13BinaryFunctorIN3c108BFloat16ES4_S4_ZNS0_12_GLOBAL__N_121threshold_kernel_implIS4_EEvRNS_18TensorIteratorBaseET_S9_EUlS4_S4_E_EESt5arrayIPcLm3EEEEviT0_T1_.has_dyn_sized_stack, 0
	.set _ZN2at6native29vectorized_elementwise_kernelILi16ENS0_13BinaryFunctorIN3c108BFloat16ES4_S4_ZNS0_12_GLOBAL__N_121threshold_kernel_implIS4_EEvRNS_18TensorIteratorBaseET_S9_EUlS4_S4_E_EESt5arrayIPcLm3EEEEviT0_T1_.has_recursion, 0
	.set _ZN2at6native29vectorized_elementwise_kernelILi16ENS0_13BinaryFunctorIN3c108BFloat16ES4_S4_ZNS0_12_GLOBAL__N_121threshold_kernel_implIS4_EEvRNS_18TensorIteratorBaseET_S9_EUlS4_S4_E_EESt5arrayIPcLm3EEEEviT0_T1_.has_indirect_call, 0
	.section	.AMDGPU.csdata,"",@progbits
; Kernel info:
; codeLenInByte = 1956
; TotalNumSgprs: 20
; NumVgprs: 24
; ScratchSize: 0
; MemoryBound: 0
; FloatMode: 240
; IeeeMode: 1
; LDSByteSize: 0 bytes/workgroup (compile time only)
; SGPRBlocks: 2
; VGPRBlocks: 5
; NumSGPRsForWavesPerEU: 20
; NumVGPRsForWavesPerEU: 24
; Occupancy: 10
; WaveLimiterHint : 0
; COMPUTE_PGM_RSRC2:SCRATCH_EN: 0
; COMPUTE_PGM_RSRC2:USER_SGPR: 6
; COMPUTE_PGM_RSRC2:TRAP_HANDLER: 0
; COMPUTE_PGM_RSRC2:TGID_X_EN: 1
; COMPUTE_PGM_RSRC2:TGID_Y_EN: 0
; COMPUTE_PGM_RSRC2:TGID_Z_EN: 0
; COMPUTE_PGM_RSRC2:TIDIG_COMP_CNT: 0
	.section	.text._ZN2at6native29vectorized_elementwise_kernelILi8ENS0_13BinaryFunctorIN3c108BFloat16ES4_S4_ZNS0_12_GLOBAL__N_121threshold_kernel_implIS4_EEvRNS_18TensorIteratorBaseET_S9_EUlS4_S4_E_EESt5arrayIPcLm3EEEEviT0_T1_,"axG",@progbits,_ZN2at6native29vectorized_elementwise_kernelILi8ENS0_13BinaryFunctorIN3c108BFloat16ES4_S4_ZNS0_12_GLOBAL__N_121threshold_kernel_implIS4_EEvRNS_18TensorIteratorBaseET_S9_EUlS4_S4_E_EESt5arrayIPcLm3EEEEviT0_T1_,comdat
	.globl	_ZN2at6native29vectorized_elementwise_kernelILi8ENS0_13BinaryFunctorIN3c108BFloat16ES4_S4_ZNS0_12_GLOBAL__N_121threshold_kernel_implIS4_EEvRNS_18TensorIteratorBaseET_S9_EUlS4_S4_E_EESt5arrayIPcLm3EEEEviT0_T1_ ; -- Begin function _ZN2at6native29vectorized_elementwise_kernelILi8ENS0_13BinaryFunctorIN3c108BFloat16ES4_S4_ZNS0_12_GLOBAL__N_121threshold_kernel_implIS4_EEvRNS_18TensorIteratorBaseET_S9_EUlS4_S4_E_EESt5arrayIPcLm3EEEEviT0_T1_
	.p2align	8
	.type	_ZN2at6native29vectorized_elementwise_kernelILi8ENS0_13BinaryFunctorIN3c108BFloat16ES4_S4_ZNS0_12_GLOBAL__N_121threshold_kernel_implIS4_EEvRNS_18TensorIteratorBaseET_S9_EUlS4_S4_E_EESt5arrayIPcLm3EEEEviT0_T1_,@function
_ZN2at6native29vectorized_elementwise_kernelILi8ENS0_13BinaryFunctorIN3c108BFloat16ES4_S4_ZNS0_12_GLOBAL__N_121threshold_kernel_implIS4_EEvRNS_18TensorIteratorBaseET_S9_EUlS4_S4_E_EESt5arrayIPcLm3EEEEviT0_T1_: ; @_ZN2at6native29vectorized_elementwise_kernelILi8ENS0_13BinaryFunctorIN3c108BFloat16ES4_S4_ZNS0_12_GLOBAL__N_121threshold_kernel_implIS4_EEvRNS_18TensorIteratorBaseET_S9_EUlS4_S4_E_EESt5arrayIPcLm3EEEEviT0_T1_
; %bb.0:
	s_load_dwordx2 s[12:13], s[4:5], 0x0
	s_load_dwordx4 s[8:11], s[4:5], 0x8
	s_load_dwordx2 s[14:15], s[4:5], 0x18
	s_lshl_b32 s2, s6, 11
	s_mov_b64 s[0:1], -1
	s_waitcnt lgkmcnt(0)
	s_sub_i32 s7, s12, s2
	s_lshr_b32 s6, s13, 16
	s_cmpk_gt_i32 s7, 0x7ff
	s_cbranch_scc0 .LBB234_2
; %bb.1:
	s_ashr_i32 s3, s2, 31
	s_lshl_b64 s[0:1], s[2:3], 1
	s_add_u32 s4, s10, s0
	s_addc_u32 s5, s11, s1
	v_lshlrev_b32_e32 v9, 4, v0
	global_load_dwordx4 v[1:4], v9, s[4:5]
	s_add_u32 s4, s14, s0
	s_addc_u32 s5, s15, s1
	global_load_dwordx4 v[5:8], v9, s[4:5]
	s_lshl_b32 s4, s13, 16
	v_mov_b32_e32 v10, s6
	s_mov_b32 s3, 0x5040100
	s_add_u32 s0, s8, s0
	s_addc_u32 s1, s9, s1
	s_waitcnt vmcnt(1)
	v_and_b32_e32 v11, 0xffff0000, v1
	v_lshlrev_b32_e32 v1, 16, v1
	v_and_b32_e32 v12, 0xffff0000, v2
	v_lshlrev_b32_e32 v2, 16, v2
	v_cmp_ge_f32_e32 vcc, s4, v1
	v_and_b32_e32 v13, 0xffff0000, v3
	v_lshlrev_b32_e32 v3, 16, v3
	s_waitcnt vmcnt(0)
	v_cndmask_b32_e32 v1, v5, v10, vcc
	v_cmp_ge_f32_e32 vcc, s4, v2
	v_and_b32_e32 v14, 0xffff0000, v4
	v_lshlrev_b32_e32 v4, 16, v4
	v_cndmask_b32_e32 v2, v6, v10, vcc
	v_cmp_ge_f32_e32 vcc, s4, v3
	v_cndmask_b32_e32 v3, v7, v10, vcc
	v_cmp_ge_f32_e32 vcc, s4, v4
	v_lshrrev_b32_e32 v15, 16, v5
	v_cndmask_b32_e32 v4, v8, v10, vcc
	v_cmp_ge_f32_e32 vcc, s4, v11
	v_lshrrev_b32_e32 v5, 16, v6
	v_lshrrev_b32_e32 v6, 16, v7
	;; [unrolled: 1-line block ×3, first 2 shown]
	v_cndmask_b32_e32 v8, v15, v10, vcc
	v_cmp_ge_f32_e32 vcc, s4, v12
	v_cndmask_b32_e32 v5, v5, v10, vcc
	v_cmp_ge_f32_e32 vcc, s4, v13
	;; [unrolled: 2-line block ×3, first 2 shown]
	v_cndmask_b32_e32 v7, v7, v10, vcc
	v_perm_b32 v4, v7, v4, s3
	v_perm_b32 v3, v6, v3, s3
	;; [unrolled: 1-line block ×4, first 2 shown]
	global_store_dwordx4 v9, v[1:4], s[0:1]
	s_mov_b64 s[0:1], 0
.LBB234_2:
	s_andn2_b64 vcc, exec, s[0:1]
	s_cbranch_vccnz .LBB234_27
; %bb.3:
	v_cmp_gt_i32_e32 vcc, s7, v0
	v_mov_b32_e32 v2, 0
	v_mov_b32_e32 v3, 0
	v_or_b32_e32 v1, s2, v0
	v_mov_b32_e32 v4, 0
	v_mov_b32_e32 v14, v0
	s_and_saveexec_b64 s[4:5], vcc
	s_cbranch_execz .LBB234_5
; %bb.4:
	v_mov_b32_e32 v2, 0
	v_lshlrev_b64 v[4:5], 1, v[1:2]
	v_mov_b32_e32 v2, s15
	v_add_co_u32_e64 v6, s[0:1], s14, v4
	v_addc_co_u32_e64 v7, s[0:1], v2, v5, s[0:1]
	v_mov_b32_e32 v2, s11
	v_add_co_u32_e64 v4, s[0:1], s10, v4
	v_addc_co_u32_e64 v5, s[0:1], v2, v5, s[0:1]
	global_load_ushort v8, v[4:5], off
	global_load_ushort v2, v[6:7], off
	v_or_b32_e32 v14, 0x100, v0
	s_waitcnt vmcnt(1)
	v_lshlrev_b32_e32 v4, 16, v8
.LBB234_5:
	s_or_b64 exec, exec, s[4:5]
	v_cmp_gt_i32_e64 s[0:1], s7, v14
	v_mov_b32_e32 v6, 0
	s_and_saveexec_b64 s[4:5], s[0:1]
	s_cbranch_execz .LBB234_7
; %bb.6:
	v_add_u32_e32 v5, s2, v14
	v_mov_b32_e32 v6, 0
	v_lshlrev_b64 v[5:6], 1, v[5:6]
	v_mov_b32_e32 v8, s11
	v_add_co_u32_e64 v7, s[0:1], s10, v5
	v_addc_co_u32_e64 v8, s[0:1], v8, v6, s[0:1]
	v_mov_b32_e32 v3, s15
	v_add_co_u32_e64 v5, s[0:1], s14, v5
	global_load_ushort v7, v[7:8], off
	v_addc_co_u32_e64 v6, s[0:1], v3, v6, s[0:1]
	global_load_ushort v6, v[5:6], off
	v_add_u32_e32 v14, 0x100, v14
	s_waitcnt vmcnt(1)
	v_lshlrev_b32_e32 v3, 16, v7
.LBB234_7:
	s_or_b64 exec, exec, s[4:5]
	v_cmp_gt_i32_e64 s[0:1], s7, v14
	v_mov_b32_e32 v7, 0
	v_mov_b32_e32 v5, 0
	v_mov_b32_e32 v9, 0
	s_and_saveexec_b64 s[4:5], s[0:1]
	s_cbranch_execz .LBB234_9
; %bb.8:
	v_add_u32_e32 v7, s2, v14
	v_mov_b32_e32 v8, 0
	v_lshlrev_b64 v[7:8], 1, v[7:8]
	v_mov_b32_e32 v10, s11
	v_add_co_u32_e64 v9, s[0:1], s10, v7
	v_addc_co_u32_e64 v10, s[0:1], v10, v8, s[0:1]
	v_mov_b32_e32 v11, s15
	v_add_co_u32_e64 v7, s[0:1], s14, v7
	global_load_ushort v9, v[9:10], off
	v_addc_co_u32_e64 v8, s[0:1], v11, v8, s[0:1]
	global_load_ushort v7, v[7:8], off
	v_add_u32_e32 v14, 0x100, v14
	s_waitcnt vmcnt(1)
	v_lshlrev_b32_e32 v9, 16, v9
.LBB234_9:
	s_or_b64 exec, exec, s[4:5]
	v_cmp_gt_i32_e64 s[0:1], s7, v14
	v_mov_b32_e32 v10, 0
	s_and_saveexec_b64 s[4:5], s[0:1]
	s_cbranch_execz .LBB234_11
; %bb.10:
	v_add_u32_e32 v10, s2, v14
	v_mov_b32_e32 v11, 0
	v_lshlrev_b64 v[10:11], 1, v[10:11]
	v_mov_b32_e32 v8, s11
	v_add_co_u32_e64 v12, s[0:1], s10, v10
	v_addc_co_u32_e64 v13, s[0:1], v8, v11, s[0:1]
	v_mov_b32_e32 v5, s15
	v_add_co_u32_e64 v10, s[0:1], s14, v10
	global_load_ushort v8, v[12:13], off
	v_addc_co_u32_e64 v11, s[0:1], v5, v11, s[0:1]
	global_load_ushort v10, v[10:11], off
	v_add_u32_e32 v14, 0x100, v14
	s_waitcnt vmcnt(1)
	v_lshlrev_b32_e32 v5, 16, v8
.LBB234_11:
	s_or_b64 exec, exec, s[4:5]
	v_cmp_gt_i32_e64 s[0:1], s7, v14
	v_mov_b32_e32 v11, 0
	v_mov_b32_e32 v8, 0
	v_mov_b32_e32 v13, 0
	s_and_saveexec_b64 s[4:5], s[0:1]
	s_cbranch_execz .LBB234_13
; %bb.12:
	v_add_u32_e32 v11, s2, v14
	v_mov_b32_e32 v12, 0
	v_lshlrev_b64 v[11:12], 1, v[11:12]
	v_mov_b32_e32 v16, s11
	v_add_co_u32_e64 v15, s[0:1], s10, v11
	v_addc_co_u32_e64 v16, s[0:1], v16, v12, s[0:1]
	v_mov_b32_e32 v13, s15
	v_add_co_u32_e64 v11, s[0:1], s14, v11
	global_load_ushort v15, v[15:16], off
	v_addc_co_u32_e64 v12, s[0:1], v13, v12, s[0:1]
	global_load_ushort v11, v[11:12], off
	v_add_u32_e32 v14, 0x100, v14
	s_waitcnt vmcnt(1)
	v_lshlrev_b32_e32 v13, 16, v15
.LBB234_13:
	;; [unrolled: 44-line block ×3, first 2 shown]
	s_or_b64 exec, exec, s[4:5]
	v_cmp_gt_i32_e64 s[0:1], s7, v14
	v_mov_b32_e32 v18, 0
	s_and_saveexec_b64 s[4:5], s[0:1]
	s_cbranch_execnz .LBB234_28
; %bb.18:
	s_or_b64 exec, exec, s[4:5]
	s_lshl_b32 s3, s13, 16
	s_and_saveexec_b64 s[0:1], vcc
	s_cbranch_execnz .LBB234_29
.LBB234_19:
	s_or_b64 exec, exec, s[0:1]
	v_cmp_gt_i32_e32 vcc, s7, v0
	s_and_saveexec_b64 s[0:1], vcc
	s_cbranch_execnz .LBB234_30
.LBB234_20:
	s_or_b64 exec, exec, s[0:1]
	v_cmp_gt_i32_e32 vcc, s7, v0
	s_and_saveexec_b64 s[0:1], vcc
	s_cbranch_execnz .LBB234_31
.LBB234_21:
	s_or_b64 exec, exec, s[0:1]
	v_cmp_gt_i32_e32 vcc, s7, v0
	s_and_saveexec_b64 s[0:1], vcc
	s_cbranch_execnz .LBB234_32
.LBB234_22:
	s_or_b64 exec, exec, s[0:1]
	v_cmp_gt_i32_e32 vcc, s7, v0
	s_and_saveexec_b64 s[0:1], vcc
	s_cbranch_execnz .LBB234_33
.LBB234_23:
	s_or_b64 exec, exec, s[0:1]
	v_cmp_gt_i32_e32 vcc, s7, v0
	s_and_saveexec_b64 s[0:1], vcc
	s_cbranch_execnz .LBB234_34
.LBB234_24:
	s_or_b64 exec, exec, s[0:1]
	v_cmp_gt_i32_e32 vcc, s7, v0
	s_and_saveexec_b64 s[0:1], vcc
	s_cbranch_execnz .LBB234_35
.LBB234_25:
	s_or_b64 exec, exec, s[0:1]
	v_cmp_gt_i32_e32 vcc, s7, v0
	s_and_saveexec_b64 s[0:1], vcc
	s_cbranch_execz .LBB234_27
.LBB234_26:
	v_mov_b32_e32 v1, s6
	v_cmp_ge_f32_e32 vcc, s3, v12
	s_waitcnt vmcnt(0)
	v_cndmask_b32_e32 v2, v18, v1, vcc
	v_add_u32_e32 v0, s2, v0
	v_mov_b32_e32 v1, 0
	v_lshlrev_b64 v[0:1], 1, v[0:1]
	v_mov_b32_e32 v3, s9
	v_add_co_u32_e32 v0, vcc, s8, v0
	v_addc_co_u32_e32 v1, vcc, v3, v1, vcc
	global_store_short v[0:1], v2, off
.LBB234_27:
	s_endpgm
.LBB234_28:
	v_add_u32_e32 v18, s2, v14
	v_mov_b32_e32 v19, 0
	v_lshlrev_b64 v[18:19], 1, v[18:19]
	v_mov_b32_e32 v12, s15
	v_add_co_u32_e64 v20, s[0:1], s14, v18
	v_addc_co_u32_e64 v21, s[0:1], v12, v19, s[0:1]
	v_mov_b32_e32 v12, s11
	v_add_co_u32_e64 v22, s[0:1], s10, v18
	v_addc_co_u32_e64 v23, s[0:1], v12, v19, s[0:1]
	global_load_ushort v12, v[22:23], off
	global_load_ushort v18, v[20:21], off
	s_waitcnt vmcnt(1)
	v_lshlrev_b32_e32 v12, 16, v12
	s_or_b64 exec, exec, s[4:5]
	s_lshl_b32 s3, s13, 16
	s_and_saveexec_b64 s[0:1], vcc
	s_cbranch_execz .LBB234_19
.LBB234_29:
	v_mov_b32_e32 v14, s6
	v_cmp_ge_f32_e32 vcc, s3, v4
	s_waitcnt vmcnt(0)
	v_cndmask_b32_e32 v4, v2, v14, vcc
	v_mov_b32_e32 v2, 0
	v_lshlrev_b64 v[1:2], 1, v[1:2]
	v_mov_b32_e32 v14, s9
	v_add_co_u32_e32 v1, vcc, s8, v1
	v_or_b32_e32 v0, 0x100, v0
	v_addc_co_u32_e32 v2, vcc, v14, v2, vcc
	global_store_short v[1:2], v4, off
	s_or_b64 exec, exec, s[0:1]
	v_cmp_gt_i32_e32 vcc, s7, v0
	s_and_saveexec_b64 s[0:1], vcc
	s_cbranch_execz .LBB234_20
.LBB234_30:
	v_mov_b32_e32 v1, s6
	v_cmp_ge_f32_e32 vcc, s3, v3
	s_waitcnt vmcnt(0)
	v_cndmask_b32_e32 v3, v6, v1, vcc
	v_add_u32_e32 v1, s2, v0
	v_mov_b32_e32 v2, 0
	v_lshlrev_b64 v[1:2], 1, v[1:2]
	v_mov_b32_e32 v4, s9
	v_add_co_u32_e32 v1, vcc, s8, v1
	v_addc_co_u32_e32 v2, vcc, v4, v2, vcc
	v_add_u32_e32 v0, 0x100, v0
	global_store_short v[1:2], v3, off
	s_or_b64 exec, exec, s[0:1]
	v_cmp_gt_i32_e32 vcc, s7, v0
	s_and_saveexec_b64 s[0:1], vcc
	s_cbranch_execz .LBB234_21
.LBB234_31:
	v_mov_b32_e32 v1, s6
	v_cmp_ge_f32_e32 vcc, s3, v9
	s_waitcnt vmcnt(0)
	v_cndmask_b32_e32 v3, v7, v1, vcc
	v_add_u32_e32 v1, s2, v0
	v_mov_b32_e32 v2, 0
	v_lshlrev_b64 v[1:2], 1, v[1:2]
	v_mov_b32_e32 v4, s9
	v_add_co_u32_e32 v1, vcc, s8, v1
	v_addc_co_u32_e32 v2, vcc, v4, v2, vcc
	v_add_u32_e32 v0, 0x100, v0
	global_store_short v[1:2], v3, off
	s_or_b64 exec, exec, s[0:1]
	v_cmp_gt_i32_e32 vcc, s7, v0
	s_and_saveexec_b64 s[0:1], vcc
	s_cbranch_execz .LBB234_22
.LBB234_32:
	v_mov_b32_e32 v1, s6
	v_cmp_ge_f32_e32 vcc, s3, v5
	s_waitcnt vmcnt(0)
	v_cndmask_b32_e32 v3, v10, v1, vcc
	v_add_u32_e32 v1, s2, v0
	v_mov_b32_e32 v2, 0
	v_lshlrev_b64 v[1:2], 1, v[1:2]
	v_mov_b32_e32 v4, s9
	v_add_co_u32_e32 v1, vcc, s8, v1
	v_addc_co_u32_e32 v2, vcc, v4, v2, vcc
	v_add_u32_e32 v0, 0x100, v0
	global_store_short v[1:2], v3, off
	s_or_b64 exec, exec, s[0:1]
	v_cmp_gt_i32_e32 vcc, s7, v0
	s_and_saveexec_b64 s[0:1], vcc
	s_cbranch_execz .LBB234_23
.LBB234_33:
	v_mov_b32_e32 v1, s6
	v_cmp_ge_f32_e32 vcc, s3, v13
	s_waitcnt vmcnt(0)
	v_cndmask_b32_e32 v3, v11, v1, vcc
	v_add_u32_e32 v1, s2, v0
	v_mov_b32_e32 v2, 0
	v_lshlrev_b64 v[1:2], 1, v[1:2]
	v_mov_b32_e32 v4, s9
	v_add_co_u32_e32 v1, vcc, s8, v1
	v_addc_co_u32_e32 v2, vcc, v4, v2, vcc
	v_add_u32_e32 v0, 0x100, v0
	global_store_short v[1:2], v3, off
	s_or_b64 exec, exec, s[0:1]
	v_cmp_gt_i32_e32 vcc, s7, v0
	s_and_saveexec_b64 s[0:1], vcc
	s_cbranch_execz .LBB234_24
.LBB234_34:
	v_mov_b32_e32 v1, s6
	v_cmp_ge_f32_e32 vcc, s3, v8
	s_waitcnt vmcnt(0)
	v_cndmask_b32_e32 v3, v15, v1, vcc
	v_add_u32_e32 v1, s2, v0
	v_mov_b32_e32 v2, 0
	v_lshlrev_b64 v[1:2], 1, v[1:2]
	v_mov_b32_e32 v4, s9
	v_add_co_u32_e32 v1, vcc, s8, v1
	v_addc_co_u32_e32 v2, vcc, v4, v2, vcc
	v_add_u32_e32 v0, 0x100, v0
	global_store_short v[1:2], v3, off
	s_or_b64 exec, exec, s[0:1]
	v_cmp_gt_i32_e32 vcc, s7, v0
	s_and_saveexec_b64 s[0:1], vcc
	s_cbranch_execz .LBB234_25
.LBB234_35:
	v_mov_b32_e32 v1, s6
	v_cmp_ge_f32_e32 vcc, s3, v17
	s_waitcnt vmcnt(0)
	v_cndmask_b32_e32 v3, v16, v1, vcc
	v_add_u32_e32 v1, s2, v0
	v_mov_b32_e32 v2, 0
	v_lshlrev_b64 v[1:2], 1, v[1:2]
	v_mov_b32_e32 v4, s9
	v_add_co_u32_e32 v1, vcc, s8, v1
	v_addc_co_u32_e32 v2, vcc, v4, v2, vcc
	v_add_u32_e32 v0, 0x100, v0
	global_store_short v[1:2], v3, off
	s_or_b64 exec, exec, s[0:1]
	v_cmp_gt_i32_e32 vcc, s7, v0
	s_and_saveexec_b64 s[0:1], vcc
	s_cbranch_execnz .LBB234_26
	s_branch .LBB234_27
	.section	.rodata,"a",@progbits
	.p2align	6, 0x0
	.amdhsa_kernel _ZN2at6native29vectorized_elementwise_kernelILi8ENS0_13BinaryFunctorIN3c108BFloat16ES4_S4_ZNS0_12_GLOBAL__N_121threshold_kernel_implIS4_EEvRNS_18TensorIteratorBaseET_S9_EUlS4_S4_E_EESt5arrayIPcLm3EEEEviT0_T1_
		.amdhsa_group_segment_fixed_size 0
		.amdhsa_private_segment_fixed_size 0
		.amdhsa_kernarg_size 32
		.amdhsa_user_sgpr_count 6
		.amdhsa_user_sgpr_private_segment_buffer 1
		.amdhsa_user_sgpr_dispatch_ptr 0
		.amdhsa_user_sgpr_queue_ptr 0
		.amdhsa_user_sgpr_kernarg_segment_ptr 1
		.amdhsa_user_sgpr_dispatch_id 0
		.amdhsa_user_sgpr_flat_scratch_init 0
		.amdhsa_user_sgpr_private_segment_size 0
		.amdhsa_uses_dynamic_stack 0
		.amdhsa_system_sgpr_private_segment_wavefront_offset 0
		.amdhsa_system_sgpr_workgroup_id_x 1
		.amdhsa_system_sgpr_workgroup_id_y 0
		.amdhsa_system_sgpr_workgroup_id_z 0
		.amdhsa_system_sgpr_workgroup_info 0
		.amdhsa_system_vgpr_workitem_id 0
		.amdhsa_next_free_vgpr 24
		.amdhsa_next_free_sgpr 16
		.amdhsa_reserve_vcc 1
		.amdhsa_reserve_flat_scratch 0
		.amdhsa_float_round_mode_32 0
		.amdhsa_float_round_mode_16_64 0
		.amdhsa_float_denorm_mode_32 3
		.amdhsa_float_denorm_mode_16_64 3
		.amdhsa_dx10_clamp 1
		.amdhsa_ieee_mode 1
		.amdhsa_fp16_overflow 0
		.amdhsa_exception_fp_ieee_invalid_op 0
		.amdhsa_exception_fp_denorm_src 0
		.amdhsa_exception_fp_ieee_div_zero 0
		.amdhsa_exception_fp_ieee_overflow 0
		.amdhsa_exception_fp_ieee_underflow 0
		.amdhsa_exception_fp_ieee_inexact 0
		.amdhsa_exception_int_div_zero 0
	.end_amdhsa_kernel
	.section	.text._ZN2at6native29vectorized_elementwise_kernelILi8ENS0_13BinaryFunctorIN3c108BFloat16ES4_S4_ZNS0_12_GLOBAL__N_121threshold_kernel_implIS4_EEvRNS_18TensorIteratorBaseET_S9_EUlS4_S4_E_EESt5arrayIPcLm3EEEEviT0_T1_,"axG",@progbits,_ZN2at6native29vectorized_elementwise_kernelILi8ENS0_13BinaryFunctorIN3c108BFloat16ES4_S4_ZNS0_12_GLOBAL__N_121threshold_kernel_implIS4_EEvRNS_18TensorIteratorBaseET_S9_EUlS4_S4_E_EESt5arrayIPcLm3EEEEviT0_T1_,comdat
.Lfunc_end234:
	.size	_ZN2at6native29vectorized_elementwise_kernelILi8ENS0_13BinaryFunctorIN3c108BFloat16ES4_S4_ZNS0_12_GLOBAL__N_121threshold_kernel_implIS4_EEvRNS_18TensorIteratorBaseET_S9_EUlS4_S4_E_EESt5arrayIPcLm3EEEEviT0_T1_, .Lfunc_end234-_ZN2at6native29vectorized_elementwise_kernelILi8ENS0_13BinaryFunctorIN3c108BFloat16ES4_S4_ZNS0_12_GLOBAL__N_121threshold_kernel_implIS4_EEvRNS_18TensorIteratorBaseET_S9_EUlS4_S4_E_EESt5arrayIPcLm3EEEEviT0_T1_
                                        ; -- End function
	.set _ZN2at6native29vectorized_elementwise_kernelILi8ENS0_13BinaryFunctorIN3c108BFloat16ES4_S4_ZNS0_12_GLOBAL__N_121threshold_kernel_implIS4_EEvRNS_18TensorIteratorBaseET_S9_EUlS4_S4_E_EESt5arrayIPcLm3EEEEviT0_T1_.num_vgpr, 24
	.set _ZN2at6native29vectorized_elementwise_kernelILi8ENS0_13BinaryFunctorIN3c108BFloat16ES4_S4_ZNS0_12_GLOBAL__N_121threshold_kernel_implIS4_EEvRNS_18TensorIteratorBaseET_S9_EUlS4_S4_E_EESt5arrayIPcLm3EEEEviT0_T1_.num_agpr, 0
	.set _ZN2at6native29vectorized_elementwise_kernelILi8ENS0_13BinaryFunctorIN3c108BFloat16ES4_S4_ZNS0_12_GLOBAL__N_121threshold_kernel_implIS4_EEvRNS_18TensorIteratorBaseET_S9_EUlS4_S4_E_EESt5arrayIPcLm3EEEEviT0_T1_.numbered_sgpr, 16
	.set _ZN2at6native29vectorized_elementwise_kernelILi8ENS0_13BinaryFunctorIN3c108BFloat16ES4_S4_ZNS0_12_GLOBAL__N_121threshold_kernel_implIS4_EEvRNS_18TensorIteratorBaseET_S9_EUlS4_S4_E_EESt5arrayIPcLm3EEEEviT0_T1_.num_named_barrier, 0
	.set _ZN2at6native29vectorized_elementwise_kernelILi8ENS0_13BinaryFunctorIN3c108BFloat16ES4_S4_ZNS0_12_GLOBAL__N_121threshold_kernel_implIS4_EEvRNS_18TensorIteratorBaseET_S9_EUlS4_S4_E_EESt5arrayIPcLm3EEEEviT0_T1_.private_seg_size, 0
	.set _ZN2at6native29vectorized_elementwise_kernelILi8ENS0_13BinaryFunctorIN3c108BFloat16ES4_S4_ZNS0_12_GLOBAL__N_121threshold_kernel_implIS4_EEvRNS_18TensorIteratorBaseET_S9_EUlS4_S4_E_EESt5arrayIPcLm3EEEEviT0_T1_.uses_vcc, 1
	.set _ZN2at6native29vectorized_elementwise_kernelILi8ENS0_13BinaryFunctorIN3c108BFloat16ES4_S4_ZNS0_12_GLOBAL__N_121threshold_kernel_implIS4_EEvRNS_18TensorIteratorBaseET_S9_EUlS4_S4_E_EESt5arrayIPcLm3EEEEviT0_T1_.uses_flat_scratch, 0
	.set _ZN2at6native29vectorized_elementwise_kernelILi8ENS0_13BinaryFunctorIN3c108BFloat16ES4_S4_ZNS0_12_GLOBAL__N_121threshold_kernel_implIS4_EEvRNS_18TensorIteratorBaseET_S9_EUlS4_S4_E_EESt5arrayIPcLm3EEEEviT0_T1_.has_dyn_sized_stack, 0
	.set _ZN2at6native29vectorized_elementwise_kernelILi8ENS0_13BinaryFunctorIN3c108BFloat16ES4_S4_ZNS0_12_GLOBAL__N_121threshold_kernel_implIS4_EEvRNS_18TensorIteratorBaseET_S9_EUlS4_S4_E_EESt5arrayIPcLm3EEEEviT0_T1_.has_recursion, 0
	.set _ZN2at6native29vectorized_elementwise_kernelILi8ENS0_13BinaryFunctorIN3c108BFloat16ES4_S4_ZNS0_12_GLOBAL__N_121threshold_kernel_implIS4_EEvRNS_18TensorIteratorBaseET_S9_EUlS4_S4_E_EESt5arrayIPcLm3EEEEviT0_T1_.has_indirect_call, 0
	.section	.AMDGPU.csdata,"",@progbits
; Kernel info:
; codeLenInByte = 1956
; TotalNumSgprs: 20
; NumVgprs: 24
; ScratchSize: 0
; MemoryBound: 0
; FloatMode: 240
; IeeeMode: 1
; LDSByteSize: 0 bytes/workgroup (compile time only)
; SGPRBlocks: 2
; VGPRBlocks: 5
; NumSGPRsForWavesPerEU: 20
; NumVGPRsForWavesPerEU: 24
; Occupancy: 10
; WaveLimiterHint : 0
; COMPUTE_PGM_RSRC2:SCRATCH_EN: 0
; COMPUTE_PGM_RSRC2:USER_SGPR: 6
; COMPUTE_PGM_RSRC2:TRAP_HANDLER: 0
; COMPUTE_PGM_RSRC2:TGID_X_EN: 1
; COMPUTE_PGM_RSRC2:TGID_Y_EN: 0
; COMPUTE_PGM_RSRC2:TGID_Z_EN: 0
; COMPUTE_PGM_RSRC2:TIDIG_COMP_CNT: 0
	.section	.text._ZN2at6native29vectorized_elementwise_kernelILi4ENS0_13BinaryFunctorIN3c108BFloat16ES4_S4_ZNS0_12_GLOBAL__N_121threshold_kernel_implIS4_EEvRNS_18TensorIteratorBaseET_S9_EUlS4_S4_E_EESt5arrayIPcLm3EEEEviT0_T1_,"axG",@progbits,_ZN2at6native29vectorized_elementwise_kernelILi4ENS0_13BinaryFunctorIN3c108BFloat16ES4_S4_ZNS0_12_GLOBAL__N_121threshold_kernel_implIS4_EEvRNS_18TensorIteratorBaseET_S9_EUlS4_S4_E_EESt5arrayIPcLm3EEEEviT0_T1_,comdat
	.globl	_ZN2at6native29vectorized_elementwise_kernelILi4ENS0_13BinaryFunctorIN3c108BFloat16ES4_S4_ZNS0_12_GLOBAL__N_121threshold_kernel_implIS4_EEvRNS_18TensorIteratorBaseET_S9_EUlS4_S4_E_EESt5arrayIPcLm3EEEEviT0_T1_ ; -- Begin function _ZN2at6native29vectorized_elementwise_kernelILi4ENS0_13BinaryFunctorIN3c108BFloat16ES4_S4_ZNS0_12_GLOBAL__N_121threshold_kernel_implIS4_EEvRNS_18TensorIteratorBaseET_S9_EUlS4_S4_E_EESt5arrayIPcLm3EEEEviT0_T1_
	.p2align	8
	.type	_ZN2at6native29vectorized_elementwise_kernelILi4ENS0_13BinaryFunctorIN3c108BFloat16ES4_S4_ZNS0_12_GLOBAL__N_121threshold_kernel_implIS4_EEvRNS_18TensorIteratorBaseET_S9_EUlS4_S4_E_EESt5arrayIPcLm3EEEEviT0_T1_,@function
_ZN2at6native29vectorized_elementwise_kernelILi4ENS0_13BinaryFunctorIN3c108BFloat16ES4_S4_ZNS0_12_GLOBAL__N_121threshold_kernel_implIS4_EEvRNS_18TensorIteratorBaseET_S9_EUlS4_S4_E_EESt5arrayIPcLm3EEEEviT0_T1_: ; @_ZN2at6native29vectorized_elementwise_kernelILi4ENS0_13BinaryFunctorIN3c108BFloat16ES4_S4_ZNS0_12_GLOBAL__N_121threshold_kernel_implIS4_EEvRNS_18TensorIteratorBaseET_S9_EUlS4_S4_E_EESt5arrayIPcLm3EEEEviT0_T1_
; %bb.0:
	s_load_dwordx2 s[12:13], s[4:5], 0x0
	s_load_dwordx4 s[8:11], s[4:5], 0x8
	s_load_dwordx2 s[14:15], s[4:5], 0x18
	s_lshl_b32 s2, s6, 11
	s_mov_b64 s[0:1], -1
	s_waitcnt lgkmcnt(0)
	s_sub_i32 s7, s12, s2
	s_lshr_b32 s6, s13, 16
	s_cmpk_gt_i32 s7, 0x7ff
	s_cbranch_scc0 .LBB235_2
; %bb.1:
	s_ashr_i32 s3, s2, 31
	s_lshl_b64 s[0:1], s[2:3], 1
	s_add_u32 s4, s10, s0
	s_addc_u32 s5, s11, s1
	v_lshlrev_b32_e32 v9, 3, v0
	global_load_dwordx2 v[1:2], v9, s[4:5]
	global_load_dwordx2 v[3:4], v9, s[4:5] offset:2048
	s_add_u32 s4, s14, s0
	s_addc_u32 s5, s15, s1
	global_load_dwordx2 v[5:6], v9, s[4:5]
	global_load_dwordx2 v[7:8], v9, s[4:5] offset:2048
	s_lshl_b32 s3, s13, 16
	v_mov_b32_e32 v10, s6
	s_add_u32 s0, s8, s0
	s_addc_u32 s1, s9, s1
	s_waitcnt vmcnt(3)
	v_and_b32_e32 v11, 0xffff0000, v1
	v_lshlrev_b32_e32 v1, 16, v1
	v_and_b32_e32 v12, 0xffff0000, v2
	v_lshlrev_b32_e32 v2, 16, v2
	v_cmp_ge_f32_e32 vcc, s3, v1
	s_waitcnt vmcnt(2)
	v_and_b32_e32 v13, 0xffff0000, v3
	v_lshlrev_b32_e32 v3, 16, v3
	s_waitcnt vmcnt(1)
	v_cndmask_b32_e32 v1, v5, v10, vcc
	v_cmp_ge_f32_e32 vcc, s3, v2
	v_and_b32_e32 v14, 0xffff0000, v4
	v_lshlrev_b32_e32 v4, 16, v4
	v_cndmask_b32_e32 v2, v6, v10, vcc
	v_cmp_ge_f32_e32 vcc, s3, v3
	s_waitcnt vmcnt(0)
	v_cndmask_b32_e32 v3, v7, v10, vcc
	v_cmp_ge_f32_e32 vcc, s3, v4
	v_lshrrev_b32_e32 v15, 16, v5
	v_cndmask_b32_e32 v4, v8, v10, vcc
	v_cmp_ge_f32_e32 vcc, s3, v11
	v_lshrrev_b32_e32 v16, 16, v6
	;; [unrolled: 3-line block ×4, first 2 shown]
	v_and_b32_e32 v1, 0xffff, v1
	v_cndmask_b32_e32 v7, v17, v10, vcc
	v_cmp_ge_f32_e32 vcc, s3, v14
	v_lshlrev_b32_e32 v5, 16, v5
	v_and_b32_e32 v2, 0xffff, v2
	v_and_b32_e32 v3, 0xffff, v3
	v_cndmask_b32_e32 v8, v18, v10, vcc
	v_lshlrev_b32_e32 v6, 16, v6
	v_lshlrev_b32_e32 v7, 16, v7
	v_or_b32_e32 v1, v5, v1
	v_and_b32_e32 v4, 0xffff, v4
	v_lshlrev_b32_e32 v8, 16, v8
	v_or3_b32 v2, 0, v2, v6
	v_or_b32_e32 v3, v7, v3
	v_or3_b32 v1, v1, 0, 0
	v_or3_b32 v4, 0, v4, v8
	;; [unrolled: 1-line block ×3, first 2 shown]
	global_store_dwordx2 v9, v[1:2], s[0:1]
	global_store_dwordx2 v9, v[3:4], s[0:1] offset:2048
	s_mov_b64 s[0:1], 0
.LBB235_2:
	s_andn2_b64 vcc, exec, s[0:1]
	s_cbranch_vccnz .LBB235_27
; %bb.3:
	v_cmp_gt_i32_e32 vcc, s7, v0
	v_mov_b32_e32 v2, 0
	v_mov_b32_e32 v3, 0
	v_or_b32_e32 v1, s2, v0
	v_mov_b32_e32 v4, 0
	v_mov_b32_e32 v14, v0
	s_and_saveexec_b64 s[4:5], vcc
	s_cbranch_execz .LBB235_5
; %bb.4:
	v_mov_b32_e32 v2, 0
	v_lshlrev_b64 v[4:5], 1, v[1:2]
	v_mov_b32_e32 v2, s15
	v_add_co_u32_e64 v6, s[0:1], s14, v4
	v_addc_co_u32_e64 v7, s[0:1], v2, v5, s[0:1]
	v_mov_b32_e32 v2, s11
	v_add_co_u32_e64 v4, s[0:1], s10, v4
	v_addc_co_u32_e64 v5, s[0:1], v2, v5, s[0:1]
	global_load_ushort v8, v[4:5], off
	global_load_ushort v2, v[6:7], off
	v_or_b32_e32 v14, 0x100, v0
	s_waitcnt vmcnt(1)
	v_lshlrev_b32_e32 v4, 16, v8
.LBB235_5:
	s_or_b64 exec, exec, s[4:5]
	v_cmp_gt_i32_e64 s[0:1], s7, v14
	v_mov_b32_e32 v6, 0
	s_and_saveexec_b64 s[4:5], s[0:1]
	s_cbranch_execz .LBB235_7
; %bb.6:
	v_add_u32_e32 v5, s2, v14
	v_mov_b32_e32 v6, 0
	v_lshlrev_b64 v[5:6], 1, v[5:6]
	v_mov_b32_e32 v8, s11
	v_add_co_u32_e64 v7, s[0:1], s10, v5
	v_addc_co_u32_e64 v8, s[0:1], v8, v6, s[0:1]
	v_mov_b32_e32 v3, s15
	v_add_co_u32_e64 v5, s[0:1], s14, v5
	global_load_ushort v7, v[7:8], off
	v_addc_co_u32_e64 v6, s[0:1], v3, v6, s[0:1]
	global_load_ushort v6, v[5:6], off
	v_add_u32_e32 v14, 0x100, v14
	s_waitcnt vmcnt(1)
	v_lshlrev_b32_e32 v3, 16, v7
.LBB235_7:
	s_or_b64 exec, exec, s[4:5]
	v_cmp_gt_i32_e64 s[0:1], s7, v14
	v_mov_b32_e32 v7, 0
	v_mov_b32_e32 v5, 0
	v_mov_b32_e32 v9, 0
	s_and_saveexec_b64 s[4:5], s[0:1]
	s_cbranch_execz .LBB235_9
; %bb.8:
	v_add_u32_e32 v7, s2, v14
	v_mov_b32_e32 v8, 0
	v_lshlrev_b64 v[7:8], 1, v[7:8]
	v_mov_b32_e32 v10, s11
	v_add_co_u32_e64 v9, s[0:1], s10, v7
	v_addc_co_u32_e64 v10, s[0:1], v10, v8, s[0:1]
	v_mov_b32_e32 v11, s15
	v_add_co_u32_e64 v7, s[0:1], s14, v7
	global_load_ushort v9, v[9:10], off
	v_addc_co_u32_e64 v8, s[0:1], v11, v8, s[0:1]
	global_load_ushort v7, v[7:8], off
	v_add_u32_e32 v14, 0x100, v14
	s_waitcnt vmcnt(1)
	v_lshlrev_b32_e32 v9, 16, v9
.LBB235_9:
	s_or_b64 exec, exec, s[4:5]
	v_cmp_gt_i32_e64 s[0:1], s7, v14
	v_mov_b32_e32 v10, 0
	s_and_saveexec_b64 s[4:5], s[0:1]
	s_cbranch_execz .LBB235_11
; %bb.10:
	v_add_u32_e32 v10, s2, v14
	v_mov_b32_e32 v11, 0
	v_lshlrev_b64 v[10:11], 1, v[10:11]
	v_mov_b32_e32 v8, s11
	v_add_co_u32_e64 v12, s[0:1], s10, v10
	v_addc_co_u32_e64 v13, s[0:1], v8, v11, s[0:1]
	v_mov_b32_e32 v5, s15
	v_add_co_u32_e64 v10, s[0:1], s14, v10
	global_load_ushort v8, v[12:13], off
	v_addc_co_u32_e64 v11, s[0:1], v5, v11, s[0:1]
	global_load_ushort v10, v[10:11], off
	v_add_u32_e32 v14, 0x100, v14
	s_waitcnt vmcnt(1)
	v_lshlrev_b32_e32 v5, 16, v8
.LBB235_11:
	s_or_b64 exec, exec, s[4:5]
	v_cmp_gt_i32_e64 s[0:1], s7, v14
	v_mov_b32_e32 v11, 0
	v_mov_b32_e32 v8, 0
	v_mov_b32_e32 v13, 0
	s_and_saveexec_b64 s[4:5], s[0:1]
	s_cbranch_execz .LBB235_13
; %bb.12:
	v_add_u32_e32 v11, s2, v14
	v_mov_b32_e32 v12, 0
	v_lshlrev_b64 v[11:12], 1, v[11:12]
	v_mov_b32_e32 v16, s11
	v_add_co_u32_e64 v15, s[0:1], s10, v11
	v_addc_co_u32_e64 v16, s[0:1], v16, v12, s[0:1]
	v_mov_b32_e32 v13, s15
	v_add_co_u32_e64 v11, s[0:1], s14, v11
	global_load_ushort v15, v[15:16], off
	v_addc_co_u32_e64 v12, s[0:1], v13, v12, s[0:1]
	global_load_ushort v11, v[11:12], off
	v_add_u32_e32 v14, 0x100, v14
	s_waitcnt vmcnt(1)
	v_lshlrev_b32_e32 v13, 16, v15
.LBB235_13:
	;; [unrolled: 44-line block ×3, first 2 shown]
	s_or_b64 exec, exec, s[4:5]
	v_cmp_gt_i32_e64 s[0:1], s7, v14
	v_mov_b32_e32 v18, 0
	s_and_saveexec_b64 s[4:5], s[0:1]
	s_cbranch_execnz .LBB235_28
; %bb.18:
	s_or_b64 exec, exec, s[4:5]
	s_lshl_b32 s3, s13, 16
	s_and_saveexec_b64 s[0:1], vcc
	s_cbranch_execnz .LBB235_29
.LBB235_19:
	s_or_b64 exec, exec, s[0:1]
	v_cmp_gt_i32_e32 vcc, s7, v0
	s_and_saveexec_b64 s[0:1], vcc
	s_cbranch_execnz .LBB235_30
.LBB235_20:
	s_or_b64 exec, exec, s[0:1]
	v_cmp_gt_i32_e32 vcc, s7, v0
	s_and_saveexec_b64 s[0:1], vcc
	s_cbranch_execnz .LBB235_31
.LBB235_21:
	s_or_b64 exec, exec, s[0:1]
	v_cmp_gt_i32_e32 vcc, s7, v0
	s_and_saveexec_b64 s[0:1], vcc
	s_cbranch_execnz .LBB235_32
.LBB235_22:
	s_or_b64 exec, exec, s[0:1]
	v_cmp_gt_i32_e32 vcc, s7, v0
	s_and_saveexec_b64 s[0:1], vcc
	s_cbranch_execnz .LBB235_33
.LBB235_23:
	s_or_b64 exec, exec, s[0:1]
	v_cmp_gt_i32_e32 vcc, s7, v0
	s_and_saveexec_b64 s[0:1], vcc
	s_cbranch_execnz .LBB235_34
.LBB235_24:
	s_or_b64 exec, exec, s[0:1]
	v_cmp_gt_i32_e32 vcc, s7, v0
	s_and_saveexec_b64 s[0:1], vcc
	s_cbranch_execnz .LBB235_35
.LBB235_25:
	s_or_b64 exec, exec, s[0:1]
	v_cmp_gt_i32_e32 vcc, s7, v0
	s_and_saveexec_b64 s[0:1], vcc
	s_cbranch_execz .LBB235_27
.LBB235_26:
	v_mov_b32_e32 v1, s6
	v_cmp_ge_f32_e32 vcc, s3, v12
	s_waitcnt vmcnt(0)
	v_cndmask_b32_e32 v2, v18, v1, vcc
	v_add_u32_e32 v0, s2, v0
	v_mov_b32_e32 v1, 0
	v_lshlrev_b64 v[0:1], 1, v[0:1]
	v_mov_b32_e32 v3, s9
	v_add_co_u32_e32 v0, vcc, s8, v0
	v_addc_co_u32_e32 v1, vcc, v3, v1, vcc
	global_store_short v[0:1], v2, off
.LBB235_27:
	s_endpgm
.LBB235_28:
	v_add_u32_e32 v18, s2, v14
	v_mov_b32_e32 v19, 0
	v_lshlrev_b64 v[18:19], 1, v[18:19]
	v_mov_b32_e32 v12, s15
	v_add_co_u32_e64 v20, s[0:1], s14, v18
	v_addc_co_u32_e64 v21, s[0:1], v12, v19, s[0:1]
	v_mov_b32_e32 v12, s11
	v_add_co_u32_e64 v22, s[0:1], s10, v18
	v_addc_co_u32_e64 v23, s[0:1], v12, v19, s[0:1]
	global_load_ushort v12, v[22:23], off
	global_load_ushort v18, v[20:21], off
	s_waitcnt vmcnt(1)
	v_lshlrev_b32_e32 v12, 16, v12
	s_or_b64 exec, exec, s[4:5]
	s_lshl_b32 s3, s13, 16
	s_and_saveexec_b64 s[0:1], vcc
	s_cbranch_execz .LBB235_19
.LBB235_29:
	v_mov_b32_e32 v14, s6
	v_cmp_ge_f32_e32 vcc, s3, v4
	s_waitcnt vmcnt(0)
	v_cndmask_b32_e32 v4, v2, v14, vcc
	v_mov_b32_e32 v2, 0
	v_lshlrev_b64 v[1:2], 1, v[1:2]
	v_mov_b32_e32 v14, s9
	v_add_co_u32_e32 v1, vcc, s8, v1
	v_or_b32_e32 v0, 0x100, v0
	v_addc_co_u32_e32 v2, vcc, v14, v2, vcc
	global_store_short v[1:2], v4, off
	s_or_b64 exec, exec, s[0:1]
	v_cmp_gt_i32_e32 vcc, s7, v0
	s_and_saveexec_b64 s[0:1], vcc
	s_cbranch_execz .LBB235_20
.LBB235_30:
	v_mov_b32_e32 v1, s6
	v_cmp_ge_f32_e32 vcc, s3, v3
	s_waitcnt vmcnt(0)
	v_cndmask_b32_e32 v3, v6, v1, vcc
	v_add_u32_e32 v1, s2, v0
	v_mov_b32_e32 v2, 0
	v_lshlrev_b64 v[1:2], 1, v[1:2]
	v_mov_b32_e32 v4, s9
	v_add_co_u32_e32 v1, vcc, s8, v1
	v_addc_co_u32_e32 v2, vcc, v4, v2, vcc
	v_add_u32_e32 v0, 0x100, v0
	global_store_short v[1:2], v3, off
	s_or_b64 exec, exec, s[0:1]
	v_cmp_gt_i32_e32 vcc, s7, v0
	s_and_saveexec_b64 s[0:1], vcc
	s_cbranch_execz .LBB235_21
.LBB235_31:
	v_mov_b32_e32 v1, s6
	v_cmp_ge_f32_e32 vcc, s3, v9
	s_waitcnt vmcnt(0)
	v_cndmask_b32_e32 v3, v7, v1, vcc
	v_add_u32_e32 v1, s2, v0
	v_mov_b32_e32 v2, 0
	v_lshlrev_b64 v[1:2], 1, v[1:2]
	v_mov_b32_e32 v4, s9
	v_add_co_u32_e32 v1, vcc, s8, v1
	v_addc_co_u32_e32 v2, vcc, v4, v2, vcc
	v_add_u32_e32 v0, 0x100, v0
	global_store_short v[1:2], v3, off
	s_or_b64 exec, exec, s[0:1]
	v_cmp_gt_i32_e32 vcc, s7, v0
	s_and_saveexec_b64 s[0:1], vcc
	s_cbranch_execz .LBB235_22
.LBB235_32:
	v_mov_b32_e32 v1, s6
	v_cmp_ge_f32_e32 vcc, s3, v5
	s_waitcnt vmcnt(0)
	v_cndmask_b32_e32 v3, v10, v1, vcc
	v_add_u32_e32 v1, s2, v0
	v_mov_b32_e32 v2, 0
	v_lshlrev_b64 v[1:2], 1, v[1:2]
	v_mov_b32_e32 v4, s9
	v_add_co_u32_e32 v1, vcc, s8, v1
	v_addc_co_u32_e32 v2, vcc, v4, v2, vcc
	v_add_u32_e32 v0, 0x100, v0
	global_store_short v[1:2], v3, off
	s_or_b64 exec, exec, s[0:1]
	v_cmp_gt_i32_e32 vcc, s7, v0
	s_and_saveexec_b64 s[0:1], vcc
	s_cbranch_execz .LBB235_23
.LBB235_33:
	v_mov_b32_e32 v1, s6
	v_cmp_ge_f32_e32 vcc, s3, v13
	s_waitcnt vmcnt(0)
	v_cndmask_b32_e32 v3, v11, v1, vcc
	v_add_u32_e32 v1, s2, v0
	v_mov_b32_e32 v2, 0
	v_lshlrev_b64 v[1:2], 1, v[1:2]
	v_mov_b32_e32 v4, s9
	v_add_co_u32_e32 v1, vcc, s8, v1
	v_addc_co_u32_e32 v2, vcc, v4, v2, vcc
	v_add_u32_e32 v0, 0x100, v0
	global_store_short v[1:2], v3, off
	s_or_b64 exec, exec, s[0:1]
	v_cmp_gt_i32_e32 vcc, s7, v0
	s_and_saveexec_b64 s[0:1], vcc
	s_cbranch_execz .LBB235_24
.LBB235_34:
	v_mov_b32_e32 v1, s6
	v_cmp_ge_f32_e32 vcc, s3, v8
	s_waitcnt vmcnt(0)
	v_cndmask_b32_e32 v3, v15, v1, vcc
	v_add_u32_e32 v1, s2, v0
	v_mov_b32_e32 v2, 0
	v_lshlrev_b64 v[1:2], 1, v[1:2]
	v_mov_b32_e32 v4, s9
	v_add_co_u32_e32 v1, vcc, s8, v1
	v_addc_co_u32_e32 v2, vcc, v4, v2, vcc
	v_add_u32_e32 v0, 0x100, v0
	global_store_short v[1:2], v3, off
	s_or_b64 exec, exec, s[0:1]
	v_cmp_gt_i32_e32 vcc, s7, v0
	s_and_saveexec_b64 s[0:1], vcc
	s_cbranch_execz .LBB235_25
.LBB235_35:
	v_mov_b32_e32 v1, s6
	v_cmp_ge_f32_e32 vcc, s3, v17
	s_waitcnt vmcnt(0)
	v_cndmask_b32_e32 v3, v16, v1, vcc
	v_add_u32_e32 v1, s2, v0
	v_mov_b32_e32 v2, 0
	v_lshlrev_b64 v[1:2], 1, v[1:2]
	v_mov_b32_e32 v4, s9
	v_add_co_u32_e32 v1, vcc, s8, v1
	v_addc_co_u32_e32 v2, vcc, v4, v2, vcc
	v_add_u32_e32 v0, 0x100, v0
	global_store_short v[1:2], v3, off
	s_or_b64 exec, exec, s[0:1]
	v_cmp_gt_i32_e32 vcc, s7, v0
	s_and_saveexec_b64 s[0:1], vcc
	s_cbranch_execnz .LBB235_26
	s_branch .LBB235_27
	.section	.rodata,"a",@progbits
	.p2align	6, 0x0
	.amdhsa_kernel _ZN2at6native29vectorized_elementwise_kernelILi4ENS0_13BinaryFunctorIN3c108BFloat16ES4_S4_ZNS0_12_GLOBAL__N_121threshold_kernel_implIS4_EEvRNS_18TensorIteratorBaseET_S9_EUlS4_S4_E_EESt5arrayIPcLm3EEEEviT0_T1_
		.amdhsa_group_segment_fixed_size 0
		.amdhsa_private_segment_fixed_size 0
		.amdhsa_kernarg_size 32
		.amdhsa_user_sgpr_count 6
		.amdhsa_user_sgpr_private_segment_buffer 1
		.amdhsa_user_sgpr_dispatch_ptr 0
		.amdhsa_user_sgpr_queue_ptr 0
		.amdhsa_user_sgpr_kernarg_segment_ptr 1
		.amdhsa_user_sgpr_dispatch_id 0
		.amdhsa_user_sgpr_flat_scratch_init 0
		.amdhsa_user_sgpr_private_segment_size 0
		.amdhsa_uses_dynamic_stack 0
		.amdhsa_system_sgpr_private_segment_wavefront_offset 0
		.amdhsa_system_sgpr_workgroup_id_x 1
		.amdhsa_system_sgpr_workgroup_id_y 0
		.amdhsa_system_sgpr_workgroup_id_z 0
		.amdhsa_system_sgpr_workgroup_info 0
		.amdhsa_system_vgpr_workitem_id 0
		.amdhsa_next_free_vgpr 24
		.amdhsa_next_free_sgpr 16
		.amdhsa_reserve_vcc 1
		.amdhsa_reserve_flat_scratch 0
		.amdhsa_float_round_mode_32 0
		.amdhsa_float_round_mode_16_64 0
		.amdhsa_float_denorm_mode_32 3
		.amdhsa_float_denorm_mode_16_64 3
		.amdhsa_dx10_clamp 1
		.amdhsa_ieee_mode 1
		.amdhsa_fp16_overflow 0
		.amdhsa_exception_fp_ieee_invalid_op 0
		.amdhsa_exception_fp_denorm_src 0
		.amdhsa_exception_fp_ieee_div_zero 0
		.amdhsa_exception_fp_ieee_overflow 0
		.amdhsa_exception_fp_ieee_underflow 0
		.amdhsa_exception_fp_ieee_inexact 0
		.amdhsa_exception_int_div_zero 0
	.end_amdhsa_kernel
	.section	.text._ZN2at6native29vectorized_elementwise_kernelILi4ENS0_13BinaryFunctorIN3c108BFloat16ES4_S4_ZNS0_12_GLOBAL__N_121threshold_kernel_implIS4_EEvRNS_18TensorIteratorBaseET_S9_EUlS4_S4_E_EESt5arrayIPcLm3EEEEviT0_T1_,"axG",@progbits,_ZN2at6native29vectorized_elementwise_kernelILi4ENS0_13BinaryFunctorIN3c108BFloat16ES4_S4_ZNS0_12_GLOBAL__N_121threshold_kernel_implIS4_EEvRNS_18TensorIteratorBaseET_S9_EUlS4_S4_E_EESt5arrayIPcLm3EEEEviT0_T1_,comdat
.Lfunc_end235:
	.size	_ZN2at6native29vectorized_elementwise_kernelILi4ENS0_13BinaryFunctorIN3c108BFloat16ES4_S4_ZNS0_12_GLOBAL__N_121threshold_kernel_implIS4_EEvRNS_18TensorIteratorBaseET_S9_EUlS4_S4_E_EESt5arrayIPcLm3EEEEviT0_T1_, .Lfunc_end235-_ZN2at6native29vectorized_elementwise_kernelILi4ENS0_13BinaryFunctorIN3c108BFloat16ES4_S4_ZNS0_12_GLOBAL__N_121threshold_kernel_implIS4_EEvRNS_18TensorIteratorBaseET_S9_EUlS4_S4_E_EESt5arrayIPcLm3EEEEviT0_T1_
                                        ; -- End function
	.set _ZN2at6native29vectorized_elementwise_kernelILi4ENS0_13BinaryFunctorIN3c108BFloat16ES4_S4_ZNS0_12_GLOBAL__N_121threshold_kernel_implIS4_EEvRNS_18TensorIteratorBaseET_S9_EUlS4_S4_E_EESt5arrayIPcLm3EEEEviT0_T1_.num_vgpr, 24
	.set _ZN2at6native29vectorized_elementwise_kernelILi4ENS0_13BinaryFunctorIN3c108BFloat16ES4_S4_ZNS0_12_GLOBAL__N_121threshold_kernel_implIS4_EEvRNS_18TensorIteratorBaseET_S9_EUlS4_S4_E_EESt5arrayIPcLm3EEEEviT0_T1_.num_agpr, 0
	.set _ZN2at6native29vectorized_elementwise_kernelILi4ENS0_13BinaryFunctorIN3c108BFloat16ES4_S4_ZNS0_12_GLOBAL__N_121threshold_kernel_implIS4_EEvRNS_18TensorIteratorBaseET_S9_EUlS4_S4_E_EESt5arrayIPcLm3EEEEviT0_T1_.numbered_sgpr, 16
	.set _ZN2at6native29vectorized_elementwise_kernelILi4ENS0_13BinaryFunctorIN3c108BFloat16ES4_S4_ZNS0_12_GLOBAL__N_121threshold_kernel_implIS4_EEvRNS_18TensorIteratorBaseET_S9_EUlS4_S4_E_EESt5arrayIPcLm3EEEEviT0_T1_.num_named_barrier, 0
	.set _ZN2at6native29vectorized_elementwise_kernelILi4ENS0_13BinaryFunctorIN3c108BFloat16ES4_S4_ZNS0_12_GLOBAL__N_121threshold_kernel_implIS4_EEvRNS_18TensorIteratorBaseET_S9_EUlS4_S4_E_EESt5arrayIPcLm3EEEEviT0_T1_.private_seg_size, 0
	.set _ZN2at6native29vectorized_elementwise_kernelILi4ENS0_13BinaryFunctorIN3c108BFloat16ES4_S4_ZNS0_12_GLOBAL__N_121threshold_kernel_implIS4_EEvRNS_18TensorIteratorBaseET_S9_EUlS4_S4_E_EESt5arrayIPcLm3EEEEviT0_T1_.uses_vcc, 1
	.set _ZN2at6native29vectorized_elementwise_kernelILi4ENS0_13BinaryFunctorIN3c108BFloat16ES4_S4_ZNS0_12_GLOBAL__N_121threshold_kernel_implIS4_EEvRNS_18TensorIteratorBaseET_S9_EUlS4_S4_E_EESt5arrayIPcLm3EEEEviT0_T1_.uses_flat_scratch, 0
	.set _ZN2at6native29vectorized_elementwise_kernelILi4ENS0_13BinaryFunctorIN3c108BFloat16ES4_S4_ZNS0_12_GLOBAL__N_121threshold_kernel_implIS4_EEvRNS_18TensorIteratorBaseET_S9_EUlS4_S4_E_EESt5arrayIPcLm3EEEEviT0_T1_.has_dyn_sized_stack, 0
	.set _ZN2at6native29vectorized_elementwise_kernelILi4ENS0_13BinaryFunctorIN3c108BFloat16ES4_S4_ZNS0_12_GLOBAL__N_121threshold_kernel_implIS4_EEvRNS_18TensorIteratorBaseET_S9_EUlS4_S4_E_EESt5arrayIPcLm3EEEEviT0_T1_.has_recursion, 0
	.set _ZN2at6native29vectorized_elementwise_kernelILi4ENS0_13BinaryFunctorIN3c108BFloat16ES4_S4_ZNS0_12_GLOBAL__N_121threshold_kernel_implIS4_EEvRNS_18TensorIteratorBaseET_S9_EUlS4_S4_E_EESt5arrayIPcLm3EEEEviT0_T1_.has_indirect_call, 0
	.section	.AMDGPU.csdata,"",@progbits
; Kernel info:
; codeLenInByte = 2036
; TotalNumSgprs: 20
; NumVgprs: 24
; ScratchSize: 0
; MemoryBound: 0
; FloatMode: 240
; IeeeMode: 1
; LDSByteSize: 0 bytes/workgroup (compile time only)
; SGPRBlocks: 2
; VGPRBlocks: 5
; NumSGPRsForWavesPerEU: 20
; NumVGPRsForWavesPerEU: 24
; Occupancy: 10
; WaveLimiterHint : 1
; COMPUTE_PGM_RSRC2:SCRATCH_EN: 0
; COMPUTE_PGM_RSRC2:USER_SGPR: 6
; COMPUTE_PGM_RSRC2:TRAP_HANDLER: 0
; COMPUTE_PGM_RSRC2:TGID_X_EN: 1
; COMPUTE_PGM_RSRC2:TGID_Y_EN: 0
; COMPUTE_PGM_RSRC2:TGID_Z_EN: 0
; COMPUTE_PGM_RSRC2:TIDIG_COMP_CNT: 0
	.section	.text._ZN2at6native29vectorized_elementwise_kernelILi2ENS0_13BinaryFunctorIN3c108BFloat16ES4_S4_ZNS0_12_GLOBAL__N_121threshold_kernel_implIS4_EEvRNS_18TensorIteratorBaseET_S9_EUlS4_S4_E_EESt5arrayIPcLm3EEEEviT0_T1_,"axG",@progbits,_ZN2at6native29vectorized_elementwise_kernelILi2ENS0_13BinaryFunctorIN3c108BFloat16ES4_S4_ZNS0_12_GLOBAL__N_121threshold_kernel_implIS4_EEvRNS_18TensorIteratorBaseET_S9_EUlS4_S4_E_EESt5arrayIPcLm3EEEEviT0_T1_,comdat
	.globl	_ZN2at6native29vectorized_elementwise_kernelILi2ENS0_13BinaryFunctorIN3c108BFloat16ES4_S4_ZNS0_12_GLOBAL__N_121threshold_kernel_implIS4_EEvRNS_18TensorIteratorBaseET_S9_EUlS4_S4_E_EESt5arrayIPcLm3EEEEviT0_T1_ ; -- Begin function _ZN2at6native29vectorized_elementwise_kernelILi2ENS0_13BinaryFunctorIN3c108BFloat16ES4_S4_ZNS0_12_GLOBAL__N_121threshold_kernel_implIS4_EEvRNS_18TensorIteratorBaseET_S9_EUlS4_S4_E_EESt5arrayIPcLm3EEEEviT0_T1_
	.p2align	8
	.type	_ZN2at6native29vectorized_elementwise_kernelILi2ENS0_13BinaryFunctorIN3c108BFloat16ES4_S4_ZNS0_12_GLOBAL__N_121threshold_kernel_implIS4_EEvRNS_18TensorIteratorBaseET_S9_EUlS4_S4_E_EESt5arrayIPcLm3EEEEviT0_T1_,@function
_ZN2at6native29vectorized_elementwise_kernelILi2ENS0_13BinaryFunctorIN3c108BFloat16ES4_S4_ZNS0_12_GLOBAL__N_121threshold_kernel_implIS4_EEvRNS_18TensorIteratorBaseET_S9_EUlS4_S4_E_EESt5arrayIPcLm3EEEEviT0_T1_: ; @_ZN2at6native29vectorized_elementwise_kernelILi2ENS0_13BinaryFunctorIN3c108BFloat16ES4_S4_ZNS0_12_GLOBAL__N_121threshold_kernel_implIS4_EEvRNS_18TensorIteratorBaseET_S9_EUlS4_S4_E_EESt5arrayIPcLm3EEEEviT0_T1_
; %bb.0:
	s_load_dwordx2 s[12:13], s[4:5], 0x0
	s_load_dwordx4 s[8:11], s[4:5], 0x8
	s_load_dwordx2 s[14:15], s[4:5], 0x18
	s_lshl_b32 s2, s6, 11
	s_mov_b64 s[0:1], -1
	s_waitcnt lgkmcnt(0)
	s_sub_i32 s6, s12, s2
	s_cmpk_gt_i32 s6, 0x7ff
	s_cbranch_scc0 .LBB236_2
; %bb.1:
	s_ashr_i32 s3, s2, 31
	s_lshr_b32 s7, s13, 16
	s_lshl_b64 s[0:1], s[2:3], 1
	s_add_u32 s4, s10, s0
	s_addc_u32 s5, s11, s1
	v_lshlrev_b32_e32 v1, 2, v0
	global_load_dword v2, v1, s[4:5]
	global_load_dword v3, v1, s[4:5] offset:1024
	global_load_dword v4, v1, s[4:5] offset:2048
	;; [unrolled: 1-line block ×3, first 2 shown]
	s_add_u32 s4, s14, s0
	s_addc_u32 s5, s15, s1
	global_load_dword v6, v1, s[4:5]
	global_load_dword v7, v1, s[4:5] offset:1024
	global_load_dword v8, v1, s[4:5] offset:2048
	;; [unrolled: 1-line block ×3, first 2 shown]
	s_lshl_b32 s3, s13, 16
	v_mov_b32_e32 v10, s7
	s_add_u32 s0, s8, s0
	s_addc_u32 s1, s9, s1
	s_waitcnt vmcnt(7)
	v_and_b32_e32 v11, 0xffff0000, v2
	v_lshlrev_b32_e32 v2, 16, v2
	v_cmp_ge_f32_e32 vcc, s3, v2
	s_waitcnt vmcnt(3)
	v_lshrrev_b32_e32 v15, 16, v6
	v_and_b32_e32 v6, 0xffff, v6
	v_and_b32_e32 v12, 0xffff0000, v3
	v_lshlrev_b32_e32 v3, 16, v3
	v_cndmask_b32_e32 v2, v6, v10, vcc
	v_cmp_ge_f32_e32 vcc, s3, v11
	s_waitcnt vmcnt(2)
	v_lshrrev_b32_e32 v16, 16, v7
	v_and_b32_e32 v7, 0xffff, v7
	v_cndmask_b32_e32 v6, v15, v10, vcc
	v_cmp_ge_f32_e32 vcc, s3, v3
	v_and_b32_e32 v13, 0xffff0000, v4
	v_lshlrev_b32_e32 v4, 16, v4
	v_cndmask_b32_e32 v3, v7, v10, vcc
	v_cmp_ge_f32_e32 vcc, s3, v12
	s_waitcnt vmcnt(1)
	v_lshrrev_b32_e32 v17, 16, v8
	v_and_b32_e32 v8, 0xffff, v8
	v_cndmask_b32_e32 v7, v16, v10, vcc
	v_cmp_ge_f32_e32 vcc, s3, v4
	;; [unrolled: 9-line block ×3, first 2 shown]
	v_cndmask_b32_e32 v5, v9, v10, vcc
	v_cmp_ge_f32_e32 vcc, s3, v14
	v_cndmask_b32_e32 v9, v18, v10, vcc
	v_lshl_or_b32 v2, v6, 16, v2
	v_lshl_or_b32 v3, v7, 16, v3
	;; [unrolled: 1-line block ×4, first 2 shown]
	global_store_dword v1, v2, s[0:1]
	global_store_dword v1, v3, s[0:1] offset:1024
	global_store_dword v1, v4, s[0:1] offset:2048
	;; [unrolled: 1-line block ×3, first 2 shown]
	s_mov_b64 s[0:1], 0
.LBB236_2:
	s_andn2_b64 vcc, exec, s[0:1]
	s_cbranch_vccnz .LBB236_28
; %bb.3:
	v_cmp_gt_i32_e32 vcc, s6, v0
	v_mov_b32_e32 v2, 0
	v_mov_b32_e32 v3, 0
	v_or_b32_e32 v1, s2, v0
	v_mov_b32_e32 v4, 0
	v_mov_b32_e32 v14, v0
	s_and_saveexec_b64 s[4:5], vcc
	s_cbranch_execz .LBB236_5
; %bb.4:
	v_mov_b32_e32 v2, 0
	v_lshlrev_b64 v[4:5], 1, v[1:2]
	v_mov_b32_e32 v2, s15
	v_add_co_u32_e64 v6, s[0:1], s14, v4
	v_addc_co_u32_e64 v7, s[0:1], v2, v5, s[0:1]
	v_mov_b32_e32 v2, s11
	v_add_co_u32_e64 v4, s[0:1], s10, v4
	v_addc_co_u32_e64 v5, s[0:1], v2, v5, s[0:1]
	global_load_ushort v8, v[4:5], off
	global_load_ushort v2, v[6:7], off
	v_or_b32_e32 v14, 0x100, v0
	s_waitcnt vmcnt(1)
	v_lshlrev_b32_e32 v4, 16, v8
.LBB236_5:
	s_or_b64 exec, exec, s[4:5]
	v_cmp_gt_i32_e64 s[0:1], s6, v14
	v_mov_b32_e32 v6, 0
	s_and_saveexec_b64 s[4:5], s[0:1]
	s_cbranch_execz .LBB236_7
; %bb.6:
	v_add_u32_e32 v5, s2, v14
	v_mov_b32_e32 v6, 0
	v_lshlrev_b64 v[5:6], 1, v[5:6]
	v_mov_b32_e32 v8, s11
	v_add_co_u32_e64 v7, s[0:1], s10, v5
	v_addc_co_u32_e64 v8, s[0:1], v8, v6, s[0:1]
	v_mov_b32_e32 v3, s15
	v_add_co_u32_e64 v5, s[0:1], s14, v5
	global_load_ushort v7, v[7:8], off
	v_addc_co_u32_e64 v6, s[0:1], v3, v6, s[0:1]
	global_load_ushort v6, v[5:6], off
	v_add_u32_e32 v14, 0x100, v14
	s_waitcnt vmcnt(1)
	v_lshlrev_b32_e32 v3, 16, v7
.LBB236_7:
	s_or_b64 exec, exec, s[4:5]
	v_cmp_gt_i32_e64 s[0:1], s6, v14
	v_mov_b32_e32 v7, 0
	v_mov_b32_e32 v5, 0
	v_mov_b32_e32 v9, 0
	s_and_saveexec_b64 s[4:5], s[0:1]
	s_cbranch_execz .LBB236_9
; %bb.8:
	v_add_u32_e32 v7, s2, v14
	v_mov_b32_e32 v8, 0
	v_lshlrev_b64 v[7:8], 1, v[7:8]
	v_mov_b32_e32 v10, s11
	v_add_co_u32_e64 v9, s[0:1], s10, v7
	v_addc_co_u32_e64 v10, s[0:1], v10, v8, s[0:1]
	v_mov_b32_e32 v11, s15
	v_add_co_u32_e64 v7, s[0:1], s14, v7
	global_load_ushort v9, v[9:10], off
	v_addc_co_u32_e64 v8, s[0:1], v11, v8, s[0:1]
	global_load_ushort v7, v[7:8], off
	v_add_u32_e32 v14, 0x100, v14
	s_waitcnt vmcnt(1)
	v_lshlrev_b32_e32 v9, 16, v9
.LBB236_9:
	s_or_b64 exec, exec, s[4:5]
	v_cmp_gt_i32_e64 s[0:1], s6, v14
	v_mov_b32_e32 v10, 0
	s_and_saveexec_b64 s[4:5], s[0:1]
	s_cbranch_execz .LBB236_11
; %bb.10:
	v_add_u32_e32 v10, s2, v14
	v_mov_b32_e32 v11, 0
	v_lshlrev_b64 v[10:11], 1, v[10:11]
	v_mov_b32_e32 v8, s11
	v_add_co_u32_e64 v12, s[0:1], s10, v10
	v_addc_co_u32_e64 v13, s[0:1], v8, v11, s[0:1]
	v_mov_b32_e32 v5, s15
	v_add_co_u32_e64 v10, s[0:1], s14, v10
	global_load_ushort v8, v[12:13], off
	v_addc_co_u32_e64 v11, s[0:1], v5, v11, s[0:1]
	global_load_ushort v10, v[10:11], off
	v_add_u32_e32 v14, 0x100, v14
	s_waitcnt vmcnt(1)
	v_lshlrev_b32_e32 v5, 16, v8
.LBB236_11:
	s_or_b64 exec, exec, s[4:5]
	v_cmp_gt_i32_e64 s[0:1], s6, v14
	v_mov_b32_e32 v11, 0
	v_mov_b32_e32 v8, 0
	v_mov_b32_e32 v13, 0
	s_and_saveexec_b64 s[4:5], s[0:1]
	s_cbranch_execz .LBB236_13
; %bb.12:
	v_add_u32_e32 v11, s2, v14
	v_mov_b32_e32 v12, 0
	v_lshlrev_b64 v[11:12], 1, v[11:12]
	v_mov_b32_e32 v16, s11
	v_add_co_u32_e64 v15, s[0:1], s10, v11
	v_addc_co_u32_e64 v16, s[0:1], v16, v12, s[0:1]
	v_mov_b32_e32 v13, s15
	v_add_co_u32_e64 v11, s[0:1], s14, v11
	global_load_ushort v15, v[15:16], off
	v_addc_co_u32_e64 v12, s[0:1], v13, v12, s[0:1]
	global_load_ushort v11, v[11:12], off
	v_add_u32_e32 v14, 0x100, v14
	s_waitcnt vmcnt(1)
	v_lshlrev_b32_e32 v13, 16, v15
.LBB236_13:
	;; [unrolled: 44-line block ×3, first 2 shown]
	s_or_b64 exec, exec, s[4:5]
	v_cmp_gt_i32_e64 s[0:1], s6, v14
	v_mov_b32_e32 v18, 0
	s_and_saveexec_b64 s[4:5], s[0:1]
	s_cbranch_execz .LBB236_19
; %bb.18:
	v_add_u32_e32 v18, s2, v14
	v_mov_b32_e32 v19, 0
	v_lshlrev_b64 v[18:19], 1, v[18:19]
	v_mov_b32_e32 v12, s15
	v_add_co_u32_e64 v20, s[0:1], s14, v18
	v_addc_co_u32_e64 v21, s[0:1], v12, v19, s[0:1]
	v_mov_b32_e32 v12, s11
	v_add_co_u32_e64 v22, s[0:1], s10, v18
	v_addc_co_u32_e64 v23, s[0:1], v12, v19, s[0:1]
	global_load_ushort v12, v[22:23], off
	global_load_ushort v18, v[20:21], off
	s_waitcnt vmcnt(1)
	v_lshlrev_b32_e32 v12, 16, v12
.LBB236_19:
	s_or_b64 exec, exec, s[4:5]
	s_lshr_b32 s3, s13, 16
	s_lshl_b32 s4, s13, 16
	s_and_saveexec_b64 s[0:1], vcc
	s_cbranch_execnz .LBB236_29
; %bb.20:
	s_or_b64 exec, exec, s[0:1]
	v_cmp_gt_i32_e32 vcc, s6, v0
	s_and_saveexec_b64 s[0:1], vcc
	s_cbranch_execnz .LBB236_30
.LBB236_21:
	s_or_b64 exec, exec, s[0:1]
	v_cmp_gt_i32_e32 vcc, s6, v0
	s_and_saveexec_b64 s[0:1], vcc
	s_cbranch_execnz .LBB236_31
.LBB236_22:
	s_or_b64 exec, exec, s[0:1]
	v_cmp_gt_i32_e32 vcc, s6, v0
	s_and_saveexec_b64 s[0:1], vcc
	s_cbranch_execnz .LBB236_32
.LBB236_23:
	s_or_b64 exec, exec, s[0:1]
	v_cmp_gt_i32_e32 vcc, s6, v0
	s_and_saveexec_b64 s[0:1], vcc
	s_cbranch_execnz .LBB236_33
.LBB236_24:
	s_or_b64 exec, exec, s[0:1]
	v_cmp_gt_i32_e32 vcc, s6, v0
	s_and_saveexec_b64 s[0:1], vcc
	s_cbranch_execnz .LBB236_34
.LBB236_25:
	s_or_b64 exec, exec, s[0:1]
	v_cmp_gt_i32_e32 vcc, s6, v0
	s_and_saveexec_b64 s[0:1], vcc
	s_cbranch_execnz .LBB236_35
.LBB236_26:
	s_or_b64 exec, exec, s[0:1]
	v_cmp_gt_i32_e32 vcc, s6, v0
	s_and_saveexec_b64 s[0:1], vcc
	s_cbranch_execz .LBB236_28
.LBB236_27:
	v_mov_b32_e32 v1, s3
	v_cmp_ge_f32_e32 vcc, s4, v12
	s_waitcnt vmcnt(0)
	v_cndmask_b32_e32 v2, v18, v1, vcc
	v_add_u32_e32 v0, s2, v0
	v_mov_b32_e32 v1, 0
	v_lshlrev_b64 v[0:1], 1, v[0:1]
	v_mov_b32_e32 v3, s9
	v_add_co_u32_e32 v0, vcc, s8, v0
	v_addc_co_u32_e32 v1, vcc, v3, v1, vcc
	global_store_short v[0:1], v2, off
.LBB236_28:
	s_endpgm
.LBB236_29:
	v_mov_b32_e32 v14, s3
	v_cmp_ge_f32_e32 vcc, s4, v4
	s_waitcnt vmcnt(0)
	v_cndmask_b32_e32 v4, v2, v14, vcc
	v_mov_b32_e32 v2, 0
	v_lshlrev_b64 v[1:2], 1, v[1:2]
	v_mov_b32_e32 v14, s9
	v_add_co_u32_e32 v1, vcc, s8, v1
	v_or_b32_e32 v0, 0x100, v0
	v_addc_co_u32_e32 v2, vcc, v14, v2, vcc
	global_store_short v[1:2], v4, off
	s_or_b64 exec, exec, s[0:1]
	v_cmp_gt_i32_e32 vcc, s6, v0
	s_and_saveexec_b64 s[0:1], vcc
	s_cbranch_execz .LBB236_21
.LBB236_30:
	v_mov_b32_e32 v1, s3
	v_cmp_ge_f32_e32 vcc, s4, v3
	s_waitcnt vmcnt(0)
	v_cndmask_b32_e32 v3, v6, v1, vcc
	v_add_u32_e32 v1, s2, v0
	v_mov_b32_e32 v2, 0
	v_lshlrev_b64 v[1:2], 1, v[1:2]
	v_mov_b32_e32 v4, s9
	v_add_co_u32_e32 v1, vcc, s8, v1
	v_addc_co_u32_e32 v2, vcc, v4, v2, vcc
	v_add_u32_e32 v0, 0x100, v0
	global_store_short v[1:2], v3, off
	s_or_b64 exec, exec, s[0:1]
	v_cmp_gt_i32_e32 vcc, s6, v0
	s_and_saveexec_b64 s[0:1], vcc
	s_cbranch_execz .LBB236_22
.LBB236_31:
	v_mov_b32_e32 v1, s3
	v_cmp_ge_f32_e32 vcc, s4, v9
	s_waitcnt vmcnt(0)
	v_cndmask_b32_e32 v3, v7, v1, vcc
	v_add_u32_e32 v1, s2, v0
	v_mov_b32_e32 v2, 0
	v_lshlrev_b64 v[1:2], 1, v[1:2]
	v_mov_b32_e32 v4, s9
	v_add_co_u32_e32 v1, vcc, s8, v1
	v_addc_co_u32_e32 v2, vcc, v4, v2, vcc
	v_add_u32_e32 v0, 0x100, v0
	global_store_short v[1:2], v3, off
	s_or_b64 exec, exec, s[0:1]
	v_cmp_gt_i32_e32 vcc, s6, v0
	s_and_saveexec_b64 s[0:1], vcc
	s_cbranch_execz .LBB236_23
.LBB236_32:
	v_mov_b32_e32 v1, s3
	v_cmp_ge_f32_e32 vcc, s4, v5
	s_waitcnt vmcnt(0)
	v_cndmask_b32_e32 v3, v10, v1, vcc
	v_add_u32_e32 v1, s2, v0
	v_mov_b32_e32 v2, 0
	v_lshlrev_b64 v[1:2], 1, v[1:2]
	v_mov_b32_e32 v4, s9
	v_add_co_u32_e32 v1, vcc, s8, v1
	v_addc_co_u32_e32 v2, vcc, v4, v2, vcc
	v_add_u32_e32 v0, 0x100, v0
	global_store_short v[1:2], v3, off
	s_or_b64 exec, exec, s[0:1]
	v_cmp_gt_i32_e32 vcc, s6, v0
	s_and_saveexec_b64 s[0:1], vcc
	s_cbranch_execz .LBB236_24
.LBB236_33:
	v_mov_b32_e32 v1, s3
	v_cmp_ge_f32_e32 vcc, s4, v13
	s_waitcnt vmcnt(0)
	v_cndmask_b32_e32 v3, v11, v1, vcc
	v_add_u32_e32 v1, s2, v0
	v_mov_b32_e32 v2, 0
	v_lshlrev_b64 v[1:2], 1, v[1:2]
	v_mov_b32_e32 v4, s9
	v_add_co_u32_e32 v1, vcc, s8, v1
	v_addc_co_u32_e32 v2, vcc, v4, v2, vcc
	v_add_u32_e32 v0, 0x100, v0
	global_store_short v[1:2], v3, off
	s_or_b64 exec, exec, s[0:1]
	v_cmp_gt_i32_e32 vcc, s6, v0
	s_and_saveexec_b64 s[0:1], vcc
	s_cbranch_execz .LBB236_25
.LBB236_34:
	v_mov_b32_e32 v1, s3
	v_cmp_ge_f32_e32 vcc, s4, v8
	s_waitcnt vmcnt(0)
	v_cndmask_b32_e32 v3, v15, v1, vcc
	v_add_u32_e32 v1, s2, v0
	v_mov_b32_e32 v2, 0
	v_lshlrev_b64 v[1:2], 1, v[1:2]
	v_mov_b32_e32 v4, s9
	v_add_co_u32_e32 v1, vcc, s8, v1
	v_addc_co_u32_e32 v2, vcc, v4, v2, vcc
	v_add_u32_e32 v0, 0x100, v0
	global_store_short v[1:2], v3, off
	s_or_b64 exec, exec, s[0:1]
	v_cmp_gt_i32_e32 vcc, s6, v0
	s_and_saveexec_b64 s[0:1], vcc
	s_cbranch_execz .LBB236_26
.LBB236_35:
	v_mov_b32_e32 v1, s3
	v_cmp_ge_f32_e32 vcc, s4, v17
	s_waitcnt vmcnt(0)
	v_cndmask_b32_e32 v3, v16, v1, vcc
	v_add_u32_e32 v1, s2, v0
	v_mov_b32_e32 v2, 0
	v_lshlrev_b64 v[1:2], 1, v[1:2]
	v_mov_b32_e32 v4, s9
	v_add_co_u32_e32 v1, vcc, s8, v1
	v_addc_co_u32_e32 v2, vcc, v4, v2, vcc
	v_add_u32_e32 v0, 0x100, v0
	global_store_short v[1:2], v3, off
	s_or_b64 exec, exec, s[0:1]
	v_cmp_gt_i32_e32 vcc, s6, v0
	s_and_saveexec_b64 s[0:1], vcc
	s_cbranch_execnz .LBB236_27
	s_branch .LBB236_28
	.section	.rodata,"a",@progbits
	.p2align	6, 0x0
	.amdhsa_kernel _ZN2at6native29vectorized_elementwise_kernelILi2ENS0_13BinaryFunctorIN3c108BFloat16ES4_S4_ZNS0_12_GLOBAL__N_121threshold_kernel_implIS4_EEvRNS_18TensorIteratorBaseET_S9_EUlS4_S4_E_EESt5arrayIPcLm3EEEEviT0_T1_
		.amdhsa_group_segment_fixed_size 0
		.amdhsa_private_segment_fixed_size 0
		.amdhsa_kernarg_size 32
		.amdhsa_user_sgpr_count 6
		.amdhsa_user_sgpr_private_segment_buffer 1
		.amdhsa_user_sgpr_dispatch_ptr 0
		.amdhsa_user_sgpr_queue_ptr 0
		.amdhsa_user_sgpr_kernarg_segment_ptr 1
		.amdhsa_user_sgpr_dispatch_id 0
		.amdhsa_user_sgpr_flat_scratch_init 0
		.amdhsa_user_sgpr_private_segment_size 0
		.amdhsa_uses_dynamic_stack 0
		.amdhsa_system_sgpr_private_segment_wavefront_offset 0
		.amdhsa_system_sgpr_workgroup_id_x 1
		.amdhsa_system_sgpr_workgroup_id_y 0
		.amdhsa_system_sgpr_workgroup_id_z 0
		.amdhsa_system_sgpr_workgroup_info 0
		.amdhsa_system_vgpr_workitem_id 0
		.amdhsa_next_free_vgpr 24
		.amdhsa_next_free_sgpr 16
		.amdhsa_reserve_vcc 1
		.amdhsa_reserve_flat_scratch 0
		.amdhsa_float_round_mode_32 0
		.amdhsa_float_round_mode_16_64 0
		.amdhsa_float_denorm_mode_32 3
		.amdhsa_float_denorm_mode_16_64 3
		.amdhsa_dx10_clamp 1
		.amdhsa_ieee_mode 1
		.amdhsa_fp16_overflow 0
		.amdhsa_exception_fp_ieee_invalid_op 0
		.amdhsa_exception_fp_denorm_src 0
		.amdhsa_exception_fp_ieee_div_zero 0
		.amdhsa_exception_fp_ieee_overflow 0
		.amdhsa_exception_fp_ieee_underflow 0
		.amdhsa_exception_fp_ieee_inexact 0
		.amdhsa_exception_int_div_zero 0
	.end_amdhsa_kernel
	.section	.text._ZN2at6native29vectorized_elementwise_kernelILi2ENS0_13BinaryFunctorIN3c108BFloat16ES4_S4_ZNS0_12_GLOBAL__N_121threshold_kernel_implIS4_EEvRNS_18TensorIteratorBaseET_S9_EUlS4_S4_E_EESt5arrayIPcLm3EEEEviT0_T1_,"axG",@progbits,_ZN2at6native29vectorized_elementwise_kernelILi2ENS0_13BinaryFunctorIN3c108BFloat16ES4_S4_ZNS0_12_GLOBAL__N_121threshold_kernel_implIS4_EEvRNS_18TensorIteratorBaseET_S9_EUlS4_S4_E_EESt5arrayIPcLm3EEEEviT0_T1_,comdat
.Lfunc_end236:
	.size	_ZN2at6native29vectorized_elementwise_kernelILi2ENS0_13BinaryFunctorIN3c108BFloat16ES4_S4_ZNS0_12_GLOBAL__N_121threshold_kernel_implIS4_EEvRNS_18TensorIteratorBaseET_S9_EUlS4_S4_E_EESt5arrayIPcLm3EEEEviT0_T1_, .Lfunc_end236-_ZN2at6native29vectorized_elementwise_kernelILi2ENS0_13BinaryFunctorIN3c108BFloat16ES4_S4_ZNS0_12_GLOBAL__N_121threshold_kernel_implIS4_EEvRNS_18TensorIteratorBaseET_S9_EUlS4_S4_E_EESt5arrayIPcLm3EEEEviT0_T1_
                                        ; -- End function
	.set _ZN2at6native29vectorized_elementwise_kernelILi2ENS0_13BinaryFunctorIN3c108BFloat16ES4_S4_ZNS0_12_GLOBAL__N_121threshold_kernel_implIS4_EEvRNS_18TensorIteratorBaseET_S9_EUlS4_S4_E_EESt5arrayIPcLm3EEEEviT0_T1_.num_vgpr, 24
	.set _ZN2at6native29vectorized_elementwise_kernelILi2ENS0_13BinaryFunctorIN3c108BFloat16ES4_S4_ZNS0_12_GLOBAL__N_121threshold_kernel_implIS4_EEvRNS_18TensorIteratorBaseET_S9_EUlS4_S4_E_EESt5arrayIPcLm3EEEEviT0_T1_.num_agpr, 0
	.set _ZN2at6native29vectorized_elementwise_kernelILi2ENS0_13BinaryFunctorIN3c108BFloat16ES4_S4_ZNS0_12_GLOBAL__N_121threshold_kernel_implIS4_EEvRNS_18TensorIteratorBaseET_S9_EUlS4_S4_E_EESt5arrayIPcLm3EEEEviT0_T1_.numbered_sgpr, 16
	.set _ZN2at6native29vectorized_elementwise_kernelILi2ENS0_13BinaryFunctorIN3c108BFloat16ES4_S4_ZNS0_12_GLOBAL__N_121threshold_kernel_implIS4_EEvRNS_18TensorIteratorBaseET_S9_EUlS4_S4_E_EESt5arrayIPcLm3EEEEviT0_T1_.num_named_barrier, 0
	.set _ZN2at6native29vectorized_elementwise_kernelILi2ENS0_13BinaryFunctorIN3c108BFloat16ES4_S4_ZNS0_12_GLOBAL__N_121threshold_kernel_implIS4_EEvRNS_18TensorIteratorBaseET_S9_EUlS4_S4_E_EESt5arrayIPcLm3EEEEviT0_T1_.private_seg_size, 0
	.set _ZN2at6native29vectorized_elementwise_kernelILi2ENS0_13BinaryFunctorIN3c108BFloat16ES4_S4_ZNS0_12_GLOBAL__N_121threshold_kernel_implIS4_EEvRNS_18TensorIteratorBaseET_S9_EUlS4_S4_E_EESt5arrayIPcLm3EEEEviT0_T1_.uses_vcc, 1
	.set _ZN2at6native29vectorized_elementwise_kernelILi2ENS0_13BinaryFunctorIN3c108BFloat16ES4_S4_ZNS0_12_GLOBAL__N_121threshold_kernel_implIS4_EEvRNS_18TensorIteratorBaseET_S9_EUlS4_S4_E_EESt5arrayIPcLm3EEEEviT0_T1_.uses_flat_scratch, 0
	.set _ZN2at6native29vectorized_elementwise_kernelILi2ENS0_13BinaryFunctorIN3c108BFloat16ES4_S4_ZNS0_12_GLOBAL__N_121threshold_kernel_implIS4_EEvRNS_18TensorIteratorBaseET_S9_EUlS4_S4_E_EESt5arrayIPcLm3EEEEviT0_T1_.has_dyn_sized_stack, 0
	.set _ZN2at6native29vectorized_elementwise_kernelILi2ENS0_13BinaryFunctorIN3c108BFloat16ES4_S4_ZNS0_12_GLOBAL__N_121threshold_kernel_implIS4_EEvRNS_18TensorIteratorBaseET_S9_EUlS4_S4_E_EESt5arrayIPcLm3EEEEviT0_T1_.has_recursion, 0
	.set _ZN2at6native29vectorized_elementwise_kernelILi2ENS0_13BinaryFunctorIN3c108BFloat16ES4_S4_ZNS0_12_GLOBAL__N_121threshold_kernel_implIS4_EEvRNS_18TensorIteratorBaseET_S9_EUlS4_S4_E_EESt5arrayIPcLm3EEEEviT0_T1_.has_indirect_call, 0
	.section	.AMDGPU.csdata,"",@progbits
; Kernel info:
; codeLenInByte = 2052
; TotalNumSgprs: 20
; NumVgprs: 24
; ScratchSize: 0
; MemoryBound: 0
; FloatMode: 240
; IeeeMode: 1
; LDSByteSize: 0 bytes/workgroup (compile time only)
; SGPRBlocks: 2
; VGPRBlocks: 5
; NumSGPRsForWavesPerEU: 20
; NumVGPRsForWavesPerEU: 24
; Occupancy: 10
; WaveLimiterHint : 1
; COMPUTE_PGM_RSRC2:SCRATCH_EN: 0
; COMPUTE_PGM_RSRC2:USER_SGPR: 6
; COMPUTE_PGM_RSRC2:TRAP_HANDLER: 0
; COMPUTE_PGM_RSRC2:TGID_X_EN: 1
; COMPUTE_PGM_RSRC2:TGID_Y_EN: 0
; COMPUTE_PGM_RSRC2:TGID_Z_EN: 0
; COMPUTE_PGM_RSRC2:TIDIG_COMP_CNT: 0
	.section	.text._ZN2at6native27unrolled_elementwise_kernelINS0_13BinaryFunctorIN3c108BFloat16ES4_S4_ZNS0_12_GLOBAL__N_121threshold_kernel_implIS4_EEvRNS_18TensorIteratorBaseET_S9_EUlS4_S4_E_EESt5arrayIPcLm3EELi4E23TrivialOffsetCalculatorILi2EjESF_ILi1EjENS0_6memory15LoadWithoutCastENSI_16StoreWithoutCastEEEviS9_T0_T2_T3_T4_T5_,"axG",@progbits,_ZN2at6native27unrolled_elementwise_kernelINS0_13BinaryFunctorIN3c108BFloat16ES4_S4_ZNS0_12_GLOBAL__N_121threshold_kernel_implIS4_EEvRNS_18TensorIteratorBaseET_S9_EUlS4_S4_E_EESt5arrayIPcLm3EELi4E23TrivialOffsetCalculatorILi2EjESF_ILi1EjENS0_6memory15LoadWithoutCastENSI_16StoreWithoutCastEEEviS9_T0_T2_T3_T4_T5_,comdat
	.globl	_ZN2at6native27unrolled_elementwise_kernelINS0_13BinaryFunctorIN3c108BFloat16ES4_S4_ZNS0_12_GLOBAL__N_121threshold_kernel_implIS4_EEvRNS_18TensorIteratorBaseET_S9_EUlS4_S4_E_EESt5arrayIPcLm3EELi4E23TrivialOffsetCalculatorILi2EjESF_ILi1EjENS0_6memory15LoadWithoutCastENSI_16StoreWithoutCastEEEviS9_T0_T2_T3_T4_T5_ ; -- Begin function _ZN2at6native27unrolled_elementwise_kernelINS0_13BinaryFunctorIN3c108BFloat16ES4_S4_ZNS0_12_GLOBAL__N_121threshold_kernel_implIS4_EEvRNS_18TensorIteratorBaseET_S9_EUlS4_S4_E_EESt5arrayIPcLm3EELi4E23TrivialOffsetCalculatorILi2EjESF_ILi1EjENS0_6memory15LoadWithoutCastENSI_16StoreWithoutCastEEEviS9_T0_T2_T3_T4_T5_
	.p2align	8
	.type	_ZN2at6native27unrolled_elementwise_kernelINS0_13BinaryFunctorIN3c108BFloat16ES4_S4_ZNS0_12_GLOBAL__N_121threshold_kernel_implIS4_EEvRNS_18TensorIteratorBaseET_S9_EUlS4_S4_E_EESt5arrayIPcLm3EELi4E23TrivialOffsetCalculatorILi2EjESF_ILi1EjENS0_6memory15LoadWithoutCastENSI_16StoreWithoutCastEEEviS9_T0_T2_T3_T4_T5_,@function
_ZN2at6native27unrolled_elementwise_kernelINS0_13BinaryFunctorIN3c108BFloat16ES4_S4_ZNS0_12_GLOBAL__N_121threshold_kernel_implIS4_EEvRNS_18TensorIteratorBaseET_S9_EUlS4_S4_E_EESt5arrayIPcLm3EELi4E23TrivialOffsetCalculatorILi2EjESF_ILi1EjENS0_6memory15LoadWithoutCastENSI_16StoreWithoutCastEEEviS9_T0_T2_T3_T4_T5_: ; @_ZN2at6native27unrolled_elementwise_kernelINS0_13BinaryFunctorIN3c108BFloat16ES4_S4_ZNS0_12_GLOBAL__N_121threshold_kernel_implIS4_EEvRNS_18TensorIteratorBaseET_S9_EUlS4_S4_E_EESt5arrayIPcLm3EELi4E23TrivialOffsetCalculatorILi2EjESF_ILi1EjENS0_6memory15LoadWithoutCastENSI_16StoreWithoutCastEEEviS9_T0_T2_T3_T4_T5_
; %bb.0:
	s_load_dwordx2 s[2:3], s[4:5], 0x0
	s_load_dwordx4 s[8:11], s[4:5], 0x8
	s_load_dwordx2 s[12:13], s[4:5], 0x18
	s_lshl_b32 s6, s6, 10
	v_mov_b32_e32 v4, 0
	s_waitcnt lgkmcnt(0)
	s_sub_i32 s2, s2, s6
	v_cmp_gt_i32_e32 vcc, s2, v0
	v_mov_b32_e32 v3, 0
	v_or_b32_e32 v1, s6, v0
	v_mov_b32_e32 v5, 0
	v_mov_b32_e32 v2, v0
	s_and_saveexec_b64 s[4:5], vcc
	s_cbranch_execz .LBB237_2
; %bb.1:
	v_mov_b32_e32 v2, 0
	v_lshlrev_b64 v[4:5], 1, v[1:2]
	v_mov_b32_e32 v2, s13
	v_add_co_u32_e64 v6, s[0:1], s12, v4
	v_addc_co_u32_e64 v7, s[0:1], v2, v5, s[0:1]
	v_mov_b32_e32 v2, s11
	v_add_co_u32_e64 v8, s[0:1], s10, v4
	v_addc_co_u32_e64 v9, s[0:1], v2, v5, s[0:1]
	global_load_ushort v5, v[8:9], off
	global_load_ushort v4, v[6:7], off
	v_or_b32_e32 v2, 0x100, v0
	s_waitcnt vmcnt(1)
	v_lshlrev_b32_e32 v5, 16, v5
.LBB237_2:
	s_or_b64 exec, exec, s[4:5]
	v_cmp_gt_i32_e64 s[0:1], s2, v2
	v_mov_b32_e32 v7, 0
	s_and_saveexec_b64 s[4:5], s[0:1]
	s_cbranch_execz .LBB237_4
; %bb.3:
	v_add_u32_e32 v6, s6, v2
	v_mov_b32_e32 v7, 0
	v_lshlrev_b64 v[6:7], 1, v[6:7]
	v_mov_b32_e32 v9, s11
	v_add_co_u32_e64 v8, s[0:1], s10, v6
	v_addc_co_u32_e64 v9, s[0:1], v9, v7, s[0:1]
	v_mov_b32_e32 v3, s13
	v_add_co_u32_e64 v6, s[0:1], s12, v6
	global_load_ushort v8, v[8:9], off
	v_addc_co_u32_e64 v7, s[0:1], v3, v7, s[0:1]
	global_load_ushort v7, v[6:7], off
	v_add_u32_e32 v2, 0x100, v2
	s_waitcnt vmcnt(1)
	v_lshlrev_b32_e32 v3, 16, v8
.LBB237_4:
	s_or_b64 exec, exec, s[4:5]
	v_cmp_gt_i32_e64 s[0:1], s2, v2
	v_mov_b32_e32 v8, 0
	v_mov_b32_e32 v6, 0
	;; [unrolled: 1-line block ×3, first 2 shown]
	s_and_saveexec_b64 s[4:5], s[0:1]
	s_cbranch_execz .LBB237_6
; %bb.5:
	v_add_u32_e32 v8, s6, v2
	v_mov_b32_e32 v9, 0
	v_lshlrev_b64 v[8:9], 1, v[8:9]
	v_mov_b32_e32 v11, s11
	v_add_co_u32_e64 v10, s[0:1], s10, v8
	v_addc_co_u32_e64 v11, s[0:1], v11, v9, s[0:1]
	v_mov_b32_e32 v12, s13
	v_add_co_u32_e64 v8, s[0:1], s12, v8
	global_load_ushort v10, v[10:11], off
	v_addc_co_u32_e64 v9, s[0:1], v12, v9, s[0:1]
	global_load_ushort v8, v[8:9], off
	v_add_u32_e32 v2, 0x100, v2
	s_waitcnt vmcnt(1)
	v_lshlrev_b32_e32 v9, 16, v10
.LBB237_6:
	s_or_b64 exec, exec, s[4:5]
	v_cmp_gt_i32_e64 s[0:1], s2, v2
	v_mov_b32_e32 v10, 0
	s_and_saveexec_b64 s[4:5], s[0:1]
	s_cbranch_execz .LBB237_8
; %bb.7:
	v_add_u32_e32 v10, s6, v2
	v_mov_b32_e32 v11, 0
	v_lshlrev_b64 v[10:11], 1, v[10:11]
	v_mov_b32_e32 v2, s13
	v_add_co_u32_e64 v12, s[0:1], s12, v10
	v_addc_co_u32_e64 v13, s[0:1], v2, v11, s[0:1]
	v_mov_b32_e32 v2, s11
	v_add_co_u32_e64 v14, s[0:1], s10, v10
	v_addc_co_u32_e64 v15, s[0:1], v2, v11, s[0:1]
	global_load_ushort v2, v[14:15], off
	global_load_ushort v10, v[12:13], off
	s_waitcnt vmcnt(1)
	v_lshlrev_b32_e32 v6, 16, v2
.LBB237_8:
	s_or_b64 exec, exec, s[4:5]
	s_lshr_b32 s4, s3, 16
	s_lshl_b32 s3, s3, 16
	s_and_saveexec_b64 s[0:1], vcc
	s_cbranch_execnz .LBB237_13
; %bb.9:
	s_or_b64 exec, exec, s[0:1]
	v_cmp_gt_i32_e32 vcc, s2, v0
	s_and_saveexec_b64 s[0:1], vcc
	s_cbranch_execnz .LBB237_14
.LBB237_10:
	s_or_b64 exec, exec, s[0:1]
	v_cmp_gt_i32_e32 vcc, s2, v0
	s_and_saveexec_b64 s[0:1], vcc
	s_cbranch_execnz .LBB237_15
.LBB237_11:
	s_or_b64 exec, exec, s[0:1]
	v_cmp_gt_i32_e32 vcc, s2, v0
	s_and_saveexec_b64 s[0:1], vcc
	s_cbranch_execnz .LBB237_16
.LBB237_12:
	s_endpgm
.LBB237_13:
	v_mov_b32_e32 v2, 0
	v_lshlrev_b64 v[1:2], 1, v[1:2]
	v_mov_b32_e32 v11, s9
	v_add_co_u32_e32 v1, vcc, s8, v1
	v_addc_co_u32_e32 v2, vcc, v11, v2, vcc
	v_mov_b32_e32 v11, s4
	v_cmp_ge_f32_e32 vcc, s3, v5
	v_or_b32_e32 v0, 0x100, v0
	s_waitcnt vmcnt(0)
	v_cndmask_b32_e32 v4, v4, v11, vcc
	global_store_short v[1:2], v4, off
	s_or_b64 exec, exec, s[0:1]
	v_cmp_gt_i32_e32 vcc, s2, v0
	s_and_saveexec_b64 s[0:1], vcc
	s_cbranch_execz .LBB237_10
.LBB237_14:
	v_mov_b32_e32 v1, s4
	v_cmp_ge_f32_e32 vcc, s3, v3
	s_waitcnt vmcnt(0)
	v_cndmask_b32_e32 v2, v7, v1, vcc
	v_add_u32_e32 v3, 0x100, v0
	v_add_u32_e32 v0, s6, v0
	v_mov_b32_e32 v1, 0
	v_lshlrev_b64 v[0:1], 1, v[0:1]
	v_mov_b32_e32 v4, s9
	v_add_co_u32_e32 v0, vcc, s8, v0
	v_addc_co_u32_e32 v1, vcc, v4, v1, vcc
	global_store_short v[0:1], v2, off
	v_mov_b32_e32 v0, v3
	s_or_b64 exec, exec, s[0:1]
	v_cmp_gt_i32_e32 vcc, s2, v0
	s_and_saveexec_b64 s[0:1], vcc
	s_cbranch_execz .LBB237_11
.LBB237_15:
	v_mov_b32_e32 v1, s4
	v_cmp_ge_f32_e32 vcc, s3, v9
	s_waitcnt vmcnt(0)
	v_cndmask_b32_e32 v2, v8, v1, vcc
	v_add_u32_e32 v3, 0x100, v0
	v_add_u32_e32 v0, s6, v0
	v_mov_b32_e32 v1, 0
	v_lshlrev_b64 v[0:1], 1, v[0:1]
	v_mov_b32_e32 v4, s9
	v_add_co_u32_e32 v0, vcc, s8, v0
	v_addc_co_u32_e32 v1, vcc, v4, v1, vcc
	global_store_short v[0:1], v2, off
	v_mov_b32_e32 v0, v3
	s_or_b64 exec, exec, s[0:1]
	v_cmp_gt_i32_e32 vcc, s2, v0
	s_and_saveexec_b64 s[0:1], vcc
	s_cbranch_execz .LBB237_12
.LBB237_16:
	v_mov_b32_e32 v1, s4
	v_cmp_ge_f32_e32 vcc, s3, v6
	s_waitcnt vmcnt(0)
	v_cndmask_b32_e32 v2, v10, v1, vcc
	v_add_u32_e32 v0, s6, v0
	v_mov_b32_e32 v1, 0
	v_lshlrev_b64 v[0:1], 1, v[0:1]
	v_mov_b32_e32 v3, s9
	v_add_co_u32_e32 v0, vcc, s8, v0
	v_addc_co_u32_e32 v1, vcc, v3, v1, vcc
	global_store_short v[0:1], v2, off
	s_endpgm
	.section	.rodata,"a",@progbits
	.p2align	6, 0x0
	.amdhsa_kernel _ZN2at6native27unrolled_elementwise_kernelINS0_13BinaryFunctorIN3c108BFloat16ES4_S4_ZNS0_12_GLOBAL__N_121threshold_kernel_implIS4_EEvRNS_18TensorIteratorBaseET_S9_EUlS4_S4_E_EESt5arrayIPcLm3EELi4E23TrivialOffsetCalculatorILi2EjESF_ILi1EjENS0_6memory15LoadWithoutCastENSI_16StoreWithoutCastEEEviS9_T0_T2_T3_T4_T5_
		.amdhsa_group_segment_fixed_size 0
		.amdhsa_private_segment_fixed_size 0
		.amdhsa_kernarg_size 36
		.amdhsa_user_sgpr_count 6
		.amdhsa_user_sgpr_private_segment_buffer 1
		.amdhsa_user_sgpr_dispatch_ptr 0
		.amdhsa_user_sgpr_queue_ptr 0
		.amdhsa_user_sgpr_kernarg_segment_ptr 1
		.amdhsa_user_sgpr_dispatch_id 0
		.amdhsa_user_sgpr_flat_scratch_init 0
		.amdhsa_user_sgpr_private_segment_size 0
		.amdhsa_uses_dynamic_stack 0
		.amdhsa_system_sgpr_private_segment_wavefront_offset 0
		.amdhsa_system_sgpr_workgroup_id_x 1
		.amdhsa_system_sgpr_workgroup_id_y 0
		.amdhsa_system_sgpr_workgroup_id_z 0
		.amdhsa_system_sgpr_workgroup_info 0
		.amdhsa_system_vgpr_workitem_id 0
		.amdhsa_next_free_vgpr 16
		.amdhsa_next_free_sgpr 14
		.amdhsa_reserve_vcc 1
		.amdhsa_reserve_flat_scratch 0
		.amdhsa_float_round_mode_32 0
		.amdhsa_float_round_mode_16_64 0
		.amdhsa_float_denorm_mode_32 3
		.amdhsa_float_denorm_mode_16_64 3
		.amdhsa_dx10_clamp 1
		.amdhsa_ieee_mode 1
		.amdhsa_fp16_overflow 0
		.amdhsa_exception_fp_ieee_invalid_op 0
		.amdhsa_exception_fp_denorm_src 0
		.amdhsa_exception_fp_ieee_div_zero 0
		.amdhsa_exception_fp_ieee_overflow 0
		.amdhsa_exception_fp_ieee_underflow 0
		.amdhsa_exception_fp_ieee_inexact 0
		.amdhsa_exception_int_div_zero 0
	.end_amdhsa_kernel
	.section	.text._ZN2at6native27unrolled_elementwise_kernelINS0_13BinaryFunctorIN3c108BFloat16ES4_S4_ZNS0_12_GLOBAL__N_121threshold_kernel_implIS4_EEvRNS_18TensorIteratorBaseET_S9_EUlS4_S4_E_EESt5arrayIPcLm3EELi4E23TrivialOffsetCalculatorILi2EjESF_ILi1EjENS0_6memory15LoadWithoutCastENSI_16StoreWithoutCastEEEviS9_T0_T2_T3_T4_T5_,"axG",@progbits,_ZN2at6native27unrolled_elementwise_kernelINS0_13BinaryFunctorIN3c108BFloat16ES4_S4_ZNS0_12_GLOBAL__N_121threshold_kernel_implIS4_EEvRNS_18TensorIteratorBaseET_S9_EUlS4_S4_E_EESt5arrayIPcLm3EELi4E23TrivialOffsetCalculatorILi2EjESF_ILi1EjENS0_6memory15LoadWithoutCastENSI_16StoreWithoutCastEEEviS9_T0_T2_T3_T4_T5_,comdat
.Lfunc_end237:
	.size	_ZN2at6native27unrolled_elementwise_kernelINS0_13BinaryFunctorIN3c108BFloat16ES4_S4_ZNS0_12_GLOBAL__N_121threshold_kernel_implIS4_EEvRNS_18TensorIteratorBaseET_S9_EUlS4_S4_E_EESt5arrayIPcLm3EELi4E23TrivialOffsetCalculatorILi2EjESF_ILi1EjENS0_6memory15LoadWithoutCastENSI_16StoreWithoutCastEEEviS9_T0_T2_T3_T4_T5_, .Lfunc_end237-_ZN2at6native27unrolled_elementwise_kernelINS0_13BinaryFunctorIN3c108BFloat16ES4_S4_ZNS0_12_GLOBAL__N_121threshold_kernel_implIS4_EEvRNS_18TensorIteratorBaseET_S9_EUlS4_S4_E_EESt5arrayIPcLm3EELi4E23TrivialOffsetCalculatorILi2EjESF_ILi1EjENS0_6memory15LoadWithoutCastENSI_16StoreWithoutCastEEEviS9_T0_T2_T3_T4_T5_
                                        ; -- End function
	.set _ZN2at6native27unrolled_elementwise_kernelINS0_13BinaryFunctorIN3c108BFloat16ES4_S4_ZNS0_12_GLOBAL__N_121threshold_kernel_implIS4_EEvRNS_18TensorIteratorBaseET_S9_EUlS4_S4_E_EESt5arrayIPcLm3EELi4E23TrivialOffsetCalculatorILi2EjESF_ILi1EjENS0_6memory15LoadWithoutCastENSI_16StoreWithoutCastEEEviS9_T0_T2_T3_T4_T5_.num_vgpr, 16
	.set _ZN2at6native27unrolled_elementwise_kernelINS0_13BinaryFunctorIN3c108BFloat16ES4_S4_ZNS0_12_GLOBAL__N_121threshold_kernel_implIS4_EEvRNS_18TensorIteratorBaseET_S9_EUlS4_S4_E_EESt5arrayIPcLm3EELi4E23TrivialOffsetCalculatorILi2EjESF_ILi1EjENS0_6memory15LoadWithoutCastENSI_16StoreWithoutCastEEEviS9_T0_T2_T3_T4_T5_.num_agpr, 0
	.set _ZN2at6native27unrolled_elementwise_kernelINS0_13BinaryFunctorIN3c108BFloat16ES4_S4_ZNS0_12_GLOBAL__N_121threshold_kernel_implIS4_EEvRNS_18TensorIteratorBaseET_S9_EUlS4_S4_E_EESt5arrayIPcLm3EELi4E23TrivialOffsetCalculatorILi2EjESF_ILi1EjENS0_6memory15LoadWithoutCastENSI_16StoreWithoutCastEEEviS9_T0_T2_T3_T4_T5_.numbered_sgpr, 14
	.set _ZN2at6native27unrolled_elementwise_kernelINS0_13BinaryFunctorIN3c108BFloat16ES4_S4_ZNS0_12_GLOBAL__N_121threshold_kernel_implIS4_EEvRNS_18TensorIteratorBaseET_S9_EUlS4_S4_E_EESt5arrayIPcLm3EELi4E23TrivialOffsetCalculatorILi2EjESF_ILi1EjENS0_6memory15LoadWithoutCastENSI_16StoreWithoutCastEEEviS9_T0_T2_T3_T4_T5_.num_named_barrier, 0
	.set _ZN2at6native27unrolled_elementwise_kernelINS0_13BinaryFunctorIN3c108BFloat16ES4_S4_ZNS0_12_GLOBAL__N_121threshold_kernel_implIS4_EEvRNS_18TensorIteratorBaseET_S9_EUlS4_S4_E_EESt5arrayIPcLm3EELi4E23TrivialOffsetCalculatorILi2EjESF_ILi1EjENS0_6memory15LoadWithoutCastENSI_16StoreWithoutCastEEEviS9_T0_T2_T3_T4_T5_.private_seg_size, 0
	.set _ZN2at6native27unrolled_elementwise_kernelINS0_13BinaryFunctorIN3c108BFloat16ES4_S4_ZNS0_12_GLOBAL__N_121threshold_kernel_implIS4_EEvRNS_18TensorIteratorBaseET_S9_EUlS4_S4_E_EESt5arrayIPcLm3EELi4E23TrivialOffsetCalculatorILi2EjESF_ILi1EjENS0_6memory15LoadWithoutCastENSI_16StoreWithoutCastEEEviS9_T0_T2_T3_T4_T5_.uses_vcc, 1
	.set _ZN2at6native27unrolled_elementwise_kernelINS0_13BinaryFunctorIN3c108BFloat16ES4_S4_ZNS0_12_GLOBAL__N_121threshold_kernel_implIS4_EEvRNS_18TensorIteratorBaseET_S9_EUlS4_S4_E_EESt5arrayIPcLm3EELi4E23TrivialOffsetCalculatorILi2EjESF_ILi1EjENS0_6memory15LoadWithoutCastENSI_16StoreWithoutCastEEEviS9_T0_T2_T3_T4_T5_.uses_flat_scratch, 0
	.set _ZN2at6native27unrolled_elementwise_kernelINS0_13BinaryFunctorIN3c108BFloat16ES4_S4_ZNS0_12_GLOBAL__N_121threshold_kernel_implIS4_EEvRNS_18TensorIteratorBaseET_S9_EUlS4_S4_E_EESt5arrayIPcLm3EELi4E23TrivialOffsetCalculatorILi2EjESF_ILi1EjENS0_6memory15LoadWithoutCastENSI_16StoreWithoutCastEEEviS9_T0_T2_T3_T4_T5_.has_dyn_sized_stack, 0
	.set _ZN2at6native27unrolled_elementwise_kernelINS0_13BinaryFunctorIN3c108BFloat16ES4_S4_ZNS0_12_GLOBAL__N_121threshold_kernel_implIS4_EEvRNS_18TensorIteratorBaseET_S9_EUlS4_S4_E_EESt5arrayIPcLm3EELi4E23TrivialOffsetCalculatorILi2EjESF_ILi1EjENS0_6memory15LoadWithoutCastENSI_16StoreWithoutCastEEEviS9_T0_T2_T3_T4_T5_.has_recursion, 0
	.set _ZN2at6native27unrolled_elementwise_kernelINS0_13BinaryFunctorIN3c108BFloat16ES4_S4_ZNS0_12_GLOBAL__N_121threshold_kernel_implIS4_EEvRNS_18TensorIteratorBaseET_S9_EUlS4_S4_E_EESt5arrayIPcLm3EELi4E23TrivialOffsetCalculatorILi2EjESF_ILi1EjENS0_6memory15LoadWithoutCastENSI_16StoreWithoutCastEEEviS9_T0_T2_T3_T4_T5_.has_indirect_call, 0
	.section	.AMDGPU.csdata,"",@progbits
; Kernel info:
; codeLenInByte = 848
; TotalNumSgprs: 18
; NumVgprs: 16
; ScratchSize: 0
; MemoryBound: 0
; FloatMode: 240
; IeeeMode: 1
; LDSByteSize: 0 bytes/workgroup (compile time only)
; SGPRBlocks: 2
; VGPRBlocks: 3
; NumSGPRsForWavesPerEU: 18
; NumVGPRsForWavesPerEU: 16
; Occupancy: 10
; WaveLimiterHint : 0
; COMPUTE_PGM_RSRC2:SCRATCH_EN: 0
; COMPUTE_PGM_RSRC2:USER_SGPR: 6
; COMPUTE_PGM_RSRC2:TRAP_HANDLER: 0
; COMPUTE_PGM_RSRC2:TGID_X_EN: 1
; COMPUTE_PGM_RSRC2:TGID_Y_EN: 0
; COMPUTE_PGM_RSRC2:TGID_Z_EN: 0
; COMPUTE_PGM_RSRC2:TIDIG_COMP_CNT: 0
	.section	.text._ZN2at6native32elementwise_kernel_manual_unrollILi128ELi8EZNS0_22gpu_kernel_impl_nocastINS0_13BinaryFunctorIN3c108BFloat16ES5_S5_ZNS0_12_GLOBAL__N_121threshold_kernel_implIS5_EEvRNS_18TensorIteratorBaseET_SA_EUlS5_S5_E_EEEEvS9_RKSA_EUlibE_EEviT1_,"axG",@progbits,_ZN2at6native32elementwise_kernel_manual_unrollILi128ELi8EZNS0_22gpu_kernel_impl_nocastINS0_13BinaryFunctorIN3c108BFloat16ES5_S5_ZNS0_12_GLOBAL__N_121threshold_kernel_implIS5_EEvRNS_18TensorIteratorBaseET_SA_EUlS5_S5_E_EEEEvS9_RKSA_EUlibE_EEviT1_,comdat
	.globl	_ZN2at6native32elementwise_kernel_manual_unrollILi128ELi8EZNS0_22gpu_kernel_impl_nocastINS0_13BinaryFunctorIN3c108BFloat16ES5_S5_ZNS0_12_GLOBAL__N_121threshold_kernel_implIS5_EEvRNS_18TensorIteratorBaseET_SA_EUlS5_S5_E_EEEEvS9_RKSA_EUlibE_EEviT1_ ; -- Begin function _ZN2at6native32elementwise_kernel_manual_unrollILi128ELi8EZNS0_22gpu_kernel_impl_nocastINS0_13BinaryFunctorIN3c108BFloat16ES5_S5_ZNS0_12_GLOBAL__N_121threshold_kernel_implIS5_EEvRNS_18TensorIteratorBaseET_SA_EUlS5_S5_E_EEEEvS9_RKSA_EUlibE_EEviT1_
	.p2align	8
	.type	_ZN2at6native32elementwise_kernel_manual_unrollILi128ELi8EZNS0_22gpu_kernel_impl_nocastINS0_13BinaryFunctorIN3c108BFloat16ES5_S5_ZNS0_12_GLOBAL__N_121threshold_kernel_implIS5_EEvRNS_18TensorIteratorBaseET_SA_EUlS5_S5_E_EEEEvS9_RKSA_EUlibE_EEviT1_,@function
_ZN2at6native32elementwise_kernel_manual_unrollILi128ELi8EZNS0_22gpu_kernel_impl_nocastINS0_13BinaryFunctorIN3c108BFloat16ES5_S5_ZNS0_12_GLOBAL__N_121threshold_kernel_implIS5_EEvRNS_18TensorIteratorBaseET_SA_EUlS5_S5_E_EEEEvS9_RKSA_EUlibE_EEviT1_: ; @_ZN2at6native32elementwise_kernel_manual_unrollILi128ELi8EZNS0_22gpu_kernel_impl_nocastINS0_13BinaryFunctorIN3c108BFloat16ES5_S5_ZNS0_12_GLOBAL__N_121threshold_kernel_implIS5_EEvRNS_18TensorIteratorBaseET_SA_EUlS5_S5_E_EEEEvS9_RKSA_EUlibE_EEviT1_
; %bb.0:
	s_load_dword s38, s[4:5], 0x0
	s_load_dword s33, s[4:5], 0x8
	s_add_u32 s12, s4, 8
	s_addc_u32 s13, s5, 0
	v_lshl_or_b32 v31, s6, 10, v0
	v_or_b32_e32 v41, 0x380, v31
	s_waitcnt lgkmcnt(0)
	s_add_i32 s34, s33, -1
	s_cmp_gt_u32 s34, 1
	v_cmp_le_i32_e32 vcc, s38, v41
	s_cselect_b64 s[14:15], -1, 0
	s_and_saveexec_b64 s[0:1], vcc
	s_xor_b64 s[16:17], exec, s[0:1]
	s_cbranch_execz .LBB238_106
; %bb.1:
	s_load_dwordx4 s[8:11], s[12:13], 0x4
	s_load_dwordx2 s[22:23], s[12:13], 0x14
	s_load_dwordx4 s[4:7], s[12:13], 0xc4
	s_load_dwordx2 s[20:21], s[12:13], 0xd4
	s_load_dword s28, s[12:13], 0x1a0
	s_load_dwordx2 s[18:19], s[12:13], 0x198
	s_load_dwordx4 s[0:3], s[12:13], 0x188
	s_cmp_lg_u32 s33, 0
	s_cselect_b64 s[26:27], -1, 0
	s_min_u32 s37, s34, 15
	s_cmp_gt_u32 s33, 1
	s_cselect_b64 s[24:25], -1, 0
	s_waitcnt lgkmcnt(0)
	s_lshr_b32 s36, s28, 16
	s_lshl_b32 s35, s28, 16
	v_cmp_gt_i32_e32 vcc, s38, v31
	s_and_saveexec_b64 s[28:29], vcc
	s_cbranch_execnz .LBB238_9
; %bb.2:
	s_or_b64 exec, exec, s[28:29]
	v_cmp_gt_i32_e32 vcc, s38, v31
	s_and_saveexec_b64 s[28:29], vcc
	s_cbranch_execnz .LBB238_21
.LBB238_3:
	s_or_b64 exec, exec, s[28:29]
	v_cmp_gt_i32_e32 vcc, s38, v31
	s_and_saveexec_b64 s[28:29], vcc
	s_cbranch_execnz .LBB238_33
.LBB238_4:
	s_or_b64 exec, exec, s[28:29]
	v_cmp_gt_i32_e32 vcc, s38, v31
	s_and_saveexec_b64 s[28:29], vcc
	s_cbranch_execnz .LBB238_45
.LBB238_5:
	s_or_b64 exec, exec, s[28:29]
	v_cmp_gt_i32_e32 vcc, s38, v31
	s_and_saveexec_b64 s[28:29], vcc
	s_cbranch_execnz .LBB238_57
.LBB238_6:
	s_or_b64 exec, exec, s[28:29]
	v_cmp_gt_i32_e32 vcc, s38, v31
	s_and_saveexec_b64 s[28:29], vcc
	s_cbranch_execnz .LBB238_69
.LBB238_7:
	s_or_b64 exec, exec, s[28:29]
	v_cmp_gt_i32_e32 vcc, s38, v31
	s_and_saveexec_b64 s[28:29], vcc
	s_cbranch_execnz .LBB238_81
.LBB238_8:
	s_or_b64 exec, exec, s[28:29]
	v_cmp_gt_i32_e32 vcc, s38, v31
	s_and_saveexec_b64 s[28:29], vcc
	s_cbranch_execnz .LBB238_93
	s_branch .LBB238_105
.LBB238_9:
	s_andn2_b64 vcc, exec, s[14:15]
	s_cbranch_vccnz .LBB238_15
; %bb.10:
	s_andn2_b64 vcc, exec, s[26:27]
	s_cbranch_vccnz .LBB238_16
; %bb.11:
	s_add_i32 s30, s37, 1
	s_and_b32 s39, s30, 30
	s_add_u32 s30, s12, 0xffffffe8
	s_addc_u32 s31, s13, -1
	v_mov_b32_e32 v2, 0
	v_mov_b32_e32 v4, 0
	;; [unrolled: 1-line block ×4, first 2 shown]
.LBB238_12:                             ; =>This Inner Loop Header: Depth=1
	s_load_dwordx4 s[40:43], s[30:31], 0x1c
	s_load_dwordx2 s[48:49], s[30:31], 0x2c
	s_load_dwordx2 s[50:51], s[30:31], 0xec
	s_load_dwordx4 s[44:47], s[30:31], 0xdc
	s_add_u32 s30, s30, 24
	s_waitcnt lgkmcnt(0)
	v_mul_hi_u32 v3, s41, v1
	s_addc_u32 s31, s31, 0
	s_add_i32 s39, s39, -2
	s_cmp_lg_u32 s39, 0
	v_add_u32_e32 v3, v1, v3
	v_lshrrev_b32_e32 v3, s42, v3
	v_mul_lo_u32 v5, v3, s40
	v_mul_hi_u32 v6, s48, v3
	v_sub_u32_e32 v5, v1, v5
	v_add_u32_e32 v1, v3, v6
	v_lshrrev_b32_e32 v1, s49, v1
	v_mul_lo_u32 v8, v1, s43
	v_mul_lo_u32 v6, v5, s44
	;; [unrolled: 1-line block ×4, first 2 shown]
	v_sub_u32_e32 v3, v3, v8
	v_mul_lo_u32 v8, v3, s47
	v_mul_lo_u32 v9, v3, s50
	v_mul_lo_u32 v3, v3, s51
	v_add3_u32 v0, v6, v0, v8
	v_add3_u32 v4, v7, v4, v9
	;; [unrolled: 1-line block ×3, first 2 shown]
	s_cbranch_scc1 .LBB238_12
; %bb.13:
	s_bitcmp1_b32 s37, 0
	s_cselect_b64 s[40:41], -1, 0
	s_and_b64 vcc, exec, s[40:41]
	s_cbranch_vccnz .LBB238_17
; %bb.14:
	s_load_dwordx2 s[40:41], s[30:31], 0x1c
	s_load_dword s39, s[30:31], 0x24
	s_load_dwordx2 s[42:43], s[30:31], 0xdc
	s_waitcnt lgkmcnt(0)
	v_mul_hi_u32 v3, s41, v1
	v_add_u32_e32 v3, v1, v3
	v_lshrrev_b32_e32 v3, s39, v3
	v_mul_lo_u32 v3, v3, s40
	s_load_dword s39, s[30:31], 0xe4
	v_sub_u32_e32 v3, v1, v3
	v_mad_u64_u32 v[0:1], s[30:31], v3, s42, v[0:1]
	v_mad_u64_u32 v[4:5], s[30:31], v3, s43, v[4:5]
	s_waitcnt lgkmcnt(0)
	v_mad_u64_u32 v[2:3], s[30:31], v3, s39, v[2:3]
	s_cbranch_execz .LBB238_18
	s_branch .LBB238_20
.LBB238_15:
                                        ; implicit-def: $vgpr0
                                        ; implicit-def: $vgpr4
                                        ; implicit-def: $vgpr2
	s_branch .LBB238_18
.LBB238_16:
	v_mov_b32_e32 v0, 0
	v_mov_b32_e32 v4, 0
	;; [unrolled: 1-line block ×3, first 2 shown]
.LBB238_17:
	s_cbranch_execnz .LBB238_20
.LBB238_18:
	v_mul_hi_u32 v0, s9, v31
	s_andn2_b64 vcc, exec, s[24:25]
	v_add_u32_e32 v0, v31, v0
	v_lshrrev_b32_e32 v1, s10, v0
	v_mul_lo_u32 v0, v1, s8
	v_sub_u32_e32 v2, v31, v0
	v_mul_lo_u32 v0, v2, s4
	v_mul_lo_u32 v4, v2, s5
	;; [unrolled: 1-line block ×3, first 2 shown]
	s_cbranch_vccnz .LBB238_20
; %bb.19:
	v_mul_hi_u32 v3, s22, v1
	v_add_u32_e32 v3, v1, v3
	v_lshrrev_b32_e32 v3, s23, v3
	v_mul_lo_u32 v3, v3, s11
	v_sub_u32_e32 v3, v1, v3
	v_mad_u64_u32 v[0:1], s[30:31], v3, s7, v[0:1]
	v_mad_u64_u32 v[4:5], s[30:31], v3, s20, v[4:5]
	;; [unrolled: 1-line block ×3, first 2 shown]
.LBB238_20:
	global_load_ushort v1, v4, s[2:3]
	global_load_ushort v3, v2, s[18:19]
	v_mov_b32_e32 v2, s36
	v_add_u32_e32 v31, 0x80, v31
	s_waitcnt vmcnt(1)
	v_lshlrev_b32_e32 v1, 16, v1
	v_cmp_ge_f32_e32 vcc, s35, v1
	s_waitcnt vmcnt(0)
	v_cndmask_b32_e32 v1, v3, v2, vcc
	global_store_short v0, v1, s[0:1]
	s_or_b64 exec, exec, s[28:29]
	v_cmp_gt_i32_e32 vcc, s38, v31
	s_and_saveexec_b64 s[28:29], vcc
	s_cbranch_execz .LBB238_3
.LBB238_21:
	s_andn2_b64 vcc, exec, s[14:15]
	s_cbranch_vccnz .LBB238_27
; %bb.22:
	s_andn2_b64 vcc, exec, s[26:27]
	s_cbranch_vccnz .LBB238_28
; %bb.23:
	s_add_i32 s30, s37, 1
	s_and_b32 s39, s30, 30
	s_add_u32 s30, s12, 0xffffffe8
	s_addc_u32 s31, s13, -1
	v_mov_b32_e32 v2, 0
	v_mov_b32_e32 v4, 0
	;; [unrolled: 1-line block ×4, first 2 shown]
.LBB238_24:                             ; =>This Inner Loop Header: Depth=1
	s_load_dwordx4 s[40:43], s[30:31], 0x1c
	s_load_dwordx2 s[48:49], s[30:31], 0x2c
	s_load_dwordx2 s[50:51], s[30:31], 0xec
	s_load_dwordx4 s[44:47], s[30:31], 0xdc
	s_add_u32 s30, s30, 24
	s_waitcnt lgkmcnt(0)
	v_mul_hi_u32 v3, s41, v1
	s_addc_u32 s31, s31, 0
	s_add_i32 s39, s39, -2
	s_cmp_eq_u32 s39, 0
	v_add_u32_e32 v3, v1, v3
	v_lshrrev_b32_e32 v3, s42, v3
	v_mul_lo_u32 v5, v3, s40
	v_mul_hi_u32 v6, s48, v3
	v_sub_u32_e32 v5, v1, v5
	v_add_u32_e32 v1, v3, v6
	v_lshrrev_b32_e32 v1, s49, v1
	v_mul_lo_u32 v8, v1, s43
	v_mul_lo_u32 v6, v5, s44
	;; [unrolled: 1-line block ×4, first 2 shown]
	v_sub_u32_e32 v3, v3, v8
	v_mul_lo_u32 v8, v3, s47
	v_mul_lo_u32 v9, v3, s50
	;; [unrolled: 1-line block ×3, first 2 shown]
	v_add3_u32 v0, v6, v0, v8
	v_add3_u32 v4, v7, v4, v9
	;; [unrolled: 1-line block ×3, first 2 shown]
	s_cbranch_scc0 .LBB238_24
; %bb.25:
	s_bitcmp1_b32 s37, 0
	s_cselect_b64 s[40:41], -1, 0
	s_and_b64 vcc, exec, s[40:41]
	s_cbranch_vccnz .LBB238_29
; %bb.26:
	s_load_dwordx2 s[40:41], s[30:31], 0x1c
	s_load_dword s39, s[30:31], 0x24
	s_load_dwordx2 s[42:43], s[30:31], 0xdc
	s_waitcnt lgkmcnt(0)
	v_mul_hi_u32 v3, s41, v1
	v_add_u32_e32 v3, v1, v3
	v_lshrrev_b32_e32 v3, s39, v3
	v_mul_lo_u32 v3, v3, s40
	s_load_dword s39, s[30:31], 0xe4
	v_sub_u32_e32 v3, v1, v3
	v_mad_u64_u32 v[0:1], s[30:31], v3, s42, v[0:1]
	v_mad_u64_u32 v[4:5], s[30:31], v3, s43, v[4:5]
	s_waitcnt lgkmcnt(0)
	v_mad_u64_u32 v[2:3], s[30:31], v3, s39, v[2:3]
	s_branch .LBB238_29
.LBB238_27:
                                        ; implicit-def: $vgpr0
                                        ; implicit-def: $vgpr4
                                        ; implicit-def: $vgpr2
	s_branch .LBB238_30
.LBB238_28:
	v_mov_b32_e32 v0, 0
	v_mov_b32_e32 v4, 0
	;; [unrolled: 1-line block ×3, first 2 shown]
.LBB238_29:
	s_cbranch_execnz .LBB238_32
.LBB238_30:
	v_mul_hi_u32 v0, s9, v31
	s_andn2_b64 vcc, exec, s[24:25]
	v_add_u32_e32 v0, v31, v0
	v_lshrrev_b32_e32 v1, s10, v0
	v_mul_lo_u32 v0, v1, s8
	v_sub_u32_e32 v2, v31, v0
	v_mul_lo_u32 v0, v2, s4
	v_mul_lo_u32 v4, v2, s5
	v_mul_lo_u32 v2, v2, s6
	s_cbranch_vccnz .LBB238_32
; %bb.31:
	v_mul_hi_u32 v3, s22, v1
	v_add_u32_e32 v3, v1, v3
	v_lshrrev_b32_e32 v3, s23, v3
	v_mul_lo_u32 v3, v3, s11
	v_sub_u32_e32 v3, v1, v3
	v_mad_u64_u32 v[0:1], s[30:31], v3, s7, v[0:1]
	v_mad_u64_u32 v[4:5], s[30:31], v3, s20, v[4:5]
	;; [unrolled: 1-line block ×3, first 2 shown]
.LBB238_32:
	global_load_ushort v1, v4, s[2:3]
	global_load_ushort v3, v2, s[18:19]
	v_mov_b32_e32 v2, s36
	v_add_u32_e32 v31, 0x80, v31
	s_waitcnt vmcnt(1)
	v_lshlrev_b32_e32 v1, 16, v1
	v_cmp_ge_f32_e32 vcc, s35, v1
	s_waitcnt vmcnt(0)
	v_cndmask_b32_e32 v1, v3, v2, vcc
	global_store_short v0, v1, s[0:1]
	s_or_b64 exec, exec, s[28:29]
	v_cmp_gt_i32_e32 vcc, s38, v31
	s_and_saveexec_b64 s[28:29], vcc
	s_cbranch_execz .LBB238_4
.LBB238_33:
	s_andn2_b64 vcc, exec, s[14:15]
	s_cbranch_vccnz .LBB238_39
; %bb.34:
	s_andn2_b64 vcc, exec, s[26:27]
	s_cbranch_vccnz .LBB238_40
; %bb.35:
	s_add_i32 s30, s37, 1
	s_and_b32 s39, s30, 30
	s_add_u32 s30, s12, 0xffffffe8
	s_addc_u32 s31, s13, -1
	v_mov_b32_e32 v2, 0
	v_mov_b32_e32 v4, 0
	;; [unrolled: 1-line block ×4, first 2 shown]
.LBB238_36:                             ; =>This Inner Loop Header: Depth=1
	s_load_dwordx4 s[40:43], s[30:31], 0x1c
	s_load_dwordx2 s[48:49], s[30:31], 0x2c
	s_load_dwordx2 s[50:51], s[30:31], 0xec
	s_load_dwordx4 s[44:47], s[30:31], 0xdc
	s_add_u32 s30, s30, 24
	s_waitcnt lgkmcnt(0)
	v_mul_hi_u32 v3, s41, v1
	s_addc_u32 s31, s31, 0
	s_add_i32 s39, s39, -2
	s_cmp_eq_u32 s39, 0
	v_add_u32_e32 v3, v1, v3
	v_lshrrev_b32_e32 v3, s42, v3
	v_mul_lo_u32 v5, v3, s40
	v_mul_hi_u32 v6, s48, v3
	v_sub_u32_e32 v5, v1, v5
	v_add_u32_e32 v1, v3, v6
	v_lshrrev_b32_e32 v1, s49, v1
	v_mul_lo_u32 v8, v1, s43
	v_mul_lo_u32 v6, v5, s44
	;; [unrolled: 1-line block ×4, first 2 shown]
	v_sub_u32_e32 v3, v3, v8
	v_mul_lo_u32 v8, v3, s47
	v_mul_lo_u32 v9, v3, s50
	;; [unrolled: 1-line block ×3, first 2 shown]
	v_add3_u32 v0, v6, v0, v8
	v_add3_u32 v4, v7, v4, v9
	;; [unrolled: 1-line block ×3, first 2 shown]
	s_cbranch_scc0 .LBB238_36
; %bb.37:
	s_bitcmp1_b32 s37, 0
	s_cselect_b64 s[40:41], -1, 0
	s_and_b64 vcc, exec, s[40:41]
	s_cbranch_vccnz .LBB238_41
; %bb.38:
	s_load_dwordx2 s[40:41], s[30:31], 0x1c
	s_load_dword s39, s[30:31], 0x24
	s_load_dwordx2 s[42:43], s[30:31], 0xdc
	s_waitcnt lgkmcnt(0)
	v_mul_hi_u32 v3, s41, v1
	v_add_u32_e32 v3, v1, v3
	v_lshrrev_b32_e32 v3, s39, v3
	v_mul_lo_u32 v3, v3, s40
	s_load_dword s39, s[30:31], 0xe4
	v_sub_u32_e32 v3, v1, v3
	v_mad_u64_u32 v[0:1], s[30:31], v3, s42, v[0:1]
	v_mad_u64_u32 v[4:5], s[30:31], v3, s43, v[4:5]
	s_waitcnt lgkmcnt(0)
	v_mad_u64_u32 v[2:3], s[30:31], v3, s39, v[2:3]
	s_branch .LBB238_41
.LBB238_39:
                                        ; implicit-def: $vgpr0
                                        ; implicit-def: $vgpr4
                                        ; implicit-def: $vgpr2
	s_branch .LBB238_42
.LBB238_40:
	v_mov_b32_e32 v0, 0
	v_mov_b32_e32 v4, 0
	;; [unrolled: 1-line block ×3, first 2 shown]
.LBB238_41:
	s_cbranch_execnz .LBB238_44
.LBB238_42:
	v_mul_hi_u32 v0, s9, v31
	s_andn2_b64 vcc, exec, s[24:25]
	v_add_u32_e32 v0, v31, v0
	v_lshrrev_b32_e32 v1, s10, v0
	v_mul_lo_u32 v0, v1, s8
	v_sub_u32_e32 v2, v31, v0
	v_mul_lo_u32 v0, v2, s4
	v_mul_lo_u32 v4, v2, s5
	;; [unrolled: 1-line block ×3, first 2 shown]
	s_cbranch_vccnz .LBB238_44
; %bb.43:
	v_mul_hi_u32 v3, s22, v1
	v_add_u32_e32 v3, v1, v3
	v_lshrrev_b32_e32 v3, s23, v3
	v_mul_lo_u32 v3, v3, s11
	v_sub_u32_e32 v3, v1, v3
	v_mad_u64_u32 v[0:1], s[30:31], v3, s7, v[0:1]
	v_mad_u64_u32 v[4:5], s[30:31], v3, s20, v[4:5]
	;; [unrolled: 1-line block ×3, first 2 shown]
.LBB238_44:
	global_load_ushort v1, v4, s[2:3]
	global_load_ushort v3, v2, s[18:19]
	v_mov_b32_e32 v2, s36
	v_add_u32_e32 v31, 0x80, v31
	s_waitcnt vmcnt(1)
	v_lshlrev_b32_e32 v1, 16, v1
	v_cmp_ge_f32_e32 vcc, s35, v1
	s_waitcnt vmcnt(0)
	v_cndmask_b32_e32 v1, v3, v2, vcc
	global_store_short v0, v1, s[0:1]
	s_or_b64 exec, exec, s[28:29]
	v_cmp_gt_i32_e32 vcc, s38, v31
	s_and_saveexec_b64 s[28:29], vcc
	s_cbranch_execz .LBB238_5
.LBB238_45:
	s_andn2_b64 vcc, exec, s[14:15]
	s_cbranch_vccnz .LBB238_51
; %bb.46:
	s_andn2_b64 vcc, exec, s[26:27]
	s_cbranch_vccnz .LBB238_52
; %bb.47:
	s_add_i32 s30, s37, 1
	s_and_b32 s39, s30, 30
	s_add_u32 s30, s12, 0xffffffe8
	s_addc_u32 s31, s13, -1
	v_mov_b32_e32 v2, 0
	v_mov_b32_e32 v4, 0
	v_mov_b32_e32 v0, 0
	v_mov_b32_e32 v1, v31
.LBB238_48:                             ; =>This Inner Loop Header: Depth=1
	s_load_dwordx4 s[40:43], s[30:31], 0x1c
	s_load_dwordx2 s[48:49], s[30:31], 0x2c
	s_load_dwordx2 s[50:51], s[30:31], 0xec
	s_load_dwordx4 s[44:47], s[30:31], 0xdc
	s_add_u32 s30, s30, 24
	s_waitcnt lgkmcnt(0)
	v_mul_hi_u32 v3, s41, v1
	s_addc_u32 s31, s31, 0
	s_add_i32 s39, s39, -2
	s_cmp_eq_u32 s39, 0
	v_add_u32_e32 v3, v1, v3
	v_lshrrev_b32_e32 v3, s42, v3
	v_mul_lo_u32 v5, v3, s40
	v_mul_hi_u32 v6, s48, v3
	v_sub_u32_e32 v5, v1, v5
	v_add_u32_e32 v1, v3, v6
	v_lshrrev_b32_e32 v1, s49, v1
	v_mul_lo_u32 v8, v1, s43
	v_mul_lo_u32 v6, v5, s44
	;; [unrolled: 1-line block ×4, first 2 shown]
	v_sub_u32_e32 v3, v3, v8
	v_mul_lo_u32 v8, v3, s47
	v_mul_lo_u32 v9, v3, s50
	v_mul_lo_u32 v3, v3, s51
	v_add3_u32 v0, v6, v0, v8
	v_add3_u32 v4, v7, v4, v9
	;; [unrolled: 1-line block ×3, first 2 shown]
	s_cbranch_scc0 .LBB238_48
; %bb.49:
	s_bitcmp1_b32 s37, 0
	s_cselect_b64 s[40:41], -1, 0
	s_and_b64 vcc, exec, s[40:41]
	s_cbranch_vccnz .LBB238_53
; %bb.50:
	s_load_dwordx2 s[40:41], s[30:31], 0x1c
	s_load_dword s39, s[30:31], 0x24
	s_load_dwordx2 s[42:43], s[30:31], 0xdc
	s_waitcnt lgkmcnt(0)
	v_mul_hi_u32 v3, s41, v1
	v_add_u32_e32 v3, v1, v3
	v_lshrrev_b32_e32 v3, s39, v3
	v_mul_lo_u32 v3, v3, s40
	s_load_dword s39, s[30:31], 0xe4
	v_sub_u32_e32 v3, v1, v3
	v_mad_u64_u32 v[0:1], s[30:31], v3, s42, v[0:1]
	v_mad_u64_u32 v[4:5], s[30:31], v3, s43, v[4:5]
	s_waitcnt lgkmcnt(0)
	v_mad_u64_u32 v[2:3], s[30:31], v3, s39, v[2:3]
	s_branch .LBB238_53
.LBB238_51:
                                        ; implicit-def: $vgpr0
                                        ; implicit-def: $vgpr4
                                        ; implicit-def: $vgpr2
	s_branch .LBB238_54
.LBB238_52:
	v_mov_b32_e32 v0, 0
	v_mov_b32_e32 v4, 0
	;; [unrolled: 1-line block ×3, first 2 shown]
.LBB238_53:
	s_cbranch_execnz .LBB238_56
.LBB238_54:
	v_mul_hi_u32 v0, s9, v31
	s_andn2_b64 vcc, exec, s[24:25]
	v_add_u32_e32 v0, v31, v0
	v_lshrrev_b32_e32 v1, s10, v0
	v_mul_lo_u32 v0, v1, s8
	v_sub_u32_e32 v2, v31, v0
	v_mul_lo_u32 v0, v2, s4
	v_mul_lo_u32 v4, v2, s5
	;; [unrolled: 1-line block ×3, first 2 shown]
	s_cbranch_vccnz .LBB238_56
; %bb.55:
	v_mul_hi_u32 v3, s22, v1
	v_add_u32_e32 v3, v1, v3
	v_lshrrev_b32_e32 v3, s23, v3
	v_mul_lo_u32 v3, v3, s11
	v_sub_u32_e32 v3, v1, v3
	v_mad_u64_u32 v[0:1], s[30:31], v3, s7, v[0:1]
	v_mad_u64_u32 v[4:5], s[30:31], v3, s20, v[4:5]
	;; [unrolled: 1-line block ×3, first 2 shown]
.LBB238_56:
	global_load_ushort v1, v4, s[2:3]
	global_load_ushort v3, v2, s[18:19]
	v_mov_b32_e32 v2, s36
	v_add_u32_e32 v31, 0x80, v31
	s_waitcnt vmcnt(1)
	v_lshlrev_b32_e32 v1, 16, v1
	v_cmp_ge_f32_e32 vcc, s35, v1
	s_waitcnt vmcnt(0)
	v_cndmask_b32_e32 v1, v3, v2, vcc
	global_store_short v0, v1, s[0:1]
	s_or_b64 exec, exec, s[28:29]
	v_cmp_gt_i32_e32 vcc, s38, v31
	s_and_saveexec_b64 s[28:29], vcc
	s_cbranch_execz .LBB238_6
.LBB238_57:
	s_andn2_b64 vcc, exec, s[14:15]
	s_cbranch_vccnz .LBB238_63
; %bb.58:
	s_andn2_b64 vcc, exec, s[26:27]
	s_cbranch_vccnz .LBB238_64
; %bb.59:
	s_add_i32 s30, s37, 1
	s_and_b32 s39, s30, 30
	s_add_u32 s30, s12, 0xffffffe8
	s_addc_u32 s31, s13, -1
	v_mov_b32_e32 v2, 0
	v_mov_b32_e32 v4, 0
	;; [unrolled: 1-line block ×4, first 2 shown]
.LBB238_60:                             ; =>This Inner Loop Header: Depth=1
	s_load_dwordx4 s[40:43], s[30:31], 0x1c
	s_load_dwordx2 s[48:49], s[30:31], 0x2c
	s_load_dwordx2 s[50:51], s[30:31], 0xec
	s_load_dwordx4 s[44:47], s[30:31], 0xdc
	s_add_u32 s30, s30, 24
	s_waitcnt lgkmcnt(0)
	v_mul_hi_u32 v3, s41, v1
	s_addc_u32 s31, s31, 0
	s_add_i32 s39, s39, -2
	s_cmp_eq_u32 s39, 0
	v_add_u32_e32 v3, v1, v3
	v_lshrrev_b32_e32 v3, s42, v3
	v_mul_lo_u32 v5, v3, s40
	v_mul_hi_u32 v6, s48, v3
	v_sub_u32_e32 v5, v1, v5
	v_add_u32_e32 v1, v3, v6
	v_lshrrev_b32_e32 v1, s49, v1
	v_mul_lo_u32 v8, v1, s43
	v_mul_lo_u32 v6, v5, s44
	v_mul_lo_u32 v7, v5, s45
	v_mul_lo_u32 v5, v5, s46
	v_sub_u32_e32 v3, v3, v8
	v_mul_lo_u32 v8, v3, s47
	v_mul_lo_u32 v9, v3, s50
	;; [unrolled: 1-line block ×3, first 2 shown]
	v_add3_u32 v0, v6, v0, v8
	v_add3_u32 v4, v7, v4, v9
	;; [unrolled: 1-line block ×3, first 2 shown]
	s_cbranch_scc0 .LBB238_60
; %bb.61:
	s_bitcmp1_b32 s37, 0
	s_cselect_b64 s[40:41], -1, 0
	s_and_b64 vcc, exec, s[40:41]
	s_cbranch_vccnz .LBB238_65
; %bb.62:
	s_load_dwordx2 s[40:41], s[30:31], 0x1c
	s_load_dword s39, s[30:31], 0x24
	s_load_dwordx2 s[42:43], s[30:31], 0xdc
	s_waitcnt lgkmcnt(0)
	v_mul_hi_u32 v3, s41, v1
	v_add_u32_e32 v3, v1, v3
	v_lshrrev_b32_e32 v3, s39, v3
	v_mul_lo_u32 v3, v3, s40
	s_load_dword s39, s[30:31], 0xe4
	v_sub_u32_e32 v3, v1, v3
	v_mad_u64_u32 v[0:1], s[30:31], v3, s42, v[0:1]
	v_mad_u64_u32 v[4:5], s[30:31], v3, s43, v[4:5]
	s_waitcnt lgkmcnt(0)
	v_mad_u64_u32 v[2:3], s[30:31], v3, s39, v[2:3]
	s_branch .LBB238_65
.LBB238_63:
                                        ; implicit-def: $vgpr0
                                        ; implicit-def: $vgpr4
                                        ; implicit-def: $vgpr2
	s_branch .LBB238_66
.LBB238_64:
	v_mov_b32_e32 v0, 0
	v_mov_b32_e32 v4, 0
	;; [unrolled: 1-line block ×3, first 2 shown]
.LBB238_65:
	s_cbranch_execnz .LBB238_68
.LBB238_66:
	v_mul_hi_u32 v0, s9, v31
	s_andn2_b64 vcc, exec, s[24:25]
	v_add_u32_e32 v0, v31, v0
	v_lshrrev_b32_e32 v1, s10, v0
	v_mul_lo_u32 v0, v1, s8
	v_sub_u32_e32 v2, v31, v0
	v_mul_lo_u32 v0, v2, s4
	v_mul_lo_u32 v4, v2, s5
	;; [unrolled: 1-line block ×3, first 2 shown]
	s_cbranch_vccnz .LBB238_68
; %bb.67:
	v_mul_hi_u32 v3, s22, v1
	v_add_u32_e32 v3, v1, v3
	v_lshrrev_b32_e32 v3, s23, v3
	v_mul_lo_u32 v3, v3, s11
	v_sub_u32_e32 v3, v1, v3
	v_mad_u64_u32 v[0:1], s[30:31], v3, s7, v[0:1]
	v_mad_u64_u32 v[4:5], s[30:31], v3, s20, v[4:5]
	;; [unrolled: 1-line block ×3, first 2 shown]
.LBB238_68:
	global_load_ushort v1, v4, s[2:3]
	global_load_ushort v3, v2, s[18:19]
	v_mov_b32_e32 v2, s36
	v_add_u32_e32 v31, 0x80, v31
	s_waitcnt vmcnt(1)
	v_lshlrev_b32_e32 v1, 16, v1
	v_cmp_ge_f32_e32 vcc, s35, v1
	s_waitcnt vmcnt(0)
	v_cndmask_b32_e32 v1, v3, v2, vcc
	global_store_short v0, v1, s[0:1]
	s_or_b64 exec, exec, s[28:29]
	v_cmp_gt_i32_e32 vcc, s38, v31
	s_and_saveexec_b64 s[28:29], vcc
	s_cbranch_execz .LBB238_7
.LBB238_69:
	s_andn2_b64 vcc, exec, s[14:15]
	s_cbranch_vccnz .LBB238_75
; %bb.70:
	s_andn2_b64 vcc, exec, s[26:27]
	s_cbranch_vccnz .LBB238_76
; %bb.71:
	s_add_i32 s30, s37, 1
	s_and_b32 s39, s30, 30
	s_add_u32 s30, s12, 0xffffffe8
	s_addc_u32 s31, s13, -1
	v_mov_b32_e32 v2, 0
	v_mov_b32_e32 v4, 0
	;; [unrolled: 1-line block ×4, first 2 shown]
.LBB238_72:                             ; =>This Inner Loop Header: Depth=1
	s_load_dwordx4 s[40:43], s[30:31], 0x1c
	s_load_dwordx2 s[48:49], s[30:31], 0x2c
	s_load_dwordx2 s[50:51], s[30:31], 0xec
	s_load_dwordx4 s[44:47], s[30:31], 0xdc
	s_add_u32 s30, s30, 24
	s_waitcnt lgkmcnt(0)
	v_mul_hi_u32 v3, s41, v1
	s_addc_u32 s31, s31, 0
	s_add_i32 s39, s39, -2
	s_cmp_eq_u32 s39, 0
	v_add_u32_e32 v3, v1, v3
	v_lshrrev_b32_e32 v3, s42, v3
	v_mul_lo_u32 v5, v3, s40
	v_mul_hi_u32 v6, s48, v3
	v_sub_u32_e32 v5, v1, v5
	v_add_u32_e32 v1, v3, v6
	v_lshrrev_b32_e32 v1, s49, v1
	v_mul_lo_u32 v8, v1, s43
	v_mul_lo_u32 v6, v5, s44
	;; [unrolled: 1-line block ×4, first 2 shown]
	v_sub_u32_e32 v3, v3, v8
	v_mul_lo_u32 v8, v3, s47
	v_mul_lo_u32 v9, v3, s50
	v_mul_lo_u32 v3, v3, s51
	v_add3_u32 v0, v6, v0, v8
	v_add3_u32 v4, v7, v4, v9
	;; [unrolled: 1-line block ×3, first 2 shown]
	s_cbranch_scc0 .LBB238_72
; %bb.73:
	s_bitcmp1_b32 s37, 0
	s_cselect_b64 s[40:41], -1, 0
	s_and_b64 vcc, exec, s[40:41]
	s_cbranch_vccnz .LBB238_77
; %bb.74:
	s_load_dwordx2 s[40:41], s[30:31], 0x1c
	s_load_dword s39, s[30:31], 0x24
	s_load_dwordx2 s[42:43], s[30:31], 0xdc
	s_waitcnt lgkmcnt(0)
	v_mul_hi_u32 v3, s41, v1
	v_add_u32_e32 v3, v1, v3
	v_lshrrev_b32_e32 v3, s39, v3
	v_mul_lo_u32 v3, v3, s40
	s_load_dword s39, s[30:31], 0xe4
	v_sub_u32_e32 v3, v1, v3
	v_mad_u64_u32 v[0:1], s[30:31], v3, s42, v[0:1]
	v_mad_u64_u32 v[4:5], s[30:31], v3, s43, v[4:5]
	s_waitcnt lgkmcnt(0)
	v_mad_u64_u32 v[2:3], s[30:31], v3, s39, v[2:3]
	s_branch .LBB238_77
.LBB238_75:
                                        ; implicit-def: $vgpr0
                                        ; implicit-def: $vgpr4
                                        ; implicit-def: $vgpr2
	s_branch .LBB238_78
.LBB238_76:
	v_mov_b32_e32 v0, 0
	v_mov_b32_e32 v4, 0
	;; [unrolled: 1-line block ×3, first 2 shown]
.LBB238_77:
	s_cbranch_execnz .LBB238_80
.LBB238_78:
	v_mul_hi_u32 v0, s9, v31
	s_andn2_b64 vcc, exec, s[24:25]
	v_add_u32_e32 v0, v31, v0
	v_lshrrev_b32_e32 v1, s10, v0
	v_mul_lo_u32 v0, v1, s8
	v_sub_u32_e32 v2, v31, v0
	v_mul_lo_u32 v0, v2, s4
	v_mul_lo_u32 v4, v2, s5
	;; [unrolled: 1-line block ×3, first 2 shown]
	s_cbranch_vccnz .LBB238_80
; %bb.79:
	v_mul_hi_u32 v3, s22, v1
	v_add_u32_e32 v3, v1, v3
	v_lshrrev_b32_e32 v3, s23, v3
	v_mul_lo_u32 v3, v3, s11
	v_sub_u32_e32 v3, v1, v3
	v_mad_u64_u32 v[0:1], s[30:31], v3, s7, v[0:1]
	v_mad_u64_u32 v[4:5], s[30:31], v3, s20, v[4:5]
	;; [unrolled: 1-line block ×3, first 2 shown]
.LBB238_80:
	global_load_ushort v1, v4, s[2:3]
	global_load_ushort v3, v2, s[18:19]
	v_mov_b32_e32 v2, s36
	v_add_u32_e32 v31, 0x80, v31
	s_waitcnt vmcnt(1)
	v_lshlrev_b32_e32 v1, 16, v1
	v_cmp_ge_f32_e32 vcc, s35, v1
	s_waitcnt vmcnt(0)
	v_cndmask_b32_e32 v1, v3, v2, vcc
	global_store_short v0, v1, s[0:1]
	s_or_b64 exec, exec, s[28:29]
	v_cmp_gt_i32_e32 vcc, s38, v31
	s_and_saveexec_b64 s[28:29], vcc
	s_cbranch_execz .LBB238_8
.LBB238_81:
	s_andn2_b64 vcc, exec, s[14:15]
	s_cbranch_vccnz .LBB238_87
; %bb.82:
	s_andn2_b64 vcc, exec, s[26:27]
	s_cbranch_vccnz .LBB238_88
; %bb.83:
	s_add_i32 s30, s37, 1
	s_and_b32 s39, s30, 30
	s_add_u32 s30, s12, 0xffffffe8
	s_addc_u32 s31, s13, -1
	v_mov_b32_e32 v2, 0
	v_mov_b32_e32 v4, 0
	;; [unrolled: 1-line block ×4, first 2 shown]
.LBB238_84:                             ; =>This Inner Loop Header: Depth=1
	s_load_dwordx4 s[40:43], s[30:31], 0x1c
	s_load_dwordx2 s[48:49], s[30:31], 0x2c
	s_load_dwordx2 s[50:51], s[30:31], 0xec
	s_load_dwordx4 s[44:47], s[30:31], 0xdc
	s_add_u32 s30, s30, 24
	s_waitcnt lgkmcnt(0)
	v_mul_hi_u32 v3, s41, v1
	s_addc_u32 s31, s31, 0
	s_add_i32 s39, s39, -2
	s_cmp_eq_u32 s39, 0
	v_add_u32_e32 v3, v1, v3
	v_lshrrev_b32_e32 v3, s42, v3
	v_mul_lo_u32 v5, v3, s40
	v_mul_hi_u32 v6, s48, v3
	v_sub_u32_e32 v5, v1, v5
	v_add_u32_e32 v1, v3, v6
	v_lshrrev_b32_e32 v1, s49, v1
	v_mul_lo_u32 v8, v1, s43
	v_mul_lo_u32 v6, v5, s44
	v_mul_lo_u32 v7, v5, s45
	v_mul_lo_u32 v5, v5, s46
	v_sub_u32_e32 v3, v3, v8
	v_mul_lo_u32 v8, v3, s47
	v_mul_lo_u32 v9, v3, s50
	v_mul_lo_u32 v3, v3, s51
	v_add3_u32 v0, v6, v0, v8
	v_add3_u32 v4, v7, v4, v9
	;; [unrolled: 1-line block ×3, first 2 shown]
	s_cbranch_scc0 .LBB238_84
; %bb.85:
	s_bitcmp1_b32 s37, 0
	s_cselect_b64 s[40:41], -1, 0
	s_and_b64 vcc, exec, s[40:41]
	s_cbranch_vccnz .LBB238_89
; %bb.86:
	s_load_dwordx2 s[40:41], s[30:31], 0x1c
	s_load_dword s39, s[30:31], 0x24
	s_load_dwordx2 s[42:43], s[30:31], 0xdc
	s_waitcnt lgkmcnt(0)
	v_mul_hi_u32 v3, s41, v1
	v_add_u32_e32 v3, v1, v3
	v_lshrrev_b32_e32 v3, s39, v3
	v_mul_lo_u32 v3, v3, s40
	s_load_dword s39, s[30:31], 0xe4
	v_sub_u32_e32 v3, v1, v3
	v_mad_u64_u32 v[0:1], s[30:31], v3, s42, v[0:1]
	v_mad_u64_u32 v[4:5], s[30:31], v3, s43, v[4:5]
	s_waitcnt lgkmcnt(0)
	v_mad_u64_u32 v[2:3], s[30:31], v3, s39, v[2:3]
	s_branch .LBB238_89
.LBB238_87:
                                        ; implicit-def: $vgpr0
                                        ; implicit-def: $vgpr4
                                        ; implicit-def: $vgpr2
	s_branch .LBB238_90
.LBB238_88:
	v_mov_b32_e32 v0, 0
	v_mov_b32_e32 v4, 0
	;; [unrolled: 1-line block ×3, first 2 shown]
.LBB238_89:
	s_cbranch_execnz .LBB238_92
.LBB238_90:
	v_mul_hi_u32 v0, s9, v31
	s_andn2_b64 vcc, exec, s[24:25]
	v_add_u32_e32 v0, v31, v0
	v_lshrrev_b32_e32 v1, s10, v0
	v_mul_lo_u32 v0, v1, s8
	v_sub_u32_e32 v2, v31, v0
	v_mul_lo_u32 v0, v2, s4
	v_mul_lo_u32 v4, v2, s5
	;; [unrolled: 1-line block ×3, first 2 shown]
	s_cbranch_vccnz .LBB238_92
; %bb.91:
	v_mul_hi_u32 v3, s22, v1
	v_add_u32_e32 v3, v1, v3
	v_lshrrev_b32_e32 v3, s23, v3
	v_mul_lo_u32 v3, v3, s11
	v_sub_u32_e32 v3, v1, v3
	v_mad_u64_u32 v[0:1], s[30:31], v3, s7, v[0:1]
	v_mad_u64_u32 v[4:5], s[30:31], v3, s20, v[4:5]
	v_mad_u64_u32 v[2:3], s[30:31], v3, s21, v[2:3]
.LBB238_92:
	global_load_ushort v1, v4, s[2:3]
	global_load_ushort v3, v2, s[18:19]
	v_mov_b32_e32 v2, s36
	v_add_u32_e32 v31, 0x80, v31
	s_waitcnt vmcnt(1)
	v_lshlrev_b32_e32 v1, 16, v1
	v_cmp_ge_f32_e32 vcc, s35, v1
	s_waitcnt vmcnt(0)
	v_cndmask_b32_e32 v1, v3, v2, vcc
	global_store_short v0, v1, s[0:1]
	s_or_b64 exec, exec, s[28:29]
	v_cmp_gt_i32_e32 vcc, s38, v31
	s_and_saveexec_b64 s[28:29], vcc
	s_cbranch_execz .LBB238_105
.LBB238_93:
	s_andn2_b64 vcc, exec, s[14:15]
	s_cbranch_vccnz .LBB238_99
; %bb.94:
	s_andn2_b64 vcc, exec, s[26:27]
	s_cbranch_vccnz .LBB238_100
; %bb.95:
	s_add_i32 s26, s37, 1
	s_and_b32 s30, s26, 30
	s_add_u32 s26, s12, 0xffffffe8
	s_addc_u32 s27, s13, -1
	v_mov_b32_e32 v2, 0
	v_mov_b32_e32 v4, 0
	;; [unrolled: 1-line block ×4, first 2 shown]
.LBB238_96:                             ; =>This Inner Loop Header: Depth=1
	s_load_dwordx4 s[40:43], s[26:27], 0x1c
	s_load_dwordx2 s[38:39], s[26:27], 0x2c
	s_load_dwordx2 s[48:49], s[26:27], 0xec
	s_load_dwordx4 s[44:47], s[26:27], 0xdc
	s_add_u32 s26, s26, 24
	s_waitcnt lgkmcnt(0)
	v_mul_hi_u32 v3, s41, v1
	s_addc_u32 s27, s27, 0
	s_add_i32 s30, s30, -2
	s_cmp_eq_u32 s30, 0
	v_add_u32_e32 v3, v1, v3
	v_lshrrev_b32_e32 v3, s42, v3
	v_mul_lo_u32 v5, v3, s40
	v_mul_hi_u32 v6, s38, v3
	v_sub_u32_e32 v5, v1, v5
	v_add_u32_e32 v1, v3, v6
	v_lshrrev_b32_e32 v1, s39, v1
	v_mul_lo_u32 v8, v1, s43
	v_mul_lo_u32 v6, v5, s44
	;; [unrolled: 1-line block ×4, first 2 shown]
	v_sub_u32_e32 v3, v3, v8
	v_mul_lo_u32 v8, v3, s47
	v_mul_lo_u32 v9, v3, s48
	;; [unrolled: 1-line block ×3, first 2 shown]
	v_add3_u32 v0, v6, v0, v8
	v_add3_u32 v4, v7, v4, v9
	;; [unrolled: 1-line block ×3, first 2 shown]
	s_cbranch_scc0 .LBB238_96
; %bb.97:
	s_bitcmp1_b32 s37, 0
	s_cselect_b64 s[30:31], -1, 0
	s_and_b64 vcc, exec, s[30:31]
	s_cbranch_vccnz .LBB238_101
; %bb.98:
	s_load_dwordx2 s[30:31], s[26:27], 0x1c
	s_load_dword s37, s[26:27], 0x24
	s_load_dwordx2 s[38:39], s[26:27], 0xdc
	s_waitcnt lgkmcnt(0)
	v_mul_hi_u32 v3, s31, v1
	v_add_u32_e32 v3, v1, v3
	v_lshrrev_b32_e32 v3, s37, v3
	v_mul_lo_u32 v3, v3, s30
	s_load_dword s30, s[26:27], 0xe4
	v_sub_u32_e32 v3, v1, v3
	v_mad_u64_u32 v[0:1], s[26:27], v3, s38, v[0:1]
	v_mad_u64_u32 v[4:5], s[26:27], v3, s39, v[4:5]
	s_waitcnt lgkmcnt(0)
	v_mad_u64_u32 v[2:3], s[26:27], v3, s30, v[2:3]
	s_branch .LBB238_101
.LBB238_99:
                                        ; implicit-def: $vgpr0
                                        ; implicit-def: $vgpr4
                                        ; implicit-def: $vgpr2
	s_branch .LBB238_102
.LBB238_100:
	v_mov_b32_e32 v0, 0
	v_mov_b32_e32 v4, 0
	;; [unrolled: 1-line block ×3, first 2 shown]
.LBB238_101:
	s_cbranch_execnz .LBB238_104
.LBB238_102:
	v_mul_hi_u32 v0, s9, v31
	s_andn2_b64 vcc, exec, s[24:25]
	v_add_u32_e32 v0, v31, v0
	v_lshrrev_b32_e32 v1, s10, v0
	v_mul_lo_u32 v0, v1, s8
	v_sub_u32_e32 v2, v31, v0
	v_mul_lo_u32 v0, v2, s4
	v_mul_lo_u32 v4, v2, s5
	;; [unrolled: 1-line block ×3, first 2 shown]
	s_cbranch_vccnz .LBB238_104
; %bb.103:
	v_mul_hi_u32 v3, s22, v1
	v_add_u32_e32 v3, v1, v3
	v_lshrrev_b32_e32 v3, s23, v3
	v_mul_lo_u32 v3, v3, s11
	v_sub_u32_e32 v3, v1, v3
	v_mad_u64_u32 v[0:1], s[4:5], v3, s7, v[0:1]
	v_mad_u64_u32 v[4:5], s[4:5], v3, s20, v[4:5]
	;; [unrolled: 1-line block ×3, first 2 shown]
.LBB238_104:
	global_load_ushort v1, v4, s[2:3]
	global_load_ushort v3, v2, s[18:19]
	v_mov_b32_e32 v2, s36
	s_waitcnt vmcnt(1)
	v_lshlrev_b32_e32 v1, 16, v1
	v_cmp_ge_f32_e32 vcc, s35, v1
	s_waitcnt vmcnt(0)
	v_cndmask_b32_e32 v1, v3, v2, vcc
	global_store_short v0, v1, s[0:1]
.LBB238_105:
	s_or_b64 exec, exec, s[28:29]
                                        ; implicit-def: $vgpr41
                                        ; implicit-def: $vgpr31
.LBB238_106:
	s_andn2_saveexec_b64 s[0:1], s[16:17]
	s_cbranch_execz .LBB238_113
; %bb.107:
	v_cndmask_b32_e64 v0, 0, 1, s[14:15]
	v_cmp_ne_u32_e64 s[0:1], 1, v0
	s_andn2_b64 vcc, exec, s[14:15]
	s_cbranch_vccnz .LBB238_114
; %bb.108:
	s_cmp_lg_u32 s33, 0
	s_cbranch_scc0 .LBB238_115
; %bb.109:
	s_min_u32 s4, s34, 15
	s_add_i32 s2, s4, 1
	s_and_b32 s5, s2, 30
	s_add_u32 s2, s12, 0xffffffe8
	s_addc_u32 s3, s13, -1
	v_mov_b32_e32 v2, 0
	v_mov_b32_e32 v4, 0
	;; [unrolled: 1-line block ×4, first 2 shown]
.LBB238_110:                            ; =>This Inner Loop Header: Depth=1
	s_load_dwordx4 s[8:11], s[2:3], 0x1c
	s_load_dwordx2 s[6:7], s[2:3], 0x2c
	s_load_dwordx2 s[14:15], s[2:3], 0xec
	s_load_dwordx4 s[16:19], s[2:3], 0xdc
	s_add_u32 s2, s2, 24
	s_waitcnt lgkmcnt(0)
	v_mul_hi_u32 v3, s9, v1
	s_addc_u32 s3, s3, 0
	s_add_i32 s5, s5, -2
	s_cmp_lg_u32 s5, 0
	v_add_u32_e32 v3, v1, v3
	v_lshrrev_b32_e32 v3, s10, v3
	v_mul_lo_u32 v5, v3, s8
	v_mul_hi_u32 v6, s6, v3
	v_sub_u32_e32 v5, v1, v5
	v_add_u32_e32 v1, v3, v6
	v_lshrrev_b32_e32 v1, s7, v1
	v_mul_lo_u32 v8, v1, s11
	v_mul_lo_u32 v6, v5, s16
	;; [unrolled: 1-line block ×4, first 2 shown]
	v_sub_u32_e32 v3, v3, v8
	v_mul_lo_u32 v8, v3, s19
	v_mul_lo_u32 v9, v3, s14
	;; [unrolled: 1-line block ×3, first 2 shown]
	v_add3_u32 v0, v6, v0, v8
	v_add3_u32 v4, v7, v4, v9
	;; [unrolled: 1-line block ×3, first 2 shown]
	s_cbranch_scc1 .LBB238_110
; %bb.111:
	s_bitcmp1_b32 s4, 0
	s_cselect_b64 s[4:5], -1, 0
	s_and_b64 vcc, exec, s[4:5]
	s_cbranch_vccnz .LBB238_116
; %bb.112:
	s_load_dwordx2 s[4:5], s[2:3], 0x1c
	s_load_dword s8, s[2:3], 0x24
	s_load_dwordx2 s[6:7], s[2:3], 0xdc
	s_waitcnt lgkmcnt(0)
	v_mul_hi_u32 v3, s5, v1
	v_add_u32_e32 v3, v1, v3
	v_lshrrev_b32_e32 v3, s8, v3
	v_mul_lo_u32 v3, v3, s4
	s_load_dword s4, s[2:3], 0xe4
	v_sub_u32_e32 v3, v1, v3
	v_mad_u64_u32 v[0:1], s[2:3], v3, s6, v[0:1]
	v_mad_u64_u32 v[4:5], s[2:3], v3, s7, v[4:5]
	s_waitcnt lgkmcnt(0)
	v_mad_u64_u32 v[2:3], s[2:3], v3, s4, v[2:3]
	s_cbranch_execz .LBB238_117
	s_branch .LBB238_119
.LBB238_113:
	s_endpgm
.LBB238_114:
                                        ; implicit-def: $vgpr0
                                        ; implicit-def: $vgpr4
                                        ; implicit-def: $vgpr2
	s_branch .LBB238_117
.LBB238_115:
	v_mov_b32_e32 v0, 0
	v_mov_b32_e32 v4, 0
	;; [unrolled: 1-line block ×3, first 2 shown]
.LBB238_116:
	s_cbranch_execnz .LBB238_119
.LBB238_117:
	s_load_dwordx4 s[4:7], s[12:13], 0x4
	s_load_dwordx4 s[8:11], s[12:13], 0xc4
	s_cmp_lt_u32 s33, 2
	s_waitcnt lgkmcnt(0)
	v_mul_hi_u32 v0, s5, v31
	v_add_u32_e32 v0, v31, v0
	v_lshrrev_b32_e32 v1, s6, v0
	v_mul_lo_u32 v0, v1, s4
	v_sub_u32_e32 v2, v31, v0
	v_mul_lo_u32 v0, v2, s8
	v_mul_lo_u32 v4, v2, s9
	;; [unrolled: 1-line block ×3, first 2 shown]
	s_cbranch_scc1 .LBB238_119
; %bb.118:
	s_load_dwordx4 s[4:7], s[12:13], 0x10
	s_load_dwordx4 s[8:11], s[12:13], 0xd0
	s_waitcnt lgkmcnt(0)
	v_mul_hi_u32 v3, s5, v1
	v_add_u32_e32 v3, v1, v3
	v_lshrrev_b32_e32 v3, s6, v3
	v_mul_lo_u32 v3, v3, s4
	v_sub_u32_e32 v3, v1, v3
	v_mad_u64_u32 v[0:1], s[2:3], v3, s8, v[0:1]
	v_mad_u64_u32 v[4:5], s[2:3], v3, s9, v[4:5]
	;; [unrolled: 1-line block ×3, first 2 shown]
.LBB238_119:
	s_and_b64 vcc, exec, s[0:1]
	v_add_u32_e32 v1, 0x80, v31
	s_cbranch_vccnz .LBB238_125
; %bb.120:
	s_cmp_lg_u32 s33, 0
	s_cbranch_scc0 .LBB238_126
; %bb.121:
	s_min_u32 s4, s34, 15
	s_add_i32 s2, s4, 1
	s_and_b32 s5, s2, 30
	s_add_u32 s2, s12, 0xffffffe8
	s_addc_u32 s3, s13, -1
	v_mov_b32_e32 v7, 0
	v_mov_b32_e32 v9, 0
	;; [unrolled: 1-line block ×4, first 2 shown]
.LBB238_122:                            ; =>This Inner Loop Header: Depth=1
	s_load_dwordx4 s[8:11], s[2:3], 0x1c
	s_load_dwordx2 s[6:7], s[2:3], 0x2c
	s_load_dwordx2 s[14:15], s[2:3], 0xec
	s_load_dwordx4 s[16:19], s[2:3], 0xdc
	s_add_u32 s2, s2, 24
	s_waitcnt lgkmcnt(0)
	v_mul_hi_u32 v6, s9, v3
	s_addc_u32 s3, s3, 0
	s_add_i32 s5, s5, -2
	s_cmp_lg_u32 s5, 0
	v_add_u32_e32 v6, v3, v6
	v_lshrrev_b32_e32 v6, s10, v6
	v_mul_lo_u32 v8, v6, s8
	v_mul_hi_u32 v10, s6, v6
	v_sub_u32_e32 v8, v3, v8
	v_add_u32_e32 v3, v6, v10
	v_lshrrev_b32_e32 v3, s7, v3
	v_mul_lo_u32 v12, v3, s11
	v_mul_lo_u32 v10, v8, s16
	;; [unrolled: 1-line block ×4, first 2 shown]
	v_sub_u32_e32 v6, v6, v12
	v_mul_lo_u32 v12, v6, s19
	v_mul_lo_u32 v13, v6, s14
	;; [unrolled: 1-line block ×3, first 2 shown]
	v_add3_u32 v5, v10, v5, v12
	v_add3_u32 v9, v11, v9, v13
	;; [unrolled: 1-line block ×3, first 2 shown]
	s_cbranch_scc1 .LBB238_122
; %bb.123:
	s_bitcmp1_b32 s4, 0
	s_cselect_b64 s[4:5], -1, 0
	s_and_b64 vcc, exec, s[4:5]
	s_cbranch_vccnz .LBB238_127
; %bb.124:
	s_load_dwordx2 s[4:5], s[2:3], 0x1c
	s_load_dword s8, s[2:3], 0x24
	s_load_dwordx2 s[6:7], s[2:3], 0xdc
	s_waitcnt lgkmcnt(0)
	v_mul_hi_u32 v6, s5, v3
	v_add_u32_e32 v6, v3, v6
	v_lshrrev_b32_e32 v6, s8, v6
	v_mul_lo_u32 v6, v6, s4
	s_load_dword s4, s[2:3], 0xe4
	v_sub_u32_e32 v3, v3, v6
	v_mad_u64_u32 v[5:6], s[2:3], v3, s6, v[5:6]
	v_mad_u64_u32 v[9:10], s[2:3], v3, s7, v[9:10]
	s_waitcnt lgkmcnt(0)
	v_mad_u64_u32 v[7:8], s[2:3], v3, s4, v[7:8]
	s_cbranch_execz .LBB238_128
	s_branch .LBB238_130
.LBB238_125:
                                        ; implicit-def: $vgpr5
                                        ; implicit-def: $vgpr9
                                        ; implicit-def: $vgpr7
	s_branch .LBB238_128
.LBB238_126:
	v_mov_b32_e32 v5, 0
	v_mov_b32_e32 v9, 0
	;; [unrolled: 1-line block ×3, first 2 shown]
.LBB238_127:
	s_cbranch_execnz .LBB238_130
.LBB238_128:
	s_load_dwordx4 s[4:7], s[12:13], 0x4
	s_load_dwordx4 s[8:11], s[12:13], 0xc4
	s_cmp_lt_u32 s33, 2
	s_waitcnt lgkmcnt(0)
	v_mul_hi_u32 v3, s5, v1
	v_add_u32_e32 v3, v1, v3
	v_lshrrev_b32_e32 v3, s6, v3
	v_mul_lo_u32 v5, v3, s4
	v_sub_u32_e32 v1, v1, v5
	v_mul_lo_u32 v5, v1, s8
	v_mul_lo_u32 v9, v1, s9
	;; [unrolled: 1-line block ×3, first 2 shown]
	s_cbranch_scc1 .LBB238_130
; %bb.129:
	s_load_dwordx4 s[4:7], s[12:13], 0x10
	s_load_dwordx4 s[8:11], s[12:13], 0xd0
	s_waitcnt lgkmcnt(0)
	v_mul_hi_u32 v1, s5, v3
	v_add_u32_e32 v1, v3, v1
	v_lshrrev_b32_e32 v1, s6, v1
	v_mul_lo_u32 v1, v1, s4
	v_sub_u32_e32 v1, v3, v1
	v_mad_u64_u32 v[5:6], s[2:3], v1, s8, v[5:6]
	v_mad_u64_u32 v[9:10], s[2:3], v1, s9, v[9:10]
	;; [unrolled: 1-line block ×3, first 2 shown]
.LBB238_130:
	s_and_b64 vcc, exec, s[0:1]
	v_add_u32_e32 v1, 0x100, v31
	s_cbranch_vccnz .LBB238_136
; %bb.131:
	s_cmp_lg_u32 s33, 0
	s_cbranch_scc0 .LBB238_137
; %bb.132:
	s_min_u32 s4, s34, 15
	s_add_i32 s2, s4, 1
	s_and_b32 s5, s2, 30
	s_add_u32 s2, s12, 0xffffffe8
	s_addc_u32 s3, s13, -1
	v_mov_b32_e32 v12, 0
	v_mov_b32_e32 v14, 0
	;; [unrolled: 1-line block ×4, first 2 shown]
.LBB238_133:                            ; =>This Inner Loop Header: Depth=1
	s_load_dwordx4 s[8:11], s[2:3], 0x1c
	s_load_dwordx2 s[6:7], s[2:3], 0x2c
	s_load_dwordx2 s[14:15], s[2:3], 0xec
	s_load_dwordx4 s[16:19], s[2:3], 0xdc
	s_add_u32 s2, s2, 24
	s_waitcnt lgkmcnt(0)
	v_mul_hi_u32 v6, s9, v3
	s_addc_u32 s3, s3, 0
	s_add_i32 s5, s5, -2
	s_cmp_lg_u32 s5, 0
	v_add_u32_e32 v6, v3, v6
	v_lshrrev_b32_e32 v6, s10, v6
	v_mul_lo_u32 v8, v6, s8
	v_mul_hi_u32 v11, s6, v6
	v_sub_u32_e32 v8, v3, v8
	v_add_u32_e32 v3, v6, v11
	v_lshrrev_b32_e32 v3, s7, v3
	v_mul_lo_u32 v15, v3, s11
	v_mul_lo_u32 v11, v8, s16
	;; [unrolled: 1-line block ×4, first 2 shown]
	v_sub_u32_e32 v6, v6, v15
	v_mul_lo_u32 v15, v6, s19
	v_mul_lo_u32 v16, v6, s14
	;; [unrolled: 1-line block ×3, first 2 shown]
	v_add3_u32 v10, v11, v10, v15
	v_add3_u32 v14, v13, v14, v16
	;; [unrolled: 1-line block ×3, first 2 shown]
	s_cbranch_scc1 .LBB238_133
; %bb.134:
	s_bitcmp1_b32 s4, 0
	s_cselect_b64 s[4:5], -1, 0
	s_and_b64 vcc, exec, s[4:5]
	s_cbranch_vccnz .LBB238_138
; %bb.135:
	s_load_dwordx2 s[4:5], s[2:3], 0x1c
	s_load_dword s8, s[2:3], 0x24
	s_load_dwordx2 s[6:7], s[2:3], 0xdc
	s_waitcnt lgkmcnt(0)
	v_mul_hi_u32 v6, s5, v3
	v_add_u32_e32 v6, v3, v6
	v_lshrrev_b32_e32 v6, s8, v6
	v_mul_lo_u32 v6, v6, s4
	s_load_dword s4, s[2:3], 0xe4
	v_sub_u32_e32 v3, v3, v6
	v_mad_u64_u32 v[10:11], s[2:3], v3, s6, v[10:11]
	v_mad_u64_u32 v[14:15], s[2:3], v3, s7, v[14:15]
	s_waitcnt lgkmcnt(0)
	v_mad_u64_u32 v[12:13], s[2:3], v3, s4, v[12:13]
	s_cbranch_execz .LBB238_139
	s_branch .LBB238_141
.LBB238_136:
                                        ; implicit-def: $vgpr10
                                        ; implicit-def: $vgpr14
                                        ; implicit-def: $vgpr12
	s_branch .LBB238_139
.LBB238_137:
	v_mov_b32_e32 v10, 0
	v_mov_b32_e32 v14, 0
	;; [unrolled: 1-line block ×3, first 2 shown]
.LBB238_138:
	s_cbranch_execnz .LBB238_141
.LBB238_139:
	s_load_dwordx4 s[4:7], s[12:13], 0x4
	s_load_dwordx4 s[8:11], s[12:13], 0xc4
	s_cmp_lt_u32 s33, 2
	s_waitcnt lgkmcnt(0)
	v_mul_hi_u32 v3, s5, v1
	v_add_u32_e32 v3, v1, v3
	v_lshrrev_b32_e32 v3, s6, v3
	v_mul_lo_u32 v6, v3, s4
	v_sub_u32_e32 v1, v1, v6
	v_mul_lo_u32 v10, v1, s8
	v_mul_lo_u32 v14, v1, s9
	;; [unrolled: 1-line block ×3, first 2 shown]
	s_cbranch_scc1 .LBB238_141
; %bb.140:
	s_load_dwordx4 s[4:7], s[12:13], 0x10
	s_load_dwordx4 s[8:11], s[12:13], 0xd0
	s_waitcnt lgkmcnt(0)
	v_mul_hi_u32 v1, s5, v3
	v_add_u32_e32 v1, v3, v1
	v_lshrrev_b32_e32 v1, s6, v1
	v_mul_lo_u32 v1, v1, s4
	v_sub_u32_e32 v1, v3, v1
	v_mad_u64_u32 v[10:11], s[2:3], v1, s8, v[10:11]
	v_mad_u64_u32 v[14:15], s[2:3], v1, s9, v[14:15]
	v_mad_u64_u32 v[12:13], s[2:3], v1, s10, v[12:13]
.LBB238_141:
	s_and_b64 vcc, exec, s[0:1]
	v_add_u32_e32 v1, 0x180, v31
	s_cbranch_vccnz .LBB238_147
; %bb.142:
	s_cmp_lg_u32 s33, 0
	s_cbranch_scc0 .LBB238_148
; %bb.143:
	s_min_u32 s4, s34, 15
	s_add_i32 s2, s4, 1
	s_and_b32 s5, s2, 30
	s_add_u32 s2, s12, 0xffffffe8
	s_addc_u32 s3, s13, -1
	v_mov_b32_e32 v17, 0
	v_mov_b32_e32 v19, 0
	;; [unrolled: 1-line block ×4, first 2 shown]
.LBB238_144:                            ; =>This Inner Loop Header: Depth=1
	s_load_dwordx4 s[8:11], s[2:3], 0x1c
	s_load_dwordx2 s[6:7], s[2:3], 0x2c
	s_load_dwordx2 s[14:15], s[2:3], 0xec
	s_load_dwordx4 s[16:19], s[2:3], 0xdc
	s_add_u32 s2, s2, 24
	s_waitcnt lgkmcnt(0)
	v_mul_hi_u32 v6, s9, v3
	s_addc_u32 s3, s3, 0
	s_add_i32 s5, s5, -2
	s_cmp_lg_u32 s5, 0
	v_add_u32_e32 v6, v3, v6
	v_lshrrev_b32_e32 v6, s10, v6
	v_mul_lo_u32 v8, v6, s8
	v_mul_hi_u32 v11, s6, v6
	v_sub_u32_e32 v8, v3, v8
	v_add_u32_e32 v3, v6, v11
	v_lshrrev_b32_e32 v3, s7, v3
	v_mul_lo_u32 v16, v3, s11
	v_mul_lo_u32 v11, v8, s16
	;; [unrolled: 1-line block ×4, first 2 shown]
	v_sub_u32_e32 v6, v6, v16
	v_mul_lo_u32 v16, v6, s19
	v_mul_lo_u32 v18, v6, s14
	;; [unrolled: 1-line block ×3, first 2 shown]
	v_add3_u32 v15, v11, v15, v16
	v_add3_u32 v19, v13, v19, v18
	;; [unrolled: 1-line block ×3, first 2 shown]
	s_cbranch_scc1 .LBB238_144
; %bb.145:
	s_bitcmp1_b32 s4, 0
	s_cselect_b64 s[4:5], -1, 0
	s_and_b64 vcc, exec, s[4:5]
	s_cbranch_vccnz .LBB238_149
; %bb.146:
	s_load_dwordx2 s[4:5], s[2:3], 0x1c
	s_load_dword s8, s[2:3], 0x24
	s_load_dwordx2 s[6:7], s[2:3], 0xdc
	s_waitcnt lgkmcnt(0)
	v_mul_hi_u32 v6, s5, v3
	v_add_u32_e32 v6, v3, v6
	v_lshrrev_b32_e32 v6, s8, v6
	v_mul_lo_u32 v6, v6, s4
	s_load_dword s4, s[2:3], 0xe4
	v_sub_u32_e32 v3, v3, v6
	v_mad_u64_u32 v[15:16], s[2:3], v3, s6, v[15:16]
	v_mad_u64_u32 v[19:20], s[2:3], v3, s7, v[19:20]
	s_waitcnt lgkmcnt(0)
	v_mad_u64_u32 v[17:18], s[2:3], v3, s4, v[17:18]
	s_cbranch_execz .LBB238_150
	s_branch .LBB238_152
.LBB238_147:
                                        ; implicit-def: $vgpr15
                                        ; implicit-def: $vgpr19
                                        ; implicit-def: $vgpr17
	s_branch .LBB238_150
.LBB238_148:
	v_mov_b32_e32 v15, 0
	v_mov_b32_e32 v19, 0
	;; [unrolled: 1-line block ×3, first 2 shown]
.LBB238_149:
	s_cbranch_execnz .LBB238_152
.LBB238_150:
	s_load_dwordx4 s[4:7], s[12:13], 0x4
	s_load_dwordx4 s[8:11], s[12:13], 0xc4
	s_cmp_lt_u32 s33, 2
	s_waitcnt lgkmcnt(0)
	v_mul_hi_u32 v3, s5, v1
	v_add_u32_e32 v3, v1, v3
	v_lshrrev_b32_e32 v3, s6, v3
	v_mul_lo_u32 v6, v3, s4
	v_sub_u32_e32 v1, v1, v6
	v_mul_lo_u32 v15, v1, s8
	v_mul_lo_u32 v19, v1, s9
	;; [unrolled: 1-line block ×3, first 2 shown]
	s_cbranch_scc1 .LBB238_152
; %bb.151:
	s_load_dwordx4 s[4:7], s[12:13], 0x10
	s_load_dwordx4 s[8:11], s[12:13], 0xd0
	s_waitcnt lgkmcnt(0)
	v_mul_hi_u32 v1, s5, v3
	v_add_u32_e32 v1, v3, v1
	v_lshrrev_b32_e32 v1, s6, v1
	v_mul_lo_u32 v1, v1, s4
	v_sub_u32_e32 v1, v3, v1
	v_mad_u64_u32 v[15:16], s[2:3], v1, s8, v[15:16]
	v_mad_u64_u32 v[19:20], s[2:3], v1, s9, v[19:20]
	;; [unrolled: 1-line block ×3, first 2 shown]
.LBB238_152:
	s_and_b64 vcc, exec, s[0:1]
	v_add_u32_e32 v1, 0x200, v31
	s_cbranch_vccnz .LBB238_158
; %bb.153:
	s_cmp_lg_u32 s33, 0
	s_cbranch_scc0 .LBB238_159
; %bb.154:
	s_min_u32 s4, s34, 15
	s_add_i32 s2, s4, 1
	s_and_b32 s5, s2, 30
	s_add_u32 s2, s12, 0xffffffe8
	s_addc_u32 s3, s13, -1
	v_mov_b32_e32 v22, 0
	v_mov_b32_e32 v24, 0
	;; [unrolled: 1-line block ×4, first 2 shown]
.LBB238_155:                            ; =>This Inner Loop Header: Depth=1
	s_load_dwordx4 s[8:11], s[2:3], 0x1c
	s_load_dwordx2 s[6:7], s[2:3], 0x2c
	s_load_dwordx2 s[14:15], s[2:3], 0xec
	s_load_dwordx4 s[16:19], s[2:3], 0xdc
	s_add_u32 s2, s2, 24
	s_waitcnt lgkmcnt(0)
	v_mul_hi_u32 v6, s9, v3
	s_addc_u32 s3, s3, 0
	s_add_i32 s5, s5, -2
	s_cmp_lg_u32 s5, 0
	v_add_u32_e32 v6, v3, v6
	v_lshrrev_b32_e32 v6, s10, v6
	v_mul_lo_u32 v8, v6, s8
	v_mul_hi_u32 v11, s6, v6
	v_sub_u32_e32 v8, v3, v8
	v_add_u32_e32 v3, v6, v11
	v_lshrrev_b32_e32 v3, s7, v3
	v_mul_lo_u32 v16, v3, s11
	v_mul_lo_u32 v11, v8, s16
	;; [unrolled: 1-line block ×4, first 2 shown]
	v_sub_u32_e32 v6, v6, v16
	v_mul_lo_u32 v16, v6, s19
	v_mul_lo_u32 v18, v6, s14
	;; [unrolled: 1-line block ×3, first 2 shown]
	v_add3_u32 v20, v11, v20, v16
	v_add3_u32 v24, v13, v24, v18
	;; [unrolled: 1-line block ×3, first 2 shown]
	s_cbranch_scc1 .LBB238_155
; %bb.156:
	s_bitcmp1_b32 s4, 0
	s_cselect_b64 s[4:5], -1, 0
	s_and_b64 vcc, exec, s[4:5]
	s_cbranch_vccnz .LBB238_160
; %bb.157:
	s_load_dwordx2 s[4:5], s[2:3], 0x1c
	s_load_dword s8, s[2:3], 0x24
	s_load_dwordx2 s[6:7], s[2:3], 0xdc
	s_waitcnt lgkmcnt(0)
	v_mul_hi_u32 v6, s5, v3
	v_add_u32_e32 v6, v3, v6
	v_lshrrev_b32_e32 v6, s8, v6
	v_mul_lo_u32 v6, v6, s4
	s_load_dword s4, s[2:3], 0xe4
	v_sub_u32_e32 v3, v3, v6
	v_mad_u64_u32 v[20:21], s[2:3], v3, s6, v[20:21]
	v_mad_u64_u32 v[24:25], s[2:3], v3, s7, v[24:25]
	s_waitcnt lgkmcnt(0)
	v_mad_u64_u32 v[22:23], s[2:3], v3, s4, v[22:23]
	s_cbranch_execz .LBB238_161
	s_branch .LBB238_163
.LBB238_158:
                                        ; implicit-def: $vgpr20
                                        ; implicit-def: $vgpr24
                                        ; implicit-def: $vgpr22
	s_branch .LBB238_161
.LBB238_159:
	v_mov_b32_e32 v20, 0
	v_mov_b32_e32 v24, 0
	;; [unrolled: 1-line block ×3, first 2 shown]
.LBB238_160:
	s_cbranch_execnz .LBB238_163
.LBB238_161:
	s_load_dwordx4 s[4:7], s[12:13], 0x4
	s_load_dwordx4 s[8:11], s[12:13], 0xc4
	s_cmp_lt_u32 s33, 2
	s_waitcnt lgkmcnt(0)
	v_mul_hi_u32 v3, s5, v1
	v_add_u32_e32 v3, v1, v3
	v_lshrrev_b32_e32 v3, s6, v3
	v_mul_lo_u32 v6, v3, s4
	v_sub_u32_e32 v1, v1, v6
	v_mul_lo_u32 v20, v1, s8
	v_mul_lo_u32 v24, v1, s9
	;; [unrolled: 1-line block ×3, first 2 shown]
	s_cbranch_scc1 .LBB238_163
; %bb.162:
	s_load_dwordx4 s[4:7], s[12:13], 0x10
	s_load_dwordx4 s[8:11], s[12:13], 0xd0
	s_waitcnt lgkmcnt(0)
	v_mul_hi_u32 v1, s5, v3
	v_add_u32_e32 v1, v3, v1
	v_lshrrev_b32_e32 v1, s6, v1
	v_mul_lo_u32 v1, v1, s4
	v_sub_u32_e32 v1, v3, v1
	v_mad_u64_u32 v[20:21], s[2:3], v1, s8, v[20:21]
	v_mad_u64_u32 v[24:25], s[2:3], v1, s9, v[24:25]
	;; [unrolled: 1-line block ×3, first 2 shown]
.LBB238_163:
	s_and_b64 vcc, exec, s[0:1]
	v_add_u32_e32 v1, 0x280, v31
	s_cbranch_vccnz .LBB238_169
; %bb.164:
	s_cmp_lg_u32 s33, 0
	s_cbranch_scc0 .LBB238_170
; %bb.165:
	s_min_u32 s4, s34, 15
	s_add_i32 s2, s4, 1
	s_and_b32 s5, s2, 30
	s_add_u32 s2, s12, 0xffffffe8
	s_addc_u32 s3, s13, -1
	v_mov_b32_e32 v27, 0
	v_mov_b32_e32 v29, 0
	;; [unrolled: 1-line block ×4, first 2 shown]
.LBB238_166:                            ; =>This Inner Loop Header: Depth=1
	s_load_dwordx4 s[8:11], s[2:3], 0x1c
	s_load_dwordx2 s[6:7], s[2:3], 0x2c
	s_load_dwordx2 s[14:15], s[2:3], 0xec
	s_load_dwordx4 s[16:19], s[2:3], 0xdc
	s_add_u32 s2, s2, 24
	s_waitcnt lgkmcnt(0)
	v_mul_hi_u32 v6, s9, v3
	s_addc_u32 s3, s3, 0
	s_add_i32 s5, s5, -2
	s_cmp_lg_u32 s5, 0
	v_add_u32_e32 v6, v3, v6
	v_lshrrev_b32_e32 v6, s10, v6
	v_mul_lo_u32 v8, v6, s8
	v_mul_hi_u32 v11, s6, v6
	v_sub_u32_e32 v8, v3, v8
	v_add_u32_e32 v3, v6, v11
	v_lshrrev_b32_e32 v3, s7, v3
	v_mul_lo_u32 v16, v3, s11
	v_mul_lo_u32 v11, v8, s16
	v_mul_lo_u32 v13, v8, s17
	v_mul_lo_u32 v8, v8, s18
	v_sub_u32_e32 v6, v6, v16
	v_mul_lo_u32 v16, v6, s19
	v_mul_lo_u32 v18, v6, s14
	;; [unrolled: 1-line block ×3, first 2 shown]
	v_add3_u32 v25, v11, v25, v16
	v_add3_u32 v29, v13, v29, v18
	;; [unrolled: 1-line block ×3, first 2 shown]
	s_cbranch_scc1 .LBB238_166
; %bb.167:
	s_bitcmp1_b32 s4, 0
	s_cselect_b64 s[4:5], -1, 0
	s_and_b64 vcc, exec, s[4:5]
	s_cbranch_vccnz .LBB238_171
; %bb.168:
	s_load_dwordx2 s[4:5], s[2:3], 0x1c
	s_load_dword s8, s[2:3], 0x24
	s_load_dwordx2 s[6:7], s[2:3], 0xdc
	s_waitcnt lgkmcnt(0)
	v_mul_hi_u32 v6, s5, v3
	v_add_u32_e32 v6, v3, v6
	v_lshrrev_b32_e32 v6, s8, v6
	v_mul_lo_u32 v6, v6, s4
	s_load_dword s4, s[2:3], 0xe4
	v_sub_u32_e32 v3, v3, v6
	v_mad_u64_u32 v[25:26], s[2:3], v3, s6, v[25:26]
	v_mad_u64_u32 v[29:30], s[2:3], v3, s7, v[29:30]
	s_waitcnt lgkmcnt(0)
	v_mad_u64_u32 v[27:28], s[2:3], v3, s4, v[27:28]
	s_cbranch_execz .LBB238_172
	s_branch .LBB238_174
.LBB238_169:
                                        ; implicit-def: $vgpr25
                                        ; implicit-def: $vgpr29
                                        ; implicit-def: $vgpr27
	s_branch .LBB238_172
.LBB238_170:
	v_mov_b32_e32 v25, 0
	v_mov_b32_e32 v29, 0
	;; [unrolled: 1-line block ×3, first 2 shown]
.LBB238_171:
	s_cbranch_execnz .LBB238_174
.LBB238_172:
	s_load_dwordx4 s[4:7], s[12:13], 0x4
	s_load_dwordx4 s[8:11], s[12:13], 0xc4
	s_cmp_lt_u32 s33, 2
	s_waitcnt lgkmcnt(0)
	v_mul_hi_u32 v3, s5, v1
	v_add_u32_e32 v3, v1, v3
	v_lshrrev_b32_e32 v3, s6, v3
	v_mul_lo_u32 v6, v3, s4
	v_sub_u32_e32 v1, v1, v6
	v_mul_lo_u32 v25, v1, s8
	v_mul_lo_u32 v29, v1, s9
	;; [unrolled: 1-line block ×3, first 2 shown]
	s_cbranch_scc1 .LBB238_174
; %bb.173:
	s_load_dwordx4 s[4:7], s[12:13], 0x10
	s_load_dwordx4 s[8:11], s[12:13], 0xd0
	s_waitcnt lgkmcnt(0)
	v_mul_hi_u32 v1, s5, v3
	v_add_u32_e32 v1, v3, v1
	v_lshrrev_b32_e32 v1, s6, v1
	v_mul_lo_u32 v1, v1, s4
	v_sub_u32_e32 v1, v3, v1
	v_mad_u64_u32 v[25:26], s[2:3], v1, s8, v[25:26]
	v_mad_u64_u32 v[29:30], s[2:3], v1, s9, v[29:30]
	;; [unrolled: 1-line block ×3, first 2 shown]
.LBB238_174:
	s_and_b64 vcc, exec, s[0:1]
	v_add_u32_e32 v1, 0x300, v31
	s_cbranch_vccnz .LBB238_180
; %bb.175:
	s_cmp_lg_u32 s33, 0
	s_cbranch_scc0 .LBB238_181
; %bb.176:
	s_min_u32 s4, s34, 15
	s_add_i32 s2, s4, 1
	s_and_b32 s5, s2, 30
	s_add_u32 s2, s12, 0xffffffe8
	s_addc_u32 s3, s13, -1
	v_mov_b32_e32 v32, 0
	v_mov_b32_e32 v34, 0
	v_mov_b32_e32 v30, 0
	v_mov_b32_e32 v3, v1
.LBB238_177:                            ; =>This Inner Loop Header: Depth=1
	s_load_dwordx4 s[8:11], s[2:3], 0x1c
	s_load_dwordx2 s[6:7], s[2:3], 0x2c
	s_load_dwordx2 s[14:15], s[2:3], 0xec
	s_load_dwordx4 s[16:19], s[2:3], 0xdc
	s_add_u32 s2, s2, 24
	s_waitcnt lgkmcnt(0)
	v_mul_hi_u32 v6, s9, v3
	s_addc_u32 s3, s3, 0
	s_add_i32 s5, s5, -2
	s_cmp_lg_u32 s5, 0
	v_add_u32_e32 v6, v3, v6
	v_lshrrev_b32_e32 v6, s10, v6
	v_mul_lo_u32 v8, v6, s8
	v_mul_hi_u32 v11, s6, v6
	v_sub_u32_e32 v8, v3, v8
	v_add_u32_e32 v3, v6, v11
	v_lshrrev_b32_e32 v3, s7, v3
	v_mul_lo_u32 v16, v3, s11
	v_mul_lo_u32 v11, v8, s16
	;; [unrolled: 1-line block ×4, first 2 shown]
	v_sub_u32_e32 v6, v6, v16
	v_mul_lo_u32 v16, v6, s19
	v_mul_lo_u32 v18, v6, s14
	;; [unrolled: 1-line block ×3, first 2 shown]
	v_add3_u32 v30, v11, v30, v16
	v_add3_u32 v34, v13, v34, v18
	v_add3_u32 v32, v8, v32, v6
	s_cbranch_scc1 .LBB238_177
; %bb.178:
	s_bitcmp1_b32 s4, 0
	s_cselect_b64 s[4:5], -1, 0
	s_and_b64 vcc, exec, s[4:5]
	s_cbranch_vccnz .LBB238_182
; %bb.179:
	s_load_dwordx2 s[4:5], s[2:3], 0x1c
	s_load_dword s8, s[2:3], 0x24
	s_load_dwordx2 s[6:7], s[2:3], 0xdc
	s_waitcnt lgkmcnt(0)
	v_mul_hi_u32 v6, s5, v3
	v_add_u32_e32 v6, v3, v6
	v_lshrrev_b32_e32 v6, s8, v6
	v_mul_lo_u32 v6, v6, s4
	s_load_dword s4, s[2:3], 0xe4
	v_sub_u32_e32 v3, v3, v6
	v_mad_u64_u32 v[30:31], s[2:3], v3, s6, v[30:31]
	v_mad_u64_u32 v[34:35], s[2:3], v3, s7, v[34:35]
	s_waitcnt lgkmcnt(0)
	v_mad_u64_u32 v[32:33], s[2:3], v3, s4, v[32:33]
	s_cbranch_execz .LBB238_183
	s_branch .LBB238_185
.LBB238_180:
                                        ; implicit-def: $vgpr30
                                        ; implicit-def: $vgpr34
                                        ; implicit-def: $vgpr32
	s_branch .LBB238_183
.LBB238_181:
	v_mov_b32_e32 v30, 0
	v_mov_b32_e32 v34, 0
	;; [unrolled: 1-line block ×3, first 2 shown]
.LBB238_182:
	s_cbranch_execnz .LBB238_185
.LBB238_183:
	s_load_dwordx4 s[4:7], s[12:13], 0x4
	s_load_dwordx4 s[8:11], s[12:13], 0xc4
	s_cmp_lt_u32 s33, 2
	s_waitcnt lgkmcnt(0)
	v_mul_hi_u32 v3, s5, v1
	v_add_u32_e32 v3, v1, v3
	v_lshrrev_b32_e32 v3, s6, v3
	v_mul_lo_u32 v6, v3, s4
	v_sub_u32_e32 v1, v1, v6
	v_mul_lo_u32 v30, v1, s8
	v_mul_lo_u32 v34, v1, s9
	;; [unrolled: 1-line block ×3, first 2 shown]
	s_cbranch_scc1 .LBB238_185
; %bb.184:
	s_load_dwordx4 s[4:7], s[12:13], 0x10
	s_load_dwordx4 s[8:11], s[12:13], 0xd0
	s_waitcnt lgkmcnt(0)
	v_mul_hi_u32 v1, s5, v3
	v_add_u32_e32 v1, v3, v1
	v_lshrrev_b32_e32 v1, s6, v1
	v_mul_lo_u32 v1, v1, s4
	v_sub_u32_e32 v1, v3, v1
	v_mad_u64_u32 v[30:31], s[2:3], v1, s8, v[30:31]
	v_mad_u64_u32 v[34:35], s[2:3], v1, s9, v[34:35]
	;; [unrolled: 1-line block ×3, first 2 shown]
.LBB238_185:
	s_and_b64 vcc, exec, s[0:1]
	s_cbranch_vccnz .LBB238_191
; %bb.186:
	s_cmp_lg_u32 s33, 0
	s_cbranch_scc0 .LBB238_192
; %bb.187:
	s_min_u32 s2, s34, 15
	s_add_i32 s0, s2, 1
	s_and_b32 s3, s0, 30
	s_add_u32 s0, s12, 0xffffffe8
	s_addc_u32 s1, s13, -1
	v_mov_b32_e32 v37, 0
	v_mov_b32_e32 v39, 0
	;; [unrolled: 1-line block ×4, first 2 shown]
.LBB238_188:                            ; =>This Inner Loop Header: Depth=1
	s_load_dwordx4 s[4:7], s[0:1], 0x1c
	s_load_dwordx2 s[14:15], s[0:1], 0x2c
	s_load_dwordx2 s[16:17], s[0:1], 0xec
	s_load_dwordx4 s[8:11], s[0:1], 0xdc
	s_add_u32 s0, s0, 24
	s_waitcnt lgkmcnt(0)
	v_mul_hi_u32 v3, s5, v1
	s_addc_u32 s1, s1, 0
	s_add_i32 s3, s3, -2
	s_cmp_lg_u32 s3, 0
	v_add_u32_e32 v3, v1, v3
	v_lshrrev_b32_e32 v3, s6, v3
	v_mul_lo_u32 v6, v3, s4
	v_mul_hi_u32 v8, s14, v3
	v_sub_u32_e32 v6, v1, v6
	v_add_u32_e32 v1, v3, v8
	v_lshrrev_b32_e32 v1, s15, v1
	v_mul_lo_u32 v13, v1, s7
	v_mul_lo_u32 v8, v6, s8
	;; [unrolled: 1-line block ×4, first 2 shown]
	v_sub_u32_e32 v3, v3, v13
	v_mul_lo_u32 v13, v3, s11
	v_mul_lo_u32 v16, v3, s16
	;; [unrolled: 1-line block ×3, first 2 shown]
	v_add3_u32 v35, v8, v35, v13
	v_add3_u32 v39, v11, v39, v16
	;; [unrolled: 1-line block ×3, first 2 shown]
	s_cbranch_scc1 .LBB238_188
; %bb.189:
	s_bitcmp1_b32 s2, 0
	s_cselect_b64 s[2:3], -1, 0
	s_and_b64 vcc, exec, s[2:3]
	s_cbranch_vccnz .LBB238_193
; %bb.190:
	s_load_dwordx2 s[2:3], s[0:1], 0x1c
	s_load_dword s6, s[0:1], 0x24
	s_load_dwordx2 s[4:5], s[0:1], 0xdc
	s_waitcnt lgkmcnt(0)
	v_mul_hi_u32 v3, s3, v1
	v_add_u32_e32 v3, v1, v3
	v_lshrrev_b32_e32 v3, s6, v3
	v_mul_lo_u32 v3, v3, s2
	s_load_dword s2, s[0:1], 0xe4
	v_sub_u32_e32 v1, v1, v3
	v_mad_u64_u32 v[35:36], s[0:1], v1, s4, v[35:36]
	v_mad_u64_u32 v[39:40], s[0:1], v1, s5, v[39:40]
	s_waitcnt lgkmcnt(0)
	v_mad_u64_u32 v[37:38], s[0:1], v1, s2, v[37:38]
	s_cbranch_execz .LBB238_194
	s_branch .LBB238_196
.LBB238_191:
                                        ; implicit-def: $vgpr35
                                        ; implicit-def: $vgpr39
                                        ; implicit-def: $vgpr37
	s_branch .LBB238_194
.LBB238_192:
	v_mov_b32_e32 v35, 0
	v_mov_b32_e32 v39, 0
	;; [unrolled: 1-line block ×3, first 2 shown]
.LBB238_193:
	s_cbranch_execnz .LBB238_196
.LBB238_194:
	s_load_dwordx4 s[0:3], s[12:13], 0x4
	s_load_dwordx4 s[4:7], s[12:13], 0xc4
	s_cmp_lt_u32 s33, 2
	s_waitcnt lgkmcnt(0)
	v_mul_hi_u32 v1, s1, v41
	v_add_u32_e32 v1, v41, v1
	v_lshrrev_b32_e32 v1, s2, v1
	v_mul_lo_u32 v3, v1, s0
	v_sub_u32_e32 v3, v41, v3
	v_mul_lo_u32 v35, v3, s4
	v_mul_lo_u32 v39, v3, s5
	;; [unrolled: 1-line block ×3, first 2 shown]
	s_cbranch_scc1 .LBB238_196
; %bb.195:
	s_load_dwordx4 s[0:3], s[12:13], 0x10
	s_load_dwordx4 s[4:7], s[12:13], 0xd0
	s_waitcnt lgkmcnt(0)
	v_mul_hi_u32 v3, s1, v1
	v_add_u32_e32 v3, v1, v3
	v_lshrrev_b32_e32 v3, s2, v3
	v_mul_lo_u32 v3, v3, s0
	v_sub_u32_e32 v1, v1, v3
	v_mad_u64_u32 v[35:36], s[0:1], v1, s4, v[35:36]
	v_mad_u64_u32 v[39:40], s[0:1], v1, s5, v[39:40]
	;; [unrolled: 1-line block ×3, first 2 shown]
.LBB238_196:
	s_load_dwordx4 s[0:3], s[12:13], 0x188
	s_load_dwordx2 s[4:5], s[12:13], 0x198
	s_waitcnt lgkmcnt(0)
	global_load_ushort v1, v4, s[2:3]
	global_load_ushort v3, v9, s[2:3]
	;; [unrolled: 1-line block ×8, first 2 shown]
                                        ; kill: killed $vgpr39
                                        ; kill: killed $sgpr2_sgpr3
                                        ; kill: killed $vgpr4
                                        ; kill: killed $vgpr9
                                        ; kill: killed $vgpr14
                                        ; kill: killed $vgpr19
                                        ; kill: killed $vgpr24
                                        ; kill: killed $vgpr29
                                        ; kill: killed $vgpr34
	global_load_ushort v4, v2, s[4:5]
	global_load_ushort v9, v7, s[4:5]
	;; [unrolled: 1-line block ×8, first 2 shown]
	s_load_dword s2, s[12:13], 0x1a0
	s_waitcnt lgkmcnt(0)
	s_lshr_b32 s3, s2, 16
	s_lshl_b32 s2, s2, 16
	v_mov_b32_e32 v2, s3
	s_waitcnt vmcnt(15)
	v_lshlrev_b32_e32 v1, 16, v1
	v_cmp_ge_f32_e32 vcc, s2, v1
	s_waitcnt vmcnt(14)
	v_lshlrev_b32_e32 v1, 16, v3
	s_waitcnt vmcnt(13)
	v_lshlrev_b32_e32 v3, 16, v6
	s_waitcnt vmcnt(12)
	v_lshlrev_b32_e32 v6, 16, v8
	s_waitcnt vmcnt(11)
	v_lshlrev_b32_e32 v7, 16, v11
	s_waitcnt vmcnt(10)
	v_lshlrev_b32_e32 v8, 16, v13
	s_waitcnt vmcnt(9)
	v_lshlrev_b32_e32 v11, 16, v16
	s_waitcnt vmcnt(8)
	v_lshlrev_b32_e32 v12, 16, v18
	s_waitcnt vmcnt(7)
	v_cndmask_b32_e32 v4, v4, v2, vcc
	v_cmp_ge_f32_e32 vcc, s2, v1
	s_waitcnt vmcnt(6)
	v_cndmask_b32_e32 v1, v9, v2, vcc
	v_cmp_ge_f32_e32 vcc, s2, v3
	;; [unrolled: 3-line block ×7, first 2 shown]
	s_waitcnt vmcnt(0)
	v_cndmask_b32_e32 v2, v26, v2, vcc
	global_store_short v0, v4, s[0:1]
	global_store_short v5, v1, s[0:1]
	;; [unrolled: 1-line block ×8, first 2 shown]
	s_endpgm
	.section	.rodata,"a",@progbits
	.p2align	6, 0x0
	.amdhsa_kernel _ZN2at6native32elementwise_kernel_manual_unrollILi128ELi8EZNS0_22gpu_kernel_impl_nocastINS0_13BinaryFunctorIN3c108BFloat16ES5_S5_ZNS0_12_GLOBAL__N_121threshold_kernel_implIS5_EEvRNS_18TensorIteratorBaseET_SA_EUlS5_S5_E_EEEEvS9_RKSA_EUlibE_EEviT1_
		.amdhsa_group_segment_fixed_size 0
		.amdhsa_private_segment_fixed_size 0
		.amdhsa_kernarg_size 432
		.amdhsa_user_sgpr_count 6
		.amdhsa_user_sgpr_private_segment_buffer 1
		.amdhsa_user_sgpr_dispatch_ptr 0
		.amdhsa_user_sgpr_queue_ptr 0
		.amdhsa_user_sgpr_kernarg_segment_ptr 1
		.amdhsa_user_sgpr_dispatch_id 0
		.amdhsa_user_sgpr_flat_scratch_init 0
		.amdhsa_user_sgpr_private_segment_size 0
		.amdhsa_uses_dynamic_stack 0
		.amdhsa_system_sgpr_private_segment_wavefront_offset 0
		.amdhsa_system_sgpr_workgroup_id_x 1
		.amdhsa_system_sgpr_workgroup_id_y 0
		.amdhsa_system_sgpr_workgroup_id_z 0
		.amdhsa_system_sgpr_workgroup_info 0
		.amdhsa_system_vgpr_workitem_id 0
		.amdhsa_next_free_vgpr 42
		.amdhsa_next_free_sgpr 52
		.amdhsa_reserve_vcc 1
		.amdhsa_reserve_flat_scratch 0
		.amdhsa_float_round_mode_32 0
		.amdhsa_float_round_mode_16_64 0
		.amdhsa_float_denorm_mode_32 3
		.amdhsa_float_denorm_mode_16_64 3
		.amdhsa_dx10_clamp 1
		.amdhsa_ieee_mode 1
		.amdhsa_fp16_overflow 0
		.amdhsa_exception_fp_ieee_invalid_op 0
		.amdhsa_exception_fp_denorm_src 0
		.amdhsa_exception_fp_ieee_div_zero 0
		.amdhsa_exception_fp_ieee_overflow 0
		.amdhsa_exception_fp_ieee_underflow 0
		.amdhsa_exception_fp_ieee_inexact 0
		.amdhsa_exception_int_div_zero 0
	.end_amdhsa_kernel
	.section	.text._ZN2at6native32elementwise_kernel_manual_unrollILi128ELi8EZNS0_22gpu_kernel_impl_nocastINS0_13BinaryFunctorIN3c108BFloat16ES5_S5_ZNS0_12_GLOBAL__N_121threshold_kernel_implIS5_EEvRNS_18TensorIteratorBaseET_SA_EUlS5_S5_E_EEEEvS9_RKSA_EUlibE_EEviT1_,"axG",@progbits,_ZN2at6native32elementwise_kernel_manual_unrollILi128ELi8EZNS0_22gpu_kernel_impl_nocastINS0_13BinaryFunctorIN3c108BFloat16ES5_S5_ZNS0_12_GLOBAL__N_121threshold_kernel_implIS5_EEvRNS_18TensorIteratorBaseET_SA_EUlS5_S5_E_EEEEvS9_RKSA_EUlibE_EEviT1_,comdat
.Lfunc_end238:
	.size	_ZN2at6native32elementwise_kernel_manual_unrollILi128ELi8EZNS0_22gpu_kernel_impl_nocastINS0_13BinaryFunctorIN3c108BFloat16ES5_S5_ZNS0_12_GLOBAL__N_121threshold_kernel_implIS5_EEvRNS_18TensorIteratorBaseET_SA_EUlS5_S5_E_EEEEvS9_RKSA_EUlibE_EEviT1_, .Lfunc_end238-_ZN2at6native32elementwise_kernel_manual_unrollILi128ELi8EZNS0_22gpu_kernel_impl_nocastINS0_13BinaryFunctorIN3c108BFloat16ES5_S5_ZNS0_12_GLOBAL__N_121threshold_kernel_implIS5_EEvRNS_18TensorIteratorBaseET_SA_EUlS5_S5_E_EEEEvS9_RKSA_EUlibE_EEviT1_
                                        ; -- End function
	.set _ZN2at6native32elementwise_kernel_manual_unrollILi128ELi8EZNS0_22gpu_kernel_impl_nocastINS0_13BinaryFunctorIN3c108BFloat16ES5_S5_ZNS0_12_GLOBAL__N_121threshold_kernel_implIS5_EEvRNS_18TensorIteratorBaseET_SA_EUlS5_S5_E_EEEEvS9_RKSA_EUlibE_EEviT1_.num_vgpr, 42
	.set _ZN2at6native32elementwise_kernel_manual_unrollILi128ELi8EZNS0_22gpu_kernel_impl_nocastINS0_13BinaryFunctorIN3c108BFloat16ES5_S5_ZNS0_12_GLOBAL__N_121threshold_kernel_implIS5_EEvRNS_18TensorIteratorBaseET_SA_EUlS5_S5_E_EEEEvS9_RKSA_EUlibE_EEviT1_.num_agpr, 0
	.set _ZN2at6native32elementwise_kernel_manual_unrollILi128ELi8EZNS0_22gpu_kernel_impl_nocastINS0_13BinaryFunctorIN3c108BFloat16ES5_S5_ZNS0_12_GLOBAL__N_121threshold_kernel_implIS5_EEvRNS_18TensorIteratorBaseET_SA_EUlS5_S5_E_EEEEvS9_RKSA_EUlibE_EEviT1_.numbered_sgpr, 52
	.set _ZN2at6native32elementwise_kernel_manual_unrollILi128ELi8EZNS0_22gpu_kernel_impl_nocastINS0_13BinaryFunctorIN3c108BFloat16ES5_S5_ZNS0_12_GLOBAL__N_121threshold_kernel_implIS5_EEvRNS_18TensorIteratorBaseET_SA_EUlS5_S5_E_EEEEvS9_RKSA_EUlibE_EEviT1_.num_named_barrier, 0
	.set _ZN2at6native32elementwise_kernel_manual_unrollILi128ELi8EZNS0_22gpu_kernel_impl_nocastINS0_13BinaryFunctorIN3c108BFloat16ES5_S5_ZNS0_12_GLOBAL__N_121threshold_kernel_implIS5_EEvRNS_18TensorIteratorBaseET_SA_EUlS5_S5_E_EEEEvS9_RKSA_EUlibE_EEviT1_.private_seg_size, 0
	.set _ZN2at6native32elementwise_kernel_manual_unrollILi128ELi8EZNS0_22gpu_kernel_impl_nocastINS0_13BinaryFunctorIN3c108BFloat16ES5_S5_ZNS0_12_GLOBAL__N_121threshold_kernel_implIS5_EEvRNS_18TensorIteratorBaseET_SA_EUlS5_S5_E_EEEEvS9_RKSA_EUlibE_EEviT1_.uses_vcc, 1
	.set _ZN2at6native32elementwise_kernel_manual_unrollILi128ELi8EZNS0_22gpu_kernel_impl_nocastINS0_13BinaryFunctorIN3c108BFloat16ES5_S5_ZNS0_12_GLOBAL__N_121threshold_kernel_implIS5_EEvRNS_18TensorIteratorBaseET_SA_EUlS5_S5_E_EEEEvS9_RKSA_EUlibE_EEviT1_.uses_flat_scratch, 0
	.set _ZN2at6native32elementwise_kernel_manual_unrollILi128ELi8EZNS0_22gpu_kernel_impl_nocastINS0_13BinaryFunctorIN3c108BFloat16ES5_S5_ZNS0_12_GLOBAL__N_121threshold_kernel_implIS5_EEvRNS_18TensorIteratorBaseET_SA_EUlS5_S5_E_EEEEvS9_RKSA_EUlibE_EEviT1_.has_dyn_sized_stack, 0
	.set _ZN2at6native32elementwise_kernel_manual_unrollILi128ELi8EZNS0_22gpu_kernel_impl_nocastINS0_13BinaryFunctorIN3c108BFloat16ES5_S5_ZNS0_12_GLOBAL__N_121threshold_kernel_implIS5_EEvRNS_18TensorIteratorBaseET_SA_EUlS5_S5_E_EEEEvS9_RKSA_EUlibE_EEviT1_.has_recursion, 0
	.set _ZN2at6native32elementwise_kernel_manual_unrollILi128ELi8EZNS0_22gpu_kernel_impl_nocastINS0_13BinaryFunctorIN3c108BFloat16ES5_S5_ZNS0_12_GLOBAL__N_121threshold_kernel_implIS5_EEvRNS_18TensorIteratorBaseET_SA_EUlS5_S5_E_EEEEvS9_RKSA_EUlibE_EEviT1_.has_indirect_call, 0
	.section	.AMDGPU.csdata,"",@progbits
; Kernel info:
; codeLenInByte = 9388
; TotalNumSgprs: 56
; NumVgprs: 42
; ScratchSize: 0
; MemoryBound: 0
; FloatMode: 240
; IeeeMode: 1
; LDSByteSize: 0 bytes/workgroup (compile time only)
; SGPRBlocks: 6
; VGPRBlocks: 10
; NumSGPRsForWavesPerEU: 56
; NumVGPRsForWavesPerEU: 42
; Occupancy: 5
; WaveLimiterHint : 1
; COMPUTE_PGM_RSRC2:SCRATCH_EN: 0
; COMPUTE_PGM_RSRC2:USER_SGPR: 6
; COMPUTE_PGM_RSRC2:TRAP_HANDLER: 0
; COMPUTE_PGM_RSRC2:TGID_X_EN: 1
; COMPUTE_PGM_RSRC2:TGID_Y_EN: 0
; COMPUTE_PGM_RSRC2:TGID_Z_EN: 0
; COMPUTE_PGM_RSRC2:TIDIG_COMP_CNT: 0
	.section	.text._ZN2at6native32elementwise_kernel_manual_unrollILi128ELi4EZNS0_15gpu_kernel_implINS0_13BinaryFunctorIN3c108BFloat16ES5_S5_ZNS0_12_GLOBAL__N_121threshold_kernel_implIS5_EEvRNS_18TensorIteratorBaseET_SA_EUlS5_S5_E_EEEEvS9_RKSA_EUlibE_EEviT1_,"axG",@progbits,_ZN2at6native32elementwise_kernel_manual_unrollILi128ELi4EZNS0_15gpu_kernel_implINS0_13BinaryFunctorIN3c108BFloat16ES5_S5_ZNS0_12_GLOBAL__N_121threshold_kernel_implIS5_EEvRNS_18TensorIteratorBaseET_SA_EUlS5_S5_E_EEEEvS9_RKSA_EUlibE_EEviT1_,comdat
	.globl	_ZN2at6native32elementwise_kernel_manual_unrollILi128ELi4EZNS0_15gpu_kernel_implINS0_13BinaryFunctorIN3c108BFloat16ES5_S5_ZNS0_12_GLOBAL__N_121threshold_kernel_implIS5_EEvRNS_18TensorIteratorBaseET_SA_EUlS5_S5_E_EEEEvS9_RKSA_EUlibE_EEviT1_ ; -- Begin function _ZN2at6native32elementwise_kernel_manual_unrollILi128ELi4EZNS0_15gpu_kernel_implINS0_13BinaryFunctorIN3c108BFloat16ES5_S5_ZNS0_12_GLOBAL__N_121threshold_kernel_implIS5_EEvRNS_18TensorIteratorBaseET_SA_EUlS5_S5_E_EEEEvS9_RKSA_EUlibE_EEviT1_
	.p2align	8
	.type	_ZN2at6native32elementwise_kernel_manual_unrollILi128ELi4EZNS0_15gpu_kernel_implINS0_13BinaryFunctorIN3c108BFloat16ES5_S5_ZNS0_12_GLOBAL__N_121threshold_kernel_implIS5_EEvRNS_18TensorIteratorBaseET_SA_EUlS5_S5_E_EEEEvS9_RKSA_EUlibE_EEviT1_,@function
_ZN2at6native32elementwise_kernel_manual_unrollILi128ELi4EZNS0_15gpu_kernel_implINS0_13BinaryFunctorIN3c108BFloat16ES5_S5_ZNS0_12_GLOBAL__N_121threshold_kernel_implIS5_EEvRNS_18TensorIteratorBaseET_SA_EUlS5_S5_E_EEEEvS9_RKSA_EUlibE_EEviT1_: ; @_ZN2at6native32elementwise_kernel_manual_unrollILi128ELi4EZNS0_15gpu_kernel_implINS0_13BinaryFunctorIN3c108BFloat16ES5_S5_ZNS0_12_GLOBAL__N_121threshold_kernel_implIS5_EEvRNS_18TensorIteratorBaseET_SA_EUlS5_S5_E_EEEEvS9_RKSA_EUlibE_EEviT1_
; %bb.0:
	s_load_dwordx2 s[2:3], s[4:5], 0x2c
	s_load_dword s50, s[4:5], 0x0
	s_load_dwordx4 s[8:11], s[4:5], 0x8
	s_load_dwordx2 s[16:17], s[4:5], 0x18
	s_load_dwordx4 s[12:15], s[4:5], 0x20
	v_lshl_or_b32 v2, s6, 9, v0
	v_or_b32_e32 v0, 0x180, v2
	s_waitcnt lgkmcnt(0)
	s_lshr_b32 s33, s2, 16
	s_and_b32 s2, s2, 0xffff
	s_lshr_b32 s56, s3, 8
	s_lshr_b32 s15, s3, 16
	v_cmp_le_i32_e32 vcc, s50, v0
	s_mov_b64 s[4:5], 0
	s_mov_b64 s[18:19], 0
	s_and_saveexec_b64 s[0:1], vcc
	s_xor_b64 s[6:7], exec, s[0:1]
	s_cbranch_execz .LBB239_1544
; %bb.1:
	s_lshl_b32 s57, s2, 16
	v_cmp_gt_i32_e32 vcc, s50, v2
	s_mov_b64 s[0:1], -1
	s_mov_b64 s[28:29], 0
	s_mov_b64 s[22:23], 0
	;; [unrolled: 1-line block ×3, first 2 shown]
	s_and_saveexec_b64 s[24:25], vcc
	s_cbranch_execz .LBB239_383
; %bb.2:
	v_mul_lo_u32 v0, v2, s13
	v_mov_b32_e32 v1, s11
	s_and_b32 s26, s56, 0xff
	s_cmp_lt_i32 s26, 11
	v_ashrrev_i32_e32 v3, 31, v0
	v_add_co_u32_e32 v0, vcc, s10, v0
	v_addc_co_u32_e32 v1, vcc, v1, v3, vcc
	s_cbranch_scc1 .LBB239_9
; %bb.3:
	s_and_b32 s27, 0xffff, s26
	s_cmp_gt_i32 s27, 25
	s_cbranch_scc0 .LBB239_18
; %bb.4:
	s_cmp_gt_i32 s27, 28
	s_cbranch_scc0 .LBB239_28
; %bb.5:
	;; [unrolled: 3-line block ×4, first 2 shown]
	s_cmp_eq_u32 s27, 46
	s_cbranch_scc0 .LBB239_37
; %bb.8:
	global_load_dword v3, v[0:1], off
	s_branch .LBB239_39
.LBB239_9:
                                        ; implicit-def: $vgpr3
	s_mov_b64 s[0:1], 0
	s_cbranch_execnz .LBB239_105
.LBB239_10:
	s_andn2_b64 vcc, exec, s[0:1]
	s_cbranch_vccnz .LBB239_152
.LBB239_11:
	v_mul_lo_u32 v0, v2, s14
	v_mov_b32_e32 v1, s17
	s_and_b32 s30, s15, 0xff
	s_cmp_lt_i32 s30, 11
	v_ashrrev_i32_e32 v4, 31, v0
	v_add_co_u32_e32 v0, vcc, s16, v0
	v_addc_co_u32_e32 v1, vcc, v1, v4, vcc
	s_cbranch_scc1 .LBB239_19
; %bb.12:
	s_and_b32 s31, 0xffff, s30
	s_cmp_gt_i32 s31, 25
	s_cbranch_scc0 .LBB239_29
; %bb.13:
	s_cmp_gt_i32 s31, 28
	s_cbranch_scc0 .LBB239_32
; %bb.14:
	;; [unrolled: 3-line block ×4, first 2 shown]
	s_cmp_eq_u32 s31, 46
	s_mov_b64 s[18:19], 0
	s_cbranch_scc0 .LBB239_153
; %bb.17:
	global_load_dword v4, v[0:1], off
	s_mov_b64 s[0:1], -1
	s_mov_b64 s[20:21], 0
	s_branch .LBB239_155
.LBB239_18:
	s_mov_b64 s[0:1], 0
                                        ; implicit-def: $vgpr3
	s_cbranch_execnz .LBB239_70
	s_branch .LBB239_104
.LBB239_19:
	s_mov_b64 s[20:21], 0
                                        ; implicit-def: $vgpr4
	s_mov_b64 s[0:1], 0
	s_cbranch_execnz .LBB239_332
.LBB239_20:
	s_andn2_b64 vcc, exec, s[0:1]
	s_cbranch_vccnz .LBB239_380
.LBB239_21:
	v_mul_lo_u32 v1, v2, s12
	s_waitcnt vmcnt(0)
	v_lshlrev_b32_e32 v0, 16, v3
	v_mov_b32_e32 v3, s33
	v_cmp_ge_f32_e32 vcc, s57, v0
	v_cndmask_b32_e32 v3, v4, v3, vcc
	v_ashrrev_i32_e32 v4, 31, v1
	v_mov_b32_e32 v5, s9
	s_and_b32 s34, s3, 0xff
	v_add_co_u32_e32 v0, vcc, s8, v1
	s_cmp_lt_i32 s34, 11
	v_addc_co_u32_e32 v1, vcc, v5, v4, vcc
	s_cbranch_scc1 .LBB239_30
; %bb.22:
	s_and_b32 s35, 0xffff, s34
	s_cmp_gt_i32 s35, 25
	s_cbranch_scc0 .LBB239_33
; %bb.23:
	s_cmp_gt_i32 s35, 28
	s_cbranch_scc0 .LBB239_36
; %bb.24:
	;; [unrolled: 3-line block ×4, first 2 shown]
	s_mov_b64 s[26:27], 0
	s_mov_b64 s[0:1], -1
	s_cmp_eq_u32 s35, 46
	s_mov_b64 s[18:19], 0
	s_cbranch_scc0 .LBB239_159
; %bb.27:
	v_and_b32_e32 v4, 0xffff, v3
	global_store_dword v[0:1], v4, off
	s_mov_b64 s[18:19], -1
	s_mov_b64 s[0:1], 0
	s_branch .LBB239_159
.LBB239_28:
	s_mov_b64 s[18:19], -1
	s_mov_b64 s[0:1], 0
                                        ; implicit-def: $vgpr3
	s_branch .LBB239_51
.LBB239_29:
	s_mov_b64 s[18:19], -1
	s_mov_b64 s[20:21], 0
	s_mov_b64 s[0:1], 0
                                        ; implicit-def: $vgpr4
	s_branch .LBB239_296
.LBB239_30:
	s_mov_b64 s[26:27], -1
	s_mov_b64 s[0:1], 0
	s_mov_b64 s[18:19], 0
	s_branch .LBB239_228
.LBB239_31:
	s_mov_b64 s[18:19], -1
	s_mov_b64 s[0:1], 0
                                        ; implicit-def: $vgpr3
	s_branch .LBB239_46
.LBB239_32:
	s_mov_b64 s[18:19], -1
	s_mov_b64 s[20:21], 0
	s_mov_b64 s[0:1], 0
                                        ; implicit-def: $vgpr4
	s_branch .LBB239_277
.LBB239_33:
	s_mov_b64 s[26:27], -1
	s_mov_b64 s[0:1], 0
	s_mov_b64 s[18:19], 0
	s_branch .LBB239_186
.LBB239_34:
	s_mov_b64 s[18:19], -1
	s_branch .LBB239_38
.LBB239_35:
	s_mov_b64 s[18:19], -1
	s_mov_b64 s[20:21], 0
	s_mov_b64 s[0:1], 0
                                        ; implicit-def: $vgpr4
	s_branch .LBB239_272
.LBB239_36:
	s_mov_b64 s[26:27], -1
	s_mov_b64 s[0:1], 0
	s_mov_b64 s[18:19], 0
	s_branch .LBB239_169
.LBB239_37:
	s_mov_b64 s[22:23], -1
.LBB239_38:
	s_mov_b64 s[0:1], 0
                                        ; implicit-def: $vgpr3
.LBB239_39:
	s_and_b64 vcc, exec, s[18:19]
	s_cbranch_vccz .LBB239_45
; %bb.40:
	s_cmp_eq_u32 s27, 44
	s_cbranch_scc0 .LBB239_44
; %bb.41:
	global_load_ubyte v3, v[0:1], off
	s_movk_i32 s18, 0xff
	v_mov_b32_e32 v4, 0x7f800001
	v_mov_b32_e32 v5, 0x400000
	;; [unrolled: 1-line block ×3, first 2 shown]
	s_mov_b64 s[0:1], -1
	s_mov_b64 s[22:23], 0
	s_waitcnt vmcnt(0)
	v_lshlrev_b32_e32 v7, 23, v3
	v_cmp_ne_u32_e32 vcc, s18, v3
	v_cndmask_b32_e32 v4, v4, v7, vcc
	v_cmp_ne_u32_e32 vcc, 0, v3
	v_cndmask_b32_e32 v3, v5, v4, vcc
	v_add_u32_e32 v4, 0x7fff, v3
	v_cmp_o_f32_e32 vcc, v3, v3
	v_cndmask_b32_sdwa v3, v6, v4, vcc dst_sel:DWORD dst_unused:UNUSED_PAD src0_sel:DWORD src1_sel:WORD_1
	s_branch .LBB239_45
.LBB239_42:
	s_mov_b64 s[18:19], -1
	s_mov_b64 s[20:21], 0
	s_branch .LBB239_154
.LBB239_43:
	s_mov_b64 s[26:27], -1
	s_mov_b64 s[0:1], 0
	s_mov_b64 s[18:19], 0
	s_branch .LBB239_165
.LBB239_44:
	s_mov_b64 s[22:23], -1
                                        ; implicit-def: $vgpr3
.LBB239_45:
	s_mov_b64 s[18:19], 0
.LBB239_46:
	s_and_b64 vcc, exec, s[18:19]
	s_cbranch_vccz .LBB239_50
; %bb.47:
	s_cmp_eq_u32 s27, 29
	s_cbranch_scc0 .LBB239_49
; %bb.48:
	global_load_dwordx2 v[3:4], v[0:1], off
	s_movk_i32 s18, 0x7fff
	s_mov_b64 s[0:1], -1
	s_mov_b64 s[22:23], 0
	s_waitcnt vmcnt(0)
	v_ffbh_u32_e32 v5, v4
	v_min_u32_e32 v5, 32, v5
	v_lshlrev_b64 v[3:4], v5, v[3:4]
	v_min_u32_e32 v3, 1, v3
	v_or_b32_e32 v3, v4, v3
	v_cvt_f32_u32_e32 v3, v3
	v_sub_u32_e32 v4, 32, v5
	v_ldexp_f32 v3, v3, v4
	v_bfe_u32 v4, v3, 16, 1
	v_add3_u32 v3, v3, v4, s18
	v_lshrrev_b32_e32 v3, 16, v3
	s_branch .LBB239_50
.LBB239_49:
	s_mov_b64 s[22:23], -1
                                        ; implicit-def: $vgpr3
.LBB239_50:
	s_mov_b64 s[18:19], 0
.LBB239_51:
	s_and_b64 vcc, exec, s[18:19]
	s_cbranch_vccz .LBB239_69
; %bb.52:
	s_cmp_lt_i32 s27, 27
	s_cbranch_scc1 .LBB239_55
; %bb.53:
	s_cmp_gt_i32 s27, 27
	s_cbranch_scc0 .LBB239_56
; %bb.54:
	global_load_dword v3, v[0:1], off
	s_movk_i32 s0, 0x7fff
	s_waitcnt vmcnt(0)
	v_cvt_f32_u32_e32 v3, v3
	v_bfe_u32 v4, v3, 16, 1
	v_add3_u32 v3, v3, v4, s0
	v_lshrrev_b32_e32 v3, 16, v3
	s_mov_b64 s[0:1], 0
	s_branch .LBB239_57
.LBB239_55:
	s_mov_b64 s[0:1], -1
                                        ; implicit-def: $vgpr3
	s_branch .LBB239_60
.LBB239_56:
	s_mov_b64 s[0:1], -1
                                        ; implicit-def: $vgpr3
.LBB239_57:
	s_andn2_b64 vcc, exec, s[0:1]
	s_cbranch_vccnz .LBB239_59
; %bb.58:
	global_load_ushort v3, v[0:1], off
	s_movk_i32 s0, 0x7fff
	s_waitcnt vmcnt(0)
	v_cvt_f32_u32_e32 v3, v3
	v_bfe_u32 v4, v3, 16, 1
	v_add3_u32 v3, v3, v4, s0
	v_lshrrev_b32_e32 v3, 16, v3
.LBB239_59:
	s_mov_b64 s[0:1], 0
.LBB239_60:
	s_andn2_b64 vcc, exec, s[0:1]
	s_cbranch_vccnz .LBB239_68
; %bb.61:
	global_load_ubyte v3, v[0:1], off
	s_movk_i32 s0, 0x7f
	s_waitcnt vmcnt(0)
	v_cmp_lt_i16_e32 vcc, s0, v3
	s_mov_b64 s[0:1], 0
	s_and_saveexec_b64 s[18:19], vcc
	s_xor_b64 s[18:19], exec, s[18:19]
	s_cbranch_execz .LBB239_81
; %bb.62:
	s_movk_i32 s0, 0x80
	v_cmp_eq_u16_e32 vcc, s0, v3
	s_mov_b64 s[0:1], -1
	s_and_saveexec_b64 s[20:21], vcc
; %bb.63:
	s_xor_b64 s[0:1], exec, -1
; %bb.64:
	s_or_b64 exec, exec, s[20:21]
	s_and_b64 s[0:1], s[0:1], exec
	s_or_saveexec_b64 s[18:19], s[18:19]
	v_mov_b32_e32 v4, 0x7f800001
	s_xor_b64 exec, exec, s[18:19]
	s_cbranch_execnz .LBB239_82
.LBB239_65:
	s_or_b64 exec, exec, s[18:19]
	s_and_saveexec_b64 s[18:19], s[0:1]
	s_cbranch_execz .LBB239_67
.LBB239_66:
	v_lshlrev_b32_e32 v4, 24, v3
	v_and_b32_e32 v3, 0xffff, v3
	v_and_b32_e32 v5, 7, v3
	v_ffbh_u32_e32 v7, v5
	v_min_u32_e32 v7, 32, v7
	v_subrev_u32_e32 v8, 28, v7
	v_bfe_u32 v6, v3, 3, 4
	v_lshlrev_b32_e32 v3, v8, v3
	v_sub_u32_e32 v7, 29, v7
	v_and_b32_e32 v3, 7, v3
	v_cmp_eq_u32_e32 vcc, 0, v6
	v_cndmask_b32_e32 v6, v6, v7, vcc
	v_cndmask_b32_e32 v3, v5, v3, vcc
	v_mov_b32_e32 v5, 0x3b800000
	v_lshlrev_b32_e32 v3, 20, v3
	v_and_b32_e32 v4, 0x80000000, v4
	v_lshl_add_u32 v5, v6, 23, v5
	v_or3_b32 v4, v4, v5, v3
.LBB239_67:
	s_or_b64 exec, exec, s[18:19]
	v_bfe_u32 v3, v4, 16, 1
	s_movk_i32 s0, 0x7fff
	v_add3_u32 v3, v4, v3, s0
	v_cmp_o_f32_e32 vcc, v4, v4
	v_mov_b32_e32 v4, 0x7fc0
	v_cndmask_b32_sdwa v3, v4, v3, vcc dst_sel:DWORD dst_unused:UNUSED_PAD src0_sel:DWORD src1_sel:WORD_1
.LBB239_68:
	s_mov_b64 s[0:1], -1
.LBB239_69:
	s_branch .LBB239_104
.LBB239_70:
	s_cmp_gt_i32 s27, 22
	s_cbranch_scc0 .LBB239_80
; %bb.71:
	s_cmp_lt_i32 s27, 24
	s_cbranch_scc1 .LBB239_83
; %bb.72:
	s_cmp_gt_i32 s27, 24
	s_cbranch_scc0 .LBB239_84
; %bb.73:
	global_load_ubyte v3, v[0:1], off
	s_movk_i32 s0, 0x7f
	s_waitcnt vmcnt(0)
	v_cmp_lt_i16_e32 vcc, s0, v3
	s_mov_b64 s[0:1], 0
	s_and_saveexec_b64 s[18:19], vcc
	s_xor_b64 s[18:19], exec, s[18:19]
	s_cbranch_execz .LBB239_96
; %bb.74:
	s_movk_i32 s0, 0x80
	v_cmp_eq_u16_e32 vcc, s0, v3
	s_mov_b64 s[0:1], -1
	s_and_saveexec_b64 s[20:21], vcc
; %bb.75:
	s_xor_b64 s[0:1], exec, -1
; %bb.76:
	s_or_b64 exec, exec, s[20:21]
	s_and_b64 s[0:1], s[0:1], exec
	s_or_saveexec_b64 s[18:19], s[18:19]
	v_mov_b32_e32 v4, 0x7f800001
	s_xor_b64 exec, exec, s[18:19]
	s_cbranch_execnz .LBB239_97
.LBB239_77:
	s_or_b64 exec, exec, s[18:19]
	s_and_saveexec_b64 s[18:19], s[0:1]
	s_cbranch_execz .LBB239_79
.LBB239_78:
	v_lshlrev_b32_e32 v4, 24, v3
	v_and_b32_e32 v3, 0xffff, v3
	v_and_b32_e32 v5, 3, v3
	v_ffbh_u32_e32 v7, v5
	v_min_u32_e32 v7, 32, v7
	v_subrev_u32_e32 v8, 29, v7
	v_bfe_u32 v6, v3, 2, 5
	v_lshlrev_b32_e32 v3, v8, v3
	v_sub_u32_e32 v7, 30, v7
	v_and_b32_e32 v3, 3, v3
	v_cmp_eq_u32_e32 vcc, 0, v6
	v_cndmask_b32_e32 v6, v6, v7, vcc
	v_cndmask_b32_e32 v3, v5, v3, vcc
	v_mov_b32_e32 v5, 0x37800000
	v_lshlrev_b32_e32 v3, 21, v3
	v_and_b32_e32 v4, 0x80000000, v4
	v_lshl_add_u32 v5, v6, 23, v5
	v_or3_b32 v4, v4, v5, v3
.LBB239_79:
	s_or_b64 exec, exec, s[18:19]
	v_bfe_u32 v3, v4, 16, 1
	s_movk_i32 s0, 0x7fff
	v_add3_u32 v3, v4, v3, s0
	v_cmp_o_f32_e32 vcc, v4, v4
	v_mov_b32_e32 v4, 0x7fc0
	v_cndmask_b32_sdwa v3, v4, v3, vcc dst_sel:DWORD dst_unused:UNUSED_PAD src0_sel:DWORD src1_sel:WORD_1
	s_mov_b64 s[0:1], 0
	s_branch .LBB239_85
.LBB239_80:
	s_mov_b64 s[18:19], -1
                                        ; implicit-def: $vgpr3
	s_branch .LBB239_91
.LBB239_81:
	s_or_saveexec_b64 s[18:19], s[18:19]
	v_mov_b32_e32 v4, 0x7f800001
	s_xor_b64 exec, exec, s[18:19]
	s_cbranch_execz .LBB239_65
.LBB239_82:
	v_cmp_ne_u16_e32 vcc, 0, v3
	s_andn2_b64 s[0:1], s[0:1], exec
	s_and_b64 s[20:21], vcc, exec
	v_mov_b32_e32 v4, 0
	s_or_b64 s[0:1], s[0:1], s[20:21]
	s_or_b64 exec, exec, s[18:19]
	s_and_saveexec_b64 s[18:19], s[0:1]
	s_cbranch_execnz .LBB239_66
	s_branch .LBB239_67
.LBB239_83:
	s_mov_b64 s[0:1], -1
                                        ; implicit-def: $vgpr3
	s_branch .LBB239_88
.LBB239_84:
	s_mov_b64 s[0:1], -1
                                        ; implicit-def: $vgpr3
.LBB239_85:
	s_and_b64 vcc, exec, s[0:1]
	s_cbranch_vccz .LBB239_87
; %bb.86:
	global_load_ubyte v3, v[0:1], off
	s_mov_b32 s0, 0x7f800000
	s_brev_b32 s1, 1
	s_movk_i32 s18, 0x7fff
	s_waitcnt vmcnt(0)
	v_lshlrev_b32_e32 v3, 24, v3
	v_and_b32_e32 v4, 0x7f000000, v3
	v_ffbh_u32_e32 v5, v4
	v_min_u32_e32 v5, 32, v5
	v_sub_u32_e64 v5, v5, 4 clamp
	v_lshlrev_b32_e32 v7, v5, v4
	v_lshlrev_b32_e32 v5, 23, v5
	v_lshrrev_b32_e32 v7, 4, v7
	v_add_u32_e32 v6, 0x1000000, v4
	v_sub_u32_e32 v5, v7, v5
	v_ashrrev_i32_e32 v6, 8, v6
	v_add_u32_e32 v5, 0x3c000000, v5
	v_and_or_b32 v5, v6, s0, v5
	v_cmp_ne_u32_e32 vcc, 0, v4
	v_cndmask_b32_e32 v4, 0, v5, vcc
	v_and_or_b32 v3, v3, s1, v4
	v_bfe_u32 v4, v4, 16, 1
	v_add3_u32 v4, v3, v4, s18
	v_cmp_o_f32_e32 vcc, v3, v3
	v_mov_b32_e32 v3, 0x7fc0
	v_cndmask_b32_sdwa v3, v3, v4, vcc dst_sel:DWORD dst_unused:UNUSED_PAD src0_sel:DWORD src1_sel:WORD_1
.LBB239_87:
	s_mov_b64 s[0:1], 0
.LBB239_88:
	s_andn2_b64 vcc, exec, s[0:1]
	s_cbranch_vccnz .LBB239_90
; %bb.89:
	global_load_ubyte v3, v[0:1], off
	s_movk_i32 s0, 0x7f00
	s_brev_b32 s1, 16
	s_brev_b32 s18, 1
	s_movk_i32 s19, 0x7fff
	s_waitcnt vmcnt(0)
	v_lshlrev_b16_e32 v4, 8, v3
	v_lshlrev_b32_e32 v3, 25, v3
	v_lshrrev_b32_e32 v5, 4, v3
	v_and_or_b32 v6, v4, s0, 0.5
	v_or_b32_e32 v5, 0x70000000, v5
	v_add_f32_e32 v6, -0.5, v6
	v_mul_f32_e32 v5, 0x7800000, v5
	v_cmp_gt_u32_e32 vcc, s1, v3
	v_bfe_i32 v4, v4, 0, 16
	v_cndmask_b32_e32 v3, v5, v6, vcc
	v_and_or_b32 v4, v4, s18, v3
	v_bfe_u32 v3, v3, 16, 1
	v_add3_u32 v3, v4, v3, s19
	v_cmp_o_f32_e32 vcc, v4, v4
	v_mov_b32_e32 v4, 0x7fc0
	v_cndmask_b32_sdwa v3, v4, v3, vcc dst_sel:DWORD dst_unused:UNUSED_PAD src0_sel:DWORD src1_sel:WORD_1
.LBB239_90:
	s_mov_b64 s[18:19], 0
	s_mov_b64 s[0:1], -1
.LBB239_91:
	s_andn2_b64 vcc, exec, s[18:19]
	s_cbranch_vccnz .LBB239_104
; %bb.92:
	s_cmp_gt_i32 s27, 14
	s_cbranch_scc0 .LBB239_95
; %bb.93:
	s_cmp_eq_u32 s27, 15
	s_cbranch_scc0 .LBB239_98
; %bb.94:
	global_load_ushort v3, v[0:1], off
	s_mov_b64 s[0:1], -1
	s_mov_b64 s[22:23], 0
	s_branch .LBB239_99
.LBB239_95:
	s_mov_b64 s[18:19], -1
                                        ; implicit-def: $vgpr3
	s_branch .LBB239_100
.LBB239_96:
	s_or_saveexec_b64 s[18:19], s[18:19]
	v_mov_b32_e32 v4, 0x7f800001
	s_xor_b64 exec, exec, s[18:19]
	s_cbranch_execz .LBB239_77
.LBB239_97:
	v_cmp_ne_u16_e32 vcc, 0, v3
	s_andn2_b64 s[0:1], s[0:1], exec
	s_and_b64 s[20:21], vcc, exec
	v_mov_b32_e32 v4, 0
	s_or_b64 s[0:1], s[0:1], s[20:21]
	s_or_b64 exec, exec, s[18:19]
	s_and_saveexec_b64 s[18:19], s[0:1]
	s_cbranch_execnz .LBB239_78
	s_branch .LBB239_79
.LBB239_98:
	s_mov_b64 s[22:23], -1
                                        ; implicit-def: $vgpr3
.LBB239_99:
	s_mov_b64 s[18:19], 0
.LBB239_100:
	s_and_b64 vcc, exec, s[18:19]
	s_cbranch_vccz .LBB239_104
; %bb.101:
	s_cmp_eq_u32 s27, 11
	s_cbranch_scc0 .LBB239_103
; %bb.102:
	global_load_ubyte v3, v[0:1], off
	s_mov_b64 s[0:1], -1
	s_mov_b64 s[22:23], 0
	s_waitcnt vmcnt(0)
	v_cmp_ne_u16_e32 vcc, 0, v3
	v_cndmask_b32_e64 v3, 0, 1.0, vcc
	v_lshrrev_b32_e32 v3, 16, v3
	s_branch .LBB239_104
.LBB239_103:
	s_mov_b64 s[22:23], -1
                                        ; implicit-def: $vgpr3
.LBB239_104:
	s_branch .LBB239_10
.LBB239_105:
	s_and_b32 s18, 0xffff, s26
	s_cmp_lt_i32 s18, 5
	s_cbranch_scc1 .LBB239_110
; %bb.106:
	s_cmp_lt_i32 s18, 8
	s_cbranch_scc1 .LBB239_111
; %bb.107:
	;; [unrolled: 3-line block ×3, first 2 shown]
	s_cmp_gt_i32 s18, 9
	s_cbranch_scc0 .LBB239_113
; %bb.109:
	global_load_dwordx2 v[3:4], v[0:1], off
	s_movk_i32 s0, 0x7fff
	s_waitcnt vmcnt(0)
	v_cvt_f32_f64_e32 v3, v[3:4]
	v_mov_b32_e32 v4, 0x7fc0
	v_bfe_u32 v5, v3, 16, 1
	v_cmp_o_f32_e32 vcc, v3, v3
	v_add3_u32 v3, v3, v5, s0
	v_cndmask_b32_sdwa v3, v4, v3, vcc dst_sel:DWORD dst_unused:UNUSED_PAD src0_sel:DWORD src1_sel:WORD_1
	s_mov_b64 s[0:1], 0
	s_branch .LBB239_114
.LBB239_110:
                                        ; implicit-def: $vgpr3
	s_branch .LBB239_132
.LBB239_111:
	s_mov_b64 s[0:1], -1
                                        ; implicit-def: $vgpr3
	s_branch .LBB239_120
.LBB239_112:
	s_mov_b64 s[0:1], -1
                                        ; implicit-def: $vgpr3
	s_branch .LBB239_117
.LBB239_113:
	s_mov_b64 s[0:1], -1
                                        ; implicit-def: $vgpr3
.LBB239_114:
	s_andn2_b64 vcc, exec, s[0:1]
	s_cbranch_vccnz .LBB239_116
; %bb.115:
	global_load_dword v3, v[0:1], off
	s_movk_i32 s0, 0x7fff
	v_mov_b32_e32 v4, 0x7fc0
	s_waitcnt vmcnt(0)
	v_bfe_u32 v5, v3, 16, 1
	v_cmp_o_f32_e32 vcc, v3, v3
	v_add3_u32 v3, v3, v5, s0
	v_cndmask_b32_sdwa v3, v4, v3, vcc dst_sel:DWORD dst_unused:UNUSED_PAD src0_sel:DWORD src1_sel:WORD_1
.LBB239_116:
	s_mov_b64 s[0:1], 0
.LBB239_117:
	s_andn2_b64 vcc, exec, s[0:1]
	s_cbranch_vccnz .LBB239_119
; %bb.118:
	global_load_dword v3, v[0:1], off
	s_movk_i32 s0, 0x7fff
	v_mov_b32_e32 v5, 0x7fc0
	s_waitcnt vmcnt(0)
	v_cvt_f32_f16_e32 v4, v3
	v_cmp_o_f16_e32 vcc, v3, v3
	v_bfe_u32 v3, v4, 16, 1
	v_add3_u32 v3, v4, v3, s0
	v_cndmask_b32_sdwa v3, v5, v3, vcc dst_sel:DWORD dst_unused:UNUSED_PAD src0_sel:DWORD src1_sel:WORD_1
.LBB239_119:
	s_mov_b64 s[0:1], 0
.LBB239_120:
	s_andn2_b64 vcc, exec, s[0:1]
	s_cbranch_vccnz .LBB239_131
; %bb.121:
	s_cmp_lt_i32 s18, 6
	s_cbranch_scc1 .LBB239_124
; %bb.122:
	s_cmp_gt_i32 s18, 6
	s_cbranch_scc0 .LBB239_125
; %bb.123:
	global_load_dwordx2 v[3:4], v[0:1], off
	s_movk_i32 s0, 0x7fff
	s_waitcnt vmcnt(0)
	v_cvt_f32_f64_e32 v3, v[3:4]
	v_mov_b32_e32 v4, 0x7fc0
	v_bfe_u32 v5, v3, 16, 1
	v_cmp_o_f32_e32 vcc, v3, v3
	v_add3_u32 v3, v3, v5, s0
	v_cndmask_b32_sdwa v3, v4, v3, vcc dst_sel:DWORD dst_unused:UNUSED_PAD src0_sel:DWORD src1_sel:WORD_1
	s_mov_b64 s[0:1], 0
	s_branch .LBB239_126
.LBB239_124:
	s_mov_b64 s[0:1], -1
                                        ; implicit-def: $vgpr3
	s_branch .LBB239_129
.LBB239_125:
	s_mov_b64 s[0:1], -1
                                        ; implicit-def: $vgpr3
.LBB239_126:
	s_andn2_b64 vcc, exec, s[0:1]
	s_cbranch_vccnz .LBB239_128
; %bb.127:
	global_load_dword v3, v[0:1], off
	s_movk_i32 s0, 0x7fff
	v_mov_b32_e32 v4, 0x7fc0
	s_waitcnt vmcnt(0)
	v_bfe_u32 v5, v3, 16, 1
	v_cmp_o_f32_e32 vcc, v3, v3
	v_add3_u32 v3, v3, v5, s0
	v_cndmask_b32_sdwa v3, v4, v3, vcc dst_sel:DWORD dst_unused:UNUSED_PAD src0_sel:DWORD src1_sel:WORD_1
.LBB239_128:
	s_mov_b64 s[0:1], 0
.LBB239_129:
	s_andn2_b64 vcc, exec, s[0:1]
	s_cbranch_vccnz .LBB239_131
; %bb.130:
	global_load_ushort v3, v[0:1], off
	s_movk_i32 s0, 0x7fff
	v_mov_b32_e32 v5, 0x7fc0
	s_waitcnt vmcnt(0)
	v_cvt_f32_f16_e32 v4, v3
	v_cmp_o_f16_e32 vcc, v3, v3
	v_bfe_u32 v3, v4, 16, 1
	v_add3_u32 v3, v4, v3, s0
	v_cndmask_b32_sdwa v3, v5, v3, vcc dst_sel:DWORD dst_unused:UNUSED_PAD src0_sel:DWORD src1_sel:WORD_1
.LBB239_131:
	s_cbranch_execnz .LBB239_151
.LBB239_132:
	s_cmp_lt_i32 s18, 2
	s_cbranch_scc1 .LBB239_136
; %bb.133:
	s_cmp_lt_i32 s18, 3
	s_cbranch_scc1 .LBB239_137
; %bb.134:
	s_cmp_gt_i32 s18, 3
	s_cbranch_scc0 .LBB239_138
; %bb.135:
	global_load_dwordx2 v[3:4], v[0:1], off
	s_movk_i32 s0, 0x7fff
	s_waitcnt vmcnt(0)
	v_xor_b32_e32 v6, v3, v4
	v_ffbh_i32_e32 v5, v4
	v_ashrrev_i32_e32 v6, 31, v6
	v_add_u32_e32 v5, -1, v5
	v_add_u32_e32 v6, 32, v6
	v_min_u32_e32 v5, v5, v6
	v_lshlrev_b64 v[3:4], v5, v[3:4]
	v_min_u32_e32 v3, 1, v3
	v_or_b32_e32 v3, v4, v3
	v_cvt_f32_i32_e32 v3, v3
	v_sub_u32_e32 v4, 32, v5
	v_ldexp_f32 v3, v3, v4
	v_bfe_u32 v4, v3, 16, 1
	v_add3_u32 v3, v3, v4, s0
	v_lshrrev_b32_e32 v3, 16, v3
	s_mov_b64 s[0:1], 0
	s_branch .LBB239_139
.LBB239_136:
	s_mov_b64 s[0:1], -1
                                        ; implicit-def: $vgpr3
	s_branch .LBB239_145
.LBB239_137:
	s_mov_b64 s[0:1], -1
                                        ; implicit-def: $vgpr3
	s_branch .LBB239_142
.LBB239_138:
	s_mov_b64 s[0:1], -1
                                        ; implicit-def: $vgpr3
.LBB239_139:
	s_andn2_b64 vcc, exec, s[0:1]
	s_cbranch_vccnz .LBB239_141
; %bb.140:
	global_load_dword v3, v[0:1], off
	s_movk_i32 s0, 0x7fff
	s_waitcnt vmcnt(0)
	v_cvt_f32_i32_e32 v3, v3
	v_bfe_u32 v4, v3, 16, 1
	v_add3_u32 v3, v3, v4, s0
	v_lshrrev_b32_e32 v3, 16, v3
.LBB239_141:
	s_mov_b64 s[0:1], 0
.LBB239_142:
	s_andn2_b64 vcc, exec, s[0:1]
	s_cbranch_vccnz .LBB239_144
; %bb.143:
	global_load_sshort v3, v[0:1], off
	s_movk_i32 s0, 0x7fff
	s_waitcnt vmcnt(0)
	v_cvt_f32_i32_e32 v3, v3
	v_bfe_u32 v4, v3, 16, 1
	v_add3_u32 v3, v3, v4, s0
	v_lshrrev_b32_e32 v3, 16, v3
.LBB239_144:
	s_mov_b64 s[0:1], 0
.LBB239_145:
	s_andn2_b64 vcc, exec, s[0:1]
	s_cbranch_vccnz .LBB239_151
; %bb.146:
	s_cmp_gt_i32 s18, 0
	s_cbranch_scc0 .LBB239_148
; %bb.147:
	global_load_sbyte v3, v[0:1], off
	s_movk_i32 s0, 0x7fff
	s_waitcnt vmcnt(0)
	v_cvt_f32_i32_e32 v3, v3
	v_bfe_u32 v4, v3, 16, 1
	v_add3_u32 v3, v3, v4, s0
	v_lshrrev_b32_e32 v3, 16, v3
	s_mov_b64 s[0:1], 0
	s_branch .LBB239_149
.LBB239_148:
	s_mov_b64 s[0:1], -1
                                        ; implicit-def: $vgpr3
.LBB239_149:
	s_andn2_b64 vcc, exec, s[0:1]
	s_cbranch_vccnz .LBB239_151
; %bb.150:
	global_load_ubyte v0, v[0:1], off
	s_movk_i32 s0, 0x7fff
	s_waitcnt vmcnt(0)
	v_cvt_f32_ubyte0_e32 v0, v0
	v_bfe_u32 v1, v0, 16, 1
	v_add3_u32 v0, v0, v1, s0
	v_lshrrev_b32_e32 v3, 16, v0
.LBB239_151:
	s_branch .LBB239_11
.LBB239_152:
	s_mov_b64 s[0:1], 0
	s_mov_b64 s[20:21], 0
	s_branch .LBB239_381
.LBB239_153:
	s_mov_b64 s[20:21], -1
.LBB239_154:
	s_mov_b64 s[0:1], 0
                                        ; implicit-def: $vgpr4
.LBB239_155:
	s_and_b64 vcc, exec, s[18:19]
	s_cbranch_vccz .LBB239_271
; %bb.156:
	s_cmp_eq_u32 s31, 44
	s_cbranch_scc0 .LBB239_270
; %bb.157:
	global_load_ubyte v4, v[0:1], off
	s_movk_i32 s18, 0xff
	v_mov_b32_e32 v5, 0x7f800001
	v_mov_b32_e32 v6, 0x400000
	;; [unrolled: 1-line block ×3, first 2 shown]
	s_mov_b64 s[0:1], -1
	s_mov_b64 s[20:21], 0
	s_waitcnt vmcnt(0)
	v_lshlrev_b32_e32 v8, 23, v4
	v_cmp_ne_u32_e32 vcc, s18, v4
	v_cndmask_b32_e32 v5, v5, v8, vcc
	v_cmp_ne_u32_e32 vcc, 0, v4
	v_cndmask_b32_e32 v4, v6, v5, vcc
	v_add_u32_e32 v5, 0x7fff, v4
	v_cmp_o_f32_e32 vcc, v4, v4
	v_cndmask_b32_sdwa v4, v7, v5, vcc dst_sel:DWORD dst_unused:UNUSED_PAD src0_sel:DWORD src1_sel:WORD_1
	s_branch .LBB239_271
.LBB239_158:
	s_mov_b64 s[26:27], -1
	s_mov_b64 s[0:1], 0
	s_mov_b64 s[18:19], 0
.LBB239_159:
	s_and_b64 vcc, exec, s[26:27]
	s_cbranch_vccz .LBB239_164
; %bb.160:
	s_cmp_eq_u32 s35, 44
	s_mov_b64 s[0:1], -1
	s_cbranch_scc0 .LBB239_164
; %bb.161:
	v_and_b32_e32 v5, 0xffff, v3
	v_bfe_u32 v4, v5, 7, 8
	s_movk_i32 s0, 0xff
	v_cmp_ne_u32_e32 vcc, s0, v4
	v_mov_b32_e32 v6, 0xff
	s_and_saveexec_b64 s[18:19], vcc
	s_cbranch_execz .LBB239_163
; %bb.162:
	v_lshlrev_b32_e32 v7, 16, v5
	s_mov_b32 s0, 0x3f0000
	v_lshrrev_b32_e32 v6, 7, v5
	v_and_b32_e32 v5, 64, v5
	v_and_or_b32 v4, v7, s0, v4
	v_cmp_ne_u32_e32 vcc, 0, v5
	v_cmp_ne_u32_e64 s[0:1], 0, v4
	s_and_b64 s[0:1], vcc, s[0:1]
	v_cndmask_b32_e64 v4, 0, 1, s[0:1]
	v_add_u32_e32 v6, v6, v4
.LBB239_163:
	s_or_b64 exec, exec, s[18:19]
	s_mov_b64 s[18:19], -1
	s_mov_b64 s[0:1], 0
	global_store_byte v[0:1], v6, off
.LBB239_164:
	s_mov_b64 s[26:27], 0
.LBB239_165:
	s_and_b64 vcc, exec, s[26:27]
	s_cbranch_vccz .LBB239_168
; %bb.166:
	s_cmp_eq_u32 s35, 29
	s_mov_b64 s[0:1], -1
	s_cbranch_scc0 .LBB239_168
; %bb.167:
	v_lshlrev_b32_e32 v4, 16, v3
	v_trunc_f32_e32 v4, v4
	v_mul_f32_e32 v5, 0x2f800000, v4
	v_floor_f32_e32 v6, v5
	v_fmac_f32_e32 v4, 0xcf800000, v6
	v_cvt_u32_f32_e32 v5, v6
	v_cvt_u32_f32_e32 v4, v4
	s_mov_b64 s[18:19], -1
	s_mov_b64 s[0:1], 0
	s_mov_b64 s[26:27], 0
	global_store_dwordx2 v[0:1], v[4:5], off
	s_branch .LBB239_169
.LBB239_168:
	s_mov_b64 s[26:27], 0
.LBB239_169:
	s_and_b64 vcc, exec, s[26:27]
	s_cbranch_vccz .LBB239_185
; %bb.170:
	s_cmp_lt_i32 s35, 27
	s_mov_b64 s[18:19], -1
	s_cbranch_scc1 .LBB239_176
; %bb.171:
	s_cmp_gt_i32 s35, 27
	s_cbranch_scc0 .LBB239_173
; %bb.172:
	v_lshlrev_b32_e32 v4, 16, v3
	v_cvt_u32_f32_e32 v4, v4
	s_mov_b64 s[18:19], 0
	global_store_dword v[0:1], v4, off
.LBB239_173:
	s_andn2_b64 vcc, exec, s[18:19]
	s_cbranch_vccnz .LBB239_175
; %bb.174:
	v_lshlrev_b32_e32 v4, 16, v3
	v_cvt_u32_f32_e32 v4, v4
	global_store_short v[0:1], v4, off
.LBB239_175:
	s_mov_b64 s[18:19], 0
.LBB239_176:
	s_andn2_b64 vcc, exec, s[18:19]
	s_cbranch_vccnz .LBB239_184
; %bb.177:
	v_lshlrev_b32_e32 v6, 16, v3
	v_and_b32_e32 v5, 0x7fffffff, v6
	s_mov_b32 s18, 0x43800000
	v_cmp_gt_u32_e32 vcc, s18, v5
	v_mov_b32_e32 v7, 0x80
	s_and_saveexec_b64 s[18:19], vcc
	s_cbranch_execz .LBB239_183
; %bb.178:
	s_mov_b32 s26, 0x3bffffff
	v_and_b32_e32 v4, 0xffff, v3
	v_cmp_lt_u32_e32 vcc, s26, v5
	s_mov_b64 s[26:27], 0
                                        ; implicit-def: $vgpr5
	s_and_saveexec_b64 s[30:31], vcc
	s_xor_b64 s[30:31], exec, s[30:31]
	s_cbranch_execz .LBB239_412
; %bb.179:
	v_bfe_u32 v5, v4, 4, 1
	s_mov_b32 s36, 0x487ffff
	v_add3_u32 v5, v6, v5, s36
	s_mov_b64 s[26:27], exec
	v_lshrrev_b32_e32 v5, 20, v5
                                        ; implicit-def: $vgpr6
	s_andn2_saveexec_b64 s[30:31], s[30:31]
	s_cbranch_execnz .LBB239_413
.LBB239_180:
	s_or_b64 exec, exec, s[30:31]
	v_mov_b32_e32 v7, 0
	s_and_saveexec_b64 s[30:31], s[26:27]
.LBB239_181:
	v_lshrrev_b32_e32 v4, 8, v4
	s_movk_i32 s26, 0x80
	v_and_or_b32 v7, v4, s26, v5
.LBB239_182:
	s_or_b64 exec, exec, s[30:31]
.LBB239_183:
	s_or_b64 exec, exec, s[18:19]
	global_store_byte v[0:1], v7, off
.LBB239_184:
	s_mov_b64 s[18:19], -1
.LBB239_185:
	s_mov_b64 s[26:27], 0
.LBB239_186:
	s_and_b64 vcc, exec, s[26:27]
	s_cbranch_vccz .LBB239_227
; %bb.187:
	s_cmp_gt_i32 s35, 22
	s_mov_b64 s[26:27], -1
	s_cbranch_scc0 .LBB239_219
; %bb.188:
	s_cmp_lt_i32 s35, 24
	s_mov_b64 s[18:19], -1
	s_cbranch_scc1 .LBB239_208
; %bb.189:
	s_cmp_gt_i32 s35, 24
	s_cbranch_scc0 .LBB239_197
; %bb.190:
	v_lshlrev_b32_e32 v6, 16, v3
	v_and_b32_e32 v5, 0x7fffffff, v6
	s_mov_b32 s18, 0x47800000
	v_cmp_gt_u32_e32 vcc, s18, v5
	v_mov_b32_e32 v7, 0x80
	s_and_saveexec_b64 s[18:19], vcc
	s_cbranch_execz .LBB239_196
; %bb.191:
	s_mov_b32 s26, 0x37ffffff
	v_and_b32_e32 v4, 0xffff, v3
	v_cmp_lt_u32_e32 vcc, s26, v5
	s_mov_b64 s[26:27], 0
                                        ; implicit-def: $vgpr5
	s_and_saveexec_b64 s[30:31], vcc
	s_xor_b64 s[30:31], exec, s[30:31]
	s_cbranch_execz .LBB239_531
; %bb.192:
	v_bfe_u32 v5, v4, 5, 1
	s_mov_b32 s36, 0x88fffff
	v_add3_u32 v5, v6, v5, s36
	s_mov_b64 s[26:27], exec
	v_lshrrev_b32_e32 v5, 21, v5
                                        ; implicit-def: $vgpr6
	s_andn2_saveexec_b64 s[30:31], s[30:31]
	s_cbranch_execnz .LBB239_532
.LBB239_193:
	s_or_b64 exec, exec, s[30:31]
	v_mov_b32_e32 v7, 0
	s_and_saveexec_b64 s[30:31], s[26:27]
.LBB239_194:
	v_lshrrev_b32_e32 v4, 8, v4
	s_movk_i32 s26, 0x80
	v_and_or_b32 v7, v4, s26, v5
.LBB239_195:
	s_or_b64 exec, exec, s[30:31]
.LBB239_196:
	s_or_b64 exec, exec, s[18:19]
	s_mov_b64 s[18:19], 0
	global_store_byte v[0:1], v7, off
.LBB239_197:
	s_and_b64 vcc, exec, s[18:19]
	s_cbranch_vccz .LBB239_207
; %bb.198:
	v_lshlrev_b32_e32 v6, 16, v3
	v_and_b32_e32 v7, 0x7fffffff, v6
	s_mov_b32 s18, 0x43f00000
	v_and_b32_e32 v4, 0xffff, v3
	v_cmp_gt_u32_e32 vcc, s18, v7
                                        ; implicit-def: $vgpr5
	s_and_saveexec_b64 s[18:19], vcc
	s_xor_b64 s[18:19], exec, s[18:19]
	s_cbranch_execz .LBB239_204
; %bb.199:
	s_mov_b32 s26, 0x3c7fffff
	v_cmp_lt_u32_e32 vcc, s26, v7
                                        ; implicit-def: $vgpr5
	s_and_saveexec_b64 s[26:27], vcc
	s_xor_b64 s[26:27], exec, s[26:27]
; %bb.200:
	v_bfe_u32 v5, v4, 4, 1
	s_mov_b32 s30, 0x407ffff
	v_add3_u32 v5, v6, v5, s30
	v_lshrrev_b32_e32 v6, 20, v5
	v_and_b32_e32 v5, 0xff00000, v5
	s_mov_b32 s30, 0x7f00000
	v_mov_b32_e32 v7, 0x7e
	v_cmp_ne_u32_e32 vcc, s30, v5
	v_cndmask_b32_e32 v5, v7, v6, vcc
                                        ; implicit-def: $vgpr6
; %bb.201:
	s_andn2_saveexec_b64 s[26:27], s[26:27]
; %bb.202:
	s_mov_b32 s30, 0x46800000
	v_add_f32_e64 v5, |v6|, s30
; %bb.203:
	s_or_b64 exec, exec, s[26:27]
                                        ; implicit-def: $vgpr7
.LBB239_204:
	s_andn2_saveexec_b64 s[18:19], s[18:19]
; %bb.205:
	s_mov_b32 s26, 0x7f800000
	v_mov_b32_e32 v5, 0x7e
	v_mov_b32_e32 v6, 0x7f
	v_cmp_lt_u32_e32 vcc, s26, v7
	v_cndmask_b32_e32 v5, v5, v6, vcc
; %bb.206:
	s_or_b64 exec, exec, s[18:19]
	v_lshrrev_b32_e32 v4, 8, v4
	s_movk_i32 s18, 0x80
	v_and_or_b32 v4, v4, s18, v5
	global_store_byte v[0:1], v4, off
.LBB239_207:
	s_mov_b64 s[18:19], 0
.LBB239_208:
	s_andn2_b64 vcc, exec, s[18:19]
	s_cbranch_vccnz .LBB239_218
; %bb.209:
	v_lshlrev_b32_e32 v6, 16, v3
	v_and_b32_e32 v7, 0x7fffffff, v6
	s_mov_b32 s18, 0x47800000
	v_and_b32_e32 v4, 0xffff, v3
	v_cmp_gt_u32_e32 vcc, s18, v7
                                        ; implicit-def: $vgpr5
	s_and_saveexec_b64 s[18:19], vcc
	s_xor_b64 s[18:19], exec, s[18:19]
	s_cbranch_execz .LBB239_215
; %bb.210:
	s_mov_b32 s26, 0x387fffff
	v_cmp_lt_u32_e32 vcc, s26, v7
                                        ; implicit-def: $vgpr5
	s_and_saveexec_b64 s[26:27], vcc
	s_xor_b64 s[26:27], exec, s[26:27]
; %bb.211:
	v_bfe_u32 v5, v4, 5, 1
	s_mov_b32 s30, 0x80fffff
	v_add3_u32 v5, v6, v5, s30
	v_lshrrev_b32_e32 v5, 21, v5
                                        ; implicit-def: $vgpr6
; %bb.212:
	s_andn2_saveexec_b64 s[26:27], s[26:27]
; %bb.213:
	s_mov_b32 s30, 0x43000000
	v_add_f32_e64 v5, |v6|, s30
; %bb.214:
	s_or_b64 exec, exec, s[26:27]
                                        ; implicit-def: $vgpr7
.LBB239_215:
	s_andn2_saveexec_b64 s[18:19], s[18:19]
; %bb.216:
	s_mov_b32 s26, 0x7f800000
	v_mov_b32_e32 v5, 0x7c
	v_mov_b32_e32 v6, 0x7f
	v_cmp_lt_u32_e32 vcc, s26, v7
	v_cndmask_b32_e32 v5, v5, v6, vcc
; %bb.217:
	s_or_b64 exec, exec, s[18:19]
	v_lshrrev_b32_e32 v4, 8, v4
	s_movk_i32 s18, 0x80
	v_and_or_b32 v4, v4, s18, v5
	global_store_byte v[0:1], v4, off
.LBB239_218:
	s_mov_b64 s[26:27], 0
	s_mov_b64 s[18:19], -1
.LBB239_219:
	s_andn2_b64 vcc, exec, s[26:27]
	s_cbranch_vccnz .LBB239_227
; %bb.220:
	s_cmp_gt_i32 s35, 14
	s_mov_b64 s[26:27], -1
	s_cbranch_scc0 .LBB239_224
; %bb.221:
	s_cmp_eq_u32 s35, 15
	s_mov_b64 s[0:1], -1
	s_cbranch_scc0 .LBB239_223
; %bb.222:
	global_store_short v[0:1], v3, off
	s_mov_b64 s[18:19], -1
	s_mov_b64 s[0:1], 0
.LBB239_223:
	s_mov_b64 s[26:27], 0
.LBB239_224:
	s_and_b64 vcc, exec, s[26:27]
	s_cbranch_vccz .LBB239_227
; %bb.225:
	s_cmp_eq_u32 s35, 11
	s_mov_b64 s[0:1], -1
	s_cbranch_scc0 .LBB239_227
; %bb.226:
	v_and_b32_e32 v4, 0x7fff, v3
	v_cmp_ne_u16_e32 vcc, 0, v4
	v_cndmask_b32_e64 v4, 0, 1, vcc
	s_mov_b64 s[18:19], -1
	s_mov_b64 s[0:1], 0
	global_store_byte v[0:1], v4, off
.LBB239_227:
	s_mov_b64 s[26:27], 0
.LBB239_228:
	s_and_b64 vcc, exec, s[26:27]
	s_cbranch_vccz .LBB239_267
; %bb.229:
	s_and_b32 s26, 0xffff, s34
	s_cmp_lt_i32 s26, 5
	s_mov_b64 s[18:19], -1
	s_cbranch_scc1 .LBB239_250
; %bb.230:
	s_cmp_lt_i32 s26, 8
	s_cbranch_scc1 .LBB239_240
; %bb.231:
	s_cmp_lt_i32 s26, 9
	s_cbranch_scc1 .LBB239_237
; %bb.232:
	s_cmp_gt_i32 s26, 9
	s_cbranch_scc0 .LBB239_234
; %bb.233:
	v_lshlrev_b32_e32 v4, 16, v3
	v_cvt_f64_f32_e32 v[4:5], v4
	v_mov_b32_e32 v6, 0
	v_mov_b32_e32 v7, v6
	s_mov_b64 s[18:19], 0
	global_store_dwordx4 v[0:1], v[4:7], off
.LBB239_234:
	s_andn2_b64 vcc, exec, s[18:19]
	s_cbranch_vccnz .LBB239_236
; %bb.235:
	v_lshlrev_b32_e32 v4, 16, v3
	v_mov_b32_e32 v5, 0
	global_store_dwordx2 v[0:1], v[4:5], off
.LBB239_236:
	s_mov_b64 s[18:19], 0
.LBB239_237:
	s_andn2_b64 vcc, exec, s[18:19]
	s_cbranch_vccnz .LBB239_239
; %bb.238:
	v_lshlrev_b32_e32 v4, 16, v3
	v_cvt_f16_f32_e32 v4, v4
	global_store_dword v[0:1], v4, off
.LBB239_239:
	s_mov_b64 s[18:19], 0
.LBB239_240:
	s_andn2_b64 vcc, exec, s[18:19]
	s_cbranch_vccnz .LBB239_249
; %bb.241:
	s_cmp_lt_i32 s26, 6
	s_mov_b64 s[18:19], -1
	s_cbranch_scc1 .LBB239_247
; %bb.242:
	s_cmp_gt_i32 s26, 6
	s_cbranch_scc0 .LBB239_244
; %bb.243:
	v_lshlrev_b32_e32 v4, 16, v3
	v_cvt_f64_f32_e32 v[4:5], v4
	s_mov_b64 s[18:19], 0
	global_store_dwordx2 v[0:1], v[4:5], off
.LBB239_244:
	s_andn2_b64 vcc, exec, s[18:19]
	s_cbranch_vccnz .LBB239_246
; %bb.245:
	v_lshlrev_b32_e32 v4, 16, v3
	global_store_dword v[0:1], v4, off
.LBB239_246:
	s_mov_b64 s[18:19], 0
.LBB239_247:
	s_andn2_b64 vcc, exec, s[18:19]
	s_cbranch_vccnz .LBB239_249
; %bb.248:
	v_lshlrev_b32_e32 v4, 16, v3
	v_cvt_f16_f32_e32 v4, v4
	global_store_short v[0:1], v4, off
.LBB239_249:
	s_mov_b64 s[18:19], 0
.LBB239_250:
	s_andn2_b64 vcc, exec, s[18:19]
	s_cbranch_vccnz .LBB239_266
; %bb.251:
	s_cmp_lt_i32 s26, 2
	s_mov_b64 s[18:19], -1
	s_cbranch_scc1 .LBB239_261
; %bb.252:
	s_cmp_lt_i32 s26, 3
	s_cbranch_scc1 .LBB239_258
; %bb.253:
	s_cmp_gt_i32 s26, 3
	s_cbranch_scc0 .LBB239_255
; %bb.254:
	v_lshlrev_b32_e32 v4, 16, v3
	v_trunc_f32_e32 v4, v4
	s_mov_b32 s18, 0x2f800000
	v_mul_f32_e64 v5, |v4|, s18
	v_floor_f32_e32 v5, v5
	s_mov_b32 s18, 0xcf800000
	v_cvt_u32_f32_e32 v6, v5
	v_fma_f32 v5, v5, s18, |v4|
	v_cvt_u32_f32_e32 v5, v5
	v_ashrrev_i32_e32 v7, 31, v4
	v_xor_b32_e32 v6, v6, v7
	s_mov_b64 s[18:19], 0
	v_xor_b32_e32 v4, v5, v7
	v_sub_co_u32_e32 v4, vcc, v4, v7
	v_subb_co_u32_e32 v5, vcc, v6, v7, vcc
	global_store_dwordx2 v[0:1], v[4:5], off
.LBB239_255:
	s_andn2_b64 vcc, exec, s[18:19]
	s_cbranch_vccnz .LBB239_257
; %bb.256:
	v_lshlrev_b32_e32 v4, 16, v3
	v_cvt_i32_f32_e32 v4, v4
	global_store_dword v[0:1], v4, off
.LBB239_257:
	s_mov_b64 s[18:19], 0
.LBB239_258:
	s_andn2_b64 vcc, exec, s[18:19]
	s_cbranch_vccnz .LBB239_260
; %bb.259:
	v_lshlrev_b32_e32 v4, 16, v3
	v_cvt_i32_f32_e32 v4, v4
	global_store_short v[0:1], v4, off
.LBB239_260:
	s_mov_b64 s[18:19], 0
.LBB239_261:
	s_andn2_b64 vcc, exec, s[18:19]
	s_cbranch_vccnz .LBB239_266
; %bb.262:
	s_mov_b64 s[18:19], -1
	s_cmp_gt_i32 s26, 0
	v_lshlrev_b32_e32 v3, 16, v3
	s_cbranch_scc0 .LBB239_264
; %bb.263:
	v_cvt_i32_f32_e32 v4, v3
	s_mov_b64 s[18:19], 0
	global_store_byte v[0:1], v4, off
.LBB239_264:
	s_andn2_b64 vcc, exec, s[18:19]
	s_cbranch_vccnz .LBB239_266
; %bb.265:
	v_trunc_f32_e32 v3, v3
	s_mov_b32 s18, 0x2f800000
	v_mul_f32_e64 v4, |v3|, s18
	v_floor_f32_e32 v4, v4
	s_mov_b32 s18, 0xcf800000
	v_fma_f32 v4, v4, s18, |v3|
	v_cvt_u32_f32_e32 v4, v4
	v_ashrrev_i32_e32 v3, 31, v3
	v_xor_b32_e32 v4, v4, v3
	v_sub_u32_e32 v3, v4, v3
	global_store_byte v[0:1], v3, off
.LBB239_266:
	s_mov_b64 s[18:19], -1
.LBB239_267:
	s_andn2_b64 vcc, exec, s[18:19]
	s_cbranch_vccnz .LBB239_269
; %bb.268:
	v_add_u32_e32 v2, 0x80, v2
	s_mov_b64 s[26:27], -1
	s_branch .LBB239_382
.LBB239_269:
	s_mov_b64 s[26:27], 0
                                        ; implicit-def: $vgpr2
	s_branch .LBB239_382
.LBB239_270:
	s_mov_b64 s[20:21], -1
                                        ; implicit-def: $vgpr4
.LBB239_271:
	s_mov_b64 s[18:19], 0
.LBB239_272:
	s_and_b64 vcc, exec, s[18:19]
	s_cbranch_vccz .LBB239_276
; %bb.273:
	s_cmp_eq_u32 s31, 29
	s_cbranch_scc0 .LBB239_275
; %bb.274:
	global_load_dwordx2 v[4:5], v[0:1], off
	s_movk_i32 s18, 0x7fff
	s_mov_b64 s[0:1], -1
	s_mov_b64 s[20:21], 0
	s_waitcnt vmcnt(0)
	v_ffbh_u32_e32 v6, v5
	v_min_u32_e32 v6, 32, v6
	v_lshlrev_b64 v[4:5], v6, v[4:5]
	v_min_u32_e32 v4, 1, v4
	v_or_b32_e32 v4, v5, v4
	v_cvt_f32_u32_e32 v4, v4
	v_sub_u32_e32 v5, 32, v6
	v_ldexp_f32 v4, v4, v5
	v_bfe_u32 v5, v4, 16, 1
	v_add3_u32 v4, v4, v5, s18
	v_lshrrev_b32_e32 v4, 16, v4
	s_branch .LBB239_276
.LBB239_275:
	s_mov_b64 s[20:21], -1
                                        ; implicit-def: $vgpr4
.LBB239_276:
	s_mov_b64 s[18:19], 0
.LBB239_277:
	s_and_b64 vcc, exec, s[18:19]
	s_cbranch_vccz .LBB239_295
; %bb.278:
	s_cmp_lt_i32 s31, 27
	s_cbranch_scc1 .LBB239_281
; %bb.279:
	s_cmp_gt_i32 s31, 27
	s_cbranch_scc0 .LBB239_282
; %bb.280:
	global_load_dword v4, v[0:1], off
	s_movk_i32 s0, 0x7fff
	s_waitcnt vmcnt(0)
	v_cvt_f32_u32_e32 v4, v4
	v_bfe_u32 v5, v4, 16, 1
	v_add3_u32 v4, v4, v5, s0
	v_lshrrev_b32_e32 v4, 16, v4
	s_mov_b64 s[0:1], 0
	s_branch .LBB239_283
.LBB239_281:
	s_mov_b64 s[0:1], -1
                                        ; implicit-def: $vgpr4
	s_branch .LBB239_286
.LBB239_282:
	s_mov_b64 s[0:1], -1
                                        ; implicit-def: $vgpr4
.LBB239_283:
	s_andn2_b64 vcc, exec, s[0:1]
	s_cbranch_vccnz .LBB239_285
; %bb.284:
	global_load_ushort v4, v[0:1], off
	s_movk_i32 s0, 0x7fff
	s_waitcnt vmcnt(0)
	v_cvt_f32_u32_e32 v4, v4
	v_bfe_u32 v5, v4, 16, 1
	v_add3_u32 v4, v4, v5, s0
	v_lshrrev_b32_e32 v4, 16, v4
.LBB239_285:
	s_mov_b64 s[0:1], 0
.LBB239_286:
	s_andn2_b64 vcc, exec, s[0:1]
	s_cbranch_vccnz .LBB239_294
; %bb.287:
	global_load_ubyte v4, v[0:1], off
	s_movk_i32 s0, 0x7f
	s_waitcnt vmcnt(0)
	v_cmp_lt_i16_e32 vcc, s0, v4
	s_mov_b64 s[0:1], 0
	s_and_saveexec_b64 s[18:19], vcc
	s_xor_b64 s[18:19], exec, s[18:19]
	s_cbranch_execz .LBB239_308
; %bb.288:
	s_movk_i32 s0, 0x80
	v_cmp_eq_u16_e32 vcc, s0, v4
	s_mov_b64 s[0:1], -1
	s_and_saveexec_b64 s[26:27], vcc
; %bb.289:
	s_xor_b64 s[0:1], exec, -1
; %bb.290:
	s_or_b64 exec, exec, s[26:27]
	s_and_b64 s[0:1], s[0:1], exec
	s_or_saveexec_b64 s[18:19], s[18:19]
	v_mov_b32_e32 v5, 0x7f800001
	s_xor_b64 exec, exec, s[18:19]
	s_cbranch_execnz .LBB239_309
.LBB239_291:
	s_or_b64 exec, exec, s[18:19]
	s_and_saveexec_b64 s[18:19], s[0:1]
	s_cbranch_execz .LBB239_293
.LBB239_292:
	v_lshlrev_b32_e32 v5, 24, v4
	v_and_b32_e32 v4, 0xffff, v4
	v_and_b32_e32 v6, 7, v4
	v_ffbh_u32_e32 v8, v6
	v_min_u32_e32 v8, 32, v8
	v_subrev_u32_e32 v9, 28, v8
	v_bfe_u32 v7, v4, 3, 4
	v_lshlrev_b32_e32 v4, v9, v4
	v_sub_u32_e32 v8, 29, v8
	v_and_b32_e32 v4, 7, v4
	v_cmp_eq_u32_e32 vcc, 0, v7
	v_cndmask_b32_e32 v7, v7, v8, vcc
	v_cndmask_b32_e32 v4, v6, v4, vcc
	v_mov_b32_e32 v6, 0x3b800000
	v_lshlrev_b32_e32 v4, 20, v4
	v_and_b32_e32 v5, 0x80000000, v5
	v_lshl_add_u32 v6, v7, 23, v6
	v_or3_b32 v5, v5, v6, v4
.LBB239_293:
	s_or_b64 exec, exec, s[18:19]
	v_bfe_u32 v4, v5, 16, 1
	s_movk_i32 s0, 0x7fff
	v_add3_u32 v4, v5, v4, s0
	v_cmp_o_f32_e32 vcc, v5, v5
	v_mov_b32_e32 v5, 0x7fc0
	v_cndmask_b32_sdwa v4, v5, v4, vcc dst_sel:DWORD dst_unused:UNUSED_PAD src0_sel:DWORD src1_sel:WORD_1
.LBB239_294:
	s_mov_b64 s[0:1], -1
.LBB239_295:
	s_mov_b64 s[18:19], 0
.LBB239_296:
	s_and_b64 vcc, exec, s[18:19]
	s_cbranch_vccz .LBB239_331
; %bb.297:
	s_cmp_gt_i32 s31, 22
	s_cbranch_scc0 .LBB239_307
; %bb.298:
	s_cmp_lt_i32 s31, 24
	s_cbranch_scc1 .LBB239_310
; %bb.299:
	s_cmp_gt_i32 s31, 24
	s_cbranch_scc0 .LBB239_311
; %bb.300:
	global_load_ubyte v4, v[0:1], off
	s_movk_i32 s0, 0x7f
	s_waitcnt vmcnt(0)
	v_cmp_lt_i16_e32 vcc, s0, v4
	s_mov_b64 s[0:1], 0
	s_and_saveexec_b64 s[18:19], vcc
	s_xor_b64 s[18:19], exec, s[18:19]
	s_cbranch_execz .LBB239_323
; %bb.301:
	s_movk_i32 s0, 0x80
	v_cmp_eq_u16_e32 vcc, s0, v4
	s_mov_b64 s[0:1], -1
	s_and_saveexec_b64 s[26:27], vcc
; %bb.302:
	s_xor_b64 s[0:1], exec, -1
; %bb.303:
	s_or_b64 exec, exec, s[26:27]
	s_and_b64 s[0:1], s[0:1], exec
	s_or_saveexec_b64 s[18:19], s[18:19]
	v_mov_b32_e32 v5, 0x7f800001
	s_xor_b64 exec, exec, s[18:19]
	s_cbranch_execnz .LBB239_324
.LBB239_304:
	s_or_b64 exec, exec, s[18:19]
	s_and_saveexec_b64 s[18:19], s[0:1]
	s_cbranch_execz .LBB239_306
.LBB239_305:
	v_lshlrev_b32_e32 v5, 24, v4
	v_and_b32_e32 v4, 0xffff, v4
	v_and_b32_e32 v6, 3, v4
	v_ffbh_u32_e32 v8, v6
	v_min_u32_e32 v8, 32, v8
	v_subrev_u32_e32 v9, 29, v8
	v_bfe_u32 v7, v4, 2, 5
	v_lshlrev_b32_e32 v4, v9, v4
	v_sub_u32_e32 v8, 30, v8
	v_and_b32_e32 v4, 3, v4
	v_cmp_eq_u32_e32 vcc, 0, v7
	v_cndmask_b32_e32 v7, v7, v8, vcc
	v_cndmask_b32_e32 v4, v6, v4, vcc
	v_mov_b32_e32 v6, 0x37800000
	v_lshlrev_b32_e32 v4, 21, v4
	v_and_b32_e32 v5, 0x80000000, v5
	v_lshl_add_u32 v6, v7, 23, v6
	v_or3_b32 v5, v5, v6, v4
.LBB239_306:
	s_or_b64 exec, exec, s[18:19]
	v_bfe_u32 v4, v5, 16, 1
	s_movk_i32 s0, 0x7fff
	v_add3_u32 v4, v5, v4, s0
	v_cmp_o_f32_e32 vcc, v5, v5
	v_mov_b32_e32 v5, 0x7fc0
	v_cndmask_b32_sdwa v4, v5, v4, vcc dst_sel:DWORD dst_unused:UNUSED_PAD src0_sel:DWORD src1_sel:WORD_1
	s_mov_b64 s[0:1], 0
	s_branch .LBB239_312
.LBB239_307:
	s_mov_b64 s[18:19], -1
                                        ; implicit-def: $vgpr4
	s_branch .LBB239_318
.LBB239_308:
	s_or_saveexec_b64 s[18:19], s[18:19]
	v_mov_b32_e32 v5, 0x7f800001
	s_xor_b64 exec, exec, s[18:19]
	s_cbranch_execz .LBB239_291
.LBB239_309:
	v_cmp_ne_u16_e32 vcc, 0, v4
	s_andn2_b64 s[0:1], s[0:1], exec
	s_and_b64 s[26:27], vcc, exec
	v_mov_b32_e32 v5, 0
	s_or_b64 s[0:1], s[0:1], s[26:27]
	s_or_b64 exec, exec, s[18:19]
	s_and_saveexec_b64 s[18:19], s[0:1]
	s_cbranch_execnz .LBB239_292
	s_branch .LBB239_293
.LBB239_310:
	s_mov_b64 s[0:1], -1
                                        ; implicit-def: $vgpr4
	s_branch .LBB239_315
.LBB239_311:
	s_mov_b64 s[0:1], -1
                                        ; implicit-def: $vgpr4
.LBB239_312:
	s_and_b64 vcc, exec, s[0:1]
	s_cbranch_vccz .LBB239_314
; %bb.313:
	global_load_ubyte v4, v[0:1], off
	s_mov_b32 s0, 0x7f800000
	s_brev_b32 s1, 1
	s_movk_i32 s18, 0x7fff
	s_waitcnt vmcnt(0)
	v_lshlrev_b32_e32 v4, 24, v4
	v_and_b32_e32 v5, 0x7f000000, v4
	v_ffbh_u32_e32 v6, v5
	v_min_u32_e32 v6, 32, v6
	v_sub_u32_e64 v6, v6, 4 clamp
	v_lshlrev_b32_e32 v8, v6, v5
	v_lshlrev_b32_e32 v6, 23, v6
	v_lshrrev_b32_e32 v8, 4, v8
	v_add_u32_e32 v7, 0x1000000, v5
	v_sub_u32_e32 v6, v8, v6
	v_ashrrev_i32_e32 v7, 8, v7
	v_add_u32_e32 v6, 0x3c000000, v6
	v_and_or_b32 v6, v7, s0, v6
	v_cmp_ne_u32_e32 vcc, 0, v5
	v_cndmask_b32_e32 v5, 0, v6, vcc
	v_and_or_b32 v4, v4, s1, v5
	v_bfe_u32 v5, v5, 16, 1
	v_add3_u32 v5, v4, v5, s18
	v_cmp_o_f32_e32 vcc, v4, v4
	v_mov_b32_e32 v4, 0x7fc0
	v_cndmask_b32_sdwa v4, v4, v5, vcc dst_sel:DWORD dst_unused:UNUSED_PAD src0_sel:DWORD src1_sel:WORD_1
.LBB239_314:
	s_mov_b64 s[0:1], 0
.LBB239_315:
	s_andn2_b64 vcc, exec, s[0:1]
	s_cbranch_vccnz .LBB239_317
; %bb.316:
	global_load_ubyte v4, v[0:1], off
	s_movk_i32 s0, 0x7f00
	s_brev_b32 s1, 16
	s_brev_b32 s18, 1
	s_movk_i32 s19, 0x7fff
	s_waitcnt vmcnt(0)
	v_lshlrev_b16_e32 v5, 8, v4
	v_lshlrev_b32_e32 v4, 25, v4
	v_lshrrev_b32_e32 v6, 4, v4
	v_and_or_b32 v7, v5, s0, 0.5
	v_or_b32_e32 v6, 0x70000000, v6
	v_add_f32_e32 v7, -0.5, v7
	v_mul_f32_e32 v6, 0x7800000, v6
	v_cmp_gt_u32_e32 vcc, s1, v4
	v_bfe_i32 v5, v5, 0, 16
	v_cndmask_b32_e32 v4, v6, v7, vcc
	v_and_or_b32 v5, v5, s18, v4
	v_bfe_u32 v4, v4, 16, 1
	v_add3_u32 v4, v5, v4, s19
	v_cmp_o_f32_e32 vcc, v5, v5
	v_mov_b32_e32 v5, 0x7fc0
	v_cndmask_b32_sdwa v4, v5, v4, vcc dst_sel:DWORD dst_unused:UNUSED_PAD src0_sel:DWORD src1_sel:WORD_1
.LBB239_317:
	s_mov_b64 s[18:19], 0
	s_mov_b64 s[0:1], -1
.LBB239_318:
	s_andn2_b64 vcc, exec, s[18:19]
	s_cbranch_vccnz .LBB239_331
; %bb.319:
	s_cmp_gt_i32 s31, 14
	s_cbranch_scc0 .LBB239_322
; %bb.320:
	s_cmp_eq_u32 s31, 15
	s_cbranch_scc0 .LBB239_325
; %bb.321:
	global_load_ushort v4, v[0:1], off
	s_mov_b64 s[0:1], -1
	s_mov_b64 s[20:21], 0
	s_branch .LBB239_326
.LBB239_322:
	s_mov_b64 s[18:19], -1
                                        ; implicit-def: $vgpr4
	s_branch .LBB239_327
.LBB239_323:
	s_or_saveexec_b64 s[18:19], s[18:19]
	v_mov_b32_e32 v5, 0x7f800001
	s_xor_b64 exec, exec, s[18:19]
	s_cbranch_execz .LBB239_304
.LBB239_324:
	v_cmp_ne_u16_e32 vcc, 0, v4
	s_andn2_b64 s[0:1], s[0:1], exec
	s_and_b64 s[26:27], vcc, exec
	v_mov_b32_e32 v5, 0
	s_or_b64 s[0:1], s[0:1], s[26:27]
	s_or_b64 exec, exec, s[18:19]
	s_and_saveexec_b64 s[18:19], s[0:1]
	s_cbranch_execnz .LBB239_305
	s_branch .LBB239_306
.LBB239_325:
	s_mov_b64 s[20:21], -1
                                        ; implicit-def: $vgpr4
.LBB239_326:
	s_mov_b64 s[18:19], 0
.LBB239_327:
	s_and_b64 vcc, exec, s[18:19]
	s_cbranch_vccz .LBB239_331
; %bb.328:
	s_cmp_eq_u32 s31, 11
	s_cbranch_scc0 .LBB239_330
; %bb.329:
	global_load_ubyte v4, v[0:1], off
	s_mov_b64 s[0:1], -1
	s_mov_b64 s[20:21], 0
	s_waitcnt vmcnt(0)
	v_cmp_ne_u16_e32 vcc, 0, v4
	v_cndmask_b32_e64 v4, 0, 1.0, vcc
	v_lshrrev_b32_e32 v4, 16, v4
	s_branch .LBB239_331
.LBB239_330:
	s_mov_b64 s[20:21], -1
                                        ; implicit-def: $vgpr4
.LBB239_331:
	s_branch .LBB239_20
.LBB239_332:
	s_and_b32 s18, 0xffff, s30
	s_cmp_lt_i32 s18, 5
	s_cbranch_scc1 .LBB239_337
; %bb.333:
	s_cmp_lt_i32 s18, 8
	s_cbranch_scc1 .LBB239_338
; %bb.334:
	;; [unrolled: 3-line block ×3, first 2 shown]
	s_cmp_gt_i32 s18, 9
	s_cbranch_scc0 .LBB239_340
; %bb.336:
	global_load_dwordx2 v[4:5], v[0:1], off
	s_movk_i32 s0, 0x7fff
	s_waitcnt vmcnt(0)
	v_cvt_f32_f64_e32 v4, v[4:5]
	v_mov_b32_e32 v5, 0x7fc0
	v_bfe_u32 v6, v4, 16, 1
	v_cmp_o_f32_e32 vcc, v4, v4
	v_add3_u32 v4, v4, v6, s0
	v_cndmask_b32_sdwa v4, v5, v4, vcc dst_sel:DWORD dst_unused:UNUSED_PAD src0_sel:DWORD src1_sel:WORD_1
	s_mov_b64 s[0:1], 0
	s_branch .LBB239_341
.LBB239_337:
	s_mov_b64 s[0:1], -1
                                        ; implicit-def: $vgpr4
	s_branch .LBB239_359
.LBB239_338:
	s_mov_b64 s[0:1], -1
                                        ; implicit-def: $vgpr4
	s_branch .LBB239_347
.LBB239_339:
	s_mov_b64 s[0:1], -1
                                        ; implicit-def: $vgpr4
	s_branch .LBB239_344
.LBB239_340:
	s_mov_b64 s[0:1], -1
                                        ; implicit-def: $vgpr4
.LBB239_341:
	s_andn2_b64 vcc, exec, s[0:1]
	s_cbranch_vccnz .LBB239_343
; %bb.342:
	global_load_dword v4, v[0:1], off
	s_movk_i32 s0, 0x7fff
	v_mov_b32_e32 v5, 0x7fc0
	s_waitcnt vmcnt(0)
	v_bfe_u32 v6, v4, 16, 1
	v_cmp_o_f32_e32 vcc, v4, v4
	v_add3_u32 v4, v4, v6, s0
	v_cndmask_b32_sdwa v4, v5, v4, vcc dst_sel:DWORD dst_unused:UNUSED_PAD src0_sel:DWORD src1_sel:WORD_1
.LBB239_343:
	s_mov_b64 s[0:1], 0
.LBB239_344:
	s_andn2_b64 vcc, exec, s[0:1]
	s_cbranch_vccnz .LBB239_346
; %bb.345:
	global_load_dword v4, v[0:1], off
	s_movk_i32 s0, 0x7fff
	v_mov_b32_e32 v6, 0x7fc0
	s_waitcnt vmcnt(0)
	v_cvt_f32_f16_e32 v5, v4
	v_cmp_o_f16_e32 vcc, v4, v4
	v_bfe_u32 v4, v5, 16, 1
	v_add3_u32 v4, v5, v4, s0
	v_cndmask_b32_sdwa v4, v6, v4, vcc dst_sel:DWORD dst_unused:UNUSED_PAD src0_sel:DWORD src1_sel:WORD_1
.LBB239_346:
	s_mov_b64 s[0:1], 0
.LBB239_347:
	s_andn2_b64 vcc, exec, s[0:1]
	s_cbranch_vccnz .LBB239_358
; %bb.348:
	s_cmp_lt_i32 s18, 6
	s_cbranch_scc1 .LBB239_351
; %bb.349:
	s_cmp_gt_i32 s18, 6
	s_cbranch_scc0 .LBB239_352
; %bb.350:
	global_load_dwordx2 v[4:5], v[0:1], off
	s_movk_i32 s0, 0x7fff
	s_waitcnt vmcnt(0)
	v_cvt_f32_f64_e32 v4, v[4:5]
	v_mov_b32_e32 v5, 0x7fc0
	v_bfe_u32 v6, v4, 16, 1
	v_cmp_o_f32_e32 vcc, v4, v4
	v_add3_u32 v4, v4, v6, s0
	v_cndmask_b32_sdwa v4, v5, v4, vcc dst_sel:DWORD dst_unused:UNUSED_PAD src0_sel:DWORD src1_sel:WORD_1
	s_mov_b64 s[0:1], 0
	s_branch .LBB239_353
.LBB239_351:
	s_mov_b64 s[0:1], -1
                                        ; implicit-def: $vgpr4
	s_branch .LBB239_356
.LBB239_352:
	s_mov_b64 s[0:1], -1
                                        ; implicit-def: $vgpr4
.LBB239_353:
	s_andn2_b64 vcc, exec, s[0:1]
	s_cbranch_vccnz .LBB239_355
; %bb.354:
	global_load_dword v4, v[0:1], off
	s_movk_i32 s0, 0x7fff
	v_mov_b32_e32 v5, 0x7fc0
	s_waitcnt vmcnt(0)
	v_bfe_u32 v6, v4, 16, 1
	v_cmp_o_f32_e32 vcc, v4, v4
	v_add3_u32 v4, v4, v6, s0
	v_cndmask_b32_sdwa v4, v5, v4, vcc dst_sel:DWORD dst_unused:UNUSED_PAD src0_sel:DWORD src1_sel:WORD_1
.LBB239_355:
	s_mov_b64 s[0:1], 0
.LBB239_356:
	s_andn2_b64 vcc, exec, s[0:1]
	s_cbranch_vccnz .LBB239_358
; %bb.357:
	global_load_ushort v4, v[0:1], off
	s_movk_i32 s0, 0x7fff
	v_mov_b32_e32 v6, 0x7fc0
	s_waitcnt vmcnt(0)
	v_cvt_f32_f16_e32 v5, v4
	v_cmp_o_f16_e32 vcc, v4, v4
	v_bfe_u32 v4, v5, 16, 1
	v_add3_u32 v4, v5, v4, s0
	v_cndmask_b32_sdwa v4, v6, v4, vcc dst_sel:DWORD dst_unused:UNUSED_PAD src0_sel:DWORD src1_sel:WORD_1
.LBB239_358:
	s_mov_b64 s[0:1], 0
.LBB239_359:
	s_andn2_b64 vcc, exec, s[0:1]
	s_cbranch_vccnz .LBB239_379
; %bb.360:
	s_cmp_lt_i32 s18, 2
	s_cbranch_scc1 .LBB239_364
; %bb.361:
	s_cmp_lt_i32 s18, 3
	s_cbranch_scc1 .LBB239_365
; %bb.362:
	s_cmp_gt_i32 s18, 3
	s_cbranch_scc0 .LBB239_366
; %bb.363:
	global_load_dwordx2 v[4:5], v[0:1], off
	s_movk_i32 s0, 0x7fff
	s_waitcnt vmcnt(0)
	v_xor_b32_e32 v7, v4, v5
	v_ffbh_i32_e32 v6, v5
	v_ashrrev_i32_e32 v7, 31, v7
	v_add_u32_e32 v6, -1, v6
	v_add_u32_e32 v7, 32, v7
	v_min_u32_e32 v6, v6, v7
	v_lshlrev_b64 v[4:5], v6, v[4:5]
	v_min_u32_e32 v4, 1, v4
	v_or_b32_e32 v4, v5, v4
	v_cvt_f32_i32_e32 v4, v4
	v_sub_u32_e32 v5, 32, v6
	v_ldexp_f32 v4, v4, v5
	v_bfe_u32 v5, v4, 16, 1
	v_add3_u32 v4, v4, v5, s0
	v_lshrrev_b32_e32 v4, 16, v4
	s_mov_b64 s[0:1], 0
	s_branch .LBB239_367
.LBB239_364:
	s_mov_b64 s[0:1], -1
                                        ; implicit-def: $vgpr4
	s_branch .LBB239_373
.LBB239_365:
	s_mov_b64 s[0:1], -1
                                        ; implicit-def: $vgpr4
	s_branch .LBB239_370
.LBB239_366:
	s_mov_b64 s[0:1], -1
                                        ; implicit-def: $vgpr4
.LBB239_367:
	s_andn2_b64 vcc, exec, s[0:1]
	s_cbranch_vccnz .LBB239_369
; %bb.368:
	global_load_dword v4, v[0:1], off
	s_movk_i32 s0, 0x7fff
	s_waitcnt vmcnt(0)
	v_cvt_f32_i32_e32 v4, v4
	v_bfe_u32 v5, v4, 16, 1
	v_add3_u32 v4, v4, v5, s0
	v_lshrrev_b32_e32 v4, 16, v4
.LBB239_369:
	s_mov_b64 s[0:1], 0
.LBB239_370:
	s_andn2_b64 vcc, exec, s[0:1]
	s_cbranch_vccnz .LBB239_372
; %bb.371:
	global_load_sshort v4, v[0:1], off
	s_movk_i32 s0, 0x7fff
	s_waitcnt vmcnt(0)
	v_cvt_f32_i32_e32 v4, v4
	v_bfe_u32 v5, v4, 16, 1
	v_add3_u32 v4, v4, v5, s0
	v_lshrrev_b32_e32 v4, 16, v4
.LBB239_372:
	s_mov_b64 s[0:1], 0
.LBB239_373:
	s_andn2_b64 vcc, exec, s[0:1]
	s_cbranch_vccnz .LBB239_379
; %bb.374:
	s_cmp_gt_i32 s18, 0
	s_cbranch_scc0 .LBB239_376
; %bb.375:
	global_load_sbyte v4, v[0:1], off
	s_movk_i32 s0, 0x7fff
	s_waitcnt vmcnt(0)
	v_cvt_f32_i32_e32 v4, v4
	v_bfe_u32 v5, v4, 16, 1
	v_add3_u32 v4, v4, v5, s0
	v_lshrrev_b32_e32 v4, 16, v4
	s_mov_b64 s[0:1], 0
	s_branch .LBB239_377
.LBB239_376:
	s_mov_b64 s[0:1], -1
                                        ; implicit-def: $vgpr4
.LBB239_377:
	s_andn2_b64 vcc, exec, s[0:1]
	s_cbranch_vccnz .LBB239_379
; %bb.378:
	global_load_ubyte v0, v[0:1], off
	s_movk_i32 s0, 0x7fff
	s_waitcnt vmcnt(0)
	v_cvt_f32_ubyte0_e32 v0, v0
	v_bfe_u32 v1, v0, 16, 1
	v_add3_u32 v0, v0, v1, s0
	v_lshrrev_b32_e32 v4, 16, v0
.LBB239_379:
	s_branch .LBB239_21
.LBB239_380:
	s_mov_b64 s[0:1], 0
.LBB239_381:
                                        ; implicit-def: $vgpr2
	s_mov_b64 s[26:27], 0
.LBB239_382:
	s_and_b64 s[18:19], s[0:1], exec
	s_and_b64 s[20:21], s[20:21], exec
	;; [unrolled: 1-line block ×3, first 2 shown]
	s_orn2_b64 s[0:1], s[26:27], exec
.LBB239_383:
	s_or_b64 exec, exec, s[24:25]
	s_mov_b64 s[34:35], 0
	s_mov_b64 s[30:31], 0
                                        ; implicit-def: $sgpr58
                                        ; implicit-def: $vgpr0_vgpr1
                                        ; implicit-def: $vgpr3
	s_and_saveexec_b64 s[24:25], s[0:1]
	s_cbranch_execz .LBB239_392
; %bb.384:
	v_cmp_gt_i32_e32 vcc, s50, v2
	s_mov_b64 s[0:1], -1
	s_mov_b64 s[26:27], s[22:23]
	s_mov_b64 s[28:29], s[20:21]
	;; [unrolled: 1-line block ×3, first 2 shown]
	s_and_saveexec_b64 s[34:35], vcc
	s_cbranch_execz .LBB239_773
; %bb.385:
	v_mul_lo_u32 v0, v2, s13
	v_mov_b32_e32 v1, s11
	s_and_b32 s36, s56, 0xff
	s_cmp_lt_i32 s36, 11
	s_waitcnt vmcnt(0)
	v_ashrrev_i32_e32 v3, 31, v0
	v_add_co_u32_e32 v0, vcc, s10, v0
	v_addc_co_u32_e32 v1, vcc, v1, v3, vcc
	s_cbranch_scc1 .LBB239_395
; %bb.386:
	s_and_b32 s37, 0xffff, s36
	s_cmp_gt_i32 s37, 25
	s_cbranch_scc0 .LBB239_404
; %bb.387:
	s_cmp_gt_i32 s37, 28
	s_cbranch_scc0 .LBB239_406
; %bb.388:
	;; [unrolled: 3-line block ×4, first 2 shown]
	s_cmp_eq_u32 s37, 46
	s_mov_b64 s[28:29], 0
	s_cbranch_scc0 .LBB239_414
; %bb.391:
	global_load_dword v3, v[0:1], off
	s_mov_b64 s[26:27], 0
	s_branch .LBB239_415
.LBB239_392:
	s_or_b64 exec, exec, s[24:25]
	s_mov_b64 s[24:25], 0
	s_and_saveexec_b64 s[0:1], s[22:23]
	s_cbranch_execnz .LBB239_1248
.LBB239_393:
	s_or_b64 exec, exec, s[0:1]
	s_and_saveexec_b64 s[0:1], s[28:29]
	s_xor_b64 s[0:1], exec, s[0:1]
	s_cbranch_execz .LBB239_1249
.LBB239_394:
	global_load_ubyte v3, v[0:1], off
	s_or_b64 s[30:31], s[30:31], exec
	s_waitcnt vmcnt(0)
	v_cmp_ne_u16_e32 vcc, 0, v3
	v_cndmask_b32_e64 v3, 0, 1.0, vcc
	v_lshrrev_b32_e32 v3, 16, v3
	s_or_b64 exec, exec, s[0:1]
	s_and_saveexec_b64 s[0:1], s[34:35]
	s_cbranch_execz .LBB239_1295
	s_branch .LBB239_1250
.LBB239_395:
	s_mov_b64 s[0:1], 0
                                        ; implicit-def: $vgpr3
	s_mov_b64 s[26:27], s[22:23]
	s_cbranch_execnz .LBB239_481
.LBB239_396:
	s_andn2_b64 vcc, exec, s[0:1]
	s_cbranch_vccnz .LBB239_529
.LBB239_397:
	v_mul_lo_u32 v0, v2, s14
	v_mov_b32_e32 v1, s17
	s_and_b32 s38, s15, 0xff
	s_cmp_lt_i32 s38, 11
	v_ashrrev_i32_e32 v4, 31, v0
	v_add_co_u32_e32 v0, vcc, s16, v0
	v_addc_co_u32_e32 v1, vcc, v1, v4, vcc
	s_cbranch_scc1 .LBB239_405
; %bb.398:
	s_and_b32 s39, 0xffff, s38
	s_cmp_gt_i32 s39, 25
	s_cbranch_scc0 .LBB239_407
; %bb.399:
	s_cmp_gt_i32 s39, 28
	s_cbranch_scc0 .LBB239_409
; %bb.400:
	;; [unrolled: 3-line block ×4, first 2 shown]
	s_cmp_eq_u32 s39, 46
	s_mov_b64 s[30:31], 0
	s_cbranch_scc0 .LBB239_533
; %bb.403:
	global_load_dword v4, v[0:1], off
	s_mov_b64 s[0:1], -1
	s_mov_b64 s[28:29], 0
	s_branch .LBB239_534
.LBB239_404:
	s_mov_b64 s[28:29], -1
	s_mov_b64 s[0:1], 0
	s_mov_b64 s[26:27], s[22:23]
                                        ; implicit-def: $vgpr3
	s_branch .LBB239_445
.LBB239_405:
	s_mov_b64 s[30:31], -1
	s_mov_b64 s[0:1], 0
                                        ; implicit-def: $vgpr4
	s_mov_b64 s[28:29], s[20:21]
	s_branch .LBB239_599
.LBB239_406:
	s_mov_b64 s[28:29], -1
	s_mov_b64 s[0:1], 0
	s_mov_b64 s[26:27], s[22:23]
                                        ; implicit-def: $vgpr3
	s_branch .LBB239_426
.LBB239_407:
	s_mov_b64 s[30:31], -1
	s_mov_b64 s[0:1], 0
	s_mov_b64 s[28:29], s[20:21]
                                        ; implicit-def: $vgpr4
	s_branch .LBB239_563
.LBB239_408:
	s_mov_b64 s[28:29], -1
	s_mov_b64 s[0:1], 0
	s_mov_b64 s[26:27], s[22:23]
                                        ; implicit-def: $vgpr3
	s_branch .LBB239_421
.LBB239_409:
	s_mov_b64 s[30:31], -1
	s_mov_b64 s[0:1], 0
	s_mov_b64 s[28:29], s[20:21]
                                        ; implicit-def: $vgpr4
	s_branch .LBB239_544
.LBB239_410:
	s_mov_b64 s[28:29], -1
	s_mov_b64 s[0:1], 0
	s_mov_b64 s[26:27], s[22:23]
                                        ; implicit-def: $vgpr3
	s_branch .LBB239_415
.LBB239_411:
	s_mov_b64 s[30:31], -1
	s_mov_b64 s[0:1], 0
	s_mov_b64 s[28:29], s[20:21]
                                        ; implicit-def: $vgpr4
	s_branch .LBB239_539
.LBB239_412:
	s_andn2_saveexec_b64 s[30:31], s[30:31]
	s_cbranch_execz .LBB239_180
.LBB239_413:
	s_mov_b32 s36, 0x46000000
	v_add_f32_e64 v5, |v6|, s36
	v_and_b32_e32 v5, 0xff, v5
	v_cmp_ne_u32_e32 vcc, 0, v5
	s_andn2_b64 s[26:27], s[26:27], exec
	s_and_b64 s[36:37], vcc, exec
	s_or_b64 s[26:27], s[26:27], s[36:37]
	s_or_b64 exec, exec, s[30:31]
	v_mov_b32_e32 v7, 0
	s_and_saveexec_b64 s[30:31], s[26:27]
	s_cbranch_execnz .LBB239_181
	s_branch .LBB239_182
.LBB239_414:
	s_mov_b64 s[26:27], -1
                                        ; implicit-def: $vgpr3
	s_mov_b64 s[0:1], 0
.LBB239_415:
	s_and_b64 vcc, exec, s[28:29]
	s_cbranch_vccz .LBB239_420
; %bb.416:
	s_cmp_eq_u32 s37, 44
	s_cbranch_scc0 .LBB239_419
; %bb.417:
	global_load_ubyte v3, v[0:1], off
	s_movk_i32 s26, 0xff
	v_mov_b32_e32 v4, 0x7f800001
	v_mov_b32_e32 v5, 0x400000
	;; [unrolled: 1-line block ×3, first 2 shown]
	s_mov_b64 s[0:1], -1
	s_waitcnt vmcnt(0)
	v_lshlrev_b32_e32 v7, 23, v3
	v_cmp_ne_u32_e32 vcc, s26, v3
	v_cndmask_b32_e32 v4, v4, v7, vcc
	v_cmp_ne_u32_e32 vcc, 0, v3
	v_cndmask_b32_e32 v3, v5, v4, vcc
	v_add_u32_e32 v4, 0x7fff, v3
	v_cmp_o_f32_e32 vcc, v3, v3
	v_cndmask_b32_sdwa v3, v6, v4, vcc dst_sel:DWORD dst_unused:UNUSED_PAD src0_sel:DWORD src1_sel:WORD_1
	s_mov_b64 s[26:27], 0
	s_branch .LBB239_420
.LBB239_418:
	s_mov_b64 s[30:31], -1
	s_mov_b64 s[0:1], 0
	s_mov_b64 s[28:29], s[20:21]
                                        ; implicit-def: $vgpr4
	s_branch .LBB239_534
.LBB239_419:
	s_mov_b64 s[26:27], -1
                                        ; implicit-def: $vgpr3
.LBB239_420:
	s_mov_b64 s[28:29], 0
.LBB239_421:
	s_and_b64 vcc, exec, s[28:29]
	s_cbranch_vccz .LBB239_425
; %bb.422:
	s_cmp_eq_u32 s37, 29
	s_cbranch_scc0 .LBB239_424
; %bb.423:
	global_load_dwordx2 v[3:4], v[0:1], off
	s_movk_i32 s26, 0x7fff
	s_mov_b64 s[0:1], -1
	s_mov_b64 s[28:29], 0
	s_waitcnt vmcnt(0)
	v_ffbh_u32_e32 v5, v4
	v_min_u32_e32 v5, 32, v5
	v_lshlrev_b64 v[3:4], v5, v[3:4]
	v_min_u32_e32 v3, 1, v3
	v_or_b32_e32 v3, v4, v3
	v_cvt_f32_u32_e32 v3, v3
	v_sub_u32_e32 v4, 32, v5
	v_ldexp_f32 v3, v3, v4
	v_bfe_u32 v4, v3, 16, 1
	v_add3_u32 v3, v3, v4, s26
	v_lshrrev_b32_e32 v3, 16, v3
	s_mov_b64 s[26:27], 0
	s_branch .LBB239_426
.LBB239_424:
	s_mov_b64 s[26:27], -1
                                        ; implicit-def: $vgpr3
.LBB239_425:
	s_mov_b64 s[28:29], 0
.LBB239_426:
	s_and_b64 vcc, exec, s[28:29]
	s_cbranch_vccz .LBB239_444
; %bb.427:
	s_cmp_lt_i32 s37, 27
	s_cbranch_scc1 .LBB239_430
; %bb.428:
	s_cmp_gt_i32 s37, 27
	s_cbranch_scc0 .LBB239_431
; %bb.429:
	global_load_dword v3, v[0:1], off
	s_movk_i32 s0, 0x7fff
	s_waitcnt vmcnt(0)
	v_cvt_f32_u32_e32 v3, v3
	v_bfe_u32 v4, v3, 16, 1
	v_add3_u32 v3, v3, v4, s0
	v_lshrrev_b32_e32 v3, 16, v3
	s_mov_b64 s[0:1], 0
	s_branch .LBB239_432
.LBB239_430:
	s_mov_b64 s[0:1], -1
                                        ; implicit-def: $vgpr3
	s_branch .LBB239_435
.LBB239_431:
	s_mov_b64 s[0:1], -1
                                        ; implicit-def: $vgpr3
.LBB239_432:
	s_andn2_b64 vcc, exec, s[0:1]
	s_cbranch_vccnz .LBB239_434
; %bb.433:
	global_load_ushort v3, v[0:1], off
	s_movk_i32 s0, 0x7fff
	s_waitcnt vmcnt(0)
	v_cvt_f32_u32_e32 v3, v3
	v_bfe_u32 v4, v3, 16, 1
	v_add3_u32 v3, v3, v4, s0
	v_lshrrev_b32_e32 v3, 16, v3
.LBB239_434:
	s_mov_b64 s[0:1], 0
.LBB239_435:
	s_andn2_b64 vcc, exec, s[0:1]
	s_cbranch_vccnz .LBB239_443
; %bb.436:
	global_load_ubyte v3, v[0:1], off
	s_movk_i32 s0, 0x7f
	s_waitcnt vmcnt(0)
	v_cmp_lt_i16_e32 vcc, s0, v3
	s_mov_b64 s[0:1], 0
	s_and_saveexec_b64 s[28:29], vcc
	s_xor_b64 s[28:29], exec, s[28:29]
	s_cbranch_execz .LBB239_457
; %bb.437:
	s_movk_i32 s0, 0x80
	v_cmp_eq_u16_e32 vcc, s0, v3
	s_mov_b64 s[0:1], -1
	s_and_saveexec_b64 s[30:31], vcc
; %bb.438:
	s_xor_b64 s[0:1], exec, -1
; %bb.439:
	s_or_b64 exec, exec, s[30:31]
	s_and_b64 s[0:1], s[0:1], exec
	s_or_saveexec_b64 s[28:29], s[28:29]
	v_mov_b32_e32 v4, 0x7f800001
	s_xor_b64 exec, exec, s[28:29]
	s_cbranch_execnz .LBB239_458
.LBB239_440:
	s_or_b64 exec, exec, s[28:29]
	s_and_saveexec_b64 s[28:29], s[0:1]
	s_cbranch_execz .LBB239_442
.LBB239_441:
	v_lshlrev_b32_e32 v4, 24, v3
	v_and_b32_e32 v3, 0xffff, v3
	v_and_b32_e32 v5, 7, v3
	v_ffbh_u32_e32 v7, v5
	v_min_u32_e32 v7, 32, v7
	v_subrev_u32_e32 v8, 28, v7
	v_bfe_u32 v6, v3, 3, 4
	v_lshlrev_b32_e32 v3, v8, v3
	v_sub_u32_e32 v7, 29, v7
	v_and_b32_e32 v3, 7, v3
	v_cmp_eq_u32_e32 vcc, 0, v6
	v_cndmask_b32_e32 v6, v6, v7, vcc
	v_cndmask_b32_e32 v3, v5, v3, vcc
	v_mov_b32_e32 v5, 0x3b800000
	v_lshlrev_b32_e32 v3, 20, v3
	v_and_b32_e32 v4, 0x80000000, v4
	v_lshl_add_u32 v5, v6, 23, v5
	v_or3_b32 v4, v4, v5, v3
.LBB239_442:
	s_or_b64 exec, exec, s[28:29]
	v_bfe_u32 v3, v4, 16, 1
	s_movk_i32 s0, 0x7fff
	v_add3_u32 v3, v4, v3, s0
	v_cmp_o_f32_e32 vcc, v4, v4
	v_mov_b32_e32 v4, 0x7fc0
	v_cndmask_b32_sdwa v3, v4, v3, vcc dst_sel:DWORD dst_unused:UNUSED_PAD src0_sel:DWORD src1_sel:WORD_1
.LBB239_443:
	s_mov_b64 s[0:1], -1
.LBB239_444:
	s_mov_b64 s[28:29], 0
.LBB239_445:
	s_and_b64 vcc, exec, s[28:29]
	s_cbranch_vccz .LBB239_480
; %bb.446:
	s_cmp_gt_i32 s37, 22
	s_cbranch_scc0 .LBB239_456
; %bb.447:
	s_cmp_lt_i32 s37, 24
	s_cbranch_scc1 .LBB239_459
; %bb.448:
	s_cmp_gt_i32 s37, 24
	s_cbranch_scc0 .LBB239_460
; %bb.449:
	global_load_ubyte v3, v[0:1], off
	s_movk_i32 s0, 0x7f
	s_waitcnt vmcnt(0)
	v_cmp_lt_i16_e32 vcc, s0, v3
	s_mov_b64 s[0:1], 0
	s_and_saveexec_b64 s[28:29], vcc
	s_xor_b64 s[28:29], exec, s[28:29]
	s_cbranch_execz .LBB239_472
; %bb.450:
	s_movk_i32 s0, 0x80
	v_cmp_eq_u16_e32 vcc, s0, v3
	s_mov_b64 s[0:1], -1
	s_and_saveexec_b64 s[30:31], vcc
; %bb.451:
	s_xor_b64 s[0:1], exec, -1
; %bb.452:
	s_or_b64 exec, exec, s[30:31]
	s_and_b64 s[0:1], s[0:1], exec
	s_or_saveexec_b64 s[28:29], s[28:29]
	v_mov_b32_e32 v4, 0x7f800001
	s_xor_b64 exec, exec, s[28:29]
	s_cbranch_execnz .LBB239_473
.LBB239_453:
	s_or_b64 exec, exec, s[28:29]
	s_and_saveexec_b64 s[28:29], s[0:1]
	s_cbranch_execz .LBB239_455
.LBB239_454:
	v_lshlrev_b32_e32 v4, 24, v3
	v_and_b32_e32 v3, 0xffff, v3
	v_and_b32_e32 v5, 3, v3
	v_ffbh_u32_e32 v7, v5
	v_min_u32_e32 v7, 32, v7
	v_subrev_u32_e32 v8, 29, v7
	v_bfe_u32 v6, v3, 2, 5
	v_lshlrev_b32_e32 v3, v8, v3
	v_sub_u32_e32 v7, 30, v7
	v_and_b32_e32 v3, 3, v3
	v_cmp_eq_u32_e32 vcc, 0, v6
	v_cndmask_b32_e32 v6, v6, v7, vcc
	v_cndmask_b32_e32 v3, v5, v3, vcc
	v_mov_b32_e32 v5, 0x37800000
	v_lshlrev_b32_e32 v3, 21, v3
	v_and_b32_e32 v4, 0x80000000, v4
	v_lshl_add_u32 v5, v6, 23, v5
	v_or3_b32 v4, v4, v5, v3
.LBB239_455:
	s_or_b64 exec, exec, s[28:29]
	v_bfe_u32 v3, v4, 16, 1
	s_movk_i32 s0, 0x7fff
	v_add3_u32 v3, v4, v3, s0
	v_cmp_o_f32_e32 vcc, v4, v4
	v_mov_b32_e32 v4, 0x7fc0
	v_cndmask_b32_sdwa v3, v4, v3, vcc dst_sel:DWORD dst_unused:UNUSED_PAD src0_sel:DWORD src1_sel:WORD_1
	s_mov_b64 s[0:1], 0
	s_branch .LBB239_461
.LBB239_456:
	s_mov_b64 s[28:29], -1
                                        ; implicit-def: $vgpr3
	s_branch .LBB239_467
.LBB239_457:
	s_or_saveexec_b64 s[28:29], s[28:29]
	v_mov_b32_e32 v4, 0x7f800001
	s_xor_b64 exec, exec, s[28:29]
	s_cbranch_execz .LBB239_440
.LBB239_458:
	v_cmp_ne_u16_e32 vcc, 0, v3
	s_andn2_b64 s[0:1], s[0:1], exec
	s_and_b64 s[30:31], vcc, exec
	v_mov_b32_e32 v4, 0
	s_or_b64 s[0:1], s[0:1], s[30:31]
	s_or_b64 exec, exec, s[28:29]
	s_and_saveexec_b64 s[28:29], s[0:1]
	s_cbranch_execnz .LBB239_441
	s_branch .LBB239_442
.LBB239_459:
	s_mov_b64 s[0:1], -1
                                        ; implicit-def: $vgpr3
	s_branch .LBB239_464
.LBB239_460:
	s_mov_b64 s[0:1], -1
                                        ; implicit-def: $vgpr3
.LBB239_461:
	s_and_b64 vcc, exec, s[0:1]
	s_cbranch_vccz .LBB239_463
; %bb.462:
	global_load_ubyte v3, v[0:1], off
	s_mov_b32 s0, 0x7f800000
	s_brev_b32 s1, 1
	s_movk_i32 s28, 0x7fff
	s_waitcnt vmcnt(0)
	v_lshlrev_b32_e32 v3, 24, v3
	v_and_b32_e32 v4, 0x7f000000, v3
	v_ffbh_u32_e32 v5, v4
	v_min_u32_e32 v5, 32, v5
	v_sub_u32_e64 v5, v5, 4 clamp
	v_lshlrev_b32_e32 v7, v5, v4
	v_lshlrev_b32_e32 v5, 23, v5
	v_lshrrev_b32_e32 v7, 4, v7
	v_add_u32_e32 v6, 0x1000000, v4
	v_sub_u32_e32 v5, v7, v5
	v_ashrrev_i32_e32 v6, 8, v6
	v_add_u32_e32 v5, 0x3c000000, v5
	v_and_or_b32 v5, v6, s0, v5
	v_cmp_ne_u32_e32 vcc, 0, v4
	v_cndmask_b32_e32 v4, 0, v5, vcc
	v_and_or_b32 v3, v3, s1, v4
	v_bfe_u32 v4, v4, 16, 1
	v_add3_u32 v4, v3, v4, s28
	v_cmp_o_f32_e32 vcc, v3, v3
	v_mov_b32_e32 v3, 0x7fc0
	v_cndmask_b32_sdwa v3, v3, v4, vcc dst_sel:DWORD dst_unused:UNUSED_PAD src0_sel:DWORD src1_sel:WORD_1
.LBB239_463:
	s_mov_b64 s[0:1], 0
.LBB239_464:
	s_andn2_b64 vcc, exec, s[0:1]
	s_cbranch_vccnz .LBB239_466
; %bb.465:
	global_load_ubyte v3, v[0:1], off
	s_movk_i32 s0, 0x7f00
	s_brev_b32 s1, 16
	s_brev_b32 s28, 1
	s_movk_i32 s29, 0x7fff
	s_waitcnt vmcnt(0)
	v_lshlrev_b16_e32 v4, 8, v3
	v_lshlrev_b32_e32 v3, 25, v3
	v_lshrrev_b32_e32 v5, 4, v3
	v_and_or_b32 v6, v4, s0, 0.5
	v_or_b32_e32 v5, 0x70000000, v5
	v_add_f32_e32 v6, -0.5, v6
	v_mul_f32_e32 v5, 0x7800000, v5
	v_cmp_gt_u32_e32 vcc, s1, v3
	v_bfe_i32 v4, v4, 0, 16
	v_cndmask_b32_e32 v3, v5, v6, vcc
	v_and_or_b32 v4, v4, s28, v3
	v_bfe_u32 v3, v3, 16, 1
	v_add3_u32 v3, v4, v3, s29
	v_cmp_o_f32_e32 vcc, v4, v4
	v_mov_b32_e32 v4, 0x7fc0
	v_cndmask_b32_sdwa v3, v4, v3, vcc dst_sel:DWORD dst_unused:UNUSED_PAD src0_sel:DWORD src1_sel:WORD_1
.LBB239_466:
	s_mov_b64 s[28:29], 0
	s_mov_b64 s[0:1], -1
.LBB239_467:
	s_andn2_b64 vcc, exec, s[28:29]
	s_cbranch_vccnz .LBB239_480
; %bb.468:
	s_cmp_gt_i32 s37, 14
	s_cbranch_scc0 .LBB239_471
; %bb.469:
	s_cmp_eq_u32 s37, 15
	s_cbranch_scc0 .LBB239_474
; %bb.470:
	global_load_ushort v3, v[0:1], off
	s_mov_b64 s[0:1], -1
	s_mov_b64 s[26:27], 0
	s_branch .LBB239_475
.LBB239_471:
	s_mov_b64 s[28:29], -1
                                        ; implicit-def: $vgpr3
	s_branch .LBB239_476
.LBB239_472:
	s_or_saveexec_b64 s[28:29], s[28:29]
	v_mov_b32_e32 v4, 0x7f800001
	s_xor_b64 exec, exec, s[28:29]
	s_cbranch_execz .LBB239_453
.LBB239_473:
	v_cmp_ne_u16_e32 vcc, 0, v3
	s_andn2_b64 s[0:1], s[0:1], exec
	s_and_b64 s[30:31], vcc, exec
	v_mov_b32_e32 v4, 0
	s_or_b64 s[0:1], s[0:1], s[30:31]
	s_or_b64 exec, exec, s[28:29]
	s_and_saveexec_b64 s[28:29], s[0:1]
	s_cbranch_execnz .LBB239_454
	s_branch .LBB239_455
.LBB239_474:
	s_mov_b64 s[26:27], -1
                                        ; implicit-def: $vgpr3
.LBB239_475:
	s_mov_b64 s[28:29], 0
.LBB239_476:
	s_and_b64 vcc, exec, s[28:29]
	s_cbranch_vccz .LBB239_480
; %bb.477:
	s_cmp_eq_u32 s37, 11
	s_cbranch_scc0 .LBB239_479
; %bb.478:
	global_load_ubyte v3, v[0:1], off
	s_mov_b64 s[0:1], -1
	s_mov_b64 s[26:27], 0
	s_waitcnt vmcnt(0)
	v_cmp_ne_u16_e32 vcc, 0, v3
	v_cndmask_b32_e64 v3, 0, 1.0, vcc
	v_lshrrev_b32_e32 v3, 16, v3
	s_branch .LBB239_480
.LBB239_479:
	s_mov_b64 s[26:27], -1
                                        ; implicit-def: $vgpr3
.LBB239_480:
	s_branch .LBB239_396
.LBB239_481:
	s_and_b32 s28, 0xffff, s36
	s_cmp_lt_i32 s28, 5
	s_cbranch_scc1 .LBB239_486
; %bb.482:
	s_cmp_lt_i32 s28, 8
	s_cbranch_scc1 .LBB239_487
; %bb.483:
	;; [unrolled: 3-line block ×3, first 2 shown]
	s_cmp_gt_i32 s28, 9
	s_cbranch_scc0 .LBB239_489
; %bb.485:
	global_load_dwordx2 v[3:4], v[0:1], off
	s_movk_i32 s0, 0x7fff
	s_waitcnt vmcnt(0)
	v_cvt_f32_f64_e32 v3, v[3:4]
	v_mov_b32_e32 v4, 0x7fc0
	v_bfe_u32 v5, v3, 16, 1
	v_cmp_o_f32_e32 vcc, v3, v3
	v_add3_u32 v3, v3, v5, s0
	v_cndmask_b32_sdwa v3, v4, v3, vcc dst_sel:DWORD dst_unused:UNUSED_PAD src0_sel:DWORD src1_sel:WORD_1
	s_mov_b64 s[0:1], 0
	s_branch .LBB239_490
.LBB239_486:
	s_mov_b64 s[0:1], -1
                                        ; implicit-def: $vgpr3
	s_branch .LBB239_508
.LBB239_487:
	s_mov_b64 s[0:1], -1
                                        ; implicit-def: $vgpr3
	s_branch .LBB239_496
.LBB239_488:
	s_mov_b64 s[0:1], -1
                                        ; implicit-def: $vgpr3
	s_branch .LBB239_493
.LBB239_489:
	s_mov_b64 s[0:1], -1
                                        ; implicit-def: $vgpr3
.LBB239_490:
	s_andn2_b64 vcc, exec, s[0:1]
	s_cbranch_vccnz .LBB239_492
; %bb.491:
	global_load_dword v3, v[0:1], off
	s_movk_i32 s0, 0x7fff
	v_mov_b32_e32 v4, 0x7fc0
	s_waitcnt vmcnt(0)
	v_bfe_u32 v5, v3, 16, 1
	v_cmp_o_f32_e32 vcc, v3, v3
	v_add3_u32 v3, v3, v5, s0
	v_cndmask_b32_sdwa v3, v4, v3, vcc dst_sel:DWORD dst_unused:UNUSED_PAD src0_sel:DWORD src1_sel:WORD_1
.LBB239_492:
	s_mov_b64 s[0:1], 0
.LBB239_493:
	s_andn2_b64 vcc, exec, s[0:1]
	s_cbranch_vccnz .LBB239_495
; %bb.494:
	global_load_dword v3, v[0:1], off
	s_movk_i32 s0, 0x7fff
	v_mov_b32_e32 v5, 0x7fc0
	s_waitcnt vmcnt(0)
	v_cvt_f32_f16_e32 v4, v3
	v_cmp_o_f16_e32 vcc, v3, v3
	v_bfe_u32 v3, v4, 16, 1
	v_add3_u32 v3, v4, v3, s0
	v_cndmask_b32_sdwa v3, v5, v3, vcc dst_sel:DWORD dst_unused:UNUSED_PAD src0_sel:DWORD src1_sel:WORD_1
.LBB239_495:
	s_mov_b64 s[0:1], 0
.LBB239_496:
	s_andn2_b64 vcc, exec, s[0:1]
	s_cbranch_vccnz .LBB239_507
; %bb.497:
	s_cmp_lt_i32 s28, 6
	s_cbranch_scc1 .LBB239_500
; %bb.498:
	s_cmp_gt_i32 s28, 6
	s_cbranch_scc0 .LBB239_501
; %bb.499:
	global_load_dwordx2 v[3:4], v[0:1], off
	s_movk_i32 s0, 0x7fff
	s_waitcnt vmcnt(0)
	v_cvt_f32_f64_e32 v3, v[3:4]
	v_mov_b32_e32 v4, 0x7fc0
	v_bfe_u32 v5, v3, 16, 1
	v_cmp_o_f32_e32 vcc, v3, v3
	v_add3_u32 v3, v3, v5, s0
	v_cndmask_b32_sdwa v3, v4, v3, vcc dst_sel:DWORD dst_unused:UNUSED_PAD src0_sel:DWORD src1_sel:WORD_1
	s_mov_b64 s[0:1], 0
	s_branch .LBB239_502
.LBB239_500:
	s_mov_b64 s[0:1], -1
                                        ; implicit-def: $vgpr3
	s_branch .LBB239_505
.LBB239_501:
	s_mov_b64 s[0:1], -1
                                        ; implicit-def: $vgpr3
.LBB239_502:
	s_andn2_b64 vcc, exec, s[0:1]
	s_cbranch_vccnz .LBB239_504
; %bb.503:
	global_load_dword v3, v[0:1], off
	s_movk_i32 s0, 0x7fff
	v_mov_b32_e32 v4, 0x7fc0
	s_waitcnt vmcnt(0)
	v_bfe_u32 v5, v3, 16, 1
	v_cmp_o_f32_e32 vcc, v3, v3
	v_add3_u32 v3, v3, v5, s0
	v_cndmask_b32_sdwa v3, v4, v3, vcc dst_sel:DWORD dst_unused:UNUSED_PAD src0_sel:DWORD src1_sel:WORD_1
.LBB239_504:
	s_mov_b64 s[0:1], 0
.LBB239_505:
	s_andn2_b64 vcc, exec, s[0:1]
	s_cbranch_vccnz .LBB239_507
; %bb.506:
	global_load_ushort v3, v[0:1], off
	s_movk_i32 s0, 0x7fff
	v_mov_b32_e32 v5, 0x7fc0
	s_waitcnt vmcnt(0)
	v_cvt_f32_f16_e32 v4, v3
	v_cmp_o_f16_e32 vcc, v3, v3
	v_bfe_u32 v3, v4, 16, 1
	v_add3_u32 v3, v4, v3, s0
	v_cndmask_b32_sdwa v3, v5, v3, vcc dst_sel:DWORD dst_unused:UNUSED_PAD src0_sel:DWORD src1_sel:WORD_1
.LBB239_507:
	s_mov_b64 s[0:1], 0
.LBB239_508:
	s_andn2_b64 vcc, exec, s[0:1]
	s_cbranch_vccnz .LBB239_528
; %bb.509:
	s_cmp_lt_i32 s28, 2
	s_cbranch_scc1 .LBB239_513
; %bb.510:
	s_cmp_lt_i32 s28, 3
	s_cbranch_scc1 .LBB239_514
; %bb.511:
	s_cmp_gt_i32 s28, 3
	s_cbranch_scc0 .LBB239_515
; %bb.512:
	global_load_dwordx2 v[3:4], v[0:1], off
	s_movk_i32 s0, 0x7fff
	s_waitcnt vmcnt(0)
	v_xor_b32_e32 v6, v3, v4
	v_ffbh_i32_e32 v5, v4
	v_ashrrev_i32_e32 v6, 31, v6
	v_add_u32_e32 v5, -1, v5
	v_add_u32_e32 v6, 32, v6
	v_min_u32_e32 v5, v5, v6
	v_lshlrev_b64 v[3:4], v5, v[3:4]
	v_min_u32_e32 v3, 1, v3
	v_or_b32_e32 v3, v4, v3
	v_cvt_f32_i32_e32 v3, v3
	v_sub_u32_e32 v4, 32, v5
	v_ldexp_f32 v3, v3, v4
	v_bfe_u32 v4, v3, 16, 1
	v_add3_u32 v3, v3, v4, s0
	v_lshrrev_b32_e32 v3, 16, v3
	s_mov_b64 s[0:1], 0
	s_branch .LBB239_516
.LBB239_513:
	s_mov_b64 s[0:1], -1
                                        ; implicit-def: $vgpr3
	s_branch .LBB239_522
.LBB239_514:
	s_mov_b64 s[0:1], -1
                                        ; implicit-def: $vgpr3
	s_branch .LBB239_519
.LBB239_515:
	s_mov_b64 s[0:1], -1
                                        ; implicit-def: $vgpr3
.LBB239_516:
	s_andn2_b64 vcc, exec, s[0:1]
	s_cbranch_vccnz .LBB239_518
; %bb.517:
	global_load_dword v3, v[0:1], off
	s_movk_i32 s0, 0x7fff
	s_waitcnt vmcnt(0)
	v_cvt_f32_i32_e32 v3, v3
	v_bfe_u32 v4, v3, 16, 1
	v_add3_u32 v3, v3, v4, s0
	v_lshrrev_b32_e32 v3, 16, v3
.LBB239_518:
	s_mov_b64 s[0:1], 0
.LBB239_519:
	s_andn2_b64 vcc, exec, s[0:1]
	s_cbranch_vccnz .LBB239_521
; %bb.520:
	global_load_sshort v3, v[0:1], off
	s_movk_i32 s0, 0x7fff
	s_waitcnt vmcnt(0)
	v_cvt_f32_i32_e32 v3, v3
	v_bfe_u32 v4, v3, 16, 1
	v_add3_u32 v3, v3, v4, s0
	v_lshrrev_b32_e32 v3, 16, v3
.LBB239_521:
	s_mov_b64 s[0:1], 0
.LBB239_522:
	s_andn2_b64 vcc, exec, s[0:1]
	s_cbranch_vccnz .LBB239_528
; %bb.523:
	s_cmp_gt_i32 s28, 0
	s_cbranch_scc0 .LBB239_525
; %bb.524:
	global_load_sbyte v3, v[0:1], off
	s_movk_i32 s0, 0x7fff
	s_waitcnt vmcnt(0)
	v_cvt_f32_i32_e32 v3, v3
	v_bfe_u32 v4, v3, 16, 1
	v_add3_u32 v3, v3, v4, s0
	v_lshrrev_b32_e32 v3, 16, v3
	s_mov_b64 s[0:1], 0
	s_branch .LBB239_526
.LBB239_525:
	s_mov_b64 s[0:1], -1
                                        ; implicit-def: $vgpr3
.LBB239_526:
	s_andn2_b64 vcc, exec, s[0:1]
	s_cbranch_vccnz .LBB239_528
; %bb.527:
	global_load_ubyte v0, v[0:1], off
	s_movk_i32 s0, 0x7fff
	s_waitcnt vmcnt(0)
	v_cvt_f32_ubyte0_e32 v0, v0
	v_bfe_u32 v1, v0, 16, 1
	v_add3_u32 v0, v0, v1, s0
	v_lshrrev_b32_e32 v3, 16, v0
.LBB239_528:
	s_branch .LBB239_397
.LBB239_529:
	s_mov_b64 s[36:37], 0
	s_mov_b64 s[0:1], s[18:19]
	;; [unrolled: 1-line block ×3, first 2 shown]
.LBB239_530:
                                        ; implicit-def: $vgpr2
	s_branch .LBB239_772
.LBB239_531:
	s_andn2_saveexec_b64 s[30:31], s[30:31]
	s_cbranch_execz .LBB239_193
.LBB239_532:
	s_mov_b32 s36, 0x42800000
	v_add_f32_e64 v5, |v6|, s36
	v_and_b32_e32 v5, 0xff, v5
	v_cmp_ne_u32_e32 vcc, 0, v5
	s_andn2_b64 s[26:27], s[26:27], exec
	s_and_b64 s[36:37], vcc, exec
	s_or_b64 s[26:27], s[26:27], s[36:37]
	s_or_b64 exec, exec, s[30:31]
	v_mov_b32_e32 v7, 0
	s_and_saveexec_b64 s[30:31], s[26:27]
	s_cbranch_execnz .LBB239_194
	s_branch .LBB239_195
.LBB239_533:
	s_mov_b64 s[28:29], -1
                                        ; implicit-def: $vgpr4
	s_mov_b64 s[0:1], 0
.LBB239_534:
	s_and_b64 vcc, exec, s[30:31]
	s_cbranch_vccz .LBB239_538
; %bb.535:
	s_cmp_eq_u32 s39, 44
	s_cbranch_scc0 .LBB239_537
; %bb.536:
	global_load_ubyte v4, v[0:1], off
	s_movk_i32 s28, 0xff
	v_mov_b32_e32 v5, 0x7f800001
	v_mov_b32_e32 v6, 0x400000
	;; [unrolled: 1-line block ×3, first 2 shown]
	s_mov_b64 s[0:1], -1
	s_waitcnt vmcnt(0)
	v_lshlrev_b32_e32 v8, 23, v4
	v_cmp_ne_u32_e32 vcc, s28, v4
	v_cndmask_b32_e32 v5, v5, v8, vcc
	v_cmp_ne_u32_e32 vcc, 0, v4
	v_cndmask_b32_e32 v4, v6, v5, vcc
	v_add_u32_e32 v5, 0x7fff, v4
	v_cmp_o_f32_e32 vcc, v4, v4
	v_cndmask_b32_sdwa v4, v7, v5, vcc dst_sel:DWORD dst_unused:UNUSED_PAD src0_sel:DWORD src1_sel:WORD_1
	s_mov_b64 s[28:29], 0
	s_branch .LBB239_538
.LBB239_537:
	s_mov_b64 s[28:29], -1
                                        ; implicit-def: $vgpr4
.LBB239_538:
	s_mov_b64 s[30:31], 0
.LBB239_539:
	s_and_b64 vcc, exec, s[30:31]
	s_cbranch_vccz .LBB239_543
; %bb.540:
	s_cmp_eq_u32 s39, 29
	s_cbranch_scc0 .LBB239_542
; %bb.541:
	global_load_dwordx2 v[4:5], v[0:1], off
	s_movk_i32 s28, 0x7fff
	s_mov_b64 s[0:1], -1
	s_mov_b64 s[30:31], 0
	s_waitcnt vmcnt(0)
	v_ffbh_u32_e32 v6, v5
	v_min_u32_e32 v6, 32, v6
	v_lshlrev_b64 v[4:5], v6, v[4:5]
	v_min_u32_e32 v4, 1, v4
	v_or_b32_e32 v4, v5, v4
	v_cvt_f32_u32_e32 v4, v4
	v_sub_u32_e32 v5, 32, v6
	v_ldexp_f32 v4, v4, v5
	v_bfe_u32 v5, v4, 16, 1
	v_add3_u32 v4, v4, v5, s28
	v_lshrrev_b32_e32 v4, 16, v4
	s_mov_b64 s[28:29], 0
	s_branch .LBB239_544
.LBB239_542:
	s_mov_b64 s[28:29], -1
                                        ; implicit-def: $vgpr4
.LBB239_543:
	s_mov_b64 s[30:31], 0
.LBB239_544:
	s_and_b64 vcc, exec, s[30:31]
	s_cbranch_vccz .LBB239_562
; %bb.545:
	s_cmp_lt_i32 s39, 27
	s_cbranch_scc1 .LBB239_548
; %bb.546:
	s_cmp_gt_i32 s39, 27
	s_cbranch_scc0 .LBB239_549
; %bb.547:
	global_load_dword v4, v[0:1], off
	s_movk_i32 s0, 0x7fff
	s_waitcnt vmcnt(0)
	v_cvt_f32_u32_e32 v4, v4
	v_bfe_u32 v5, v4, 16, 1
	v_add3_u32 v4, v4, v5, s0
	v_lshrrev_b32_e32 v4, 16, v4
	s_mov_b64 s[0:1], 0
	s_branch .LBB239_550
.LBB239_548:
	s_mov_b64 s[0:1], -1
                                        ; implicit-def: $vgpr4
	s_branch .LBB239_553
.LBB239_549:
	s_mov_b64 s[0:1], -1
                                        ; implicit-def: $vgpr4
.LBB239_550:
	s_andn2_b64 vcc, exec, s[0:1]
	s_cbranch_vccnz .LBB239_552
; %bb.551:
	global_load_ushort v4, v[0:1], off
	s_movk_i32 s0, 0x7fff
	s_waitcnt vmcnt(0)
	v_cvt_f32_u32_e32 v4, v4
	v_bfe_u32 v5, v4, 16, 1
	v_add3_u32 v4, v4, v5, s0
	v_lshrrev_b32_e32 v4, 16, v4
.LBB239_552:
	s_mov_b64 s[0:1], 0
.LBB239_553:
	s_andn2_b64 vcc, exec, s[0:1]
	s_cbranch_vccnz .LBB239_561
; %bb.554:
	global_load_ubyte v4, v[0:1], off
	s_movk_i32 s0, 0x7f
	s_waitcnt vmcnt(0)
	v_cmp_lt_i16_e32 vcc, s0, v4
	s_mov_b64 s[0:1], 0
	s_and_saveexec_b64 s[30:31], vcc
	s_xor_b64 s[30:31], exec, s[30:31]
	s_cbranch_execz .LBB239_575
; %bb.555:
	s_movk_i32 s0, 0x80
	v_cmp_eq_u16_e32 vcc, s0, v4
	s_mov_b64 s[0:1], -1
	s_and_saveexec_b64 s[36:37], vcc
; %bb.556:
	s_xor_b64 s[0:1], exec, -1
; %bb.557:
	s_or_b64 exec, exec, s[36:37]
	s_and_b64 s[0:1], s[0:1], exec
	s_or_saveexec_b64 s[30:31], s[30:31]
	v_mov_b32_e32 v5, 0x7f800001
	s_xor_b64 exec, exec, s[30:31]
	s_cbranch_execnz .LBB239_576
.LBB239_558:
	s_or_b64 exec, exec, s[30:31]
	s_and_saveexec_b64 s[30:31], s[0:1]
	s_cbranch_execz .LBB239_560
.LBB239_559:
	v_lshlrev_b32_e32 v5, 24, v4
	v_and_b32_e32 v4, 0xffff, v4
	v_and_b32_e32 v6, 7, v4
	v_ffbh_u32_e32 v8, v6
	v_min_u32_e32 v8, 32, v8
	v_subrev_u32_e32 v9, 28, v8
	v_bfe_u32 v7, v4, 3, 4
	v_lshlrev_b32_e32 v4, v9, v4
	v_sub_u32_e32 v8, 29, v8
	v_and_b32_e32 v4, 7, v4
	v_cmp_eq_u32_e32 vcc, 0, v7
	v_cndmask_b32_e32 v7, v7, v8, vcc
	v_cndmask_b32_e32 v4, v6, v4, vcc
	v_mov_b32_e32 v6, 0x3b800000
	v_lshlrev_b32_e32 v4, 20, v4
	v_and_b32_e32 v5, 0x80000000, v5
	v_lshl_add_u32 v6, v7, 23, v6
	v_or3_b32 v5, v5, v6, v4
.LBB239_560:
	s_or_b64 exec, exec, s[30:31]
	v_bfe_u32 v4, v5, 16, 1
	s_movk_i32 s0, 0x7fff
	v_add3_u32 v4, v5, v4, s0
	v_cmp_o_f32_e32 vcc, v5, v5
	v_mov_b32_e32 v5, 0x7fc0
	v_cndmask_b32_sdwa v4, v5, v4, vcc dst_sel:DWORD dst_unused:UNUSED_PAD src0_sel:DWORD src1_sel:WORD_1
.LBB239_561:
	s_mov_b64 s[0:1], -1
.LBB239_562:
	s_mov_b64 s[30:31], 0
.LBB239_563:
	s_and_b64 vcc, exec, s[30:31]
	s_cbranch_vccz .LBB239_598
; %bb.564:
	s_cmp_gt_i32 s39, 22
	s_cbranch_scc0 .LBB239_574
; %bb.565:
	s_cmp_lt_i32 s39, 24
	s_cbranch_scc1 .LBB239_577
; %bb.566:
	s_cmp_gt_i32 s39, 24
	s_cbranch_scc0 .LBB239_578
; %bb.567:
	global_load_ubyte v4, v[0:1], off
	s_movk_i32 s0, 0x7f
	s_waitcnt vmcnt(0)
	v_cmp_lt_i16_e32 vcc, s0, v4
	s_mov_b64 s[0:1], 0
	s_and_saveexec_b64 s[30:31], vcc
	s_xor_b64 s[30:31], exec, s[30:31]
	s_cbranch_execz .LBB239_590
; %bb.568:
	s_movk_i32 s0, 0x80
	v_cmp_eq_u16_e32 vcc, s0, v4
	s_mov_b64 s[0:1], -1
	s_and_saveexec_b64 s[36:37], vcc
; %bb.569:
	s_xor_b64 s[0:1], exec, -1
; %bb.570:
	s_or_b64 exec, exec, s[36:37]
	s_and_b64 s[0:1], s[0:1], exec
	s_or_saveexec_b64 s[30:31], s[30:31]
	v_mov_b32_e32 v5, 0x7f800001
	s_xor_b64 exec, exec, s[30:31]
	s_cbranch_execnz .LBB239_591
.LBB239_571:
	s_or_b64 exec, exec, s[30:31]
	s_and_saveexec_b64 s[30:31], s[0:1]
	s_cbranch_execz .LBB239_573
.LBB239_572:
	v_lshlrev_b32_e32 v5, 24, v4
	v_and_b32_e32 v4, 0xffff, v4
	v_and_b32_e32 v6, 3, v4
	v_ffbh_u32_e32 v8, v6
	v_min_u32_e32 v8, 32, v8
	v_subrev_u32_e32 v9, 29, v8
	v_bfe_u32 v7, v4, 2, 5
	v_lshlrev_b32_e32 v4, v9, v4
	v_sub_u32_e32 v8, 30, v8
	v_and_b32_e32 v4, 3, v4
	v_cmp_eq_u32_e32 vcc, 0, v7
	v_cndmask_b32_e32 v7, v7, v8, vcc
	v_cndmask_b32_e32 v4, v6, v4, vcc
	v_mov_b32_e32 v6, 0x37800000
	v_lshlrev_b32_e32 v4, 21, v4
	v_and_b32_e32 v5, 0x80000000, v5
	v_lshl_add_u32 v6, v7, 23, v6
	v_or3_b32 v5, v5, v6, v4
.LBB239_573:
	s_or_b64 exec, exec, s[30:31]
	v_bfe_u32 v4, v5, 16, 1
	s_movk_i32 s0, 0x7fff
	v_add3_u32 v4, v5, v4, s0
	v_cmp_o_f32_e32 vcc, v5, v5
	v_mov_b32_e32 v5, 0x7fc0
	v_cndmask_b32_sdwa v4, v5, v4, vcc dst_sel:DWORD dst_unused:UNUSED_PAD src0_sel:DWORD src1_sel:WORD_1
	s_mov_b64 s[0:1], 0
	s_branch .LBB239_579
.LBB239_574:
	s_mov_b64 s[30:31], -1
                                        ; implicit-def: $vgpr4
	s_branch .LBB239_585
.LBB239_575:
	s_or_saveexec_b64 s[30:31], s[30:31]
	v_mov_b32_e32 v5, 0x7f800001
	s_xor_b64 exec, exec, s[30:31]
	s_cbranch_execz .LBB239_558
.LBB239_576:
	v_cmp_ne_u16_e32 vcc, 0, v4
	s_andn2_b64 s[0:1], s[0:1], exec
	s_and_b64 s[36:37], vcc, exec
	v_mov_b32_e32 v5, 0
	s_or_b64 s[0:1], s[0:1], s[36:37]
	s_or_b64 exec, exec, s[30:31]
	s_and_saveexec_b64 s[30:31], s[0:1]
	s_cbranch_execnz .LBB239_559
	s_branch .LBB239_560
.LBB239_577:
	s_mov_b64 s[0:1], -1
                                        ; implicit-def: $vgpr4
	s_branch .LBB239_582
.LBB239_578:
	s_mov_b64 s[0:1], -1
                                        ; implicit-def: $vgpr4
.LBB239_579:
	s_and_b64 vcc, exec, s[0:1]
	s_cbranch_vccz .LBB239_581
; %bb.580:
	global_load_ubyte v4, v[0:1], off
	s_mov_b32 s0, 0x7f800000
	s_brev_b32 s1, 1
	s_movk_i32 s30, 0x7fff
	s_waitcnt vmcnt(0)
	v_lshlrev_b32_e32 v4, 24, v4
	v_and_b32_e32 v5, 0x7f000000, v4
	v_ffbh_u32_e32 v6, v5
	v_min_u32_e32 v6, 32, v6
	v_sub_u32_e64 v6, v6, 4 clamp
	v_lshlrev_b32_e32 v8, v6, v5
	v_lshlrev_b32_e32 v6, 23, v6
	v_lshrrev_b32_e32 v8, 4, v8
	v_add_u32_e32 v7, 0x1000000, v5
	v_sub_u32_e32 v6, v8, v6
	v_ashrrev_i32_e32 v7, 8, v7
	v_add_u32_e32 v6, 0x3c000000, v6
	v_and_or_b32 v6, v7, s0, v6
	v_cmp_ne_u32_e32 vcc, 0, v5
	v_cndmask_b32_e32 v5, 0, v6, vcc
	v_and_or_b32 v4, v4, s1, v5
	v_bfe_u32 v5, v5, 16, 1
	v_add3_u32 v5, v4, v5, s30
	v_cmp_o_f32_e32 vcc, v4, v4
	v_mov_b32_e32 v4, 0x7fc0
	v_cndmask_b32_sdwa v4, v4, v5, vcc dst_sel:DWORD dst_unused:UNUSED_PAD src0_sel:DWORD src1_sel:WORD_1
.LBB239_581:
	s_mov_b64 s[0:1], 0
.LBB239_582:
	s_andn2_b64 vcc, exec, s[0:1]
	s_cbranch_vccnz .LBB239_584
; %bb.583:
	global_load_ubyte v4, v[0:1], off
	s_movk_i32 s0, 0x7f00
	s_brev_b32 s1, 16
	s_brev_b32 s30, 1
	s_movk_i32 s31, 0x7fff
	s_waitcnt vmcnt(0)
	v_lshlrev_b16_e32 v5, 8, v4
	v_lshlrev_b32_e32 v4, 25, v4
	v_lshrrev_b32_e32 v6, 4, v4
	v_and_or_b32 v7, v5, s0, 0.5
	v_or_b32_e32 v6, 0x70000000, v6
	v_add_f32_e32 v7, -0.5, v7
	v_mul_f32_e32 v6, 0x7800000, v6
	v_cmp_gt_u32_e32 vcc, s1, v4
	v_bfe_i32 v5, v5, 0, 16
	v_cndmask_b32_e32 v4, v6, v7, vcc
	v_and_or_b32 v5, v5, s30, v4
	v_bfe_u32 v4, v4, 16, 1
	v_add3_u32 v4, v5, v4, s31
	v_cmp_o_f32_e32 vcc, v5, v5
	v_mov_b32_e32 v5, 0x7fc0
	v_cndmask_b32_sdwa v4, v5, v4, vcc dst_sel:DWORD dst_unused:UNUSED_PAD src0_sel:DWORD src1_sel:WORD_1
.LBB239_584:
	s_mov_b64 s[30:31], 0
	s_mov_b64 s[0:1], -1
.LBB239_585:
	s_andn2_b64 vcc, exec, s[30:31]
	s_cbranch_vccnz .LBB239_598
; %bb.586:
	s_cmp_gt_i32 s39, 14
	s_cbranch_scc0 .LBB239_589
; %bb.587:
	s_cmp_eq_u32 s39, 15
	s_cbranch_scc0 .LBB239_592
; %bb.588:
	global_load_ushort v4, v[0:1], off
	s_mov_b64 s[0:1], -1
	s_mov_b64 s[28:29], 0
	s_branch .LBB239_593
.LBB239_589:
	s_mov_b64 s[30:31], -1
                                        ; implicit-def: $vgpr4
	s_branch .LBB239_594
.LBB239_590:
	s_or_saveexec_b64 s[30:31], s[30:31]
	v_mov_b32_e32 v5, 0x7f800001
	s_xor_b64 exec, exec, s[30:31]
	s_cbranch_execz .LBB239_571
.LBB239_591:
	v_cmp_ne_u16_e32 vcc, 0, v4
	s_andn2_b64 s[0:1], s[0:1], exec
	s_and_b64 s[36:37], vcc, exec
	v_mov_b32_e32 v5, 0
	s_or_b64 s[0:1], s[0:1], s[36:37]
	s_or_b64 exec, exec, s[30:31]
	s_and_saveexec_b64 s[30:31], s[0:1]
	s_cbranch_execnz .LBB239_572
	s_branch .LBB239_573
.LBB239_592:
	s_mov_b64 s[28:29], -1
                                        ; implicit-def: $vgpr4
.LBB239_593:
	s_mov_b64 s[30:31], 0
.LBB239_594:
	s_and_b64 vcc, exec, s[30:31]
	s_cbranch_vccz .LBB239_598
; %bb.595:
	s_cmp_eq_u32 s39, 11
	s_cbranch_scc0 .LBB239_597
; %bb.596:
	global_load_ubyte v4, v[0:1], off
	s_mov_b64 s[0:1], -1
	s_mov_b64 s[28:29], 0
	s_waitcnt vmcnt(0)
	v_cmp_ne_u16_e32 vcc, 0, v4
	v_cndmask_b32_e64 v4, 0, 1.0, vcc
	v_lshrrev_b32_e32 v4, 16, v4
	s_branch .LBB239_598
.LBB239_597:
	s_mov_b64 s[28:29], -1
                                        ; implicit-def: $vgpr4
.LBB239_598:
	s_mov_b64 s[30:31], 0
.LBB239_599:
	s_and_b64 vcc, exec, s[30:31]
	s_cbranch_vccz .LBB239_648
; %bb.600:
	s_and_b32 s30, 0xffff, s38
	s_cmp_lt_i32 s30, 5
	s_cbranch_scc1 .LBB239_605
; %bb.601:
	s_cmp_lt_i32 s30, 8
	s_cbranch_scc1 .LBB239_606
; %bb.602:
	;; [unrolled: 3-line block ×3, first 2 shown]
	s_cmp_gt_i32 s30, 9
	s_cbranch_scc0 .LBB239_608
; %bb.604:
	global_load_dwordx2 v[4:5], v[0:1], off
	s_movk_i32 s0, 0x7fff
	s_waitcnt vmcnt(0)
	v_cvt_f32_f64_e32 v4, v[4:5]
	v_mov_b32_e32 v5, 0x7fc0
	v_bfe_u32 v6, v4, 16, 1
	v_cmp_o_f32_e32 vcc, v4, v4
	v_add3_u32 v4, v4, v6, s0
	v_cndmask_b32_sdwa v4, v5, v4, vcc dst_sel:DWORD dst_unused:UNUSED_PAD src0_sel:DWORD src1_sel:WORD_1
	s_mov_b64 s[0:1], 0
	s_branch .LBB239_609
.LBB239_605:
	s_mov_b64 s[0:1], -1
                                        ; implicit-def: $vgpr4
	s_branch .LBB239_627
.LBB239_606:
	s_mov_b64 s[0:1], -1
                                        ; implicit-def: $vgpr4
	s_branch .LBB239_615
.LBB239_607:
	s_mov_b64 s[0:1], -1
                                        ; implicit-def: $vgpr4
	s_branch .LBB239_612
.LBB239_608:
	s_mov_b64 s[0:1], -1
                                        ; implicit-def: $vgpr4
.LBB239_609:
	s_andn2_b64 vcc, exec, s[0:1]
	s_cbranch_vccnz .LBB239_611
; %bb.610:
	global_load_dword v4, v[0:1], off
	s_movk_i32 s0, 0x7fff
	v_mov_b32_e32 v5, 0x7fc0
	s_waitcnt vmcnt(0)
	v_bfe_u32 v6, v4, 16, 1
	v_cmp_o_f32_e32 vcc, v4, v4
	v_add3_u32 v4, v4, v6, s0
	v_cndmask_b32_sdwa v4, v5, v4, vcc dst_sel:DWORD dst_unused:UNUSED_PAD src0_sel:DWORD src1_sel:WORD_1
.LBB239_611:
	s_mov_b64 s[0:1], 0
.LBB239_612:
	s_andn2_b64 vcc, exec, s[0:1]
	s_cbranch_vccnz .LBB239_614
; %bb.613:
	global_load_dword v4, v[0:1], off
	s_movk_i32 s0, 0x7fff
	v_mov_b32_e32 v6, 0x7fc0
	s_waitcnt vmcnt(0)
	v_cvt_f32_f16_e32 v5, v4
	v_cmp_o_f16_e32 vcc, v4, v4
	v_bfe_u32 v4, v5, 16, 1
	v_add3_u32 v4, v5, v4, s0
	v_cndmask_b32_sdwa v4, v6, v4, vcc dst_sel:DWORD dst_unused:UNUSED_PAD src0_sel:DWORD src1_sel:WORD_1
.LBB239_614:
	s_mov_b64 s[0:1], 0
.LBB239_615:
	s_andn2_b64 vcc, exec, s[0:1]
	s_cbranch_vccnz .LBB239_626
; %bb.616:
	s_cmp_lt_i32 s30, 6
	s_cbranch_scc1 .LBB239_619
; %bb.617:
	s_cmp_gt_i32 s30, 6
	s_cbranch_scc0 .LBB239_620
; %bb.618:
	global_load_dwordx2 v[4:5], v[0:1], off
	s_movk_i32 s0, 0x7fff
	s_waitcnt vmcnt(0)
	v_cvt_f32_f64_e32 v4, v[4:5]
	v_mov_b32_e32 v5, 0x7fc0
	v_bfe_u32 v6, v4, 16, 1
	v_cmp_o_f32_e32 vcc, v4, v4
	v_add3_u32 v4, v4, v6, s0
	v_cndmask_b32_sdwa v4, v5, v4, vcc dst_sel:DWORD dst_unused:UNUSED_PAD src0_sel:DWORD src1_sel:WORD_1
	s_mov_b64 s[0:1], 0
	s_branch .LBB239_621
.LBB239_619:
	s_mov_b64 s[0:1], -1
                                        ; implicit-def: $vgpr4
	s_branch .LBB239_624
.LBB239_620:
	s_mov_b64 s[0:1], -1
                                        ; implicit-def: $vgpr4
.LBB239_621:
	s_andn2_b64 vcc, exec, s[0:1]
	s_cbranch_vccnz .LBB239_623
; %bb.622:
	global_load_dword v4, v[0:1], off
	s_movk_i32 s0, 0x7fff
	v_mov_b32_e32 v5, 0x7fc0
	s_waitcnt vmcnt(0)
	v_bfe_u32 v6, v4, 16, 1
	v_cmp_o_f32_e32 vcc, v4, v4
	v_add3_u32 v4, v4, v6, s0
	v_cndmask_b32_sdwa v4, v5, v4, vcc dst_sel:DWORD dst_unused:UNUSED_PAD src0_sel:DWORD src1_sel:WORD_1
.LBB239_623:
	s_mov_b64 s[0:1], 0
.LBB239_624:
	s_andn2_b64 vcc, exec, s[0:1]
	s_cbranch_vccnz .LBB239_626
; %bb.625:
	global_load_ushort v4, v[0:1], off
	s_movk_i32 s0, 0x7fff
	v_mov_b32_e32 v6, 0x7fc0
	s_waitcnt vmcnt(0)
	v_cvt_f32_f16_e32 v5, v4
	v_cmp_o_f16_e32 vcc, v4, v4
	v_bfe_u32 v4, v5, 16, 1
	v_add3_u32 v4, v5, v4, s0
	v_cndmask_b32_sdwa v4, v6, v4, vcc dst_sel:DWORD dst_unused:UNUSED_PAD src0_sel:DWORD src1_sel:WORD_1
.LBB239_626:
	s_mov_b64 s[0:1], 0
.LBB239_627:
	s_andn2_b64 vcc, exec, s[0:1]
	s_cbranch_vccnz .LBB239_647
; %bb.628:
	s_cmp_lt_i32 s30, 2
	s_cbranch_scc1 .LBB239_632
; %bb.629:
	s_cmp_lt_i32 s30, 3
	s_cbranch_scc1 .LBB239_633
; %bb.630:
	s_cmp_gt_i32 s30, 3
	s_cbranch_scc0 .LBB239_634
; %bb.631:
	global_load_dwordx2 v[4:5], v[0:1], off
	s_movk_i32 s0, 0x7fff
	s_waitcnt vmcnt(0)
	v_xor_b32_e32 v7, v4, v5
	v_ffbh_i32_e32 v6, v5
	v_ashrrev_i32_e32 v7, 31, v7
	v_add_u32_e32 v6, -1, v6
	v_add_u32_e32 v7, 32, v7
	v_min_u32_e32 v6, v6, v7
	v_lshlrev_b64 v[4:5], v6, v[4:5]
	v_min_u32_e32 v4, 1, v4
	v_or_b32_e32 v4, v5, v4
	v_cvt_f32_i32_e32 v4, v4
	v_sub_u32_e32 v5, 32, v6
	v_ldexp_f32 v4, v4, v5
	v_bfe_u32 v5, v4, 16, 1
	v_add3_u32 v4, v4, v5, s0
	v_lshrrev_b32_e32 v4, 16, v4
	s_mov_b64 s[0:1], 0
	s_branch .LBB239_635
.LBB239_632:
	s_mov_b64 s[0:1], -1
                                        ; implicit-def: $vgpr4
	s_branch .LBB239_641
.LBB239_633:
	s_mov_b64 s[0:1], -1
                                        ; implicit-def: $vgpr4
	s_branch .LBB239_638
.LBB239_634:
	s_mov_b64 s[0:1], -1
                                        ; implicit-def: $vgpr4
.LBB239_635:
	s_andn2_b64 vcc, exec, s[0:1]
	s_cbranch_vccnz .LBB239_637
; %bb.636:
	global_load_dword v4, v[0:1], off
	s_movk_i32 s0, 0x7fff
	s_waitcnt vmcnt(0)
	v_cvt_f32_i32_e32 v4, v4
	v_bfe_u32 v5, v4, 16, 1
	v_add3_u32 v4, v4, v5, s0
	v_lshrrev_b32_e32 v4, 16, v4
.LBB239_637:
	s_mov_b64 s[0:1], 0
.LBB239_638:
	s_andn2_b64 vcc, exec, s[0:1]
	s_cbranch_vccnz .LBB239_640
; %bb.639:
	global_load_sshort v4, v[0:1], off
	s_movk_i32 s0, 0x7fff
	s_waitcnt vmcnt(0)
	v_cvt_f32_i32_e32 v4, v4
	v_bfe_u32 v5, v4, 16, 1
	v_add3_u32 v4, v4, v5, s0
	v_lshrrev_b32_e32 v4, 16, v4
.LBB239_640:
	s_mov_b64 s[0:1], 0
.LBB239_641:
	s_andn2_b64 vcc, exec, s[0:1]
	s_cbranch_vccnz .LBB239_647
; %bb.642:
	s_cmp_gt_i32 s30, 0
	s_cbranch_scc0 .LBB239_644
; %bb.643:
	global_load_sbyte v4, v[0:1], off
	s_movk_i32 s0, 0x7fff
	s_waitcnt vmcnt(0)
	v_cvt_f32_i32_e32 v4, v4
	v_bfe_u32 v5, v4, 16, 1
	v_add3_u32 v4, v4, v5, s0
	v_lshrrev_b32_e32 v4, 16, v4
	s_mov_b64 s[0:1], 0
	s_branch .LBB239_645
.LBB239_644:
	s_mov_b64 s[0:1], -1
                                        ; implicit-def: $vgpr4
.LBB239_645:
	s_andn2_b64 vcc, exec, s[0:1]
	s_cbranch_vccnz .LBB239_647
; %bb.646:
	global_load_ubyte v0, v[0:1], off
	s_movk_i32 s0, 0x7fff
	s_waitcnt vmcnt(0)
	v_cvt_f32_ubyte0_e32 v0, v0
	v_bfe_u32 v1, v0, 16, 1
	v_add3_u32 v0, v0, v1, s0
	v_lshrrev_b32_e32 v4, 16, v0
.LBB239_647:
	s_mov_b64 s[0:1], -1
.LBB239_648:
	s_andn2_b64 vcc, exec, s[0:1]
	s_cbranch_vccnz .LBB239_656
; %bb.649:
	v_mul_lo_u32 v1, v2, s12
	s_waitcnt vmcnt(0)
	v_lshlrev_b32_e32 v0, 16, v3
	v_mov_b32_e32 v3, s33
	v_cmp_ge_f32_e32 vcc, s57, v0
	v_cndmask_b32_e32 v3, v4, v3, vcc
	v_ashrrev_i32_e32 v4, 31, v1
	v_mov_b32_e32 v5, s9
	s_and_b32 s40, s3, 0xff
	v_add_co_u32_e32 v0, vcc, s8, v1
	s_cmp_lt_i32 s40, 11
	v_addc_co_u32_e32 v1, vcc, v5, v4, vcc
	s_cbranch_scc1 .LBB239_657
; %bb.650:
	s_and_b32 s41, 0xffff, s40
	s_cmp_gt_i32 s41, 25
	s_cbranch_scc0 .LBB239_658
; %bb.651:
	s_cmp_gt_i32 s41, 28
	s_cbranch_scc0 .LBB239_659
; %bb.652:
	;; [unrolled: 3-line block ×4, first 2 shown]
	s_mov_b64 s[36:37], 0
	s_mov_b64 s[0:1], -1
	s_cmp_eq_u32 s41, 46
	s_mov_b64 s[30:31], 0
	s_cbranch_scc0 .LBB239_662
; %bb.655:
	v_and_b32_e32 v4, 0xffff, v3
	global_store_dword v[0:1], v4, off
	s_mov_b64 s[30:31], -1
	s_mov_b64 s[0:1], 0
	s_branch .LBB239_662
.LBB239_656:
	s_mov_b64 s[36:37], 0
                                        ; implicit-def: $vgpr2
	s_mov_b64 s[0:1], s[18:19]
	s_branch .LBB239_772
.LBB239_657:
	s_mov_b64 s[36:37], -1
	s_mov_b64 s[30:31], 0
	s_mov_b64 s[0:1], s[18:19]
	s_branch .LBB239_731
.LBB239_658:
	s_mov_b64 s[36:37], -1
	s_mov_b64 s[30:31], 0
	s_mov_b64 s[0:1], s[18:19]
	s_branch .LBB239_689
.LBB239_659:
	s_mov_b64 s[36:37], -1
	s_mov_b64 s[30:31], 0
	s_mov_b64 s[0:1], s[18:19]
	s_branch .LBB239_672
.LBB239_660:
	s_mov_b64 s[36:37], -1
	s_mov_b64 s[30:31], 0
	s_mov_b64 s[0:1], s[18:19]
	s_branch .LBB239_668
.LBB239_661:
	s_mov_b64 s[36:37], -1
	s_mov_b64 s[30:31], 0
	s_mov_b64 s[0:1], s[18:19]
.LBB239_662:
	s_and_b64 vcc, exec, s[36:37]
	s_cbranch_vccz .LBB239_667
; %bb.663:
	s_cmp_eq_u32 s41, 44
	s_mov_b64 s[0:1], -1
	s_cbranch_scc0 .LBB239_667
; %bb.664:
	v_and_b32_e32 v5, 0xffff, v3
	v_bfe_u32 v4, v5, 7, 8
	s_movk_i32 s0, 0xff
	v_cmp_ne_u32_e32 vcc, s0, v4
	v_mov_b32_e32 v6, 0xff
	s_and_saveexec_b64 s[30:31], vcc
	s_cbranch_execz .LBB239_666
; %bb.665:
	v_lshlrev_b32_e32 v7, 16, v5
	s_mov_b32 s0, 0x3f0000
	v_lshrrev_b32_e32 v6, 7, v5
	v_and_b32_e32 v5, 64, v5
	v_and_or_b32 v4, v7, s0, v4
	v_cmp_ne_u32_e32 vcc, 0, v5
	v_cmp_ne_u32_e64 s[0:1], 0, v4
	s_and_b64 s[0:1], vcc, s[0:1]
	v_cndmask_b32_e64 v4, 0, 1, s[0:1]
	v_add_u32_e32 v6, v6, v4
.LBB239_666:
	s_or_b64 exec, exec, s[30:31]
	s_mov_b64 s[30:31], -1
	s_mov_b64 s[0:1], 0
	global_store_byte v[0:1], v6, off
.LBB239_667:
	s_mov_b64 s[36:37], 0
.LBB239_668:
	s_and_b64 vcc, exec, s[36:37]
	s_cbranch_vccz .LBB239_671
; %bb.669:
	s_cmp_eq_u32 s41, 29
	s_mov_b64 s[0:1], -1
	s_cbranch_scc0 .LBB239_671
; %bb.670:
	v_lshlrev_b32_e32 v4, 16, v3
	v_trunc_f32_e32 v4, v4
	v_mul_f32_e32 v5, 0x2f800000, v4
	v_floor_f32_e32 v6, v5
	v_fmac_f32_e32 v4, 0xcf800000, v6
	v_cvt_u32_f32_e32 v5, v6
	v_cvt_u32_f32_e32 v4, v4
	s_mov_b64 s[30:31], -1
	s_mov_b64 s[0:1], 0
	s_mov_b64 s[36:37], 0
	global_store_dwordx2 v[0:1], v[4:5], off
	s_branch .LBB239_672
.LBB239_671:
	s_mov_b64 s[36:37], 0
.LBB239_672:
	s_and_b64 vcc, exec, s[36:37]
	s_cbranch_vccz .LBB239_688
; %bb.673:
	s_cmp_lt_i32 s41, 27
	s_mov_b64 s[30:31], -1
	s_cbranch_scc1 .LBB239_679
; %bb.674:
	s_cmp_gt_i32 s41, 27
	s_cbranch_scc0 .LBB239_676
; %bb.675:
	v_lshlrev_b32_e32 v4, 16, v3
	v_cvt_u32_f32_e32 v4, v4
	s_mov_b64 s[30:31], 0
	global_store_dword v[0:1], v4, off
.LBB239_676:
	s_andn2_b64 vcc, exec, s[30:31]
	s_cbranch_vccnz .LBB239_678
; %bb.677:
	v_lshlrev_b32_e32 v4, 16, v3
	v_cvt_u32_f32_e32 v4, v4
	global_store_short v[0:1], v4, off
.LBB239_678:
	s_mov_b64 s[30:31], 0
.LBB239_679:
	s_andn2_b64 vcc, exec, s[30:31]
	s_cbranch_vccnz .LBB239_687
; %bb.680:
	v_lshlrev_b32_e32 v6, 16, v3
	v_and_b32_e32 v5, 0x7fffffff, v6
	s_mov_b32 s30, 0x43800000
	v_cmp_gt_u32_e32 vcc, s30, v5
	v_mov_b32_e32 v7, 0x80
	s_and_saveexec_b64 s[30:31], vcc
	s_cbranch_execz .LBB239_686
; %bb.681:
	s_mov_b32 s36, 0x3bffffff
	v_and_b32_e32 v4, 0xffff, v3
	v_cmp_lt_u32_e32 vcc, s36, v5
	s_mov_b64 s[36:37], 0
                                        ; implicit-def: $vgpr5
	s_and_saveexec_b64 s[38:39], vcc
	s_xor_b64 s[38:39], exec, s[38:39]
	s_cbranch_execz .LBB239_788
; %bb.682:
	v_bfe_u32 v5, v4, 4, 1
	s_mov_b32 s42, 0x487ffff
	v_add3_u32 v5, v6, v5, s42
	s_mov_b64 s[36:37], exec
	v_lshrrev_b32_e32 v5, 20, v5
                                        ; implicit-def: $vgpr6
	s_andn2_saveexec_b64 s[38:39], s[38:39]
	s_cbranch_execnz .LBB239_789
.LBB239_683:
	s_or_b64 exec, exec, s[38:39]
	v_mov_b32_e32 v7, 0
	s_and_saveexec_b64 s[38:39], s[36:37]
.LBB239_684:
	v_lshrrev_b32_e32 v4, 8, v4
	s_movk_i32 s36, 0x80
	v_and_or_b32 v7, v4, s36, v5
.LBB239_685:
	s_or_b64 exec, exec, s[38:39]
.LBB239_686:
	s_or_b64 exec, exec, s[30:31]
	global_store_byte v[0:1], v7, off
.LBB239_687:
	s_mov_b64 s[30:31], -1
.LBB239_688:
	s_mov_b64 s[36:37], 0
.LBB239_689:
	s_and_b64 vcc, exec, s[36:37]
	s_cbranch_vccz .LBB239_730
; %bb.690:
	s_cmp_gt_i32 s41, 22
	s_mov_b64 s[36:37], -1
	s_cbranch_scc0 .LBB239_722
; %bb.691:
	s_cmp_lt_i32 s41, 24
	s_mov_b64 s[30:31], -1
	s_cbranch_scc1 .LBB239_711
; %bb.692:
	s_cmp_gt_i32 s41, 24
	s_cbranch_scc0 .LBB239_700
; %bb.693:
	v_lshlrev_b32_e32 v6, 16, v3
	v_and_b32_e32 v5, 0x7fffffff, v6
	s_mov_b32 s30, 0x47800000
	v_cmp_gt_u32_e32 vcc, s30, v5
	v_mov_b32_e32 v7, 0x80
	s_and_saveexec_b64 s[30:31], vcc
	s_cbranch_execz .LBB239_699
; %bb.694:
	s_mov_b32 s36, 0x37ffffff
	v_and_b32_e32 v4, 0xffff, v3
	v_cmp_lt_u32_e32 vcc, s36, v5
	s_mov_b64 s[36:37], 0
                                        ; implicit-def: $vgpr5
	s_and_saveexec_b64 s[38:39], vcc
	s_xor_b64 s[38:39], exec, s[38:39]
	s_cbranch_execz .LBB239_920
; %bb.695:
	v_bfe_u32 v5, v4, 5, 1
	s_mov_b32 s42, 0x88fffff
	v_add3_u32 v5, v6, v5, s42
	s_mov_b64 s[36:37], exec
	v_lshrrev_b32_e32 v5, 21, v5
                                        ; implicit-def: $vgpr6
	s_andn2_saveexec_b64 s[38:39], s[38:39]
	s_cbranch_execnz .LBB239_921
.LBB239_696:
	s_or_b64 exec, exec, s[38:39]
	v_mov_b32_e32 v7, 0
	s_and_saveexec_b64 s[38:39], s[36:37]
.LBB239_697:
	v_lshrrev_b32_e32 v4, 8, v4
	s_movk_i32 s36, 0x80
	v_and_or_b32 v7, v4, s36, v5
.LBB239_698:
	s_or_b64 exec, exec, s[38:39]
.LBB239_699:
	s_or_b64 exec, exec, s[30:31]
	s_mov_b64 s[30:31], 0
	global_store_byte v[0:1], v7, off
.LBB239_700:
	s_and_b64 vcc, exec, s[30:31]
	s_cbranch_vccz .LBB239_710
; %bb.701:
	v_lshlrev_b32_e32 v6, 16, v3
	v_and_b32_e32 v7, 0x7fffffff, v6
	s_mov_b32 s30, 0x43f00000
	v_and_b32_e32 v4, 0xffff, v3
	v_cmp_gt_u32_e32 vcc, s30, v7
                                        ; implicit-def: $vgpr5
	s_and_saveexec_b64 s[30:31], vcc
	s_xor_b64 s[30:31], exec, s[30:31]
	s_cbranch_execz .LBB239_707
; %bb.702:
	s_mov_b32 s36, 0x3c7fffff
	v_cmp_lt_u32_e32 vcc, s36, v7
                                        ; implicit-def: $vgpr5
	s_and_saveexec_b64 s[36:37], vcc
	s_xor_b64 s[36:37], exec, s[36:37]
; %bb.703:
	v_bfe_u32 v5, v4, 4, 1
	s_mov_b32 s38, 0x407ffff
	v_add3_u32 v5, v6, v5, s38
	v_lshrrev_b32_e32 v6, 20, v5
	v_and_b32_e32 v5, 0xff00000, v5
	s_mov_b32 s38, 0x7f00000
	v_mov_b32_e32 v7, 0x7e
	v_cmp_ne_u32_e32 vcc, s38, v5
	v_cndmask_b32_e32 v5, v7, v6, vcc
                                        ; implicit-def: $vgpr6
; %bb.704:
	s_andn2_saveexec_b64 s[36:37], s[36:37]
; %bb.705:
	s_mov_b32 s38, 0x46800000
	v_add_f32_e64 v5, |v6|, s38
; %bb.706:
	s_or_b64 exec, exec, s[36:37]
                                        ; implicit-def: $vgpr7
.LBB239_707:
	s_andn2_saveexec_b64 s[30:31], s[30:31]
; %bb.708:
	s_mov_b32 s36, 0x7f800000
	v_mov_b32_e32 v5, 0x7e
	v_mov_b32_e32 v6, 0x7f
	v_cmp_lt_u32_e32 vcc, s36, v7
	v_cndmask_b32_e32 v5, v5, v6, vcc
; %bb.709:
	s_or_b64 exec, exec, s[30:31]
	v_lshrrev_b32_e32 v4, 8, v4
	s_movk_i32 s30, 0x80
	v_and_or_b32 v4, v4, s30, v5
	global_store_byte v[0:1], v4, off
.LBB239_710:
	s_mov_b64 s[30:31], 0
.LBB239_711:
	s_andn2_b64 vcc, exec, s[30:31]
	s_cbranch_vccnz .LBB239_721
; %bb.712:
	v_lshlrev_b32_e32 v6, 16, v3
	v_and_b32_e32 v7, 0x7fffffff, v6
	s_mov_b32 s30, 0x47800000
	v_and_b32_e32 v4, 0xffff, v3
	v_cmp_gt_u32_e32 vcc, s30, v7
                                        ; implicit-def: $vgpr5
	s_and_saveexec_b64 s[30:31], vcc
	s_xor_b64 s[30:31], exec, s[30:31]
	s_cbranch_execz .LBB239_718
; %bb.713:
	s_mov_b32 s36, 0x387fffff
	v_cmp_lt_u32_e32 vcc, s36, v7
                                        ; implicit-def: $vgpr5
	s_and_saveexec_b64 s[36:37], vcc
	s_xor_b64 s[36:37], exec, s[36:37]
; %bb.714:
	v_bfe_u32 v5, v4, 5, 1
	s_mov_b32 s38, 0x80fffff
	v_add3_u32 v5, v6, v5, s38
	v_lshrrev_b32_e32 v5, 21, v5
                                        ; implicit-def: $vgpr6
; %bb.715:
	s_andn2_saveexec_b64 s[36:37], s[36:37]
; %bb.716:
	s_mov_b32 s38, 0x43000000
	v_add_f32_e64 v5, |v6|, s38
; %bb.717:
	s_or_b64 exec, exec, s[36:37]
                                        ; implicit-def: $vgpr7
.LBB239_718:
	s_andn2_saveexec_b64 s[30:31], s[30:31]
; %bb.719:
	s_mov_b32 s36, 0x7f800000
	v_mov_b32_e32 v5, 0x7c
	v_mov_b32_e32 v6, 0x7f
	v_cmp_lt_u32_e32 vcc, s36, v7
	v_cndmask_b32_e32 v5, v5, v6, vcc
; %bb.720:
	s_or_b64 exec, exec, s[30:31]
	v_lshrrev_b32_e32 v4, 8, v4
	s_movk_i32 s30, 0x80
	v_and_or_b32 v4, v4, s30, v5
	global_store_byte v[0:1], v4, off
.LBB239_721:
	s_mov_b64 s[36:37], 0
	s_mov_b64 s[30:31], -1
.LBB239_722:
	s_andn2_b64 vcc, exec, s[36:37]
	s_cbranch_vccnz .LBB239_730
; %bb.723:
	s_cmp_gt_i32 s41, 14
	s_mov_b64 s[36:37], -1
	s_cbranch_scc0 .LBB239_727
; %bb.724:
	s_cmp_eq_u32 s41, 15
	s_mov_b64 s[0:1], -1
	s_cbranch_scc0 .LBB239_726
; %bb.725:
	global_store_short v[0:1], v3, off
	s_mov_b64 s[30:31], -1
	s_mov_b64 s[0:1], 0
.LBB239_726:
	s_mov_b64 s[36:37], 0
.LBB239_727:
	s_and_b64 vcc, exec, s[36:37]
	s_cbranch_vccz .LBB239_730
; %bb.728:
	s_cmp_eq_u32 s41, 11
	s_mov_b64 s[0:1], -1
	s_cbranch_scc0 .LBB239_730
; %bb.729:
	v_and_b32_e32 v4, 0x7fff, v3
	v_cmp_ne_u16_e32 vcc, 0, v4
	v_cndmask_b32_e64 v4, 0, 1, vcc
	s_mov_b64 s[30:31], -1
	s_mov_b64 s[0:1], 0
	global_store_byte v[0:1], v4, off
.LBB239_730:
	s_mov_b64 s[36:37], 0
.LBB239_731:
	s_and_b64 vcc, exec, s[36:37]
	s_cbranch_vccz .LBB239_770
; %bb.732:
	s_and_b32 s36, 0xffff, s40
	s_cmp_lt_i32 s36, 5
	s_mov_b64 s[30:31], -1
	s_cbranch_scc1 .LBB239_753
; %bb.733:
	s_cmp_lt_i32 s36, 8
	s_cbranch_scc1 .LBB239_743
; %bb.734:
	s_cmp_lt_i32 s36, 9
	s_cbranch_scc1 .LBB239_740
; %bb.735:
	s_cmp_gt_i32 s36, 9
	s_cbranch_scc0 .LBB239_737
; %bb.736:
	v_lshlrev_b32_e32 v4, 16, v3
	v_cvt_f64_f32_e32 v[4:5], v4
	v_mov_b32_e32 v6, 0
	v_mov_b32_e32 v7, v6
	s_mov_b64 s[30:31], 0
	global_store_dwordx4 v[0:1], v[4:7], off
.LBB239_737:
	s_andn2_b64 vcc, exec, s[30:31]
	s_cbranch_vccnz .LBB239_739
; %bb.738:
	v_lshlrev_b32_e32 v4, 16, v3
	v_mov_b32_e32 v5, 0
	global_store_dwordx2 v[0:1], v[4:5], off
.LBB239_739:
	s_mov_b64 s[30:31], 0
.LBB239_740:
	s_andn2_b64 vcc, exec, s[30:31]
	s_cbranch_vccnz .LBB239_742
; %bb.741:
	v_lshlrev_b32_e32 v4, 16, v3
	v_cvt_f16_f32_e32 v4, v4
	global_store_dword v[0:1], v4, off
.LBB239_742:
	s_mov_b64 s[30:31], 0
.LBB239_743:
	s_andn2_b64 vcc, exec, s[30:31]
	s_cbranch_vccnz .LBB239_752
; %bb.744:
	s_cmp_lt_i32 s36, 6
	s_mov_b64 s[30:31], -1
	s_cbranch_scc1 .LBB239_750
; %bb.745:
	s_cmp_gt_i32 s36, 6
	s_cbranch_scc0 .LBB239_747
; %bb.746:
	v_lshlrev_b32_e32 v4, 16, v3
	v_cvt_f64_f32_e32 v[4:5], v4
	s_mov_b64 s[30:31], 0
	global_store_dwordx2 v[0:1], v[4:5], off
.LBB239_747:
	s_andn2_b64 vcc, exec, s[30:31]
	s_cbranch_vccnz .LBB239_749
; %bb.748:
	v_lshlrev_b32_e32 v4, 16, v3
	global_store_dword v[0:1], v4, off
.LBB239_749:
	s_mov_b64 s[30:31], 0
.LBB239_750:
	s_andn2_b64 vcc, exec, s[30:31]
	s_cbranch_vccnz .LBB239_752
; %bb.751:
	v_lshlrev_b32_e32 v4, 16, v3
	v_cvt_f16_f32_e32 v4, v4
	global_store_short v[0:1], v4, off
.LBB239_752:
	s_mov_b64 s[30:31], 0
.LBB239_753:
	s_andn2_b64 vcc, exec, s[30:31]
	s_cbranch_vccnz .LBB239_769
; %bb.754:
	s_cmp_lt_i32 s36, 2
	s_mov_b64 s[30:31], -1
	s_cbranch_scc1 .LBB239_764
; %bb.755:
	s_cmp_lt_i32 s36, 3
	s_cbranch_scc1 .LBB239_761
; %bb.756:
	s_cmp_gt_i32 s36, 3
	s_cbranch_scc0 .LBB239_758
; %bb.757:
	v_lshlrev_b32_e32 v4, 16, v3
	v_trunc_f32_e32 v4, v4
	s_mov_b32 s30, 0x2f800000
	v_mul_f32_e64 v5, |v4|, s30
	v_floor_f32_e32 v5, v5
	s_mov_b32 s30, 0xcf800000
	v_cvt_u32_f32_e32 v6, v5
	v_fma_f32 v5, v5, s30, |v4|
	v_cvt_u32_f32_e32 v5, v5
	v_ashrrev_i32_e32 v7, 31, v4
	v_xor_b32_e32 v6, v6, v7
	s_mov_b64 s[30:31], 0
	v_xor_b32_e32 v4, v5, v7
	v_sub_co_u32_e32 v4, vcc, v4, v7
	v_subb_co_u32_e32 v5, vcc, v6, v7, vcc
	global_store_dwordx2 v[0:1], v[4:5], off
.LBB239_758:
	s_andn2_b64 vcc, exec, s[30:31]
	s_cbranch_vccnz .LBB239_760
; %bb.759:
	v_lshlrev_b32_e32 v4, 16, v3
	v_cvt_i32_f32_e32 v4, v4
	global_store_dword v[0:1], v4, off
.LBB239_760:
	s_mov_b64 s[30:31], 0
.LBB239_761:
	s_andn2_b64 vcc, exec, s[30:31]
	s_cbranch_vccnz .LBB239_763
; %bb.762:
	v_lshlrev_b32_e32 v4, 16, v3
	v_cvt_i32_f32_e32 v4, v4
	global_store_short v[0:1], v4, off
.LBB239_763:
	s_mov_b64 s[30:31], 0
.LBB239_764:
	s_andn2_b64 vcc, exec, s[30:31]
	s_cbranch_vccnz .LBB239_769
; %bb.765:
	s_mov_b64 s[30:31], -1
	s_cmp_gt_i32 s36, 0
	v_lshlrev_b32_e32 v3, 16, v3
	s_cbranch_scc0 .LBB239_767
; %bb.766:
	v_cvt_i32_f32_e32 v4, v3
	s_mov_b64 s[30:31], 0
	global_store_byte v[0:1], v4, off
.LBB239_767:
	s_andn2_b64 vcc, exec, s[30:31]
	s_cbranch_vccnz .LBB239_769
; %bb.768:
	v_trunc_f32_e32 v3, v3
	s_mov_b32 s30, 0x2f800000
	v_mul_f32_e64 v4, |v3|, s30
	v_floor_f32_e32 v4, v4
	s_mov_b32 s30, 0xcf800000
	v_fma_f32 v4, v4, s30, |v3|
	v_cvt_u32_f32_e32 v4, v4
	v_ashrrev_i32_e32 v3, 31, v3
	v_xor_b32_e32 v4, v4, v3
	v_sub_u32_e32 v3, v4, v3
	global_store_byte v[0:1], v3, off
.LBB239_769:
	s_mov_b64 s[30:31], -1
.LBB239_770:
	s_andn2_b64 vcc, exec, s[30:31]
	s_cbranch_vccnz .LBB239_783
; %bb.771:
	v_add_u32_e32 v2, 0x80, v2
	s_mov_b64 s[36:37], -1
.LBB239_772:
	s_andn2_b64 s[30:31], s[18:19], exec
	s_and_b64 s[0:1], s[0:1], exec
	s_or_b64 s[30:31], s[30:31], s[0:1]
	s_andn2_b64 s[0:1], s[20:21], exec
	s_and_b64 s[28:29], s[28:29], exec
	s_or_b64 s[28:29], s[0:1], s[28:29]
	;; [unrolled: 3-line block ×3, first 2 shown]
	s_orn2_b64 s[0:1], s[36:37], exec
.LBB239_773:
	s_or_b64 exec, exec, s[34:35]
	s_mov_b64 s[36:37], 0
	s_mov_b64 s[38:39], 0
	;; [unrolled: 1-line block ×3, first 2 shown]
                                        ; implicit-def: $sgpr58
                                        ; implicit-def: $vgpr0_vgpr1
                                        ; implicit-def: $vgpr3
	s_and_saveexec_b64 s[34:35], s[0:1]
	s_cbranch_execz .LBB239_1247
; %bb.774:
	v_cmp_gt_i32_e32 vcc, s50, v2
	s_mov_b64 s[48:49], -1
	s_mov_b64 s[0:1], s[26:27]
	s_mov_b64 s[40:41], s[28:29]
	;; [unrolled: 1-line block ×3, first 2 shown]
	s_and_saveexec_b64 s[36:37], vcc
	s_cbranch_execz .LBB239_1162
; %bb.775:
	v_mul_lo_u32 v0, v2, s13
	v_mov_b32_e32 v1, s11
	s_and_b32 s44, s56, 0xff
	s_cmp_lt_i32 s44, 11
	s_waitcnt vmcnt(0)
	v_ashrrev_i32_e32 v3, 31, v0
	v_add_co_u32_e32 v0, vcc, s10, v0
	v_addc_co_u32_e32 v1, vcc, v1, v3, vcc
	s_cbranch_scc1 .LBB239_782
; %bb.776:
	s_and_b32 s45, 0xffff, s44
	s_cmp_gt_i32 s45, 25
	s_cbranch_scc0 .LBB239_784
; %bb.777:
	s_cmp_gt_i32 s45, 28
	s_cbranch_scc0 .LBB239_785
; %bb.778:
	;; [unrolled: 3-line block ×4, first 2 shown]
	s_cmp_eq_u32 s45, 46
	s_mov_b64 s[40:41], 0
	s_cbranch_scc0 .LBB239_790
; %bb.781:
	global_load_dword v3, v[0:1], off
	s_mov_b64 s[0:1], -1
	s_branch .LBB239_791
.LBB239_782:
	s_mov_b64 s[40:41], -1
	s_mov_b64 s[0:1], 0
                                        ; implicit-def: $vgpr3
	s_mov_b64 s[38:39], s[26:27]
	s_branch .LBB239_856
.LBB239_783:
	s_mov_b64 s[36:37], 0
	s_branch .LBB239_530
.LBB239_784:
	s_mov_b64 s[40:41], -1
	s_mov_b64 s[0:1], 0
	s_mov_b64 s[38:39], s[26:27]
                                        ; implicit-def: $vgpr3
	s_branch .LBB239_820
.LBB239_785:
	s_mov_b64 s[40:41], -1
	s_mov_b64 s[0:1], 0
	s_mov_b64 s[38:39], s[26:27]
                                        ; implicit-def: $vgpr3
	s_branch .LBB239_801
.LBB239_786:
	s_mov_b64 s[40:41], -1
	s_mov_b64 s[0:1], 0
	s_mov_b64 s[38:39], s[26:27]
                                        ; implicit-def: $vgpr3
	s_branch .LBB239_796
.LBB239_787:
	s_mov_b64 s[40:41], -1
	s_mov_b64 s[0:1], 0
	s_mov_b64 s[38:39], s[26:27]
                                        ; implicit-def: $vgpr3
	s_branch .LBB239_791
.LBB239_788:
	s_andn2_saveexec_b64 s[38:39], s[38:39]
	s_cbranch_execz .LBB239_683
.LBB239_789:
	s_mov_b32 s42, 0x46000000
	v_add_f32_e64 v5, |v6|, s42
	v_and_b32_e32 v5, 0xff, v5
	v_cmp_ne_u32_e32 vcc, 0, v5
	s_andn2_b64 s[36:37], s[36:37], exec
	s_and_b64 s[42:43], vcc, exec
	s_or_b64 s[36:37], s[36:37], s[42:43]
	s_or_b64 exec, exec, s[38:39]
	v_mov_b32_e32 v7, 0
	s_and_saveexec_b64 s[38:39], s[36:37]
	s_cbranch_execnz .LBB239_684
	s_branch .LBB239_685
.LBB239_790:
	s_mov_b64 s[38:39], -1
                                        ; implicit-def: $vgpr3
	s_mov_b64 s[0:1], 0
.LBB239_791:
	s_and_b64 vcc, exec, s[40:41]
	s_cbranch_vccz .LBB239_795
; %bb.792:
	s_cmp_eq_u32 s45, 44
	s_cbranch_scc0 .LBB239_794
; %bb.793:
	global_load_ubyte v3, v[0:1], off
	s_movk_i32 s38, 0xff
	v_mov_b32_e32 v4, 0x7f800001
	v_mov_b32_e32 v5, 0x400000
	;; [unrolled: 1-line block ×3, first 2 shown]
	s_mov_b64 s[0:1], -1
	s_waitcnt vmcnt(0)
	v_lshlrev_b32_e32 v7, 23, v3
	v_cmp_ne_u32_e32 vcc, s38, v3
	v_cndmask_b32_e32 v4, v4, v7, vcc
	v_cmp_ne_u32_e32 vcc, 0, v3
	v_cndmask_b32_e32 v3, v5, v4, vcc
	v_add_u32_e32 v4, 0x7fff, v3
	v_cmp_o_f32_e32 vcc, v3, v3
	v_cndmask_b32_sdwa v3, v6, v4, vcc dst_sel:DWORD dst_unused:UNUSED_PAD src0_sel:DWORD src1_sel:WORD_1
	s_mov_b64 s[38:39], 0
	s_branch .LBB239_795
.LBB239_794:
	s_mov_b64 s[38:39], -1
                                        ; implicit-def: $vgpr3
.LBB239_795:
	s_mov_b64 s[40:41], 0
.LBB239_796:
	s_and_b64 vcc, exec, s[40:41]
	s_cbranch_vccz .LBB239_800
; %bb.797:
	s_cmp_eq_u32 s45, 29
	s_cbranch_scc0 .LBB239_799
; %bb.798:
	global_load_dwordx2 v[3:4], v[0:1], off
	s_movk_i32 s38, 0x7fff
	s_mov_b64 s[0:1], -1
	s_mov_b64 s[40:41], 0
	s_waitcnt vmcnt(0)
	v_ffbh_u32_e32 v5, v4
	v_min_u32_e32 v5, 32, v5
	v_lshlrev_b64 v[3:4], v5, v[3:4]
	v_min_u32_e32 v3, 1, v3
	v_or_b32_e32 v3, v4, v3
	v_cvt_f32_u32_e32 v3, v3
	v_sub_u32_e32 v4, 32, v5
	v_ldexp_f32 v3, v3, v4
	v_bfe_u32 v4, v3, 16, 1
	v_add3_u32 v3, v3, v4, s38
	v_lshrrev_b32_e32 v3, 16, v3
	s_mov_b64 s[38:39], 0
	s_branch .LBB239_801
.LBB239_799:
	s_mov_b64 s[38:39], -1
                                        ; implicit-def: $vgpr3
.LBB239_800:
	s_mov_b64 s[40:41], 0
.LBB239_801:
	s_and_b64 vcc, exec, s[40:41]
	s_cbranch_vccz .LBB239_819
; %bb.802:
	s_cmp_lt_i32 s45, 27
	s_cbranch_scc1 .LBB239_805
; %bb.803:
	s_cmp_gt_i32 s45, 27
	s_cbranch_scc0 .LBB239_806
; %bb.804:
	global_load_dword v3, v[0:1], off
	s_movk_i32 s0, 0x7fff
	s_waitcnt vmcnt(0)
	v_cvt_f32_u32_e32 v3, v3
	v_bfe_u32 v4, v3, 16, 1
	v_add3_u32 v3, v3, v4, s0
	v_lshrrev_b32_e32 v3, 16, v3
	s_mov_b64 s[0:1], 0
	s_branch .LBB239_807
.LBB239_805:
	s_mov_b64 s[0:1], -1
                                        ; implicit-def: $vgpr3
	s_branch .LBB239_810
.LBB239_806:
	s_mov_b64 s[0:1], -1
                                        ; implicit-def: $vgpr3
.LBB239_807:
	s_andn2_b64 vcc, exec, s[0:1]
	s_cbranch_vccnz .LBB239_809
; %bb.808:
	global_load_ushort v3, v[0:1], off
	s_movk_i32 s0, 0x7fff
	s_waitcnt vmcnt(0)
	v_cvt_f32_u32_e32 v3, v3
	v_bfe_u32 v4, v3, 16, 1
	v_add3_u32 v3, v3, v4, s0
	v_lshrrev_b32_e32 v3, 16, v3
.LBB239_809:
	s_mov_b64 s[0:1], 0
.LBB239_810:
	s_andn2_b64 vcc, exec, s[0:1]
	s_cbranch_vccnz .LBB239_818
; %bb.811:
	global_load_ubyte v3, v[0:1], off
	s_movk_i32 s0, 0x7f
	s_waitcnt vmcnt(0)
	v_cmp_lt_i16_e32 vcc, s0, v3
	s_mov_b64 s[0:1], 0
	s_and_saveexec_b64 s[40:41], vcc
	s_xor_b64 s[40:41], exec, s[40:41]
	s_cbranch_execz .LBB239_832
; %bb.812:
	s_movk_i32 s0, 0x80
	v_cmp_eq_u16_e32 vcc, s0, v3
	s_mov_b64 s[0:1], -1
	s_and_saveexec_b64 s[42:43], vcc
; %bb.813:
	s_xor_b64 s[0:1], exec, -1
; %bb.814:
	s_or_b64 exec, exec, s[42:43]
	s_and_b64 s[0:1], s[0:1], exec
	s_or_saveexec_b64 s[40:41], s[40:41]
	v_mov_b32_e32 v4, 0x7f800001
	s_xor_b64 exec, exec, s[40:41]
	s_cbranch_execnz .LBB239_833
.LBB239_815:
	s_or_b64 exec, exec, s[40:41]
	s_and_saveexec_b64 s[40:41], s[0:1]
	s_cbranch_execz .LBB239_817
.LBB239_816:
	v_lshlrev_b32_e32 v4, 24, v3
	v_and_b32_e32 v3, 0xffff, v3
	v_and_b32_e32 v5, 7, v3
	v_ffbh_u32_e32 v7, v5
	v_min_u32_e32 v7, 32, v7
	v_subrev_u32_e32 v8, 28, v7
	v_bfe_u32 v6, v3, 3, 4
	v_lshlrev_b32_e32 v3, v8, v3
	v_sub_u32_e32 v7, 29, v7
	v_and_b32_e32 v3, 7, v3
	v_cmp_eq_u32_e32 vcc, 0, v6
	v_cndmask_b32_e32 v6, v6, v7, vcc
	v_cndmask_b32_e32 v3, v5, v3, vcc
	v_mov_b32_e32 v5, 0x3b800000
	v_lshlrev_b32_e32 v3, 20, v3
	v_and_b32_e32 v4, 0x80000000, v4
	v_lshl_add_u32 v5, v6, 23, v5
	v_or3_b32 v4, v4, v5, v3
.LBB239_817:
	s_or_b64 exec, exec, s[40:41]
	v_bfe_u32 v3, v4, 16, 1
	s_movk_i32 s0, 0x7fff
	v_add3_u32 v3, v4, v3, s0
	v_cmp_o_f32_e32 vcc, v4, v4
	v_mov_b32_e32 v4, 0x7fc0
	v_cndmask_b32_sdwa v3, v4, v3, vcc dst_sel:DWORD dst_unused:UNUSED_PAD src0_sel:DWORD src1_sel:WORD_1
.LBB239_818:
	s_mov_b64 s[0:1], -1
.LBB239_819:
	s_mov_b64 s[40:41], 0
.LBB239_820:
	s_and_b64 vcc, exec, s[40:41]
	s_cbranch_vccz .LBB239_855
; %bb.821:
	s_cmp_gt_i32 s45, 22
	s_cbranch_scc0 .LBB239_831
; %bb.822:
	s_cmp_lt_i32 s45, 24
	s_cbranch_scc1 .LBB239_834
; %bb.823:
	s_cmp_gt_i32 s45, 24
	s_cbranch_scc0 .LBB239_835
; %bb.824:
	global_load_ubyte v3, v[0:1], off
	s_movk_i32 s0, 0x7f
	s_waitcnt vmcnt(0)
	v_cmp_lt_i16_e32 vcc, s0, v3
	s_mov_b64 s[0:1], 0
	s_and_saveexec_b64 s[40:41], vcc
	s_xor_b64 s[40:41], exec, s[40:41]
	s_cbranch_execz .LBB239_847
; %bb.825:
	s_movk_i32 s0, 0x80
	v_cmp_eq_u16_e32 vcc, s0, v3
	s_mov_b64 s[0:1], -1
	s_and_saveexec_b64 s[42:43], vcc
; %bb.826:
	s_xor_b64 s[0:1], exec, -1
; %bb.827:
	s_or_b64 exec, exec, s[42:43]
	s_and_b64 s[0:1], s[0:1], exec
	s_or_saveexec_b64 s[40:41], s[40:41]
	v_mov_b32_e32 v4, 0x7f800001
	s_xor_b64 exec, exec, s[40:41]
	s_cbranch_execnz .LBB239_848
.LBB239_828:
	s_or_b64 exec, exec, s[40:41]
	s_and_saveexec_b64 s[40:41], s[0:1]
	s_cbranch_execz .LBB239_830
.LBB239_829:
	v_lshlrev_b32_e32 v4, 24, v3
	v_and_b32_e32 v3, 0xffff, v3
	v_and_b32_e32 v5, 3, v3
	v_ffbh_u32_e32 v7, v5
	v_min_u32_e32 v7, 32, v7
	v_subrev_u32_e32 v8, 29, v7
	v_bfe_u32 v6, v3, 2, 5
	v_lshlrev_b32_e32 v3, v8, v3
	v_sub_u32_e32 v7, 30, v7
	v_and_b32_e32 v3, 3, v3
	v_cmp_eq_u32_e32 vcc, 0, v6
	v_cndmask_b32_e32 v6, v6, v7, vcc
	v_cndmask_b32_e32 v3, v5, v3, vcc
	v_mov_b32_e32 v5, 0x37800000
	v_lshlrev_b32_e32 v3, 21, v3
	v_and_b32_e32 v4, 0x80000000, v4
	v_lshl_add_u32 v5, v6, 23, v5
	v_or3_b32 v4, v4, v5, v3
.LBB239_830:
	s_or_b64 exec, exec, s[40:41]
	v_bfe_u32 v3, v4, 16, 1
	s_movk_i32 s0, 0x7fff
	v_add3_u32 v3, v4, v3, s0
	v_cmp_o_f32_e32 vcc, v4, v4
	v_mov_b32_e32 v4, 0x7fc0
	v_cndmask_b32_sdwa v3, v4, v3, vcc dst_sel:DWORD dst_unused:UNUSED_PAD src0_sel:DWORD src1_sel:WORD_1
	s_mov_b64 s[0:1], 0
	s_branch .LBB239_836
.LBB239_831:
	s_mov_b64 s[40:41], -1
                                        ; implicit-def: $vgpr3
	s_branch .LBB239_842
.LBB239_832:
	s_or_saveexec_b64 s[40:41], s[40:41]
	v_mov_b32_e32 v4, 0x7f800001
	s_xor_b64 exec, exec, s[40:41]
	s_cbranch_execz .LBB239_815
.LBB239_833:
	v_cmp_ne_u16_e32 vcc, 0, v3
	s_andn2_b64 s[0:1], s[0:1], exec
	s_and_b64 s[42:43], vcc, exec
	v_mov_b32_e32 v4, 0
	s_or_b64 s[0:1], s[0:1], s[42:43]
	s_or_b64 exec, exec, s[40:41]
	s_and_saveexec_b64 s[40:41], s[0:1]
	s_cbranch_execnz .LBB239_816
	s_branch .LBB239_817
.LBB239_834:
	s_mov_b64 s[0:1], -1
                                        ; implicit-def: $vgpr3
	s_branch .LBB239_839
.LBB239_835:
	s_mov_b64 s[0:1], -1
                                        ; implicit-def: $vgpr3
.LBB239_836:
	s_and_b64 vcc, exec, s[0:1]
	s_cbranch_vccz .LBB239_838
; %bb.837:
	global_load_ubyte v3, v[0:1], off
	s_mov_b32 s0, 0x7f800000
	s_brev_b32 s1, 1
	s_movk_i32 s40, 0x7fff
	s_waitcnt vmcnt(0)
	v_lshlrev_b32_e32 v3, 24, v3
	v_and_b32_e32 v4, 0x7f000000, v3
	v_ffbh_u32_e32 v5, v4
	v_min_u32_e32 v5, 32, v5
	v_sub_u32_e64 v5, v5, 4 clamp
	v_lshlrev_b32_e32 v7, v5, v4
	v_lshlrev_b32_e32 v5, 23, v5
	v_lshrrev_b32_e32 v7, 4, v7
	v_add_u32_e32 v6, 0x1000000, v4
	v_sub_u32_e32 v5, v7, v5
	v_ashrrev_i32_e32 v6, 8, v6
	v_add_u32_e32 v5, 0x3c000000, v5
	v_and_or_b32 v5, v6, s0, v5
	v_cmp_ne_u32_e32 vcc, 0, v4
	v_cndmask_b32_e32 v4, 0, v5, vcc
	v_and_or_b32 v3, v3, s1, v4
	v_bfe_u32 v4, v4, 16, 1
	v_add3_u32 v4, v3, v4, s40
	v_cmp_o_f32_e32 vcc, v3, v3
	v_mov_b32_e32 v3, 0x7fc0
	v_cndmask_b32_sdwa v3, v3, v4, vcc dst_sel:DWORD dst_unused:UNUSED_PAD src0_sel:DWORD src1_sel:WORD_1
.LBB239_838:
	s_mov_b64 s[0:1], 0
.LBB239_839:
	s_andn2_b64 vcc, exec, s[0:1]
	s_cbranch_vccnz .LBB239_841
; %bb.840:
	global_load_ubyte v3, v[0:1], off
	s_movk_i32 s0, 0x7f00
	s_brev_b32 s1, 16
	s_brev_b32 s40, 1
	s_movk_i32 s41, 0x7fff
	s_waitcnt vmcnt(0)
	v_lshlrev_b16_e32 v4, 8, v3
	v_lshlrev_b32_e32 v3, 25, v3
	v_lshrrev_b32_e32 v5, 4, v3
	v_and_or_b32 v6, v4, s0, 0.5
	v_or_b32_e32 v5, 0x70000000, v5
	v_add_f32_e32 v6, -0.5, v6
	v_mul_f32_e32 v5, 0x7800000, v5
	v_cmp_gt_u32_e32 vcc, s1, v3
	v_bfe_i32 v4, v4, 0, 16
	v_cndmask_b32_e32 v3, v5, v6, vcc
	v_and_or_b32 v4, v4, s40, v3
	v_bfe_u32 v3, v3, 16, 1
	v_add3_u32 v3, v4, v3, s41
	v_cmp_o_f32_e32 vcc, v4, v4
	v_mov_b32_e32 v4, 0x7fc0
	v_cndmask_b32_sdwa v3, v4, v3, vcc dst_sel:DWORD dst_unused:UNUSED_PAD src0_sel:DWORD src1_sel:WORD_1
.LBB239_841:
	s_mov_b64 s[40:41], 0
	s_mov_b64 s[0:1], -1
.LBB239_842:
	s_andn2_b64 vcc, exec, s[40:41]
	s_cbranch_vccnz .LBB239_855
; %bb.843:
	s_cmp_gt_i32 s45, 14
	s_cbranch_scc0 .LBB239_846
; %bb.844:
	s_cmp_eq_u32 s45, 15
	s_cbranch_scc0 .LBB239_849
; %bb.845:
	global_load_ushort v3, v[0:1], off
	s_mov_b64 s[0:1], -1
	s_mov_b64 s[38:39], 0
	s_branch .LBB239_850
.LBB239_846:
	s_mov_b64 s[40:41], -1
                                        ; implicit-def: $vgpr3
	s_branch .LBB239_851
.LBB239_847:
	s_or_saveexec_b64 s[40:41], s[40:41]
	v_mov_b32_e32 v4, 0x7f800001
	s_xor_b64 exec, exec, s[40:41]
	s_cbranch_execz .LBB239_828
.LBB239_848:
	v_cmp_ne_u16_e32 vcc, 0, v3
	s_andn2_b64 s[0:1], s[0:1], exec
	s_and_b64 s[42:43], vcc, exec
	v_mov_b32_e32 v4, 0
	s_or_b64 s[0:1], s[0:1], s[42:43]
	s_or_b64 exec, exec, s[40:41]
	s_and_saveexec_b64 s[40:41], s[0:1]
	s_cbranch_execnz .LBB239_829
	s_branch .LBB239_830
.LBB239_849:
	s_mov_b64 s[38:39], -1
                                        ; implicit-def: $vgpr3
.LBB239_850:
	s_mov_b64 s[40:41], 0
.LBB239_851:
	s_and_b64 vcc, exec, s[40:41]
	s_cbranch_vccz .LBB239_855
; %bb.852:
	s_cmp_eq_u32 s45, 11
	s_cbranch_scc0 .LBB239_854
; %bb.853:
	global_load_ubyte v3, v[0:1], off
	s_mov_b64 s[0:1], -1
	s_mov_b64 s[38:39], 0
	s_waitcnt vmcnt(0)
	v_cmp_ne_u16_e32 vcc, 0, v3
	v_cndmask_b32_e64 v3, 0, 1.0, vcc
	v_lshrrev_b32_e32 v3, 16, v3
	s_branch .LBB239_855
.LBB239_854:
	s_mov_b64 s[38:39], -1
                                        ; implicit-def: $vgpr3
.LBB239_855:
	s_mov_b64 s[40:41], 0
.LBB239_856:
	s_and_b64 vcc, exec, s[40:41]
	s_cbranch_vccz .LBB239_905
; %bb.857:
	s_and_b32 s40, 0xffff, s44
	s_cmp_lt_i32 s40, 5
	s_cbranch_scc1 .LBB239_862
; %bb.858:
	s_cmp_lt_i32 s40, 8
	s_cbranch_scc1 .LBB239_863
; %bb.859:
	;; [unrolled: 3-line block ×3, first 2 shown]
	s_cmp_gt_i32 s40, 9
	s_cbranch_scc0 .LBB239_865
; %bb.861:
	global_load_dwordx2 v[3:4], v[0:1], off
	s_movk_i32 s0, 0x7fff
	s_waitcnt vmcnt(0)
	v_cvt_f32_f64_e32 v3, v[3:4]
	v_mov_b32_e32 v4, 0x7fc0
	v_bfe_u32 v5, v3, 16, 1
	v_cmp_o_f32_e32 vcc, v3, v3
	v_add3_u32 v3, v3, v5, s0
	v_cndmask_b32_sdwa v3, v4, v3, vcc dst_sel:DWORD dst_unused:UNUSED_PAD src0_sel:DWORD src1_sel:WORD_1
	s_mov_b64 s[0:1], 0
	s_branch .LBB239_866
.LBB239_862:
	s_mov_b64 s[0:1], -1
                                        ; implicit-def: $vgpr3
	s_branch .LBB239_884
.LBB239_863:
	s_mov_b64 s[0:1], -1
                                        ; implicit-def: $vgpr3
	s_branch .LBB239_872
.LBB239_864:
	s_mov_b64 s[0:1], -1
                                        ; implicit-def: $vgpr3
	s_branch .LBB239_869
.LBB239_865:
	s_mov_b64 s[0:1], -1
                                        ; implicit-def: $vgpr3
.LBB239_866:
	s_andn2_b64 vcc, exec, s[0:1]
	s_cbranch_vccnz .LBB239_868
; %bb.867:
	global_load_dword v3, v[0:1], off
	s_movk_i32 s0, 0x7fff
	v_mov_b32_e32 v4, 0x7fc0
	s_waitcnt vmcnt(0)
	v_bfe_u32 v5, v3, 16, 1
	v_cmp_o_f32_e32 vcc, v3, v3
	v_add3_u32 v3, v3, v5, s0
	v_cndmask_b32_sdwa v3, v4, v3, vcc dst_sel:DWORD dst_unused:UNUSED_PAD src0_sel:DWORD src1_sel:WORD_1
.LBB239_868:
	s_mov_b64 s[0:1], 0
.LBB239_869:
	s_andn2_b64 vcc, exec, s[0:1]
	s_cbranch_vccnz .LBB239_871
; %bb.870:
	global_load_dword v3, v[0:1], off
	s_movk_i32 s0, 0x7fff
	v_mov_b32_e32 v5, 0x7fc0
	s_waitcnt vmcnt(0)
	v_cvt_f32_f16_e32 v4, v3
	v_cmp_o_f16_e32 vcc, v3, v3
	v_bfe_u32 v3, v4, 16, 1
	v_add3_u32 v3, v4, v3, s0
	v_cndmask_b32_sdwa v3, v5, v3, vcc dst_sel:DWORD dst_unused:UNUSED_PAD src0_sel:DWORD src1_sel:WORD_1
.LBB239_871:
	s_mov_b64 s[0:1], 0
.LBB239_872:
	s_andn2_b64 vcc, exec, s[0:1]
	s_cbranch_vccnz .LBB239_883
; %bb.873:
	s_cmp_lt_i32 s40, 6
	s_cbranch_scc1 .LBB239_876
; %bb.874:
	s_cmp_gt_i32 s40, 6
	s_cbranch_scc0 .LBB239_877
; %bb.875:
	global_load_dwordx2 v[3:4], v[0:1], off
	s_movk_i32 s0, 0x7fff
	s_waitcnt vmcnt(0)
	v_cvt_f32_f64_e32 v3, v[3:4]
	v_mov_b32_e32 v4, 0x7fc0
	v_bfe_u32 v5, v3, 16, 1
	v_cmp_o_f32_e32 vcc, v3, v3
	v_add3_u32 v3, v3, v5, s0
	v_cndmask_b32_sdwa v3, v4, v3, vcc dst_sel:DWORD dst_unused:UNUSED_PAD src0_sel:DWORD src1_sel:WORD_1
	s_mov_b64 s[0:1], 0
	s_branch .LBB239_878
.LBB239_876:
	s_mov_b64 s[0:1], -1
                                        ; implicit-def: $vgpr3
	s_branch .LBB239_881
.LBB239_877:
	s_mov_b64 s[0:1], -1
                                        ; implicit-def: $vgpr3
.LBB239_878:
	s_andn2_b64 vcc, exec, s[0:1]
	s_cbranch_vccnz .LBB239_880
; %bb.879:
	global_load_dword v3, v[0:1], off
	s_movk_i32 s0, 0x7fff
	v_mov_b32_e32 v4, 0x7fc0
	s_waitcnt vmcnt(0)
	v_bfe_u32 v5, v3, 16, 1
	v_cmp_o_f32_e32 vcc, v3, v3
	v_add3_u32 v3, v3, v5, s0
	v_cndmask_b32_sdwa v3, v4, v3, vcc dst_sel:DWORD dst_unused:UNUSED_PAD src0_sel:DWORD src1_sel:WORD_1
.LBB239_880:
	s_mov_b64 s[0:1], 0
.LBB239_881:
	s_andn2_b64 vcc, exec, s[0:1]
	s_cbranch_vccnz .LBB239_883
; %bb.882:
	global_load_ushort v3, v[0:1], off
	s_movk_i32 s0, 0x7fff
	v_mov_b32_e32 v5, 0x7fc0
	s_waitcnt vmcnt(0)
	v_cvt_f32_f16_e32 v4, v3
	v_cmp_o_f16_e32 vcc, v3, v3
	v_bfe_u32 v3, v4, 16, 1
	v_add3_u32 v3, v4, v3, s0
	v_cndmask_b32_sdwa v3, v5, v3, vcc dst_sel:DWORD dst_unused:UNUSED_PAD src0_sel:DWORD src1_sel:WORD_1
.LBB239_883:
	s_mov_b64 s[0:1], 0
.LBB239_884:
	s_andn2_b64 vcc, exec, s[0:1]
	s_cbranch_vccnz .LBB239_904
; %bb.885:
	s_cmp_lt_i32 s40, 2
	s_cbranch_scc1 .LBB239_889
; %bb.886:
	s_cmp_lt_i32 s40, 3
	s_cbranch_scc1 .LBB239_890
; %bb.887:
	s_cmp_gt_i32 s40, 3
	s_cbranch_scc0 .LBB239_891
; %bb.888:
	global_load_dwordx2 v[3:4], v[0:1], off
	s_movk_i32 s0, 0x7fff
	s_waitcnt vmcnt(0)
	v_xor_b32_e32 v6, v3, v4
	v_ffbh_i32_e32 v5, v4
	v_ashrrev_i32_e32 v6, 31, v6
	v_add_u32_e32 v5, -1, v5
	v_add_u32_e32 v6, 32, v6
	v_min_u32_e32 v5, v5, v6
	v_lshlrev_b64 v[3:4], v5, v[3:4]
	v_min_u32_e32 v3, 1, v3
	v_or_b32_e32 v3, v4, v3
	v_cvt_f32_i32_e32 v3, v3
	v_sub_u32_e32 v4, 32, v5
	v_ldexp_f32 v3, v3, v4
	v_bfe_u32 v4, v3, 16, 1
	v_add3_u32 v3, v3, v4, s0
	v_lshrrev_b32_e32 v3, 16, v3
	s_mov_b64 s[0:1], 0
	s_branch .LBB239_892
.LBB239_889:
	s_mov_b64 s[0:1], -1
                                        ; implicit-def: $vgpr3
	s_branch .LBB239_898
.LBB239_890:
	s_mov_b64 s[0:1], -1
                                        ; implicit-def: $vgpr3
	s_branch .LBB239_895
.LBB239_891:
	s_mov_b64 s[0:1], -1
                                        ; implicit-def: $vgpr3
.LBB239_892:
	s_andn2_b64 vcc, exec, s[0:1]
	s_cbranch_vccnz .LBB239_894
; %bb.893:
	global_load_dword v3, v[0:1], off
	s_movk_i32 s0, 0x7fff
	s_waitcnt vmcnt(0)
	v_cvt_f32_i32_e32 v3, v3
	v_bfe_u32 v4, v3, 16, 1
	v_add3_u32 v3, v3, v4, s0
	v_lshrrev_b32_e32 v3, 16, v3
.LBB239_894:
	s_mov_b64 s[0:1], 0
.LBB239_895:
	s_andn2_b64 vcc, exec, s[0:1]
	s_cbranch_vccnz .LBB239_897
; %bb.896:
	global_load_sshort v3, v[0:1], off
	s_movk_i32 s0, 0x7fff
	s_waitcnt vmcnt(0)
	v_cvt_f32_i32_e32 v3, v3
	v_bfe_u32 v4, v3, 16, 1
	v_add3_u32 v3, v3, v4, s0
	v_lshrrev_b32_e32 v3, 16, v3
.LBB239_897:
	s_mov_b64 s[0:1], 0
.LBB239_898:
	s_andn2_b64 vcc, exec, s[0:1]
	s_cbranch_vccnz .LBB239_904
; %bb.899:
	s_cmp_gt_i32 s40, 0
	s_cbranch_scc0 .LBB239_901
; %bb.900:
	global_load_sbyte v3, v[0:1], off
	s_movk_i32 s0, 0x7fff
	s_waitcnt vmcnt(0)
	v_cvt_f32_i32_e32 v3, v3
	v_bfe_u32 v4, v3, 16, 1
	v_add3_u32 v3, v3, v4, s0
	v_lshrrev_b32_e32 v3, 16, v3
	s_mov_b64 s[0:1], 0
	s_branch .LBB239_902
.LBB239_901:
	s_mov_b64 s[0:1], -1
                                        ; implicit-def: $vgpr3
.LBB239_902:
	s_andn2_b64 vcc, exec, s[0:1]
	s_cbranch_vccnz .LBB239_904
; %bb.903:
	global_load_ubyte v0, v[0:1], off
	s_movk_i32 s0, 0x7fff
	s_waitcnt vmcnt(0)
	v_cvt_f32_ubyte0_e32 v0, v0
	v_bfe_u32 v1, v0, 16, 1
	v_add3_u32 v0, v0, v1, s0
	v_lshrrev_b32_e32 v3, 16, v0
.LBB239_904:
	s_mov_b64 s[0:1], -1
.LBB239_905:
	s_andn2_b64 vcc, exec, s[0:1]
	s_cbranch_vccnz .LBB239_913
; %bb.906:
	v_mul_lo_u32 v0, v2, s14
	v_mov_b32_e32 v1, s17
	s_and_b32 s46, s15, 0xff
	s_cmp_lt_i32 s46, 11
	v_ashrrev_i32_e32 v4, 31, v0
	v_add_co_u32_e32 v0, vcc, s16, v0
	v_addc_co_u32_e32 v1, vcc, v1, v4, vcc
	s_cbranch_scc1 .LBB239_915
; %bb.907:
	s_and_b32 s47, 0xffff, s46
	s_cmp_gt_i32 s47, 25
	s_cbranch_scc0 .LBB239_916
; %bb.908:
	s_cmp_gt_i32 s47, 28
	s_cbranch_scc0 .LBB239_917
; %bb.909:
	;; [unrolled: 3-line block ×4, first 2 shown]
	s_cmp_eq_u32 s47, 46
	s_mov_b64 s[42:43], 0
	s_cbranch_scc0 .LBB239_922
; %bb.912:
	global_load_dword v4, v[0:1], off
	s_mov_b64 s[0:1], -1
	s_mov_b64 s[40:41], 0
	s_branch .LBB239_923
.LBB239_913:
	s_mov_b64 s[44:45], 0
	s_mov_b64 s[0:1], s[30:31]
	;; [unrolled: 1-line block ×3, first 2 shown]
.LBB239_914:
                                        ; implicit-def: $vgpr2
	s_branch .LBB239_1161
.LBB239_915:
	s_mov_b64 s[42:43], -1
	s_mov_b64 s[0:1], 0
                                        ; implicit-def: $vgpr4
	s_mov_b64 s[40:41], s[28:29]
	s_branch .LBB239_988
.LBB239_916:
	s_mov_b64 s[42:43], -1
	s_mov_b64 s[0:1], 0
	s_mov_b64 s[40:41], s[28:29]
                                        ; implicit-def: $vgpr4
	s_branch .LBB239_952
.LBB239_917:
	s_mov_b64 s[42:43], -1
	s_mov_b64 s[0:1], 0
	s_mov_b64 s[40:41], s[28:29]
                                        ; implicit-def: $vgpr4
	s_branch .LBB239_933
.LBB239_918:
	s_mov_b64 s[42:43], -1
	s_mov_b64 s[0:1], 0
	s_mov_b64 s[40:41], s[28:29]
                                        ; implicit-def: $vgpr4
	s_branch .LBB239_928
.LBB239_919:
	s_mov_b64 s[42:43], -1
	s_mov_b64 s[0:1], 0
	s_mov_b64 s[40:41], s[28:29]
                                        ; implicit-def: $vgpr4
	s_branch .LBB239_923
.LBB239_920:
	s_andn2_saveexec_b64 s[38:39], s[38:39]
	s_cbranch_execz .LBB239_696
.LBB239_921:
	s_mov_b32 s42, 0x42800000
	v_add_f32_e64 v5, |v6|, s42
	v_and_b32_e32 v5, 0xff, v5
	v_cmp_ne_u32_e32 vcc, 0, v5
	s_andn2_b64 s[36:37], s[36:37], exec
	s_and_b64 s[42:43], vcc, exec
	s_or_b64 s[36:37], s[36:37], s[42:43]
	s_or_b64 exec, exec, s[38:39]
	v_mov_b32_e32 v7, 0
	s_and_saveexec_b64 s[38:39], s[36:37]
	s_cbranch_execnz .LBB239_697
	s_branch .LBB239_698
.LBB239_922:
	s_mov_b64 s[40:41], -1
                                        ; implicit-def: $vgpr4
	s_mov_b64 s[0:1], 0
.LBB239_923:
	s_and_b64 vcc, exec, s[42:43]
	s_cbranch_vccz .LBB239_927
; %bb.924:
	s_cmp_eq_u32 s47, 44
	s_cbranch_scc0 .LBB239_926
; %bb.925:
	global_load_ubyte v4, v[0:1], off
	s_movk_i32 s40, 0xff
	v_mov_b32_e32 v5, 0x7f800001
	v_mov_b32_e32 v6, 0x400000
	;; [unrolled: 1-line block ×3, first 2 shown]
	s_mov_b64 s[0:1], -1
	s_waitcnt vmcnt(0)
	v_lshlrev_b32_e32 v8, 23, v4
	v_cmp_ne_u32_e32 vcc, s40, v4
	v_cndmask_b32_e32 v5, v5, v8, vcc
	v_cmp_ne_u32_e32 vcc, 0, v4
	v_cndmask_b32_e32 v4, v6, v5, vcc
	v_add_u32_e32 v5, 0x7fff, v4
	v_cmp_o_f32_e32 vcc, v4, v4
	v_cndmask_b32_sdwa v4, v7, v5, vcc dst_sel:DWORD dst_unused:UNUSED_PAD src0_sel:DWORD src1_sel:WORD_1
	s_mov_b64 s[40:41], 0
	s_branch .LBB239_927
.LBB239_926:
	s_mov_b64 s[40:41], -1
                                        ; implicit-def: $vgpr4
.LBB239_927:
	s_mov_b64 s[42:43], 0
.LBB239_928:
	s_and_b64 vcc, exec, s[42:43]
	s_cbranch_vccz .LBB239_932
; %bb.929:
	s_cmp_eq_u32 s47, 29
	s_cbranch_scc0 .LBB239_931
; %bb.930:
	global_load_dwordx2 v[4:5], v[0:1], off
	s_movk_i32 s40, 0x7fff
	s_mov_b64 s[0:1], -1
	s_mov_b64 s[42:43], 0
	s_waitcnt vmcnt(0)
	v_ffbh_u32_e32 v6, v5
	v_min_u32_e32 v6, 32, v6
	v_lshlrev_b64 v[4:5], v6, v[4:5]
	v_min_u32_e32 v4, 1, v4
	v_or_b32_e32 v4, v5, v4
	v_cvt_f32_u32_e32 v4, v4
	v_sub_u32_e32 v5, 32, v6
	v_ldexp_f32 v4, v4, v5
	v_bfe_u32 v5, v4, 16, 1
	v_add3_u32 v4, v4, v5, s40
	v_lshrrev_b32_e32 v4, 16, v4
	s_mov_b64 s[40:41], 0
	s_branch .LBB239_933
.LBB239_931:
	s_mov_b64 s[40:41], -1
                                        ; implicit-def: $vgpr4
.LBB239_932:
	s_mov_b64 s[42:43], 0
.LBB239_933:
	s_and_b64 vcc, exec, s[42:43]
	s_cbranch_vccz .LBB239_951
; %bb.934:
	s_cmp_lt_i32 s47, 27
	s_cbranch_scc1 .LBB239_937
; %bb.935:
	s_cmp_gt_i32 s47, 27
	s_cbranch_scc0 .LBB239_938
; %bb.936:
	global_load_dword v4, v[0:1], off
	s_movk_i32 s0, 0x7fff
	s_waitcnt vmcnt(0)
	v_cvt_f32_u32_e32 v4, v4
	v_bfe_u32 v5, v4, 16, 1
	v_add3_u32 v4, v4, v5, s0
	v_lshrrev_b32_e32 v4, 16, v4
	s_mov_b64 s[0:1], 0
	s_branch .LBB239_939
.LBB239_937:
	s_mov_b64 s[0:1], -1
                                        ; implicit-def: $vgpr4
	s_branch .LBB239_942
.LBB239_938:
	s_mov_b64 s[0:1], -1
                                        ; implicit-def: $vgpr4
.LBB239_939:
	s_andn2_b64 vcc, exec, s[0:1]
	s_cbranch_vccnz .LBB239_941
; %bb.940:
	global_load_ushort v4, v[0:1], off
	s_movk_i32 s0, 0x7fff
	s_waitcnt vmcnt(0)
	v_cvt_f32_u32_e32 v4, v4
	v_bfe_u32 v5, v4, 16, 1
	v_add3_u32 v4, v4, v5, s0
	v_lshrrev_b32_e32 v4, 16, v4
.LBB239_941:
	s_mov_b64 s[0:1], 0
.LBB239_942:
	s_andn2_b64 vcc, exec, s[0:1]
	s_cbranch_vccnz .LBB239_950
; %bb.943:
	global_load_ubyte v4, v[0:1], off
	s_movk_i32 s0, 0x7f
	s_waitcnt vmcnt(0)
	v_cmp_lt_i16_e32 vcc, s0, v4
	s_mov_b64 s[0:1], 0
	s_and_saveexec_b64 s[42:43], vcc
	s_xor_b64 s[42:43], exec, s[42:43]
	s_cbranch_execz .LBB239_964
; %bb.944:
	s_movk_i32 s0, 0x80
	v_cmp_eq_u16_e32 vcc, s0, v4
	s_mov_b64 s[0:1], -1
	s_and_saveexec_b64 s[44:45], vcc
; %bb.945:
	s_xor_b64 s[0:1], exec, -1
; %bb.946:
	s_or_b64 exec, exec, s[44:45]
	s_and_b64 s[0:1], s[0:1], exec
	s_or_saveexec_b64 s[42:43], s[42:43]
	v_mov_b32_e32 v5, 0x7f800001
	s_xor_b64 exec, exec, s[42:43]
	s_cbranch_execnz .LBB239_965
.LBB239_947:
	s_or_b64 exec, exec, s[42:43]
	s_and_saveexec_b64 s[42:43], s[0:1]
	s_cbranch_execz .LBB239_949
.LBB239_948:
	v_lshlrev_b32_e32 v5, 24, v4
	v_and_b32_e32 v4, 0xffff, v4
	v_and_b32_e32 v6, 7, v4
	v_ffbh_u32_e32 v8, v6
	v_min_u32_e32 v8, 32, v8
	v_subrev_u32_e32 v9, 28, v8
	v_bfe_u32 v7, v4, 3, 4
	v_lshlrev_b32_e32 v4, v9, v4
	v_sub_u32_e32 v8, 29, v8
	v_and_b32_e32 v4, 7, v4
	v_cmp_eq_u32_e32 vcc, 0, v7
	v_cndmask_b32_e32 v7, v7, v8, vcc
	v_cndmask_b32_e32 v4, v6, v4, vcc
	v_mov_b32_e32 v6, 0x3b800000
	v_lshlrev_b32_e32 v4, 20, v4
	v_and_b32_e32 v5, 0x80000000, v5
	v_lshl_add_u32 v6, v7, 23, v6
	v_or3_b32 v5, v5, v6, v4
.LBB239_949:
	s_or_b64 exec, exec, s[42:43]
	v_bfe_u32 v4, v5, 16, 1
	s_movk_i32 s0, 0x7fff
	v_add3_u32 v4, v5, v4, s0
	v_cmp_o_f32_e32 vcc, v5, v5
	v_mov_b32_e32 v5, 0x7fc0
	v_cndmask_b32_sdwa v4, v5, v4, vcc dst_sel:DWORD dst_unused:UNUSED_PAD src0_sel:DWORD src1_sel:WORD_1
.LBB239_950:
	s_mov_b64 s[0:1], -1
.LBB239_951:
	s_mov_b64 s[42:43], 0
.LBB239_952:
	s_and_b64 vcc, exec, s[42:43]
	s_cbranch_vccz .LBB239_987
; %bb.953:
	s_cmp_gt_i32 s47, 22
	s_cbranch_scc0 .LBB239_963
; %bb.954:
	s_cmp_lt_i32 s47, 24
	s_cbranch_scc1 .LBB239_966
; %bb.955:
	s_cmp_gt_i32 s47, 24
	s_cbranch_scc0 .LBB239_967
; %bb.956:
	global_load_ubyte v4, v[0:1], off
	s_movk_i32 s0, 0x7f
	s_waitcnt vmcnt(0)
	v_cmp_lt_i16_e32 vcc, s0, v4
	s_mov_b64 s[0:1], 0
	s_and_saveexec_b64 s[42:43], vcc
	s_xor_b64 s[42:43], exec, s[42:43]
	s_cbranch_execz .LBB239_979
; %bb.957:
	s_movk_i32 s0, 0x80
	v_cmp_eq_u16_e32 vcc, s0, v4
	s_mov_b64 s[0:1], -1
	s_and_saveexec_b64 s[44:45], vcc
; %bb.958:
	s_xor_b64 s[0:1], exec, -1
; %bb.959:
	s_or_b64 exec, exec, s[44:45]
	s_and_b64 s[0:1], s[0:1], exec
	s_or_saveexec_b64 s[42:43], s[42:43]
	v_mov_b32_e32 v5, 0x7f800001
	s_xor_b64 exec, exec, s[42:43]
	s_cbranch_execnz .LBB239_980
.LBB239_960:
	s_or_b64 exec, exec, s[42:43]
	s_and_saveexec_b64 s[42:43], s[0:1]
	s_cbranch_execz .LBB239_962
.LBB239_961:
	v_lshlrev_b32_e32 v5, 24, v4
	v_and_b32_e32 v4, 0xffff, v4
	v_and_b32_e32 v6, 3, v4
	v_ffbh_u32_e32 v8, v6
	v_min_u32_e32 v8, 32, v8
	v_subrev_u32_e32 v9, 29, v8
	v_bfe_u32 v7, v4, 2, 5
	v_lshlrev_b32_e32 v4, v9, v4
	v_sub_u32_e32 v8, 30, v8
	v_and_b32_e32 v4, 3, v4
	v_cmp_eq_u32_e32 vcc, 0, v7
	v_cndmask_b32_e32 v7, v7, v8, vcc
	v_cndmask_b32_e32 v4, v6, v4, vcc
	v_mov_b32_e32 v6, 0x37800000
	v_lshlrev_b32_e32 v4, 21, v4
	v_and_b32_e32 v5, 0x80000000, v5
	v_lshl_add_u32 v6, v7, 23, v6
	v_or3_b32 v5, v5, v6, v4
.LBB239_962:
	s_or_b64 exec, exec, s[42:43]
	v_bfe_u32 v4, v5, 16, 1
	s_movk_i32 s0, 0x7fff
	v_add3_u32 v4, v5, v4, s0
	v_cmp_o_f32_e32 vcc, v5, v5
	v_mov_b32_e32 v5, 0x7fc0
	v_cndmask_b32_sdwa v4, v5, v4, vcc dst_sel:DWORD dst_unused:UNUSED_PAD src0_sel:DWORD src1_sel:WORD_1
	s_mov_b64 s[0:1], 0
	s_branch .LBB239_968
.LBB239_963:
	s_mov_b64 s[42:43], -1
                                        ; implicit-def: $vgpr4
	s_branch .LBB239_974
.LBB239_964:
	s_or_saveexec_b64 s[42:43], s[42:43]
	v_mov_b32_e32 v5, 0x7f800001
	s_xor_b64 exec, exec, s[42:43]
	s_cbranch_execz .LBB239_947
.LBB239_965:
	v_cmp_ne_u16_e32 vcc, 0, v4
	s_andn2_b64 s[0:1], s[0:1], exec
	s_and_b64 s[44:45], vcc, exec
	v_mov_b32_e32 v5, 0
	s_or_b64 s[0:1], s[0:1], s[44:45]
	s_or_b64 exec, exec, s[42:43]
	s_and_saveexec_b64 s[42:43], s[0:1]
	s_cbranch_execnz .LBB239_948
	s_branch .LBB239_949
.LBB239_966:
	s_mov_b64 s[0:1], -1
                                        ; implicit-def: $vgpr4
	s_branch .LBB239_971
.LBB239_967:
	s_mov_b64 s[0:1], -1
                                        ; implicit-def: $vgpr4
.LBB239_968:
	s_and_b64 vcc, exec, s[0:1]
	s_cbranch_vccz .LBB239_970
; %bb.969:
	global_load_ubyte v4, v[0:1], off
	s_mov_b32 s0, 0x7f800000
	s_brev_b32 s1, 1
	s_movk_i32 s42, 0x7fff
	s_waitcnt vmcnt(0)
	v_lshlrev_b32_e32 v4, 24, v4
	v_and_b32_e32 v5, 0x7f000000, v4
	v_ffbh_u32_e32 v6, v5
	v_min_u32_e32 v6, 32, v6
	v_sub_u32_e64 v6, v6, 4 clamp
	v_lshlrev_b32_e32 v8, v6, v5
	v_lshlrev_b32_e32 v6, 23, v6
	v_lshrrev_b32_e32 v8, 4, v8
	v_add_u32_e32 v7, 0x1000000, v5
	v_sub_u32_e32 v6, v8, v6
	v_ashrrev_i32_e32 v7, 8, v7
	v_add_u32_e32 v6, 0x3c000000, v6
	v_and_or_b32 v6, v7, s0, v6
	v_cmp_ne_u32_e32 vcc, 0, v5
	v_cndmask_b32_e32 v5, 0, v6, vcc
	v_and_or_b32 v4, v4, s1, v5
	v_bfe_u32 v5, v5, 16, 1
	v_add3_u32 v5, v4, v5, s42
	v_cmp_o_f32_e32 vcc, v4, v4
	v_mov_b32_e32 v4, 0x7fc0
	v_cndmask_b32_sdwa v4, v4, v5, vcc dst_sel:DWORD dst_unused:UNUSED_PAD src0_sel:DWORD src1_sel:WORD_1
.LBB239_970:
	s_mov_b64 s[0:1], 0
.LBB239_971:
	s_andn2_b64 vcc, exec, s[0:1]
	s_cbranch_vccnz .LBB239_973
; %bb.972:
	global_load_ubyte v4, v[0:1], off
	s_movk_i32 s0, 0x7f00
	s_brev_b32 s1, 16
	s_brev_b32 s42, 1
	s_movk_i32 s43, 0x7fff
	s_waitcnt vmcnt(0)
	v_lshlrev_b16_e32 v5, 8, v4
	v_lshlrev_b32_e32 v4, 25, v4
	v_lshrrev_b32_e32 v6, 4, v4
	v_and_or_b32 v7, v5, s0, 0.5
	v_or_b32_e32 v6, 0x70000000, v6
	v_add_f32_e32 v7, -0.5, v7
	v_mul_f32_e32 v6, 0x7800000, v6
	v_cmp_gt_u32_e32 vcc, s1, v4
	v_bfe_i32 v5, v5, 0, 16
	v_cndmask_b32_e32 v4, v6, v7, vcc
	v_and_or_b32 v5, v5, s42, v4
	v_bfe_u32 v4, v4, 16, 1
	v_add3_u32 v4, v5, v4, s43
	v_cmp_o_f32_e32 vcc, v5, v5
	v_mov_b32_e32 v5, 0x7fc0
	v_cndmask_b32_sdwa v4, v5, v4, vcc dst_sel:DWORD dst_unused:UNUSED_PAD src0_sel:DWORD src1_sel:WORD_1
.LBB239_973:
	s_mov_b64 s[42:43], 0
	s_mov_b64 s[0:1], -1
.LBB239_974:
	s_andn2_b64 vcc, exec, s[42:43]
	s_cbranch_vccnz .LBB239_987
; %bb.975:
	s_cmp_gt_i32 s47, 14
	s_cbranch_scc0 .LBB239_978
; %bb.976:
	s_cmp_eq_u32 s47, 15
	s_cbranch_scc0 .LBB239_981
; %bb.977:
	global_load_ushort v4, v[0:1], off
	s_mov_b64 s[0:1], -1
	s_mov_b64 s[40:41], 0
	s_branch .LBB239_982
.LBB239_978:
	s_mov_b64 s[42:43], -1
                                        ; implicit-def: $vgpr4
	s_branch .LBB239_983
.LBB239_979:
	s_or_saveexec_b64 s[42:43], s[42:43]
	v_mov_b32_e32 v5, 0x7f800001
	s_xor_b64 exec, exec, s[42:43]
	s_cbranch_execz .LBB239_960
.LBB239_980:
	v_cmp_ne_u16_e32 vcc, 0, v4
	s_andn2_b64 s[0:1], s[0:1], exec
	s_and_b64 s[44:45], vcc, exec
	v_mov_b32_e32 v5, 0
	s_or_b64 s[0:1], s[0:1], s[44:45]
	s_or_b64 exec, exec, s[42:43]
	s_and_saveexec_b64 s[42:43], s[0:1]
	s_cbranch_execnz .LBB239_961
	s_branch .LBB239_962
.LBB239_981:
	s_mov_b64 s[40:41], -1
                                        ; implicit-def: $vgpr4
.LBB239_982:
	s_mov_b64 s[42:43], 0
.LBB239_983:
	s_and_b64 vcc, exec, s[42:43]
	s_cbranch_vccz .LBB239_987
; %bb.984:
	s_cmp_eq_u32 s47, 11
	s_cbranch_scc0 .LBB239_986
; %bb.985:
	global_load_ubyte v4, v[0:1], off
	s_mov_b64 s[0:1], -1
	s_mov_b64 s[40:41], 0
	s_waitcnt vmcnt(0)
	v_cmp_ne_u16_e32 vcc, 0, v4
	v_cndmask_b32_e64 v4, 0, 1.0, vcc
	v_lshrrev_b32_e32 v4, 16, v4
	s_branch .LBB239_987
.LBB239_986:
	s_mov_b64 s[40:41], -1
                                        ; implicit-def: $vgpr4
.LBB239_987:
	s_mov_b64 s[42:43], 0
.LBB239_988:
	s_and_b64 vcc, exec, s[42:43]
	s_cbranch_vccz .LBB239_1037
; %bb.989:
	s_and_b32 s42, 0xffff, s46
	s_cmp_lt_i32 s42, 5
	s_cbranch_scc1 .LBB239_994
; %bb.990:
	s_cmp_lt_i32 s42, 8
	s_cbranch_scc1 .LBB239_995
; %bb.991:
	;; [unrolled: 3-line block ×3, first 2 shown]
	s_cmp_gt_i32 s42, 9
	s_cbranch_scc0 .LBB239_997
; %bb.993:
	global_load_dwordx2 v[4:5], v[0:1], off
	s_movk_i32 s0, 0x7fff
	s_waitcnt vmcnt(0)
	v_cvt_f32_f64_e32 v4, v[4:5]
	v_mov_b32_e32 v5, 0x7fc0
	v_bfe_u32 v6, v4, 16, 1
	v_cmp_o_f32_e32 vcc, v4, v4
	v_add3_u32 v4, v4, v6, s0
	v_cndmask_b32_sdwa v4, v5, v4, vcc dst_sel:DWORD dst_unused:UNUSED_PAD src0_sel:DWORD src1_sel:WORD_1
	s_mov_b64 s[0:1], 0
	s_branch .LBB239_998
.LBB239_994:
	s_mov_b64 s[0:1], -1
                                        ; implicit-def: $vgpr4
	s_branch .LBB239_1016
.LBB239_995:
	s_mov_b64 s[0:1], -1
                                        ; implicit-def: $vgpr4
	s_branch .LBB239_1004
.LBB239_996:
	s_mov_b64 s[0:1], -1
                                        ; implicit-def: $vgpr4
	s_branch .LBB239_1001
.LBB239_997:
	s_mov_b64 s[0:1], -1
                                        ; implicit-def: $vgpr4
.LBB239_998:
	s_andn2_b64 vcc, exec, s[0:1]
	s_cbranch_vccnz .LBB239_1000
; %bb.999:
	global_load_dword v4, v[0:1], off
	s_movk_i32 s0, 0x7fff
	v_mov_b32_e32 v5, 0x7fc0
	s_waitcnt vmcnt(0)
	v_bfe_u32 v6, v4, 16, 1
	v_cmp_o_f32_e32 vcc, v4, v4
	v_add3_u32 v4, v4, v6, s0
	v_cndmask_b32_sdwa v4, v5, v4, vcc dst_sel:DWORD dst_unused:UNUSED_PAD src0_sel:DWORD src1_sel:WORD_1
.LBB239_1000:
	s_mov_b64 s[0:1], 0
.LBB239_1001:
	s_andn2_b64 vcc, exec, s[0:1]
	s_cbranch_vccnz .LBB239_1003
; %bb.1002:
	global_load_dword v4, v[0:1], off
	s_movk_i32 s0, 0x7fff
	v_mov_b32_e32 v6, 0x7fc0
	s_waitcnt vmcnt(0)
	v_cvt_f32_f16_e32 v5, v4
	v_cmp_o_f16_e32 vcc, v4, v4
	v_bfe_u32 v4, v5, 16, 1
	v_add3_u32 v4, v5, v4, s0
	v_cndmask_b32_sdwa v4, v6, v4, vcc dst_sel:DWORD dst_unused:UNUSED_PAD src0_sel:DWORD src1_sel:WORD_1
.LBB239_1003:
	s_mov_b64 s[0:1], 0
.LBB239_1004:
	s_andn2_b64 vcc, exec, s[0:1]
	s_cbranch_vccnz .LBB239_1015
; %bb.1005:
	s_cmp_lt_i32 s42, 6
	s_cbranch_scc1 .LBB239_1008
; %bb.1006:
	s_cmp_gt_i32 s42, 6
	s_cbranch_scc0 .LBB239_1009
; %bb.1007:
	global_load_dwordx2 v[4:5], v[0:1], off
	s_movk_i32 s0, 0x7fff
	s_waitcnt vmcnt(0)
	v_cvt_f32_f64_e32 v4, v[4:5]
	v_mov_b32_e32 v5, 0x7fc0
	v_bfe_u32 v6, v4, 16, 1
	v_cmp_o_f32_e32 vcc, v4, v4
	v_add3_u32 v4, v4, v6, s0
	v_cndmask_b32_sdwa v4, v5, v4, vcc dst_sel:DWORD dst_unused:UNUSED_PAD src0_sel:DWORD src1_sel:WORD_1
	s_mov_b64 s[0:1], 0
	s_branch .LBB239_1010
.LBB239_1008:
	s_mov_b64 s[0:1], -1
                                        ; implicit-def: $vgpr4
	s_branch .LBB239_1013
.LBB239_1009:
	s_mov_b64 s[0:1], -1
                                        ; implicit-def: $vgpr4
.LBB239_1010:
	s_andn2_b64 vcc, exec, s[0:1]
	s_cbranch_vccnz .LBB239_1012
; %bb.1011:
	global_load_dword v4, v[0:1], off
	s_movk_i32 s0, 0x7fff
	v_mov_b32_e32 v5, 0x7fc0
	s_waitcnt vmcnt(0)
	v_bfe_u32 v6, v4, 16, 1
	v_cmp_o_f32_e32 vcc, v4, v4
	v_add3_u32 v4, v4, v6, s0
	v_cndmask_b32_sdwa v4, v5, v4, vcc dst_sel:DWORD dst_unused:UNUSED_PAD src0_sel:DWORD src1_sel:WORD_1
.LBB239_1012:
	s_mov_b64 s[0:1], 0
.LBB239_1013:
	s_andn2_b64 vcc, exec, s[0:1]
	s_cbranch_vccnz .LBB239_1015
; %bb.1014:
	global_load_ushort v4, v[0:1], off
	s_movk_i32 s0, 0x7fff
	v_mov_b32_e32 v6, 0x7fc0
	s_waitcnt vmcnt(0)
	v_cvt_f32_f16_e32 v5, v4
	v_cmp_o_f16_e32 vcc, v4, v4
	v_bfe_u32 v4, v5, 16, 1
	v_add3_u32 v4, v5, v4, s0
	v_cndmask_b32_sdwa v4, v6, v4, vcc dst_sel:DWORD dst_unused:UNUSED_PAD src0_sel:DWORD src1_sel:WORD_1
.LBB239_1015:
	s_mov_b64 s[0:1], 0
.LBB239_1016:
	s_andn2_b64 vcc, exec, s[0:1]
	s_cbranch_vccnz .LBB239_1036
; %bb.1017:
	s_cmp_lt_i32 s42, 2
	s_cbranch_scc1 .LBB239_1021
; %bb.1018:
	s_cmp_lt_i32 s42, 3
	s_cbranch_scc1 .LBB239_1022
; %bb.1019:
	s_cmp_gt_i32 s42, 3
	s_cbranch_scc0 .LBB239_1023
; %bb.1020:
	global_load_dwordx2 v[4:5], v[0:1], off
	s_movk_i32 s0, 0x7fff
	s_waitcnt vmcnt(0)
	v_xor_b32_e32 v7, v4, v5
	v_ffbh_i32_e32 v6, v5
	v_ashrrev_i32_e32 v7, 31, v7
	v_add_u32_e32 v6, -1, v6
	v_add_u32_e32 v7, 32, v7
	v_min_u32_e32 v6, v6, v7
	v_lshlrev_b64 v[4:5], v6, v[4:5]
	v_min_u32_e32 v4, 1, v4
	v_or_b32_e32 v4, v5, v4
	v_cvt_f32_i32_e32 v4, v4
	v_sub_u32_e32 v5, 32, v6
	v_ldexp_f32 v4, v4, v5
	v_bfe_u32 v5, v4, 16, 1
	v_add3_u32 v4, v4, v5, s0
	v_lshrrev_b32_e32 v4, 16, v4
	s_mov_b64 s[0:1], 0
	s_branch .LBB239_1024
.LBB239_1021:
	s_mov_b64 s[0:1], -1
                                        ; implicit-def: $vgpr4
	s_branch .LBB239_1030
.LBB239_1022:
	s_mov_b64 s[0:1], -1
                                        ; implicit-def: $vgpr4
	s_branch .LBB239_1027
.LBB239_1023:
	s_mov_b64 s[0:1], -1
                                        ; implicit-def: $vgpr4
.LBB239_1024:
	s_andn2_b64 vcc, exec, s[0:1]
	s_cbranch_vccnz .LBB239_1026
; %bb.1025:
	global_load_dword v4, v[0:1], off
	s_movk_i32 s0, 0x7fff
	s_waitcnt vmcnt(0)
	v_cvt_f32_i32_e32 v4, v4
	v_bfe_u32 v5, v4, 16, 1
	v_add3_u32 v4, v4, v5, s0
	v_lshrrev_b32_e32 v4, 16, v4
.LBB239_1026:
	s_mov_b64 s[0:1], 0
.LBB239_1027:
	s_andn2_b64 vcc, exec, s[0:1]
	s_cbranch_vccnz .LBB239_1029
; %bb.1028:
	global_load_sshort v4, v[0:1], off
	s_movk_i32 s0, 0x7fff
	s_waitcnt vmcnt(0)
	v_cvt_f32_i32_e32 v4, v4
	v_bfe_u32 v5, v4, 16, 1
	v_add3_u32 v4, v4, v5, s0
	v_lshrrev_b32_e32 v4, 16, v4
.LBB239_1029:
	s_mov_b64 s[0:1], 0
.LBB239_1030:
	s_andn2_b64 vcc, exec, s[0:1]
	s_cbranch_vccnz .LBB239_1036
; %bb.1031:
	s_cmp_gt_i32 s42, 0
	s_cbranch_scc0 .LBB239_1033
; %bb.1032:
	global_load_sbyte v4, v[0:1], off
	s_movk_i32 s0, 0x7fff
	s_waitcnt vmcnt(0)
	v_cvt_f32_i32_e32 v4, v4
	v_bfe_u32 v5, v4, 16, 1
	v_add3_u32 v4, v4, v5, s0
	v_lshrrev_b32_e32 v4, 16, v4
	s_mov_b64 s[0:1], 0
	s_branch .LBB239_1034
.LBB239_1033:
	s_mov_b64 s[0:1], -1
                                        ; implicit-def: $vgpr4
.LBB239_1034:
	s_andn2_b64 vcc, exec, s[0:1]
	s_cbranch_vccnz .LBB239_1036
; %bb.1035:
	global_load_ubyte v0, v[0:1], off
	s_movk_i32 s0, 0x7fff
	s_waitcnt vmcnt(0)
	v_cvt_f32_ubyte0_e32 v0, v0
	v_bfe_u32 v1, v0, 16, 1
	v_add3_u32 v0, v0, v1, s0
	v_lshrrev_b32_e32 v4, 16, v0
.LBB239_1036:
	s_mov_b64 s[0:1], -1
.LBB239_1037:
	s_andn2_b64 vcc, exec, s[0:1]
	s_cbranch_vccnz .LBB239_1045
; %bb.1038:
	v_mul_lo_u32 v1, v2, s12
	s_waitcnt vmcnt(0)
	v_lshlrev_b32_e32 v0, 16, v3
	v_mov_b32_e32 v3, s33
	v_cmp_ge_f32_e32 vcc, s57, v0
	v_cndmask_b32_e32 v3, v4, v3, vcc
	v_ashrrev_i32_e32 v4, 31, v1
	v_mov_b32_e32 v5, s9
	s_and_b32 s48, s3, 0xff
	v_add_co_u32_e32 v0, vcc, s8, v1
	s_cmp_lt_i32 s48, 11
	v_addc_co_u32_e32 v1, vcc, v5, v4, vcc
	s_cbranch_scc1 .LBB239_1046
; %bb.1039:
	s_and_b32 s49, 0xffff, s48
	s_cmp_gt_i32 s49, 25
	s_cbranch_scc0 .LBB239_1047
; %bb.1040:
	s_cmp_gt_i32 s49, 28
	s_cbranch_scc0 .LBB239_1048
; %bb.1041:
	;; [unrolled: 3-line block ×4, first 2 shown]
	s_mov_b64 s[44:45], 0
	s_mov_b64 s[0:1], -1
	s_cmp_eq_u32 s49, 46
	s_mov_b64 s[42:43], 0
	s_cbranch_scc0 .LBB239_1051
; %bb.1044:
	v_and_b32_e32 v4, 0xffff, v3
	global_store_dword v[0:1], v4, off
	s_mov_b64 s[42:43], -1
	s_mov_b64 s[0:1], 0
	s_branch .LBB239_1051
.LBB239_1045:
	s_mov_b64 s[44:45], 0
                                        ; implicit-def: $vgpr2
	s_mov_b64 s[0:1], s[30:31]
	s_branch .LBB239_1161
.LBB239_1046:
	s_mov_b64 s[44:45], -1
	s_mov_b64 s[42:43], 0
	s_mov_b64 s[0:1], s[30:31]
	s_branch .LBB239_1120
.LBB239_1047:
	s_mov_b64 s[44:45], -1
	s_mov_b64 s[42:43], 0
	s_mov_b64 s[0:1], s[30:31]
	s_branch .LBB239_1078
.LBB239_1048:
	s_mov_b64 s[44:45], -1
	s_mov_b64 s[42:43], 0
	s_mov_b64 s[0:1], s[30:31]
	s_branch .LBB239_1061
.LBB239_1049:
	s_mov_b64 s[44:45], -1
	s_mov_b64 s[42:43], 0
	s_mov_b64 s[0:1], s[30:31]
	s_branch .LBB239_1057
.LBB239_1050:
	s_mov_b64 s[44:45], -1
	s_mov_b64 s[42:43], 0
	s_mov_b64 s[0:1], s[30:31]
.LBB239_1051:
	s_and_b64 vcc, exec, s[44:45]
	s_cbranch_vccz .LBB239_1056
; %bb.1052:
	s_cmp_eq_u32 s49, 44
	s_mov_b64 s[0:1], -1
	s_cbranch_scc0 .LBB239_1056
; %bb.1053:
	v_and_b32_e32 v5, 0xffff, v3
	v_bfe_u32 v4, v5, 7, 8
	s_movk_i32 s0, 0xff
	v_cmp_ne_u32_e32 vcc, s0, v4
	v_mov_b32_e32 v6, 0xff
	s_and_saveexec_b64 s[42:43], vcc
	s_cbranch_execz .LBB239_1055
; %bb.1054:
	v_lshlrev_b32_e32 v7, 16, v5
	s_mov_b32 s0, 0x3f0000
	v_lshrrev_b32_e32 v6, 7, v5
	v_and_b32_e32 v5, 64, v5
	v_and_or_b32 v4, v7, s0, v4
	v_cmp_ne_u32_e32 vcc, 0, v5
	v_cmp_ne_u32_e64 s[0:1], 0, v4
	s_and_b64 s[0:1], vcc, s[0:1]
	v_cndmask_b32_e64 v4, 0, 1, s[0:1]
	v_add_u32_e32 v6, v6, v4
.LBB239_1055:
	s_or_b64 exec, exec, s[42:43]
	s_mov_b64 s[42:43], -1
	s_mov_b64 s[0:1], 0
	global_store_byte v[0:1], v6, off
.LBB239_1056:
	s_mov_b64 s[44:45], 0
.LBB239_1057:
	s_and_b64 vcc, exec, s[44:45]
	s_cbranch_vccz .LBB239_1060
; %bb.1058:
	s_cmp_eq_u32 s49, 29
	s_mov_b64 s[0:1], -1
	s_cbranch_scc0 .LBB239_1060
; %bb.1059:
	v_lshlrev_b32_e32 v4, 16, v3
	v_trunc_f32_e32 v4, v4
	v_mul_f32_e32 v5, 0x2f800000, v4
	v_floor_f32_e32 v6, v5
	v_fmac_f32_e32 v4, 0xcf800000, v6
	v_cvt_u32_f32_e32 v5, v6
	v_cvt_u32_f32_e32 v4, v4
	s_mov_b64 s[42:43], -1
	s_mov_b64 s[0:1], 0
	s_mov_b64 s[44:45], 0
	global_store_dwordx2 v[0:1], v[4:5], off
	s_branch .LBB239_1061
.LBB239_1060:
	s_mov_b64 s[44:45], 0
.LBB239_1061:
	s_and_b64 vcc, exec, s[44:45]
	s_cbranch_vccz .LBB239_1077
; %bb.1062:
	s_cmp_lt_i32 s49, 27
	s_mov_b64 s[42:43], -1
	s_cbranch_scc1 .LBB239_1068
; %bb.1063:
	s_cmp_gt_i32 s49, 27
	s_cbranch_scc0 .LBB239_1065
; %bb.1064:
	v_lshlrev_b32_e32 v4, 16, v3
	v_cvt_u32_f32_e32 v4, v4
	s_mov_b64 s[42:43], 0
	global_store_dword v[0:1], v4, off
.LBB239_1065:
	s_andn2_b64 vcc, exec, s[42:43]
	s_cbranch_vccnz .LBB239_1067
; %bb.1066:
	v_lshlrev_b32_e32 v4, 16, v3
	v_cvt_u32_f32_e32 v4, v4
	global_store_short v[0:1], v4, off
.LBB239_1067:
	s_mov_b64 s[42:43], 0
.LBB239_1068:
	s_andn2_b64 vcc, exec, s[42:43]
	s_cbranch_vccnz .LBB239_1076
; %bb.1069:
	v_lshlrev_b32_e32 v6, 16, v3
	v_and_b32_e32 v5, 0x7fffffff, v6
	s_mov_b32 s42, 0x43800000
	v_cmp_gt_u32_e32 vcc, s42, v5
	v_mov_b32_e32 v7, 0x80
	s_and_saveexec_b64 s[42:43], vcc
	s_cbranch_execz .LBB239_1075
; %bb.1070:
	s_mov_b32 s44, 0x3bffffff
	v_and_b32_e32 v4, 0xffff, v3
	v_cmp_lt_u32_e32 vcc, s44, v5
	s_mov_b64 s[44:45], 0
                                        ; implicit-def: $vgpr5
	s_and_saveexec_b64 s[46:47], vcc
	s_xor_b64 s[46:47], exec, s[46:47]
	s_cbranch_execz .LBB239_1177
; %bb.1071:
	v_bfe_u32 v5, v4, 4, 1
	s_mov_b32 s51, 0x487ffff
	v_add3_u32 v5, v6, v5, s51
	s_mov_b64 s[44:45], exec
	v_lshrrev_b32_e32 v5, 20, v5
                                        ; implicit-def: $vgpr6
	s_andn2_saveexec_b64 s[46:47], s[46:47]
	s_cbranch_execnz .LBB239_1178
.LBB239_1072:
	s_or_b64 exec, exec, s[46:47]
	v_mov_b32_e32 v7, 0
	s_and_saveexec_b64 s[46:47], s[44:45]
.LBB239_1073:
	v_lshrrev_b32_e32 v4, 8, v4
	s_movk_i32 s44, 0x80
	v_and_or_b32 v7, v4, s44, v5
.LBB239_1074:
	s_or_b64 exec, exec, s[46:47]
.LBB239_1075:
	s_or_b64 exec, exec, s[42:43]
	global_store_byte v[0:1], v7, off
.LBB239_1076:
	s_mov_b64 s[42:43], -1
.LBB239_1077:
	s_mov_b64 s[44:45], 0
.LBB239_1078:
	s_and_b64 vcc, exec, s[44:45]
	s_cbranch_vccz .LBB239_1119
; %bb.1079:
	s_cmp_gt_i32 s49, 22
	s_mov_b64 s[44:45], -1
	s_cbranch_scc0 .LBB239_1111
; %bb.1080:
	s_cmp_lt_i32 s49, 24
	s_mov_b64 s[42:43], -1
	s_cbranch_scc1 .LBB239_1100
; %bb.1081:
	s_cmp_gt_i32 s49, 24
	s_cbranch_scc0 .LBB239_1089
; %bb.1082:
	v_lshlrev_b32_e32 v6, 16, v3
	v_and_b32_e32 v5, 0x7fffffff, v6
	s_mov_b32 s42, 0x47800000
	v_cmp_gt_u32_e32 vcc, s42, v5
	v_mov_b32_e32 v7, 0x80
	s_and_saveexec_b64 s[42:43], vcc
	s_cbranch_execz .LBB239_1088
; %bb.1083:
	s_mov_b32 s44, 0x37ffffff
	v_and_b32_e32 v4, 0xffff, v3
	v_cmp_lt_u32_e32 vcc, s44, v5
	s_mov_b64 s[44:45], 0
                                        ; implicit-def: $vgpr5
	s_and_saveexec_b64 s[46:47], vcc
	s_xor_b64 s[46:47], exec, s[46:47]
	s_cbranch_execz .LBB239_2199
; %bb.1084:
	v_bfe_u32 v5, v4, 5, 1
	s_mov_b32 s51, 0x88fffff
	v_add3_u32 v5, v6, v5, s51
	s_mov_b64 s[44:45], exec
	v_lshrrev_b32_e32 v5, 21, v5
                                        ; implicit-def: $vgpr6
	s_andn2_saveexec_b64 s[46:47], s[46:47]
	s_cbranch_execnz .LBB239_2200
.LBB239_1085:
	s_or_b64 exec, exec, s[46:47]
	v_mov_b32_e32 v7, 0
	s_and_saveexec_b64 s[46:47], s[44:45]
.LBB239_1086:
	v_lshrrev_b32_e32 v4, 8, v4
	s_movk_i32 s44, 0x80
	v_and_or_b32 v7, v4, s44, v5
.LBB239_1087:
	s_or_b64 exec, exec, s[46:47]
.LBB239_1088:
	s_or_b64 exec, exec, s[42:43]
	s_mov_b64 s[42:43], 0
	global_store_byte v[0:1], v7, off
.LBB239_1089:
	s_and_b64 vcc, exec, s[42:43]
	s_cbranch_vccz .LBB239_1099
; %bb.1090:
	v_lshlrev_b32_e32 v6, 16, v3
	v_and_b32_e32 v7, 0x7fffffff, v6
	s_mov_b32 s42, 0x43f00000
	v_and_b32_e32 v4, 0xffff, v3
	v_cmp_gt_u32_e32 vcc, s42, v7
                                        ; implicit-def: $vgpr5
	s_and_saveexec_b64 s[42:43], vcc
	s_xor_b64 s[42:43], exec, s[42:43]
	s_cbranch_execz .LBB239_1096
; %bb.1091:
	s_mov_b32 s44, 0x3c7fffff
	v_cmp_lt_u32_e32 vcc, s44, v7
                                        ; implicit-def: $vgpr5
	s_and_saveexec_b64 s[44:45], vcc
	s_xor_b64 s[44:45], exec, s[44:45]
; %bb.1092:
	v_bfe_u32 v5, v4, 4, 1
	s_mov_b32 s46, 0x407ffff
	v_add3_u32 v5, v6, v5, s46
	v_lshrrev_b32_e32 v6, 20, v5
	v_and_b32_e32 v5, 0xff00000, v5
	s_mov_b32 s46, 0x7f00000
	v_mov_b32_e32 v7, 0x7e
	v_cmp_ne_u32_e32 vcc, s46, v5
	v_cndmask_b32_e32 v5, v7, v6, vcc
                                        ; implicit-def: $vgpr6
; %bb.1093:
	s_andn2_saveexec_b64 s[44:45], s[44:45]
; %bb.1094:
	s_mov_b32 s46, 0x46800000
	v_add_f32_e64 v5, |v6|, s46
; %bb.1095:
	s_or_b64 exec, exec, s[44:45]
                                        ; implicit-def: $vgpr7
.LBB239_1096:
	s_andn2_saveexec_b64 s[42:43], s[42:43]
; %bb.1097:
	s_mov_b32 s44, 0x7f800000
	v_mov_b32_e32 v5, 0x7e
	v_mov_b32_e32 v6, 0x7f
	v_cmp_lt_u32_e32 vcc, s44, v7
	v_cndmask_b32_e32 v5, v5, v6, vcc
; %bb.1098:
	s_or_b64 exec, exec, s[42:43]
	v_lshrrev_b32_e32 v4, 8, v4
	s_movk_i32 s42, 0x80
	v_and_or_b32 v4, v4, s42, v5
	global_store_byte v[0:1], v4, off
.LBB239_1099:
	s_mov_b64 s[42:43], 0
.LBB239_1100:
	s_andn2_b64 vcc, exec, s[42:43]
	s_cbranch_vccnz .LBB239_1110
; %bb.1101:
	v_lshlrev_b32_e32 v6, 16, v3
	v_and_b32_e32 v7, 0x7fffffff, v6
	s_mov_b32 s42, 0x47800000
	v_and_b32_e32 v4, 0xffff, v3
	v_cmp_gt_u32_e32 vcc, s42, v7
                                        ; implicit-def: $vgpr5
	s_and_saveexec_b64 s[42:43], vcc
	s_xor_b64 s[42:43], exec, s[42:43]
	s_cbranch_execz .LBB239_1107
; %bb.1102:
	s_mov_b32 s44, 0x387fffff
	v_cmp_lt_u32_e32 vcc, s44, v7
                                        ; implicit-def: $vgpr5
	s_and_saveexec_b64 s[44:45], vcc
	s_xor_b64 s[44:45], exec, s[44:45]
; %bb.1103:
	v_bfe_u32 v5, v4, 5, 1
	s_mov_b32 s46, 0x80fffff
	v_add3_u32 v5, v6, v5, s46
	v_lshrrev_b32_e32 v5, 21, v5
                                        ; implicit-def: $vgpr6
; %bb.1104:
	s_andn2_saveexec_b64 s[44:45], s[44:45]
; %bb.1105:
	s_mov_b32 s46, 0x43000000
	v_add_f32_e64 v5, |v6|, s46
; %bb.1106:
	s_or_b64 exec, exec, s[44:45]
                                        ; implicit-def: $vgpr7
.LBB239_1107:
	s_andn2_saveexec_b64 s[42:43], s[42:43]
; %bb.1108:
	s_mov_b32 s44, 0x7f800000
	v_mov_b32_e32 v5, 0x7c
	v_mov_b32_e32 v6, 0x7f
	v_cmp_lt_u32_e32 vcc, s44, v7
	v_cndmask_b32_e32 v5, v5, v6, vcc
; %bb.1109:
	s_or_b64 exec, exec, s[42:43]
	v_lshrrev_b32_e32 v4, 8, v4
	s_movk_i32 s42, 0x80
	v_and_or_b32 v4, v4, s42, v5
	global_store_byte v[0:1], v4, off
.LBB239_1110:
	s_mov_b64 s[44:45], 0
	s_mov_b64 s[42:43], -1
.LBB239_1111:
	s_andn2_b64 vcc, exec, s[44:45]
	s_cbranch_vccnz .LBB239_1119
; %bb.1112:
	s_cmp_gt_i32 s49, 14
	s_mov_b64 s[44:45], -1
	s_cbranch_scc0 .LBB239_1116
; %bb.1113:
	s_cmp_eq_u32 s49, 15
	s_mov_b64 s[0:1], -1
	s_cbranch_scc0 .LBB239_1115
; %bb.1114:
	global_store_short v[0:1], v3, off
	s_mov_b64 s[42:43], -1
	s_mov_b64 s[0:1], 0
.LBB239_1115:
	s_mov_b64 s[44:45], 0
.LBB239_1116:
	s_and_b64 vcc, exec, s[44:45]
	s_cbranch_vccz .LBB239_1119
; %bb.1117:
	s_cmp_eq_u32 s49, 11
	s_mov_b64 s[0:1], -1
	s_cbranch_scc0 .LBB239_1119
; %bb.1118:
	v_and_b32_e32 v4, 0x7fff, v3
	v_cmp_ne_u16_e32 vcc, 0, v4
	v_cndmask_b32_e64 v4, 0, 1, vcc
	s_mov_b64 s[42:43], -1
	s_mov_b64 s[0:1], 0
	global_store_byte v[0:1], v4, off
.LBB239_1119:
	s_mov_b64 s[44:45], 0
.LBB239_1120:
	s_and_b64 vcc, exec, s[44:45]
	s_cbranch_vccz .LBB239_1159
; %bb.1121:
	s_and_b32 s44, 0xffff, s48
	s_cmp_lt_i32 s44, 5
	s_mov_b64 s[42:43], -1
	s_cbranch_scc1 .LBB239_1142
; %bb.1122:
	s_cmp_lt_i32 s44, 8
	s_cbranch_scc1 .LBB239_1132
; %bb.1123:
	s_cmp_lt_i32 s44, 9
	s_cbranch_scc1 .LBB239_1129
; %bb.1124:
	s_cmp_gt_i32 s44, 9
	s_cbranch_scc0 .LBB239_1126
; %bb.1125:
	v_lshlrev_b32_e32 v4, 16, v3
	v_cvt_f64_f32_e32 v[4:5], v4
	v_mov_b32_e32 v6, 0
	v_mov_b32_e32 v7, v6
	s_mov_b64 s[42:43], 0
	global_store_dwordx4 v[0:1], v[4:7], off
.LBB239_1126:
	s_andn2_b64 vcc, exec, s[42:43]
	s_cbranch_vccnz .LBB239_1128
; %bb.1127:
	v_lshlrev_b32_e32 v4, 16, v3
	v_mov_b32_e32 v5, 0
	global_store_dwordx2 v[0:1], v[4:5], off
.LBB239_1128:
	s_mov_b64 s[42:43], 0
.LBB239_1129:
	s_andn2_b64 vcc, exec, s[42:43]
	s_cbranch_vccnz .LBB239_1131
; %bb.1130:
	v_lshlrev_b32_e32 v4, 16, v3
	v_cvt_f16_f32_e32 v4, v4
	global_store_dword v[0:1], v4, off
.LBB239_1131:
	s_mov_b64 s[42:43], 0
.LBB239_1132:
	s_andn2_b64 vcc, exec, s[42:43]
	s_cbranch_vccnz .LBB239_1141
; %bb.1133:
	s_cmp_lt_i32 s44, 6
	s_mov_b64 s[42:43], -1
	s_cbranch_scc1 .LBB239_1139
; %bb.1134:
	s_cmp_gt_i32 s44, 6
	s_cbranch_scc0 .LBB239_1136
; %bb.1135:
	v_lshlrev_b32_e32 v4, 16, v3
	v_cvt_f64_f32_e32 v[4:5], v4
	s_mov_b64 s[42:43], 0
	global_store_dwordx2 v[0:1], v[4:5], off
.LBB239_1136:
	s_andn2_b64 vcc, exec, s[42:43]
	s_cbranch_vccnz .LBB239_1138
; %bb.1137:
	v_lshlrev_b32_e32 v4, 16, v3
	global_store_dword v[0:1], v4, off
.LBB239_1138:
	s_mov_b64 s[42:43], 0
.LBB239_1139:
	s_andn2_b64 vcc, exec, s[42:43]
	s_cbranch_vccnz .LBB239_1141
; %bb.1140:
	v_lshlrev_b32_e32 v4, 16, v3
	v_cvt_f16_f32_e32 v4, v4
	global_store_short v[0:1], v4, off
.LBB239_1141:
	s_mov_b64 s[42:43], 0
.LBB239_1142:
	s_andn2_b64 vcc, exec, s[42:43]
	s_cbranch_vccnz .LBB239_1158
; %bb.1143:
	s_cmp_lt_i32 s44, 2
	s_mov_b64 s[42:43], -1
	s_cbranch_scc1 .LBB239_1153
; %bb.1144:
	s_cmp_lt_i32 s44, 3
	s_cbranch_scc1 .LBB239_1150
; %bb.1145:
	s_cmp_gt_i32 s44, 3
	s_cbranch_scc0 .LBB239_1147
; %bb.1146:
	v_lshlrev_b32_e32 v4, 16, v3
	v_trunc_f32_e32 v4, v4
	s_mov_b32 s42, 0x2f800000
	v_mul_f32_e64 v5, |v4|, s42
	v_floor_f32_e32 v5, v5
	s_mov_b32 s42, 0xcf800000
	v_cvt_u32_f32_e32 v6, v5
	v_fma_f32 v5, v5, s42, |v4|
	v_cvt_u32_f32_e32 v5, v5
	v_ashrrev_i32_e32 v7, 31, v4
	v_xor_b32_e32 v6, v6, v7
	s_mov_b64 s[42:43], 0
	v_xor_b32_e32 v4, v5, v7
	v_sub_co_u32_e32 v4, vcc, v4, v7
	v_subb_co_u32_e32 v5, vcc, v6, v7, vcc
	global_store_dwordx2 v[0:1], v[4:5], off
.LBB239_1147:
	s_andn2_b64 vcc, exec, s[42:43]
	s_cbranch_vccnz .LBB239_1149
; %bb.1148:
	v_lshlrev_b32_e32 v4, 16, v3
	v_cvt_i32_f32_e32 v4, v4
	global_store_dword v[0:1], v4, off
.LBB239_1149:
	s_mov_b64 s[42:43], 0
.LBB239_1150:
	s_andn2_b64 vcc, exec, s[42:43]
	s_cbranch_vccnz .LBB239_1152
; %bb.1151:
	v_lshlrev_b32_e32 v4, 16, v3
	v_cvt_i32_f32_e32 v4, v4
	global_store_short v[0:1], v4, off
.LBB239_1152:
	s_mov_b64 s[42:43], 0
.LBB239_1153:
	s_andn2_b64 vcc, exec, s[42:43]
	s_cbranch_vccnz .LBB239_1158
; %bb.1154:
	s_mov_b64 s[42:43], -1
	s_cmp_gt_i32 s44, 0
	v_lshlrev_b32_e32 v3, 16, v3
	s_cbranch_scc0 .LBB239_1156
; %bb.1155:
	v_cvt_i32_f32_e32 v4, v3
	s_mov_b64 s[42:43], 0
	global_store_byte v[0:1], v4, off
.LBB239_1156:
	s_andn2_b64 vcc, exec, s[42:43]
	s_cbranch_vccnz .LBB239_1158
; %bb.1157:
	v_trunc_f32_e32 v3, v3
	s_mov_b32 s42, 0x2f800000
	v_mul_f32_e64 v4, |v3|, s42
	v_floor_f32_e32 v4, v4
	s_mov_b32 s42, 0xcf800000
	v_fma_f32 v4, v4, s42, |v3|
	v_cvt_u32_f32_e32 v4, v4
	v_ashrrev_i32_e32 v3, 31, v3
	v_xor_b32_e32 v4, v4, v3
	v_sub_u32_e32 v3, v4, v3
	global_store_byte v[0:1], v3, off
.LBB239_1158:
	s_mov_b64 s[42:43], -1
.LBB239_1159:
	s_andn2_b64 vcc, exec, s[42:43]
	s_cbranch_vccnz .LBB239_1172
; %bb.1160:
	v_add_u32_e32 v2, 0x80, v2
	s_mov_b64 s[44:45], -1
.LBB239_1161:
	s_andn2_b64 s[42:43], s[30:31], exec
	s_and_b64 s[0:1], s[0:1], exec
	s_or_b64 s[42:43], s[42:43], s[0:1]
	s_andn2_b64 s[0:1], s[28:29], exec
	s_and_b64 s[40:41], s[40:41], exec
	s_or_b64 s[40:41], s[0:1], s[40:41]
	;; [unrolled: 3-line block ×3, first 2 shown]
	s_orn2_b64 s[48:49], s[44:45], exec
.LBB239_1162:
	s_or_b64 exec, exec, s[36:37]
	s_mov_b64 s[44:45], 0
	s_mov_b64 s[38:39], 0
	;; [unrolled: 1-line block ×3, first 2 shown]
                                        ; implicit-def: $sgpr58
                                        ; implicit-def: $vgpr0_vgpr1
                                        ; implicit-def: $vgpr3
	s_and_saveexec_b64 s[36:37], s[48:49]
	s_cbranch_execz .LBB239_1246
; %bb.1163:
	v_cmp_gt_i32_e32 vcc, s50, v2
	s_mov_b64 s[48:49], 0
	s_mov_b64 s[50:51], s[0:1]
	;; [unrolled: 1-line block ×4, first 2 shown]
                                        ; implicit-def: $sgpr58
                                        ; implicit-def: $vgpr0_vgpr1
                                        ; implicit-def: $vgpr3
	s_and_saveexec_b64 s[38:39], vcc
	s_cbranch_execz .LBB239_1245
; %bb.1164:
	v_mul_lo_u32 v0, v2, s13
	v_mov_b32_e32 v1, s11
	s_and_b32 s58, s56, 0xff
	s_cmp_lt_i32 s58, 11
	s_waitcnt vmcnt(0)
	v_ashrrev_i32_e32 v3, 31, v0
	v_add_co_u32_e32 v0, vcc, s10, v0
	v_addc_co_u32_e32 v1, vcc, v1, v3, vcc
	s_cbranch_scc1 .LBB239_1171
; %bb.1165:
	s_and_b32 s54, 0xffff, s58
	s_cmp_gt_i32 s54, 25
	s_cbranch_scc0 .LBB239_1173
; %bb.1166:
	s_cmp_gt_i32 s54, 28
	s_cbranch_scc0 .LBB239_1174
; %bb.1167:
	;; [unrolled: 3-line block ×4, first 2 shown]
	s_cmp_eq_u32 s54, 46
	s_mov_b64 s[50:51], 0
	s_cbranch_scc0 .LBB239_1179
; %bb.1170:
	global_load_dword v3, v[0:1], off
	s_mov_b64 s[48:49], -1
	s_branch .LBB239_1181
.LBB239_1171:
	s_mov_b64 s[50:51], -1
                                        ; implicit-def: $vgpr3
	s_mov_b64 s[44:45], s[0:1]
	s_branch .LBB239_1244
.LBB239_1172:
	s_mov_b64 s[44:45], 0
	s_branch .LBB239_914
.LBB239_1173:
	s_mov_b64 s[50:51], -1
	s_mov_b64 s[44:45], s[0:1]
                                        ; implicit-def: $vgpr3
	s_branch .LBB239_1210
.LBB239_1174:
	s_mov_b64 s[50:51], -1
	s_mov_b64 s[44:45], s[0:1]
                                        ; implicit-def: $vgpr3
	s_branch .LBB239_1191
.LBB239_1175:
	s_mov_b64 s[50:51], -1
	s_mov_b64 s[44:45], s[0:1]
                                        ; implicit-def: $vgpr3
	s_branch .LBB239_1186
.LBB239_1176:
	s_mov_b64 s[50:51], -1
	s_mov_b64 s[44:45], s[0:1]
	s_branch .LBB239_1180
.LBB239_1177:
	s_andn2_saveexec_b64 s[46:47], s[46:47]
	s_cbranch_execz .LBB239_1072
.LBB239_1178:
	s_mov_b32 s51, 0x46000000
	v_add_f32_e64 v5, |v6|, s51
	v_and_b32_e32 v5, 0xff, v5
	v_cmp_ne_u32_e32 vcc, 0, v5
	s_andn2_b64 s[44:45], s[44:45], exec
	s_and_b64 s[52:53], vcc, exec
	s_or_b64 s[44:45], s[44:45], s[52:53]
	s_or_b64 exec, exec, s[46:47]
	v_mov_b32_e32 v7, 0
	s_and_saveexec_b64 s[46:47], s[44:45]
	s_cbranch_execnz .LBB239_1073
	s_branch .LBB239_1074
.LBB239_1179:
	s_mov_b64 s[44:45], -1
.LBB239_1180:
                                        ; implicit-def: $vgpr3
.LBB239_1181:
	s_and_b64 vcc, exec, s[50:51]
	s_cbranch_vccz .LBB239_1185
; %bb.1182:
	s_cmp_eq_u32 s54, 44
	s_cbranch_scc0 .LBB239_1184
; %bb.1183:
	global_load_ubyte v3, v[0:1], off
	s_movk_i32 s48, 0xff
	v_mov_b32_e32 v4, 0x7f800001
	v_mov_b32_e32 v5, 0x400000
	;; [unrolled: 1-line block ×3, first 2 shown]
	s_mov_b64 s[44:45], 0
	s_waitcnt vmcnt(0)
	v_lshlrev_b32_e32 v7, 23, v3
	v_cmp_ne_u32_e32 vcc, s48, v3
	v_cndmask_b32_e32 v4, v4, v7, vcc
	v_cmp_ne_u32_e32 vcc, 0, v3
	v_cndmask_b32_e32 v3, v5, v4, vcc
	v_add_u32_e32 v4, 0x7fff, v3
	v_cmp_o_f32_e32 vcc, v3, v3
	v_cndmask_b32_sdwa v3, v6, v4, vcc dst_sel:DWORD dst_unused:UNUSED_PAD src0_sel:DWORD src1_sel:WORD_1
	s_mov_b64 s[48:49], -1
	s_branch .LBB239_1185
.LBB239_1184:
	s_mov_b64 s[44:45], -1
                                        ; implicit-def: $vgpr3
.LBB239_1185:
	s_mov_b64 s[50:51], 0
.LBB239_1186:
	s_and_b64 vcc, exec, s[50:51]
	s_cbranch_vccz .LBB239_1190
; %bb.1187:
	s_cmp_eq_u32 s54, 29
	s_cbranch_scc0 .LBB239_1189
; %bb.1188:
	global_load_dwordx2 v[3:4], v[0:1], off
	s_movk_i32 s48, 0x7fff
	s_mov_b64 s[44:45], 0
	s_mov_b64 s[50:51], 0
	s_waitcnt vmcnt(0)
	v_ffbh_u32_e32 v5, v4
	v_min_u32_e32 v5, 32, v5
	v_lshlrev_b64 v[3:4], v5, v[3:4]
	v_min_u32_e32 v3, 1, v3
	v_or_b32_e32 v3, v4, v3
	v_cvt_f32_u32_e32 v3, v3
	v_sub_u32_e32 v4, 32, v5
	v_ldexp_f32 v3, v3, v4
	v_bfe_u32 v4, v3, 16, 1
	v_add3_u32 v3, v3, v4, s48
	v_lshrrev_b32_e32 v3, 16, v3
	s_mov_b64 s[48:49], -1
	s_branch .LBB239_1191
.LBB239_1189:
	s_mov_b64 s[44:45], -1
                                        ; implicit-def: $vgpr3
.LBB239_1190:
	s_mov_b64 s[50:51], 0
.LBB239_1191:
	s_and_b64 vcc, exec, s[50:51]
	s_cbranch_vccz .LBB239_1209
; %bb.1192:
	s_cmp_lt_i32 s54, 27
	s_cbranch_scc1 .LBB239_1195
; %bb.1193:
	s_cmp_gt_i32 s54, 27
	s_cbranch_scc0 .LBB239_1196
; %bb.1194:
	global_load_dword v3, v[0:1], off
	s_movk_i32 s48, 0x7fff
	s_waitcnt vmcnt(0)
	v_cvt_f32_u32_e32 v3, v3
	v_bfe_u32 v4, v3, 16, 1
	v_add3_u32 v3, v3, v4, s48
	v_lshrrev_b32_e32 v3, 16, v3
	s_mov_b64 s[48:49], 0
	s_branch .LBB239_1197
.LBB239_1195:
	s_mov_b64 s[48:49], -1
                                        ; implicit-def: $vgpr3
	s_branch .LBB239_1200
.LBB239_1196:
	s_mov_b64 s[48:49], -1
                                        ; implicit-def: $vgpr3
.LBB239_1197:
	s_andn2_b64 vcc, exec, s[48:49]
	s_cbranch_vccnz .LBB239_1199
; %bb.1198:
	global_load_ushort v3, v[0:1], off
	s_movk_i32 s48, 0x7fff
	s_waitcnt vmcnt(0)
	v_cvt_f32_u32_e32 v3, v3
	v_bfe_u32 v4, v3, 16, 1
	v_add3_u32 v3, v3, v4, s48
	v_lshrrev_b32_e32 v3, 16, v3
.LBB239_1199:
	s_mov_b64 s[48:49], 0
.LBB239_1200:
	s_andn2_b64 vcc, exec, s[48:49]
	s_cbranch_vccnz .LBB239_1208
; %bb.1201:
	global_load_ubyte v3, v[0:1], off
	s_movk_i32 s48, 0x7f
	s_waitcnt vmcnt(0)
	v_cmp_lt_i16_e32 vcc, s48, v3
	s_mov_b64 s[48:49], 0
	s_and_saveexec_b64 s[50:51], vcc
	s_xor_b64 s[50:51], exec, s[50:51]
	s_cbranch_execz .LBB239_1222
; %bb.1202:
	s_movk_i32 s48, 0x80
	v_cmp_eq_u16_e32 vcc, s48, v3
	s_mov_b64 s[48:49], -1
	s_and_saveexec_b64 s[52:53], vcc
; %bb.1203:
	s_xor_b64 s[48:49], exec, -1
; %bb.1204:
	s_or_b64 exec, exec, s[52:53]
	s_and_b64 s[48:49], s[48:49], exec
	s_or_saveexec_b64 s[50:51], s[50:51]
	v_mov_b32_e32 v4, 0x7f800001
	s_xor_b64 exec, exec, s[50:51]
	s_cbranch_execnz .LBB239_1223
.LBB239_1205:
	s_or_b64 exec, exec, s[50:51]
	s_and_saveexec_b64 s[50:51], s[48:49]
	s_cbranch_execz .LBB239_1207
.LBB239_1206:
	v_lshlrev_b32_e32 v4, 24, v3
	v_and_b32_e32 v3, 0xffff, v3
	v_and_b32_e32 v5, 7, v3
	v_ffbh_u32_e32 v7, v5
	v_min_u32_e32 v7, 32, v7
	v_subrev_u32_e32 v8, 28, v7
	v_bfe_u32 v6, v3, 3, 4
	v_lshlrev_b32_e32 v3, v8, v3
	v_sub_u32_e32 v7, 29, v7
	v_and_b32_e32 v3, 7, v3
	v_cmp_eq_u32_e32 vcc, 0, v6
	v_cndmask_b32_e32 v6, v6, v7, vcc
	v_cndmask_b32_e32 v3, v5, v3, vcc
	v_mov_b32_e32 v5, 0x3b800000
	v_lshlrev_b32_e32 v3, 20, v3
	v_and_b32_e32 v4, 0x80000000, v4
	v_lshl_add_u32 v5, v6, 23, v5
	v_or3_b32 v4, v4, v5, v3
.LBB239_1207:
	s_or_b64 exec, exec, s[50:51]
	v_bfe_u32 v3, v4, 16, 1
	s_movk_i32 s48, 0x7fff
	v_add3_u32 v3, v4, v3, s48
	v_cmp_o_f32_e32 vcc, v4, v4
	v_mov_b32_e32 v4, 0x7fc0
	v_cndmask_b32_sdwa v3, v4, v3, vcc dst_sel:DWORD dst_unused:UNUSED_PAD src0_sel:DWORD src1_sel:WORD_1
.LBB239_1208:
	s_mov_b64 s[48:49], -1
.LBB239_1209:
	s_mov_b64 s[50:51], 0
.LBB239_1210:
	s_and_b64 vcc, exec, s[50:51]
	s_cbranch_vccz .LBB239_1243
; %bb.1211:
	s_cmp_gt_i32 s54, 22
	s_cbranch_scc0 .LBB239_1221
; %bb.1212:
	s_cmp_lt_i32 s54, 24
	s_cbranch_scc1 .LBB239_1224
; %bb.1213:
	s_cmp_gt_i32 s54, 24
	s_cbranch_scc0 .LBB239_1225
; %bb.1214:
	global_load_ubyte v3, v[0:1], off
	s_movk_i32 s46, 0x7f
	s_waitcnt vmcnt(0)
	v_cmp_lt_i16_e32 vcc, s46, v3
	s_mov_b64 s[46:47], 0
	s_and_saveexec_b64 s[48:49], vcc
	s_xor_b64 s[48:49], exec, s[48:49]
	s_cbranch_execz .LBB239_1237
; %bb.1215:
	s_movk_i32 s46, 0x80
	v_cmp_eq_u16_e32 vcc, s46, v3
	s_mov_b64 s[46:47], -1
	s_and_saveexec_b64 s[50:51], vcc
; %bb.1216:
	s_xor_b64 s[46:47], exec, -1
; %bb.1217:
	s_or_b64 exec, exec, s[50:51]
	s_and_b64 s[46:47], s[46:47], exec
	s_or_saveexec_b64 s[48:49], s[48:49]
	v_mov_b32_e32 v4, 0x7f800001
	s_xor_b64 exec, exec, s[48:49]
	s_cbranch_execnz .LBB239_1238
.LBB239_1218:
	s_or_b64 exec, exec, s[48:49]
	s_and_saveexec_b64 s[48:49], s[46:47]
	s_cbranch_execz .LBB239_1220
.LBB239_1219:
	v_lshlrev_b32_e32 v4, 24, v3
	v_and_b32_e32 v3, 0xffff, v3
	v_and_b32_e32 v5, 3, v3
	v_ffbh_u32_e32 v7, v5
	v_min_u32_e32 v7, 32, v7
	v_subrev_u32_e32 v8, 29, v7
	v_bfe_u32 v6, v3, 2, 5
	v_lshlrev_b32_e32 v3, v8, v3
	v_sub_u32_e32 v7, 30, v7
	v_and_b32_e32 v3, 3, v3
	v_cmp_eq_u32_e32 vcc, 0, v6
	v_cndmask_b32_e32 v6, v6, v7, vcc
	v_cndmask_b32_e32 v3, v5, v3, vcc
	v_mov_b32_e32 v5, 0x37800000
	v_lshlrev_b32_e32 v3, 21, v3
	v_and_b32_e32 v4, 0x80000000, v4
	v_lshl_add_u32 v5, v6, 23, v5
	v_or3_b32 v4, v4, v5, v3
.LBB239_1220:
	s_or_b64 exec, exec, s[48:49]
	v_bfe_u32 v3, v4, 16, 1
	s_movk_i32 s46, 0x7fff
	v_add3_u32 v3, v4, v3, s46
	v_cmp_o_f32_e32 vcc, v4, v4
	v_mov_b32_e32 v4, 0x7fc0
	v_cndmask_b32_sdwa v3, v4, v3, vcc dst_sel:DWORD dst_unused:UNUSED_PAD src0_sel:DWORD src1_sel:WORD_1
	s_mov_b64 s[46:47], 0
	s_branch .LBB239_1226
.LBB239_1221:
	s_mov_b64 s[46:47], -1
                                        ; implicit-def: $vgpr3
	s_branch .LBB239_1232
.LBB239_1222:
	s_or_saveexec_b64 s[50:51], s[50:51]
	v_mov_b32_e32 v4, 0x7f800001
	s_xor_b64 exec, exec, s[50:51]
	s_cbranch_execz .LBB239_1205
.LBB239_1223:
	v_cmp_ne_u16_e32 vcc, 0, v3
	s_andn2_b64 s[48:49], s[48:49], exec
	s_and_b64 s[52:53], vcc, exec
	v_mov_b32_e32 v4, 0
	s_or_b64 s[48:49], s[48:49], s[52:53]
	s_or_b64 exec, exec, s[50:51]
	s_and_saveexec_b64 s[50:51], s[48:49]
	s_cbranch_execnz .LBB239_1206
	s_branch .LBB239_1207
.LBB239_1224:
	s_mov_b64 s[46:47], -1
                                        ; implicit-def: $vgpr3
	s_branch .LBB239_1229
.LBB239_1225:
	s_mov_b64 s[46:47], -1
                                        ; implicit-def: $vgpr3
.LBB239_1226:
	s_and_b64 vcc, exec, s[46:47]
	s_cbranch_vccz .LBB239_1228
; %bb.1227:
	global_load_ubyte v3, v[0:1], off
	s_mov_b32 s46, 0x7f800000
	s_brev_b32 s47, 1
	s_movk_i32 s48, 0x7fff
	s_waitcnt vmcnt(0)
	v_lshlrev_b32_e32 v3, 24, v3
	v_and_b32_e32 v4, 0x7f000000, v3
	v_ffbh_u32_e32 v5, v4
	v_min_u32_e32 v5, 32, v5
	v_sub_u32_e64 v5, v5, 4 clamp
	v_lshlrev_b32_e32 v7, v5, v4
	v_lshlrev_b32_e32 v5, 23, v5
	v_lshrrev_b32_e32 v7, 4, v7
	v_add_u32_e32 v6, 0x1000000, v4
	v_sub_u32_e32 v5, v7, v5
	v_ashrrev_i32_e32 v6, 8, v6
	v_add_u32_e32 v5, 0x3c000000, v5
	v_and_or_b32 v5, v6, s46, v5
	v_cmp_ne_u32_e32 vcc, 0, v4
	v_cndmask_b32_e32 v4, 0, v5, vcc
	v_and_or_b32 v3, v3, s47, v4
	v_bfe_u32 v4, v4, 16, 1
	v_add3_u32 v4, v3, v4, s48
	v_cmp_o_f32_e32 vcc, v3, v3
	v_mov_b32_e32 v3, 0x7fc0
	v_cndmask_b32_sdwa v3, v3, v4, vcc dst_sel:DWORD dst_unused:UNUSED_PAD src0_sel:DWORD src1_sel:WORD_1
.LBB239_1228:
	s_mov_b64 s[46:47], 0
.LBB239_1229:
	s_andn2_b64 vcc, exec, s[46:47]
	s_cbranch_vccnz .LBB239_1231
; %bb.1230:
	global_load_ubyte v3, v[0:1], off
	s_movk_i32 s46, 0x7f00
	s_brev_b32 s47, 16
	s_brev_b32 s48, 1
	s_movk_i32 s49, 0x7fff
	s_waitcnt vmcnt(0)
	v_lshlrev_b16_e32 v4, 8, v3
	v_lshlrev_b32_e32 v3, 25, v3
	v_lshrrev_b32_e32 v5, 4, v3
	v_and_or_b32 v6, v4, s46, 0.5
	v_or_b32_e32 v5, 0x70000000, v5
	v_add_f32_e32 v6, -0.5, v6
	v_mul_f32_e32 v5, 0x7800000, v5
	v_cmp_gt_u32_e32 vcc, s47, v3
	v_bfe_i32 v4, v4, 0, 16
	v_cndmask_b32_e32 v3, v5, v6, vcc
	v_and_or_b32 v4, v4, s48, v3
	v_bfe_u32 v3, v3, 16, 1
	v_add3_u32 v3, v4, v3, s49
	v_cmp_o_f32_e32 vcc, v4, v4
	v_mov_b32_e32 v4, 0x7fc0
	v_cndmask_b32_sdwa v3, v4, v3, vcc dst_sel:DWORD dst_unused:UNUSED_PAD src0_sel:DWORD src1_sel:WORD_1
.LBB239_1231:
	s_mov_b64 s[46:47], 0
	s_mov_b64 s[48:49], -1
.LBB239_1232:
	s_andn2_b64 vcc, exec, s[46:47]
	s_mov_b64 s[46:47], 0
	s_cbranch_vccnz .LBB239_1243
; %bb.1233:
	s_cmp_gt_i32 s54, 14
	s_cbranch_scc0 .LBB239_1236
; %bb.1234:
	s_cmp_eq_u32 s54, 15
	s_cbranch_scc0 .LBB239_1239
; %bb.1235:
	global_load_ushort v3, v[0:1], off
	s_mov_b64 s[44:45], 0
	s_mov_b64 s[48:49], -1
	s_branch .LBB239_1240
.LBB239_1236:
	s_mov_b64 s[50:51], -1
                                        ; implicit-def: $vgpr3
	s_branch .LBB239_1241
.LBB239_1237:
	s_or_saveexec_b64 s[48:49], s[48:49]
	v_mov_b32_e32 v4, 0x7f800001
	s_xor_b64 exec, exec, s[48:49]
	s_cbranch_execz .LBB239_1218
.LBB239_1238:
	v_cmp_ne_u16_e32 vcc, 0, v3
	s_andn2_b64 s[46:47], s[46:47], exec
	s_and_b64 s[50:51], vcc, exec
	v_mov_b32_e32 v4, 0
	s_or_b64 s[46:47], s[46:47], s[50:51]
	s_or_b64 exec, exec, s[48:49]
	s_and_saveexec_b64 s[48:49], s[46:47]
	s_cbranch_execnz .LBB239_1219
	s_branch .LBB239_1220
.LBB239_1239:
	s_mov_b64 s[44:45], -1
                                        ; implicit-def: $vgpr3
.LBB239_1240:
	s_mov_b64 s[50:51], 0
.LBB239_1241:
	s_and_b64 vcc, exec, s[50:51]
	s_cbranch_vccz .LBB239_1243
; %bb.1242:
	s_cmp_lg_u32 s54, 11
	s_cselect_b64 s[50:51], -1, 0
	s_andn2_b64 s[44:45], s[44:45], exec
	s_and_b64 s[50:51], s[50:51], exec
	s_mov_b64 s[46:47], -1
	s_or_b64 s[44:45], s[44:45], s[50:51]
.LBB239_1243:
	s_mov_b64 s[50:51], 0
.LBB239_1244:
	s_and_b64 s[54:55], s[48:49], exec
	s_and_b64 s[48:49], s[46:47], exec
	s_andn2_b64 s[46:47], s[0:1], exec
	s_and_b64 s[44:45], s[44:45], exec
	s_and_b64 s[52:53], s[50:51], exec
	s_or_b64 s[50:51], s[46:47], s[44:45]
.LBB239_1245:
	s_or_b64 exec, exec, s[38:39]
	s_and_b64 s[44:45], s[48:49], exec
	s_andn2_b64 s[0:1], s[0:1], exec
	s_and_b64 s[48:49], s[50:51], exec
	s_and_b64 s[46:47], s[54:55], exec
	;; [unrolled: 1-line block ×3, first 2 shown]
	s_or_b64 s[0:1], s[0:1], s[48:49]
.LBB239_1246:
	s_or_b64 exec, exec, s[36:37]
	s_andn2_b64 s[30:31], s[30:31], exec
	s_and_b64 s[36:37], s[42:43], exec
	s_or_b64 s[30:31], s[30:31], s[36:37]
	s_andn2_b64 s[28:29], s[28:29], exec
	s_and_b64 s[36:37], s[40:41], exec
	s_andn2_b64 s[26:27], s[26:27], exec
	s_and_b64 s[0:1], s[0:1], exec
	s_or_b64 s[28:29], s[28:29], s[36:37]
	s_and_b64 s[40:41], s[46:47], exec
	s_and_b64 s[38:39], s[38:39], exec
	;; [unrolled: 1-line block ×3, first 2 shown]
	s_or_b64 s[26:27], s[26:27], s[0:1]
.LBB239_1247:
	s_or_b64 exec, exec, s[34:35]
	s_andn2_b64 s[0:1], s[18:19], exec
	s_and_b64 s[18:19], s[30:31], exec
	s_or_b64 s[18:19], s[0:1], s[18:19]
	s_andn2_b64 s[0:1], s[20:21], exec
	s_and_b64 s[20:21], s[28:29], exec
	s_or_b64 s[20:21], s[0:1], s[20:21]
	s_andn2_b64 s[0:1], s[22:23], exec
	s_and_b64 s[22:23], s[26:27], exec
	s_and_b64 s[30:31], s[40:41], exec
	;; [unrolled: 1-line block ×4, first 2 shown]
	s_or_b64 s[22:23], s[0:1], s[22:23]
	s_or_b64 exec, exec, s[24:25]
	s_mov_b64 s[24:25], 0
	s_and_saveexec_b64 s[0:1], s[22:23]
	s_cbranch_execz .LBB239_393
.LBB239_1248:
	s_mov_b64 s[24:25], exec
	s_andn2_b64 s[28:29], s[28:29], exec
	s_trap 2
	s_or_b64 exec, exec, s[0:1]
	s_and_saveexec_b64 s[0:1], s[28:29]
	s_xor_b64 s[0:1], exec, s[0:1]
	s_cbranch_execnz .LBB239_394
.LBB239_1249:
	s_or_b64 exec, exec, s[0:1]
	s_and_saveexec_b64 s[0:1], s[34:35]
	s_cbranch_execz .LBB239_1295
.LBB239_1250:
	s_sext_i32_i16 s22, s58
	s_cmp_lt_i32 s22, 5
	s_cbranch_scc1 .LBB239_1255
; %bb.1251:
	s_cmp_lt_i32 s22, 8
	s_cbranch_scc1 .LBB239_1256
; %bb.1252:
	;; [unrolled: 3-line block ×3, first 2 shown]
	s_cmp_gt_i32 s22, 9
	s_cbranch_scc0 .LBB239_1258
; %bb.1254:
	global_load_dwordx2 v[3:4], v[0:1], off
	s_movk_i32 s22, 0x7fff
	s_waitcnt vmcnt(0)
	v_cvt_f32_f64_e32 v3, v[3:4]
	v_mov_b32_e32 v4, 0x7fc0
	v_bfe_u32 v5, v3, 16, 1
	v_cmp_o_f32_e32 vcc, v3, v3
	v_add3_u32 v3, v3, v5, s22
	v_cndmask_b32_sdwa v3, v4, v3, vcc dst_sel:DWORD dst_unused:UNUSED_PAD src0_sel:DWORD src1_sel:WORD_1
	s_mov_b64 s[22:23], 0
	s_branch .LBB239_1259
.LBB239_1255:
                                        ; implicit-def: $vgpr3
	s_branch .LBB239_1276
.LBB239_1256:
                                        ; implicit-def: $vgpr3
	s_branch .LBB239_1265
.LBB239_1257:
	s_mov_b64 s[22:23], -1
                                        ; implicit-def: $vgpr3
	s_branch .LBB239_1262
.LBB239_1258:
	s_mov_b64 s[22:23], -1
                                        ; implicit-def: $vgpr3
.LBB239_1259:
	s_andn2_b64 vcc, exec, s[22:23]
	s_cbranch_vccnz .LBB239_1261
; %bb.1260:
	global_load_dword v3, v[0:1], off
	s_movk_i32 s22, 0x7fff
	s_waitcnt vmcnt(1)
	v_mov_b32_e32 v4, 0x7fc0
	s_waitcnt vmcnt(0)
	v_bfe_u32 v5, v3, 16, 1
	v_cmp_o_f32_e32 vcc, v3, v3
	v_add3_u32 v3, v3, v5, s22
	v_cndmask_b32_sdwa v3, v4, v3, vcc dst_sel:DWORD dst_unused:UNUSED_PAD src0_sel:DWORD src1_sel:WORD_1
.LBB239_1261:
	s_mov_b64 s[22:23], 0
.LBB239_1262:
	s_andn2_b64 vcc, exec, s[22:23]
	s_cbranch_vccnz .LBB239_1264
; %bb.1263:
	global_load_dword v3, v[0:1], off
	s_movk_i32 s22, 0x7fff
	v_mov_b32_e32 v5, 0x7fc0
	s_waitcnt vmcnt(0)
	v_cvt_f32_f16_e32 v4, v3
	v_cmp_o_f16_e32 vcc, v3, v3
	v_bfe_u32 v3, v4, 16, 1
	v_add3_u32 v3, v4, v3, s22
	v_cndmask_b32_sdwa v3, v5, v3, vcc dst_sel:DWORD dst_unused:UNUSED_PAD src0_sel:DWORD src1_sel:WORD_1
.LBB239_1264:
	s_cbranch_execnz .LBB239_1275
.LBB239_1265:
	s_sext_i32_i16 s22, s58
	s_cmp_lt_i32 s22, 6
	s_cbranch_scc1 .LBB239_1268
; %bb.1266:
	s_cmp_gt_i32 s22, 6
	s_cbranch_scc0 .LBB239_1269
; %bb.1267:
	global_load_dwordx2 v[3:4], v[0:1], off
	s_movk_i32 s22, 0x7fff
	s_waitcnt vmcnt(0)
	v_cvt_f32_f64_e32 v3, v[3:4]
	v_mov_b32_e32 v4, 0x7fc0
	v_bfe_u32 v5, v3, 16, 1
	v_cmp_o_f32_e32 vcc, v3, v3
	v_add3_u32 v3, v3, v5, s22
	v_cndmask_b32_sdwa v3, v4, v3, vcc dst_sel:DWORD dst_unused:UNUSED_PAD src0_sel:DWORD src1_sel:WORD_1
	s_mov_b64 s[22:23], 0
	s_branch .LBB239_1270
.LBB239_1268:
	s_mov_b64 s[22:23], -1
                                        ; implicit-def: $vgpr3
	s_branch .LBB239_1273
.LBB239_1269:
	s_mov_b64 s[22:23], -1
                                        ; implicit-def: $vgpr3
.LBB239_1270:
	s_andn2_b64 vcc, exec, s[22:23]
	s_cbranch_vccnz .LBB239_1272
; %bb.1271:
	global_load_dword v3, v[0:1], off
	s_movk_i32 s22, 0x7fff
	s_waitcnt vmcnt(1)
	v_mov_b32_e32 v4, 0x7fc0
	s_waitcnt vmcnt(0)
	v_bfe_u32 v5, v3, 16, 1
	v_cmp_o_f32_e32 vcc, v3, v3
	v_add3_u32 v3, v3, v5, s22
	v_cndmask_b32_sdwa v3, v4, v3, vcc dst_sel:DWORD dst_unused:UNUSED_PAD src0_sel:DWORD src1_sel:WORD_1
.LBB239_1272:
	s_mov_b64 s[22:23], 0
.LBB239_1273:
	s_andn2_b64 vcc, exec, s[22:23]
	s_cbranch_vccnz .LBB239_1275
; %bb.1274:
	global_load_ushort v3, v[0:1], off
	s_movk_i32 s22, 0x7fff
	v_mov_b32_e32 v5, 0x7fc0
	s_waitcnt vmcnt(0)
	v_cvt_f32_f16_e32 v4, v3
	v_cmp_o_f16_e32 vcc, v3, v3
	v_bfe_u32 v3, v4, 16, 1
	v_add3_u32 v3, v4, v3, s22
	v_cndmask_b32_sdwa v3, v5, v3, vcc dst_sel:DWORD dst_unused:UNUSED_PAD src0_sel:DWORD src1_sel:WORD_1
.LBB239_1275:
	s_cbranch_execnz .LBB239_1294
.LBB239_1276:
	s_sext_i32_i16 s22, s58
	s_cmp_lt_i32 s22, 2
	s_cbranch_scc1 .LBB239_1280
; %bb.1277:
	s_cmp_lt_i32 s22, 3
	s_cbranch_scc1 .LBB239_1281
; %bb.1278:
	s_cmp_gt_i32 s22, 3
	s_cbranch_scc0 .LBB239_1282
; %bb.1279:
	global_load_dwordx2 v[3:4], v[0:1], off
	s_movk_i32 s22, 0x7fff
	s_waitcnt vmcnt(0)
	v_xor_b32_e32 v6, v3, v4
	v_ffbh_i32_e32 v5, v4
	v_ashrrev_i32_e32 v6, 31, v6
	v_add_u32_e32 v5, -1, v5
	v_add_u32_e32 v6, 32, v6
	v_min_u32_e32 v5, v5, v6
	v_lshlrev_b64 v[3:4], v5, v[3:4]
	v_min_u32_e32 v3, 1, v3
	v_or_b32_e32 v3, v4, v3
	v_cvt_f32_i32_e32 v3, v3
	v_sub_u32_e32 v4, 32, v5
	v_ldexp_f32 v3, v3, v4
	v_bfe_u32 v4, v3, 16, 1
	v_add3_u32 v3, v3, v4, s22
	v_lshrrev_b32_e32 v3, 16, v3
	s_mov_b64 s[22:23], 0
	s_branch .LBB239_1283
.LBB239_1280:
                                        ; implicit-def: $vgpr3
	s_branch .LBB239_1289
.LBB239_1281:
	s_mov_b64 s[22:23], -1
                                        ; implicit-def: $vgpr3
	s_branch .LBB239_1286
.LBB239_1282:
	s_mov_b64 s[22:23], -1
                                        ; implicit-def: $vgpr3
.LBB239_1283:
	s_andn2_b64 vcc, exec, s[22:23]
	s_cbranch_vccnz .LBB239_1285
; %bb.1284:
	global_load_dword v3, v[0:1], off
	s_movk_i32 s22, 0x7fff
	s_waitcnt vmcnt(0)
	v_cvt_f32_i32_e32 v3, v3
	v_bfe_u32 v4, v3, 16, 1
	v_add3_u32 v3, v3, v4, s22
	v_lshrrev_b32_e32 v3, 16, v3
.LBB239_1285:
	s_mov_b64 s[22:23], 0
.LBB239_1286:
	s_andn2_b64 vcc, exec, s[22:23]
	s_cbranch_vccnz .LBB239_1288
; %bb.1287:
	global_load_sshort v3, v[0:1], off
	s_movk_i32 s22, 0x7fff
	s_waitcnt vmcnt(0)
	v_cvt_f32_i32_e32 v3, v3
	v_bfe_u32 v4, v3, 16, 1
	v_add3_u32 v3, v3, v4, s22
	v_lshrrev_b32_e32 v3, 16, v3
.LBB239_1288:
	s_cbranch_execnz .LBB239_1294
.LBB239_1289:
	s_sext_i32_i16 s22, s58
	s_cmp_gt_i32 s22, 0
	s_cbranch_scc0 .LBB239_1291
; %bb.1290:
	global_load_sbyte v3, v[0:1], off
	s_movk_i32 s22, 0x7fff
	s_waitcnt vmcnt(0)
	v_cvt_f32_i32_e32 v3, v3
	v_bfe_u32 v4, v3, 16, 1
	v_add3_u32 v3, v3, v4, s22
	v_lshrrev_b32_e32 v3, 16, v3
	s_mov_b64 s[22:23], 0
	s_branch .LBB239_1292
.LBB239_1291:
	s_mov_b64 s[22:23], -1
                                        ; implicit-def: $vgpr3
.LBB239_1292:
	s_andn2_b64 vcc, exec, s[22:23]
	s_cbranch_vccnz .LBB239_1294
; %bb.1293:
	global_load_ubyte v0, v[0:1], off
	s_movk_i32 s22, 0x7fff
	s_waitcnt vmcnt(0)
	v_cvt_f32_ubyte0_e32 v0, v0
	v_bfe_u32 v1, v0, 16, 1
	v_add3_u32 v0, v0, v1, s22
	v_lshrrev_b32_e32 v3, 16, v0
.LBB239_1294:
	s_or_b64 s[30:31], s[30:31], exec
.LBB239_1295:
	s_or_b64 exec, exec, s[0:1]
	s_mov_b64 s[28:29], 0
	s_mov_b64 s[34:35], 0
	;; [unrolled: 1-line block ×3, first 2 shown]
                                        ; implicit-def: $sgpr36
                                        ; implicit-def: $vgpr0_vgpr1
                                        ; implicit-def: $vgpr5
	s_and_saveexec_b64 s[0:1], s[30:31]
	s_cbranch_execz .LBB239_1303
; %bb.1296:
	v_mul_lo_u32 v0, v2, s14
	v_mov_b32_e32 v1, s17
	s_and_b32 s36, s15, 0xff
	s_cmp_lt_i32 s36, 11
	s_waitcnt vmcnt(0)
	v_ashrrev_i32_e32 v4, 31, v0
	v_add_co_u32_e32 v0, vcc, s16, v0
	v_addc_co_u32_e32 v1, vcc, v1, v4, vcc
	s_cbranch_scc1 .LBB239_1306
; %bb.1297:
	s_and_b32 s37, 0xffff, s36
	s_cmp_gt_i32 s37, 25
	s_cbranch_scc0 .LBB239_1307
; %bb.1298:
	s_cmp_gt_i32 s37, 28
	s_cbranch_scc0 .LBB239_1308
; %bb.1299:
	;; [unrolled: 3-line block ×4, first 2 shown]
	s_cmp_eq_u32 s37, 46
	s_mov_b64 s[30:31], 0
	s_cbranch_scc0 .LBB239_1311
; %bb.1302:
	global_load_dword v5, v[0:1], off
	s_mov_b64 s[22:23], 0
	s_mov_b64 s[26:27], -1
	s_branch .LBB239_1313
.LBB239_1303:
	s_or_b64 exec, exec, s[0:1]
	s_and_saveexec_b64 s[0:1], s[20:21]
	s_cbranch_execnz .LBB239_1376
.LBB239_1304:
	s_or_b64 exec, exec, s[0:1]
	s_and_saveexec_b64 s[0:1], s[28:29]
	s_xor_b64 s[0:1], exec, s[0:1]
	s_cbranch_execz .LBB239_1377
.LBB239_1305:
	global_load_ubyte v4, v[0:1], off
	s_or_b64 s[26:27], s[26:27], exec
	s_waitcnt vmcnt(0)
	v_cmp_ne_u16_e32 vcc, 0, v4
	v_cndmask_b32_e64 v4, 0, 1.0, vcc
	v_lshrrev_b32_e32 v5, 16, v4
	s_or_b64 exec, exec, s[0:1]
	s_and_saveexec_b64 s[0:1], s[34:35]
	s_cbranch_execz .LBB239_1423
	s_branch .LBB239_1378
.LBB239_1306:
	s_mov_b64 s[30:31], -1
                                        ; implicit-def: $vgpr5
	s_mov_b64 s[22:23], s[20:21]
	s_branch .LBB239_1375
.LBB239_1307:
	s_mov_b64 s[22:23], s[20:21]
                                        ; implicit-def: $vgpr5
	s_cbranch_execnz .LBB239_1342
	s_branch .LBB239_1374
.LBB239_1308:
	s_mov_b64 s[30:31], -1
	s_mov_b64 s[22:23], s[20:21]
                                        ; implicit-def: $vgpr5
	s_branch .LBB239_1323
.LBB239_1309:
	s_mov_b64 s[30:31], -1
	s_mov_b64 s[22:23], s[20:21]
                                        ; implicit-def: $vgpr5
	s_branch .LBB239_1318
.LBB239_1310:
	s_mov_b64 s[30:31], -1
	s_mov_b64 s[22:23], s[20:21]
	s_branch .LBB239_1312
.LBB239_1311:
	s_mov_b64 s[22:23], -1
.LBB239_1312:
                                        ; implicit-def: $vgpr5
.LBB239_1313:
	s_and_b64 vcc, exec, s[30:31]
	s_cbranch_vccz .LBB239_1317
; %bb.1314:
	s_cmp_eq_u32 s37, 44
	s_cbranch_scc0 .LBB239_1316
; %bb.1315:
	global_load_ubyte v4, v[0:1], off
	s_movk_i32 s26, 0xff
	s_waitcnt vmcnt(1)
	v_mov_b32_e32 v5, 0x7f800001
	v_mov_b32_e32 v6, 0x400000
	;; [unrolled: 1-line block ×3, first 2 shown]
	s_mov_b64 s[22:23], 0
	s_waitcnt vmcnt(0)
	v_lshlrev_b32_e32 v8, 23, v4
	v_cmp_ne_u32_e32 vcc, s26, v4
	v_cndmask_b32_e32 v5, v5, v8, vcc
	v_cmp_ne_u32_e32 vcc, 0, v4
	v_cndmask_b32_e32 v4, v6, v5, vcc
	v_add_u32_e32 v5, 0x7fff, v4
	v_cmp_o_f32_e32 vcc, v4, v4
	v_cndmask_b32_sdwa v5, v7, v5, vcc dst_sel:DWORD dst_unused:UNUSED_PAD src0_sel:DWORD src1_sel:WORD_1
	s_mov_b64 s[26:27], -1
	s_branch .LBB239_1317
.LBB239_1316:
	s_mov_b64 s[22:23], -1
                                        ; implicit-def: $vgpr5
.LBB239_1317:
	s_mov_b64 s[30:31], 0
.LBB239_1318:
	s_and_b64 vcc, exec, s[30:31]
	s_cbranch_vccz .LBB239_1322
; %bb.1319:
	s_cmp_eq_u32 s37, 29
	s_cbranch_scc0 .LBB239_1321
; %bb.1320:
	global_load_dwordx2 v[4:5], v[0:1], off
	s_movk_i32 s26, 0x7fff
	s_mov_b64 s[22:23], 0
	s_mov_b64 s[30:31], 0
	s_waitcnt vmcnt(0)
	v_ffbh_u32_e32 v6, v5
	v_min_u32_e32 v6, 32, v6
	v_lshlrev_b64 v[4:5], v6, v[4:5]
	v_min_u32_e32 v4, 1, v4
	v_or_b32_e32 v4, v5, v4
	v_cvt_f32_u32_e32 v4, v4
	v_sub_u32_e32 v5, 32, v6
	v_ldexp_f32 v4, v4, v5
	v_bfe_u32 v5, v4, 16, 1
	v_add3_u32 v4, v4, v5, s26
	v_lshrrev_b32_e32 v5, 16, v4
	s_mov_b64 s[26:27], -1
	s_branch .LBB239_1323
.LBB239_1321:
	s_mov_b64 s[22:23], -1
                                        ; implicit-def: $vgpr5
.LBB239_1322:
	s_mov_b64 s[30:31], 0
.LBB239_1323:
	s_and_b64 vcc, exec, s[30:31]
	s_cbranch_vccz .LBB239_1341
; %bb.1324:
	s_cmp_lt_i32 s37, 27
	s_cbranch_scc1 .LBB239_1327
; %bb.1325:
	s_cmp_gt_i32 s37, 27
	s_cbranch_scc0 .LBB239_1328
; %bb.1326:
	global_load_dword v4, v[0:1], off
	s_movk_i32 s26, 0x7fff
	s_waitcnt vmcnt(0)
	v_cvt_f32_u32_e32 v4, v4
	v_bfe_u32 v5, v4, 16, 1
	v_add3_u32 v4, v4, v5, s26
	v_lshrrev_b32_e32 v5, 16, v4
	s_mov_b64 s[26:27], 0
	s_branch .LBB239_1329
.LBB239_1327:
	s_mov_b64 s[26:27], -1
                                        ; implicit-def: $vgpr5
	s_branch .LBB239_1332
.LBB239_1328:
	s_mov_b64 s[26:27], -1
                                        ; implicit-def: $vgpr5
.LBB239_1329:
	s_andn2_b64 vcc, exec, s[26:27]
	s_cbranch_vccnz .LBB239_1331
; %bb.1330:
	global_load_ushort v4, v[0:1], off
	s_movk_i32 s26, 0x7fff
	s_waitcnt vmcnt(0)
	v_cvt_f32_u32_e32 v4, v4
	v_bfe_u32 v5, v4, 16, 1
	v_add3_u32 v4, v4, v5, s26
	v_lshrrev_b32_e32 v5, 16, v4
.LBB239_1331:
	s_mov_b64 s[26:27], 0
.LBB239_1332:
	s_andn2_b64 vcc, exec, s[26:27]
	s_cbranch_vccnz .LBB239_1340
; %bb.1333:
	global_load_ubyte v4, v[0:1], off
	s_movk_i32 s26, 0x7f
	s_waitcnt vmcnt(0)
	v_cmp_lt_i16_e32 vcc, s26, v4
	s_mov_b64 s[26:27], 0
	s_and_saveexec_b64 s[30:31], vcc
	s_xor_b64 s[30:31], exec, s[30:31]
	s_cbranch_execz .LBB239_1353
; %bb.1334:
	s_movk_i32 s26, 0x80
	v_cmp_eq_u16_e32 vcc, s26, v4
	s_mov_b64 s[26:27], -1
	s_and_saveexec_b64 s[34:35], vcc
; %bb.1335:
	s_xor_b64 s[26:27], exec, -1
; %bb.1336:
	s_or_b64 exec, exec, s[34:35]
	s_and_b64 s[26:27], s[26:27], exec
	s_or_saveexec_b64 s[30:31], s[30:31]
	v_mov_b32_e32 v5, 0x7f800001
	s_xor_b64 exec, exec, s[30:31]
	s_cbranch_execnz .LBB239_1354
.LBB239_1337:
	s_or_b64 exec, exec, s[30:31]
	s_and_saveexec_b64 s[30:31], s[26:27]
	s_cbranch_execz .LBB239_1339
.LBB239_1338:
	v_lshlrev_b32_e32 v5, 24, v4
	v_and_b32_e32 v4, 0xffff, v4
	v_and_b32_e32 v6, 7, v4
	v_ffbh_u32_e32 v8, v6
	v_min_u32_e32 v8, 32, v8
	v_subrev_u32_e32 v9, 28, v8
	v_bfe_u32 v7, v4, 3, 4
	v_lshlrev_b32_e32 v4, v9, v4
	v_sub_u32_e32 v8, 29, v8
	v_and_b32_e32 v4, 7, v4
	v_cmp_eq_u32_e32 vcc, 0, v7
	v_cndmask_b32_e32 v7, v7, v8, vcc
	v_cndmask_b32_e32 v4, v6, v4, vcc
	v_mov_b32_e32 v6, 0x3b800000
	v_lshlrev_b32_e32 v4, 20, v4
	v_and_b32_e32 v5, 0x80000000, v5
	v_lshl_add_u32 v6, v7, 23, v6
	v_or3_b32 v5, v5, v6, v4
.LBB239_1339:
	s_or_b64 exec, exec, s[30:31]
	v_bfe_u32 v4, v5, 16, 1
	s_movk_i32 s26, 0x7fff
	v_add3_u32 v4, v5, v4, s26
	v_cmp_o_f32_e32 vcc, v5, v5
	v_mov_b32_e32 v5, 0x7fc0
	v_cndmask_b32_sdwa v5, v5, v4, vcc dst_sel:DWORD dst_unused:UNUSED_PAD src0_sel:DWORD src1_sel:WORD_1
.LBB239_1340:
	s_mov_b64 s[26:27], -1
.LBB239_1341:
	s_branch .LBB239_1374
.LBB239_1342:
	s_cmp_gt_i32 s37, 22
	s_cbranch_scc0 .LBB239_1352
; %bb.1343:
	s_cmp_lt_i32 s37, 24
	s_cbranch_scc1 .LBB239_1355
; %bb.1344:
	s_cmp_gt_i32 s37, 24
	s_cbranch_scc0 .LBB239_1356
; %bb.1345:
	global_load_ubyte v4, v[0:1], off
	s_movk_i32 s26, 0x7f
	s_waitcnt vmcnt(0)
	v_cmp_lt_i16_e32 vcc, s26, v4
	s_mov_b64 s[26:27], 0
	s_and_saveexec_b64 s[28:29], vcc
	s_xor_b64 s[28:29], exec, s[28:29]
	s_cbranch_execz .LBB239_1368
; %bb.1346:
	s_movk_i32 s26, 0x80
	v_cmp_eq_u16_e32 vcc, s26, v4
	s_mov_b64 s[26:27], -1
	s_and_saveexec_b64 s[30:31], vcc
; %bb.1347:
	s_xor_b64 s[26:27], exec, -1
; %bb.1348:
	s_or_b64 exec, exec, s[30:31]
	s_and_b64 s[26:27], s[26:27], exec
	s_or_saveexec_b64 s[28:29], s[28:29]
	v_mov_b32_e32 v5, 0x7f800001
	s_xor_b64 exec, exec, s[28:29]
	s_cbranch_execnz .LBB239_1369
.LBB239_1349:
	s_or_b64 exec, exec, s[28:29]
	s_and_saveexec_b64 s[28:29], s[26:27]
	s_cbranch_execz .LBB239_1351
.LBB239_1350:
	v_lshlrev_b32_e32 v5, 24, v4
	v_and_b32_e32 v4, 0xffff, v4
	v_and_b32_e32 v6, 3, v4
	v_ffbh_u32_e32 v8, v6
	v_min_u32_e32 v8, 32, v8
	v_subrev_u32_e32 v9, 29, v8
	v_bfe_u32 v7, v4, 2, 5
	v_lshlrev_b32_e32 v4, v9, v4
	v_sub_u32_e32 v8, 30, v8
	v_and_b32_e32 v4, 3, v4
	v_cmp_eq_u32_e32 vcc, 0, v7
	v_cndmask_b32_e32 v7, v7, v8, vcc
	v_cndmask_b32_e32 v4, v6, v4, vcc
	v_mov_b32_e32 v6, 0x37800000
	v_lshlrev_b32_e32 v4, 21, v4
	v_and_b32_e32 v5, 0x80000000, v5
	v_lshl_add_u32 v6, v7, 23, v6
	v_or3_b32 v5, v5, v6, v4
.LBB239_1351:
	s_or_b64 exec, exec, s[28:29]
	v_bfe_u32 v4, v5, 16, 1
	s_movk_i32 s26, 0x7fff
	v_add3_u32 v4, v5, v4, s26
	v_cmp_o_f32_e32 vcc, v5, v5
	v_mov_b32_e32 v5, 0x7fc0
	v_cndmask_b32_sdwa v5, v5, v4, vcc dst_sel:DWORD dst_unused:UNUSED_PAD src0_sel:DWORD src1_sel:WORD_1
	s_mov_b64 s[26:27], 0
	s_branch .LBB239_1357
.LBB239_1352:
	s_mov_b64 s[28:29], -1
                                        ; implicit-def: $vgpr5
	s_branch .LBB239_1363
.LBB239_1353:
	s_or_saveexec_b64 s[30:31], s[30:31]
	v_mov_b32_e32 v5, 0x7f800001
	s_xor_b64 exec, exec, s[30:31]
	s_cbranch_execz .LBB239_1337
.LBB239_1354:
	v_cmp_ne_u16_e32 vcc, 0, v4
	s_andn2_b64 s[26:27], s[26:27], exec
	s_and_b64 s[34:35], vcc, exec
	v_mov_b32_e32 v5, 0
	s_or_b64 s[26:27], s[26:27], s[34:35]
	s_or_b64 exec, exec, s[30:31]
	s_and_saveexec_b64 s[30:31], s[26:27]
	s_cbranch_execnz .LBB239_1338
	s_branch .LBB239_1339
.LBB239_1355:
	s_mov_b64 s[26:27], -1
                                        ; implicit-def: $vgpr5
	s_branch .LBB239_1360
.LBB239_1356:
	s_mov_b64 s[26:27], -1
                                        ; implicit-def: $vgpr5
.LBB239_1357:
	s_and_b64 vcc, exec, s[26:27]
	s_cbranch_vccz .LBB239_1359
; %bb.1358:
	global_load_ubyte v4, v[0:1], off
	s_mov_b32 s26, 0x7f800000
	s_brev_b32 s27, 1
	s_movk_i32 s28, 0x7fff
	s_waitcnt vmcnt(0)
	v_lshlrev_b32_e32 v4, 24, v4
	v_and_b32_e32 v5, 0x7f000000, v4
	v_ffbh_u32_e32 v6, v5
	v_min_u32_e32 v6, 32, v6
	v_sub_u32_e64 v6, v6, 4 clamp
	v_lshlrev_b32_e32 v8, v6, v5
	v_lshlrev_b32_e32 v6, 23, v6
	v_lshrrev_b32_e32 v8, 4, v8
	v_add_u32_e32 v7, 0x1000000, v5
	v_sub_u32_e32 v6, v8, v6
	v_ashrrev_i32_e32 v7, 8, v7
	v_add_u32_e32 v6, 0x3c000000, v6
	v_and_or_b32 v6, v7, s26, v6
	v_cmp_ne_u32_e32 vcc, 0, v5
	v_cndmask_b32_e32 v5, 0, v6, vcc
	v_and_or_b32 v4, v4, s27, v5
	v_bfe_u32 v5, v5, 16, 1
	v_add3_u32 v5, v4, v5, s28
	v_cmp_o_f32_e32 vcc, v4, v4
	v_mov_b32_e32 v4, 0x7fc0
	v_cndmask_b32_sdwa v5, v4, v5, vcc dst_sel:DWORD dst_unused:UNUSED_PAD src0_sel:DWORD src1_sel:WORD_1
.LBB239_1359:
	s_mov_b64 s[26:27], 0
.LBB239_1360:
	s_andn2_b64 vcc, exec, s[26:27]
	s_cbranch_vccnz .LBB239_1362
; %bb.1361:
	global_load_ubyte v4, v[0:1], off
	s_movk_i32 s26, 0x7f00
	s_brev_b32 s27, 16
	s_brev_b32 s28, 1
	s_movk_i32 s29, 0x7fff
	s_waitcnt vmcnt(0)
	v_lshlrev_b16_e32 v5, 8, v4
	v_lshlrev_b32_e32 v4, 25, v4
	v_lshrrev_b32_e32 v6, 4, v4
	v_and_or_b32 v7, v5, s26, 0.5
	v_or_b32_e32 v6, 0x70000000, v6
	v_add_f32_e32 v7, -0.5, v7
	v_mul_f32_e32 v6, 0x7800000, v6
	v_cmp_gt_u32_e32 vcc, s27, v4
	v_bfe_i32 v5, v5, 0, 16
	v_cndmask_b32_e32 v4, v6, v7, vcc
	v_and_or_b32 v5, v5, s28, v4
	v_bfe_u32 v4, v4, 16, 1
	v_add3_u32 v4, v5, v4, s29
	v_cmp_o_f32_e32 vcc, v5, v5
	v_mov_b32_e32 v5, 0x7fc0
	v_cndmask_b32_sdwa v5, v5, v4, vcc dst_sel:DWORD dst_unused:UNUSED_PAD src0_sel:DWORD src1_sel:WORD_1
.LBB239_1362:
	s_mov_b64 s[28:29], 0
	s_mov_b64 s[26:27], -1
.LBB239_1363:
	s_andn2_b64 vcc, exec, s[28:29]
	s_mov_b64 s[28:29], 0
	s_cbranch_vccnz .LBB239_1374
; %bb.1364:
	s_cmp_gt_i32 s37, 14
	s_cbranch_scc0 .LBB239_1367
; %bb.1365:
	s_cmp_eq_u32 s37, 15
	s_cbranch_scc0 .LBB239_1370
; %bb.1366:
	global_load_ushort v5, v[0:1], off
	s_mov_b64 s[22:23], 0
	s_mov_b64 s[26:27], -1
	s_branch .LBB239_1371
.LBB239_1367:
	s_mov_b64 s[30:31], -1
                                        ; implicit-def: $vgpr5
	s_branch .LBB239_1372
.LBB239_1368:
	s_or_saveexec_b64 s[28:29], s[28:29]
	v_mov_b32_e32 v5, 0x7f800001
	s_xor_b64 exec, exec, s[28:29]
	s_cbranch_execz .LBB239_1349
.LBB239_1369:
	v_cmp_ne_u16_e32 vcc, 0, v4
	s_andn2_b64 s[26:27], s[26:27], exec
	s_and_b64 s[30:31], vcc, exec
	v_mov_b32_e32 v5, 0
	s_or_b64 s[26:27], s[26:27], s[30:31]
	s_or_b64 exec, exec, s[28:29]
	s_and_saveexec_b64 s[28:29], s[26:27]
	s_cbranch_execnz .LBB239_1350
	s_branch .LBB239_1351
.LBB239_1370:
	s_mov_b64 s[22:23], -1
                                        ; implicit-def: $vgpr5
.LBB239_1371:
	s_mov_b64 s[30:31], 0
.LBB239_1372:
	s_and_b64 vcc, exec, s[30:31]
	s_cbranch_vccz .LBB239_1374
; %bb.1373:
	s_cmp_lg_u32 s37, 11
	s_cselect_b64 s[30:31], -1, 0
	s_andn2_b64 s[22:23], s[22:23], exec
	s_and_b64 s[30:31], s[30:31], exec
	s_mov_b64 s[28:29], -1
	s_or_b64 s[22:23], s[22:23], s[30:31]
.LBB239_1374:
	s_mov_b64 s[30:31], 0
.LBB239_1375:
	s_andn2_b64 s[20:21], s[20:21], exec
	s_and_b64 s[22:23], s[22:23], exec
	s_and_b64 s[26:27], s[26:27], exec
	;; [unrolled: 1-line block ×4, first 2 shown]
	s_or_b64 s[20:21], s[20:21], s[22:23]
	s_or_b64 exec, exec, s[0:1]
	s_and_saveexec_b64 s[0:1], s[20:21]
	s_cbranch_execz .LBB239_1304
.LBB239_1376:
	s_or_b64 s[24:25], s[24:25], exec
	s_andn2_b64 s[28:29], s[28:29], exec
	s_trap 2
	s_or_b64 exec, exec, s[0:1]
	s_and_saveexec_b64 s[0:1], s[28:29]
	s_xor_b64 s[0:1], exec, s[0:1]
	s_cbranch_execnz .LBB239_1305
.LBB239_1377:
	s_or_b64 exec, exec, s[0:1]
	s_and_saveexec_b64 s[0:1], s[34:35]
	s_cbranch_execz .LBB239_1423
.LBB239_1378:
	s_sext_i32_i16 s20, s36
	s_cmp_lt_i32 s20, 5
	s_cbranch_scc1 .LBB239_1383
; %bb.1379:
	s_cmp_lt_i32 s20, 8
	s_cbranch_scc1 .LBB239_1384
; %bb.1380:
	;; [unrolled: 3-line block ×3, first 2 shown]
	s_cmp_gt_i32 s20, 9
	s_cbranch_scc0 .LBB239_1386
; %bb.1382:
	global_load_dwordx2 v[4:5], v[0:1], off
	s_movk_i32 s20, 0x7fff
	s_waitcnt vmcnt(0)
	v_cvt_f32_f64_e32 v4, v[4:5]
	v_mov_b32_e32 v5, 0x7fc0
	v_bfe_u32 v6, v4, 16, 1
	v_cmp_o_f32_e32 vcc, v4, v4
	v_add3_u32 v4, v4, v6, s20
	v_cndmask_b32_sdwa v5, v5, v4, vcc dst_sel:DWORD dst_unused:UNUSED_PAD src0_sel:DWORD src1_sel:WORD_1
	s_mov_b64 s[20:21], 0
	s_branch .LBB239_1387
.LBB239_1383:
                                        ; implicit-def: $vgpr5
	s_branch .LBB239_1404
.LBB239_1384:
                                        ; implicit-def: $vgpr5
	s_branch .LBB239_1393
.LBB239_1385:
	s_mov_b64 s[20:21], -1
                                        ; implicit-def: $vgpr5
	s_branch .LBB239_1390
.LBB239_1386:
	s_mov_b64 s[20:21], -1
                                        ; implicit-def: $vgpr5
.LBB239_1387:
	s_andn2_b64 vcc, exec, s[20:21]
	s_cbranch_vccnz .LBB239_1389
; %bb.1388:
	global_load_dword v4, v[0:1], off
	s_movk_i32 s20, 0x7fff
	s_waitcnt vmcnt(1)
	v_mov_b32_e32 v5, 0x7fc0
	s_waitcnt vmcnt(0)
	v_bfe_u32 v6, v4, 16, 1
	v_cmp_o_f32_e32 vcc, v4, v4
	v_add3_u32 v4, v4, v6, s20
	v_cndmask_b32_sdwa v5, v5, v4, vcc dst_sel:DWORD dst_unused:UNUSED_PAD src0_sel:DWORD src1_sel:WORD_1
.LBB239_1389:
	s_mov_b64 s[20:21], 0
.LBB239_1390:
	s_andn2_b64 vcc, exec, s[20:21]
	s_cbranch_vccnz .LBB239_1392
; %bb.1391:
	global_load_dword v4, v[0:1], off
	s_movk_i32 s20, 0x7fff
	v_mov_b32_e32 v6, 0x7fc0
	s_waitcnt vmcnt(0)
	v_cvt_f32_f16_e32 v5, v4
	v_cmp_o_f16_e32 vcc, v4, v4
	v_bfe_u32 v4, v5, 16, 1
	v_add3_u32 v4, v5, v4, s20
	v_cndmask_b32_sdwa v5, v6, v4, vcc dst_sel:DWORD dst_unused:UNUSED_PAD src0_sel:DWORD src1_sel:WORD_1
.LBB239_1392:
	s_cbranch_execnz .LBB239_1403
.LBB239_1393:
	s_sext_i32_i16 s20, s36
	s_cmp_lt_i32 s20, 6
	s_cbranch_scc1 .LBB239_1396
; %bb.1394:
	s_cmp_gt_i32 s20, 6
	s_cbranch_scc0 .LBB239_1397
; %bb.1395:
	global_load_dwordx2 v[4:5], v[0:1], off
	s_movk_i32 s20, 0x7fff
	s_waitcnt vmcnt(0)
	v_cvt_f32_f64_e32 v4, v[4:5]
	v_mov_b32_e32 v5, 0x7fc0
	v_bfe_u32 v6, v4, 16, 1
	v_cmp_o_f32_e32 vcc, v4, v4
	v_add3_u32 v4, v4, v6, s20
	v_cndmask_b32_sdwa v5, v5, v4, vcc dst_sel:DWORD dst_unused:UNUSED_PAD src0_sel:DWORD src1_sel:WORD_1
	s_mov_b64 s[20:21], 0
	s_branch .LBB239_1398
.LBB239_1396:
	s_mov_b64 s[20:21], -1
                                        ; implicit-def: $vgpr5
	s_branch .LBB239_1401
.LBB239_1397:
	s_mov_b64 s[20:21], -1
                                        ; implicit-def: $vgpr5
.LBB239_1398:
	s_andn2_b64 vcc, exec, s[20:21]
	s_cbranch_vccnz .LBB239_1400
; %bb.1399:
	global_load_dword v4, v[0:1], off
	s_movk_i32 s20, 0x7fff
	s_waitcnt vmcnt(1)
	v_mov_b32_e32 v5, 0x7fc0
	s_waitcnt vmcnt(0)
	v_bfe_u32 v6, v4, 16, 1
	v_cmp_o_f32_e32 vcc, v4, v4
	v_add3_u32 v4, v4, v6, s20
	v_cndmask_b32_sdwa v5, v5, v4, vcc dst_sel:DWORD dst_unused:UNUSED_PAD src0_sel:DWORD src1_sel:WORD_1
.LBB239_1400:
	s_mov_b64 s[20:21], 0
.LBB239_1401:
	s_andn2_b64 vcc, exec, s[20:21]
	s_cbranch_vccnz .LBB239_1403
; %bb.1402:
	global_load_ushort v4, v[0:1], off
	s_movk_i32 s20, 0x7fff
	v_mov_b32_e32 v6, 0x7fc0
	s_waitcnt vmcnt(0)
	v_cvt_f32_f16_e32 v5, v4
	v_cmp_o_f16_e32 vcc, v4, v4
	v_bfe_u32 v4, v5, 16, 1
	v_add3_u32 v4, v5, v4, s20
	v_cndmask_b32_sdwa v5, v6, v4, vcc dst_sel:DWORD dst_unused:UNUSED_PAD src0_sel:DWORD src1_sel:WORD_1
.LBB239_1403:
	s_cbranch_execnz .LBB239_1422
.LBB239_1404:
	s_sext_i32_i16 s20, s36
	s_cmp_lt_i32 s20, 2
	s_cbranch_scc1 .LBB239_1408
; %bb.1405:
	s_cmp_lt_i32 s20, 3
	s_cbranch_scc1 .LBB239_1409
; %bb.1406:
	s_cmp_gt_i32 s20, 3
	s_cbranch_scc0 .LBB239_1410
; %bb.1407:
	global_load_dwordx2 v[4:5], v[0:1], off
	s_movk_i32 s20, 0x7fff
	s_waitcnt vmcnt(0)
	v_xor_b32_e32 v7, v4, v5
	v_ffbh_i32_e32 v6, v5
	v_ashrrev_i32_e32 v7, 31, v7
	v_add_u32_e32 v6, -1, v6
	v_add_u32_e32 v7, 32, v7
	v_min_u32_e32 v6, v6, v7
	v_lshlrev_b64 v[4:5], v6, v[4:5]
	v_min_u32_e32 v4, 1, v4
	v_or_b32_e32 v4, v5, v4
	v_cvt_f32_i32_e32 v4, v4
	v_sub_u32_e32 v5, 32, v6
	v_ldexp_f32 v4, v4, v5
	v_bfe_u32 v5, v4, 16, 1
	v_add3_u32 v4, v4, v5, s20
	v_lshrrev_b32_e32 v5, 16, v4
	s_mov_b64 s[20:21], 0
	s_branch .LBB239_1411
.LBB239_1408:
                                        ; implicit-def: $vgpr5
	s_branch .LBB239_1417
.LBB239_1409:
	s_mov_b64 s[20:21], -1
                                        ; implicit-def: $vgpr5
	s_branch .LBB239_1414
.LBB239_1410:
	s_mov_b64 s[20:21], -1
                                        ; implicit-def: $vgpr5
.LBB239_1411:
	s_andn2_b64 vcc, exec, s[20:21]
	s_cbranch_vccnz .LBB239_1413
; %bb.1412:
	global_load_dword v4, v[0:1], off
	s_movk_i32 s20, 0x7fff
	s_waitcnt vmcnt(0)
	v_cvt_f32_i32_e32 v4, v4
	v_bfe_u32 v5, v4, 16, 1
	v_add3_u32 v4, v4, v5, s20
	v_lshrrev_b32_e32 v5, 16, v4
.LBB239_1413:
	s_mov_b64 s[20:21], 0
.LBB239_1414:
	s_andn2_b64 vcc, exec, s[20:21]
	s_cbranch_vccnz .LBB239_1416
; %bb.1415:
	global_load_sshort v4, v[0:1], off
	s_movk_i32 s20, 0x7fff
	s_waitcnt vmcnt(0)
	v_cvt_f32_i32_e32 v4, v4
	v_bfe_u32 v5, v4, 16, 1
	v_add3_u32 v4, v4, v5, s20
	v_lshrrev_b32_e32 v5, 16, v4
.LBB239_1416:
	s_cbranch_execnz .LBB239_1422
.LBB239_1417:
	s_sext_i32_i16 s20, s36
	s_cmp_gt_i32 s20, 0
	s_cbranch_scc0 .LBB239_1419
; %bb.1418:
	global_load_sbyte v4, v[0:1], off
	s_movk_i32 s20, 0x7fff
	s_waitcnt vmcnt(0)
	v_cvt_f32_i32_e32 v4, v4
	v_bfe_u32 v5, v4, 16, 1
	v_add3_u32 v4, v4, v5, s20
	v_lshrrev_b32_e32 v5, 16, v4
	s_mov_b64 s[20:21], 0
	s_branch .LBB239_1420
.LBB239_1419:
	s_mov_b64 s[20:21], -1
                                        ; implicit-def: $vgpr5
.LBB239_1420:
	s_andn2_b64 vcc, exec, s[20:21]
	s_cbranch_vccnz .LBB239_1422
; %bb.1421:
	global_load_ubyte v0, v[0:1], off
	s_movk_i32 s20, 0x7fff
	s_waitcnt vmcnt(0)
	v_cvt_f32_ubyte0_e32 v0, v0
	v_bfe_u32 v1, v0, 16, 1
	v_add3_u32 v0, v0, v1, s20
	v_lshrrev_b32_e32 v5, 16, v0
.LBB239_1422:
	s_or_b64 s[26:27], s[26:27], exec
.LBB239_1423:
	s_or_b64 exec, exec, s[0:1]
	s_mov_b64 s[28:29], 0
	s_mov_b64 s[22:23], 0
                                        ; implicit-def: $sgpr34
                                        ; implicit-def: $vgpr0_vgpr1
                                        ; implicit-def: $vgpr4
	s_and_saveexec_b64 s[20:21], s[26:27]
	s_cbranch_execz .LBB239_1441
; %bb.1424:
	v_mul_lo_u32 v1, v2, s12
	s_waitcnt vmcnt(0)
	v_lshlrev_b32_e32 v0, 16, v3
	v_mov_b32_e32 v2, s33
	v_cmp_ge_f32_e32 vcc, s57, v0
	v_cndmask_b32_e32 v4, v5, v2, vcc
	v_ashrrev_i32_e32 v2, 31, v1
	v_mov_b32_e32 v3, s9
	s_and_b32 s34, s3, 0xff
	v_add_co_u32_e32 v0, vcc, s8, v1
	s_cmp_lt_i32 s34, 11
	v_addc_co_u32_e32 v1, vcc, v3, v2, vcc
	s_cbranch_scc1 .LBB239_1444
; %bb.1425:
	s_and_b32 s35, 0xffff, s34
	s_mov_b64 s[26:27], -1
	s_cmp_gt_i32 s35, 25
	s_mov_b64 s[0:1], s[18:19]
	s_cbranch_scc0 .LBB239_1462
; %bb.1426:
	s_mov_b64 s[22:23], -1
	s_cmp_gt_i32 s35, 28
	s_mov_b64 s[0:1], s[18:19]
	s_cbranch_scc0 .LBB239_1446
; %bb.1427:
	s_cmp_gt_i32 s35, 43
	s_mov_b64 s[0:1], s[18:19]
	s_cbranch_scc0 .LBB239_1438
; %bb.1428:
	;; [unrolled: 4-line block ×3, first 2 shown]
	s_cmp_eq_u32 s35, 46
	s_mov_b64 s[0:1], -1
	s_cbranch_scc0 .LBB239_1431
; %bb.1430:
	v_and_b32_e32 v2, 0xffff, v4
	global_store_dword v[0:1], v2, off
	s_mov_b64 s[0:1], 0
.LBB239_1431:
	s_mov_b64 s[22:23], 0
.LBB239_1432:
	s_and_b64 vcc, exec, s[22:23]
	s_cbranch_vccz .LBB239_1437
; %bb.1433:
	s_cmp_eq_u32 s35, 44
	s_mov_b64 s[0:1], -1
	s_cbranch_scc0 .LBB239_1437
; %bb.1434:
	v_and_b32_e32 v3, 0xffff, v4
	v_bfe_u32 v2, v3, 7, 8
	s_movk_i32 s0, 0xff
	v_cmp_ne_u32_e32 vcc, s0, v2
	v_mov_b32_e32 v5, 0xff
	s_and_saveexec_b64 s[22:23], vcc
	s_cbranch_execz .LBB239_1436
; %bb.1435:
	v_lshlrev_b32_e32 v6, 16, v3
	s_mov_b32 s0, 0x3f0000
	v_lshrrev_b32_e32 v5, 7, v3
	v_and_b32_e32 v3, 64, v3
	v_and_or_b32 v2, v6, s0, v2
	v_cmp_ne_u32_e32 vcc, 0, v3
	v_cmp_ne_u32_e64 s[0:1], 0, v2
	s_and_b64 s[0:1], vcc, s[0:1]
	v_cndmask_b32_e64 v2, 0, 1, s[0:1]
	v_add_u32_e32 v5, v5, v2
.LBB239_1436:
	s_or_b64 exec, exec, s[22:23]
	s_mov_b64 s[0:1], 0
	global_store_byte v[0:1], v5, off
.LBB239_1437:
	s_mov_b64 s[22:23], 0
.LBB239_1438:
	s_and_b64 vcc, exec, s[22:23]
	s_cbranch_vccz .LBB239_1445
; %bb.1439:
	s_cmp_eq_u32 s35, 29
	s_mov_b64 s[0:1], -1
	s_cbranch_scc0 .LBB239_1445
; %bb.1440:
	v_lshlrev_b32_e32 v2, 16, v4
	v_trunc_f32_e32 v2, v2
	v_mul_f32_e32 v3, 0x2f800000, v2
	v_floor_f32_e32 v5, v3
	v_fmac_f32_e32 v2, 0xcf800000, v5
	v_cvt_u32_f32_e32 v3, v5
	v_cvt_u32_f32_e32 v2, v2
	s_mov_b64 s[0:1], 0
	s_mov_b64 s[22:23], 0
	global_store_dwordx2 v[0:1], v[2:3], off
	s_branch .LBB239_1446
.LBB239_1441:
	s_or_b64 exec, exec, s[20:21]
	s_and_saveexec_b64 s[0:1], s[18:19]
	s_cbranch_execnz .LBB239_1504
.LBB239_1442:
	s_or_b64 exec, exec, s[0:1]
	s_and_saveexec_b64 s[0:1], s[28:29]
	s_xor_b64 s[0:1], exec, s[0:1]
	s_cbranch_execz .LBB239_1505
.LBB239_1443:
	s_waitcnt vmcnt(0)
	v_and_b32_e32 v2, 0x7fff, v4
	v_cmp_ne_u16_e32 vcc, 0, v2
	v_cndmask_b32_e64 v2, 0, 1, vcc
	global_store_byte v[0:1], v2, off
	s_or_b64 exec, exec, s[0:1]
	s_and_saveexec_b64 s[0:1], s[22:23]
	s_xor_b64 s[0:1], exec, s[0:1]
	s_cbranch_execz .LBB239_1543
	s_branch .LBB239_1506
.LBB239_1444:
	s_mov_b64 s[26:27], 0
	s_mov_b64 s[22:23], -1
	s_mov_b64 s[0:1], s[18:19]
	s_branch .LBB239_1503
.LBB239_1445:
	s_mov_b64 s[22:23], 0
.LBB239_1446:
	s_and_b64 vcc, exec, s[22:23]
	s_cbranch_vccz .LBB239_1461
; %bb.1447:
	s_cmp_lt_i32 s35, 27
	s_mov_b64 s[22:23], -1
	s_cbranch_scc1 .LBB239_1453
; %bb.1448:
	s_cmp_gt_i32 s35, 27
	s_cbranch_scc0 .LBB239_1450
; %bb.1449:
	v_lshlrev_b32_e32 v2, 16, v4
	v_cvt_u32_f32_e32 v2, v2
	s_mov_b64 s[22:23], 0
	global_store_dword v[0:1], v2, off
.LBB239_1450:
	s_andn2_b64 vcc, exec, s[22:23]
	s_cbranch_vccnz .LBB239_1452
; %bb.1451:
	v_lshlrev_b32_e32 v2, 16, v4
	v_cvt_u32_f32_e32 v2, v2
	global_store_short v[0:1], v2, off
.LBB239_1452:
	s_mov_b64 s[22:23], 0
.LBB239_1453:
	s_andn2_b64 vcc, exec, s[22:23]
	s_cbranch_vccnz .LBB239_1461
; %bb.1454:
	v_lshlrev_b32_e32 v5, 16, v4
	v_and_b32_e32 v3, 0x7fffffff, v5
	s_mov_b32 s22, 0x43800000
	v_cmp_gt_u32_e32 vcc, s22, v3
	v_mov_b32_e32 v6, 0x80
	s_and_saveexec_b64 s[22:23], vcc
	s_cbranch_execz .LBB239_1460
; %bb.1455:
	s_mov_b32 s26, 0x3bffffff
	v_and_b32_e32 v2, 0xffff, v4
	v_cmp_lt_u32_e32 vcc, s26, v3
	s_mov_b64 s[26:27], 0
                                        ; implicit-def: $vgpr3
	s_and_saveexec_b64 s[28:29], vcc
	s_xor_b64 s[28:29], exec, s[28:29]
	s_cbranch_execz .LBB239_1558
; %bb.1456:
	v_bfe_u32 v3, v2, 4, 1
	s_mov_b32 s30, 0x487ffff
	v_add3_u32 v3, v5, v3, s30
	s_mov_b64 s[26:27], exec
	v_lshrrev_b32_e32 v3, 20, v3
                                        ; implicit-def: $vgpr5
	s_andn2_saveexec_b64 s[28:29], s[28:29]
	s_cbranch_execnz .LBB239_1559
.LBB239_1457:
	s_or_b64 exec, exec, s[28:29]
	v_mov_b32_e32 v6, 0
	s_and_saveexec_b64 s[28:29], s[26:27]
.LBB239_1458:
	v_lshrrev_b32_e32 v2, 8, v2
	s_movk_i32 s26, 0x80
	v_and_or_b32 v6, v2, s26, v3
.LBB239_1459:
	s_or_b64 exec, exec, s[28:29]
.LBB239_1460:
	s_or_b64 exec, exec, s[22:23]
	global_store_byte v[0:1], v6, off
.LBB239_1461:
	s_mov_b64 s[26:27], 0
.LBB239_1462:
	s_mov_b64 s[22:23], 0
	s_and_b64 vcc, exec, s[26:27]
	s_cbranch_vccz .LBB239_1502
; %bb.1463:
	s_cmp_gt_i32 s35, 22
	s_mov_b64 s[26:27], -1
	s_cbranch_scc0 .LBB239_1495
; %bb.1464:
	s_cmp_lt_i32 s35, 24
	s_cbranch_scc1 .LBB239_1484
; %bb.1465:
	s_cmp_gt_i32 s35, 24
	s_cbranch_scc0 .LBB239_1473
; %bb.1466:
	v_lshlrev_b32_e32 v5, 16, v4
	v_and_b32_e32 v3, 0x7fffffff, v5
	s_mov_b32 s26, 0x47800000
	v_cmp_gt_u32_e32 vcc, s26, v3
	v_mov_b32_e32 v6, 0x80
	s_and_saveexec_b64 s[26:27], vcc
	s_cbranch_execz .LBB239_1472
; %bb.1467:
	s_mov_b32 s28, 0x37ffffff
	v_and_b32_e32 v2, 0xffff, v4
	v_cmp_lt_u32_e32 vcc, s28, v3
	s_mov_b64 s[28:29], 0
                                        ; implicit-def: $vgpr3
	s_and_saveexec_b64 s[30:31], vcc
	s_xor_b64 s[30:31], exec, s[30:31]
	s_cbranch_execz .LBB239_1682
; %bb.1468:
	v_bfe_u32 v3, v2, 5, 1
	s_mov_b32 s36, 0x88fffff
	v_add3_u32 v3, v5, v3, s36
	s_mov_b64 s[28:29], exec
	v_lshrrev_b32_e32 v3, 21, v3
                                        ; implicit-def: $vgpr5
	s_andn2_saveexec_b64 s[30:31], s[30:31]
	s_cbranch_execnz .LBB239_1683
.LBB239_1469:
	s_or_b64 exec, exec, s[30:31]
	v_mov_b32_e32 v6, 0
	s_and_saveexec_b64 s[30:31], s[28:29]
.LBB239_1470:
	v_lshrrev_b32_e32 v2, 8, v2
	s_movk_i32 s28, 0x80
	v_and_or_b32 v6, v2, s28, v3
.LBB239_1471:
	s_or_b64 exec, exec, s[30:31]
.LBB239_1472:
	s_or_b64 exec, exec, s[26:27]
	s_mov_b64 s[26:27], 0
	global_store_byte v[0:1], v6, off
.LBB239_1473:
	s_and_b64 vcc, exec, s[26:27]
	s_cbranch_vccz .LBB239_1483
; %bb.1474:
	v_lshlrev_b32_e32 v5, 16, v4
	v_and_b32_e32 v6, 0x7fffffff, v5
	s_mov_b32 s26, 0x43f00000
	v_and_b32_e32 v2, 0xffff, v4
	v_cmp_gt_u32_e32 vcc, s26, v6
                                        ; implicit-def: $vgpr3
	s_and_saveexec_b64 s[26:27], vcc
	s_xor_b64 s[26:27], exec, s[26:27]
	s_cbranch_execz .LBB239_1480
; %bb.1475:
	s_mov_b32 s28, 0x3c7fffff
	v_cmp_lt_u32_e32 vcc, s28, v6
                                        ; implicit-def: $vgpr3
	s_and_saveexec_b64 s[28:29], vcc
	s_xor_b64 s[28:29], exec, s[28:29]
; %bb.1476:
	v_bfe_u32 v3, v2, 4, 1
	s_mov_b32 s30, 0x407ffff
	v_add3_u32 v3, v5, v3, s30
	v_lshrrev_b32_e32 v5, 20, v3
	v_and_b32_e32 v3, 0xff00000, v3
	s_mov_b32 s30, 0x7f00000
	v_mov_b32_e32 v6, 0x7e
	v_cmp_ne_u32_e32 vcc, s30, v3
	v_cndmask_b32_e32 v3, v6, v5, vcc
                                        ; implicit-def: $vgpr5
; %bb.1477:
	s_andn2_saveexec_b64 s[28:29], s[28:29]
; %bb.1478:
	s_mov_b32 s30, 0x46800000
	v_add_f32_e64 v3, |v5|, s30
; %bb.1479:
	s_or_b64 exec, exec, s[28:29]
                                        ; implicit-def: $vgpr6
.LBB239_1480:
	s_andn2_saveexec_b64 s[26:27], s[26:27]
; %bb.1481:
	s_mov_b32 s28, 0x7f800000
	v_mov_b32_e32 v3, 0x7e
	v_mov_b32_e32 v5, 0x7f
	v_cmp_lt_u32_e32 vcc, s28, v6
	v_cndmask_b32_e32 v3, v3, v5, vcc
; %bb.1482:
	s_or_b64 exec, exec, s[26:27]
	v_lshrrev_b32_e32 v2, 8, v2
	s_movk_i32 s26, 0x80
	v_and_or_b32 v2, v2, s26, v3
	global_store_byte v[0:1], v2, off
.LBB239_1483:
	s_mov_b64 s[26:27], 0
.LBB239_1484:
	s_andn2_b64 vcc, exec, s[26:27]
	s_cbranch_vccnz .LBB239_1494
; %bb.1485:
	v_lshlrev_b32_e32 v5, 16, v4
	v_and_b32_e32 v6, 0x7fffffff, v5
	s_mov_b32 s26, 0x47800000
	v_and_b32_e32 v2, 0xffff, v4
	v_cmp_gt_u32_e32 vcc, s26, v6
                                        ; implicit-def: $vgpr3
	s_and_saveexec_b64 s[26:27], vcc
	s_xor_b64 s[26:27], exec, s[26:27]
	s_cbranch_execz .LBB239_1491
; %bb.1486:
	s_mov_b32 s28, 0x387fffff
	v_cmp_lt_u32_e32 vcc, s28, v6
                                        ; implicit-def: $vgpr3
	s_and_saveexec_b64 s[28:29], vcc
	s_xor_b64 s[28:29], exec, s[28:29]
; %bb.1487:
	v_bfe_u32 v3, v2, 5, 1
	s_mov_b32 s30, 0x80fffff
	v_add3_u32 v3, v5, v3, s30
	v_lshrrev_b32_e32 v3, 21, v3
                                        ; implicit-def: $vgpr5
; %bb.1488:
	s_andn2_saveexec_b64 s[28:29], s[28:29]
; %bb.1489:
	s_mov_b32 s30, 0x43000000
	v_add_f32_e64 v3, |v5|, s30
; %bb.1490:
	s_or_b64 exec, exec, s[28:29]
                                        ; implicit-def: $vgpr6
.LBB239_1491:
	s_andn2_saveexec_b64 s[26:27], s[26:27]
; %bb.1492:
	s_mov_b32 s28, 0x7f800000
	v_mov_b32_e32 v3, 0x7c
	v_mov_b32_e32 v5, 0x7f
	v_cmp_lt_u32_e32 vcc, s28, v6
	v_cndmask_b32_e32 v3, v3, v5, vcc
; %bb.1493:
	s_or_b64 exec, exec, s[26:27]
	v_lshrrev_b32_e32 v2, 8, v2
	s_movk_i32 s26, 0x80
	v_and_or_b32 v2, v2, s26, v3
	global_store_byte v[0:1], v2, off
.LBB239_1494:
	s_mov_b64 s[26:27], 0
.LBB239_1495:
	s_andn2_b64 vcc, exec, s[26:27]
	s_mov_b64 s[26:27], 0
	s_cbranch_vccnz .LBB239_1503
; %bb.1496:
	s_cmp_gt_i32 s35, 14
	s_mov_b64 s[28:29], -1
	s_cbranch_scc0 .LBB239_1500
; %bb.1497:
	s_cmp_eq_u32 s35, 15
	s_mov_b64 s[0:1], -1
	s_cbranch_scc0 .LBB239_1499
; %bb.1498:
	global_store_short v[0:1], v4, off
	s_mov_b64 s[0:1], 0
.LBB239_1499:
	s_mov_b64 s[28:29], 0
.LBB239_1500:
	s_and_b64 vcc, exec, s[28:29]
	s_cbranch_vccz .LBB239_1503
; %bb.1501:
	s_cmp_lg_u32 s35, 11
	s_cselect_b64 s[28:29], -1, 0
	s_andn2_b64 s[0:1], s[0:1], exec
	s_and_b64 s[28:29], s[28:29], exec
	s_mov_b64 s[26:27], -1
	s_or_b64 s[0:1], s[0:1], s[28:29]
	s_branch .LBB239_1503
.LBB239_1502:
	s_mov_b64 s[26:27], 0
.LBB239_1503:
	s_andn2_b64 s[18:19], s[18:19], exec
	s_and_b64 s[0:1], s[0:1], exec
	s_and_b64 s[22:23], s[22:23], exec
	;; [unrolled: 1-line block ×3, first 2 shown]
	s_or_b64 s[18:19], s[18:19], s[0:1]
	s_or_b64 exec, exec, s[20:21]
	s_and_saveexec_b64 s[0:1], s[18:19]
	s_cbranch_execz .LBB239_1442
.LBB239_1504:
	s_or_b64 s[24:25], s[24:25], exec
	s_andn2_b64 s[28:29], s[28:29], exec
	s_trap 2
	s_or_b64 exec, exec, s[0:1]
	s_and_saveexec_b64 s[0:1], s[28:29]
	s_xor_b64 s[0:1], exec, s[0:1]
	s_cbranch_execnz .LBB239_1443
.LBB239_1505:
	s_or_b64 exec, exec, s[0:1]
	s_and_saveexec_b64 s[0:1], s[22:23]
	s_xor_b64 s[0:1], exec, s[0:1]
	s_cbranch_execz .LBB239_1543
.LBB239_1506:
	s_sext_i32_i16 s20, s34
	s_cmp_lt_i32 s20, 5
	s_mov_b64 s[18:19], -1
	s_cbranch_scc1 .LBB239_1527
; %bb.1507:
	s_cmp_lt_i32 s20, 8
	s_cbranch_scc1 .LBB239_1517
; %bb.1508:
	s_cmp_lt_i32 s20, 9
	s_cbranch_scc1 .LBB239_1514
; %bb.1509:
	s_cmp_gt_i32 s20, 9
	s_cbranch_scc0 .LBB239_1511
; %bb.1510:
	s_waitcnt vmcnt(0)
	v_lshlrev_b32_e32 v2, 16, v4
	v_cvt_f64_f32_e32 v[5:6], v2
	v_mov_b32_e32 v7, 0
	v_mov_b32_e32 v8, v7
	s_mov_b64 s[18:19], 0
	global_store_dwordx4 v[0:1], v[5:8], off
.LBB239_1511:
	s_andn2_b64 vcc, exec, s[18:19]
	s_cbranch_vccnz .LBB239_1513
; %bb.1512:
	s_waitcnt vmcnt(0)
	v_lshlrev_b32_e32 v2, 16, v4
	v_mov_b32_e32 v3, 0
	global_store_dwordx2 v[0:1], v[2:3], off
.LBB239_1513:
	s_mov_b64 s[18:19], 0
.LBB239_1514:
	s_andn2_b64 vcc, exec, s[18:19]
	s_cbranch_vccnz .LBB239_1516
; %bb.1515:
	s_waitcnt vmcnt(0)
	v_lshlrev_b32_e32 v2, 16, v4
	v_cvt_f16_f32_e32 v2, v2
	global_store_dword v[0:1], v2, off
.LBB239_1516:
	s_mov_b64 s[18:19], 0
.LBB239_1517:
	s_andn2_b64 vcc, exec, s[18:19]
	s_cbranch_vccnz .LBB239_1526
; %bb.1518:
	s_sext_i32_i16 s20, s34
	s_cmp_lt_i32 s20, 6
	s_mov_b64 s[18:19], -1
	s_cbranch_scc1 .LBB239_1524
; %bb.1519:
	s_cmp_gt_i32 s20, 6
	s_cbranch_scc0 .LBB239_1521
; %bb.1520:
	s_waitcnt vmcnt(0)
	v_lshlrev_b32_e32 v2, 16, v4
	v_cvt_f64_f32_e32 v[2:3], v2
	s_mov_b64 s[18:19], 0
	global_store_dwordx2 v[0:1], v[2:3], off
.LBB239_1521:
	s_andn2_b64 vcc, exec, s[18:19]
	s_cbranch_vccnz .LBB239_1523
; %bb.1522:
	s_waitcnt vmcnt(0)
	v_lshlrev_b32_e32 v2, 16, v4
	global_store_dword v[0:1], v2, off
.LBB239_1523:
	s_mov_b64 s[18:19], 0
.LBB239_1524:
	s_andn2_b64 vcc, exec, s[18:19]
	s_cbranch_vccnz .LBB239_1526
; %bb.1525:
	s_waitcnt vmcnt(0)
	v_lshlrev_b32_e32 v2, 16, v4
	v_cvt_f16_f32_e32 v2, v2
	global_store_short v[0:1], v2, off
.LBB239_1526:
	s_mov_b64 s[18:19], 0
.LBB239_1527:
	s_andn2_b64 vcc, exec, s[18:19]
	s_cbranch_vccnz .LBB239_1543
; %bb.1528:
	s_sext_i32_i16 s20, s34
	s_cmp_lt_i32 s20, 2
	s_mov_b64 s[18:19], -1
	s_cbranch_scc1 .LBB239_1538
; %bb.1529:
	s_cmp_lt_i32 s20, 3
	s_cbranch_scc1 .LBB239_1535
; %bb.1530:
	s_cmp_gt_i32 s20, 3
	s_cbranch_scc0 .LBB239_1532
; %bb.1531:
	s_waitcnt vmcnt(0)
	v_lshlrev_b32_e32 v2, 16, v4
	v_trunc_f32_e32 v2, v2
	s_mov_b32 s18, 0x2f800000
	v_mul_f32_e64 v3, |v2|, s18
	v_floor_f32_e32 v3, v3
	s_mov_b32 s18, 0xcf800000
	v_cvt_u32_f32_e32 v5, v3
	v_fma_f32 v3, v3, s18, |v2|
	v_cvt_u32_f32_e32 v3, v3
	v_ashrrev_i32_e32 v6, 31, v2
	v_xor_b32_e32 v5, v5, v6
	s_mov_b64 s[18:19], 0
	v_xor_b32_e32 v2, v3, v6
	v_sub_co_u32_e32 v2, vcc, v2, v6
	v_subb_co_u32_e32 v3, vcc, v5, v6, vcc
	global_store_dwordx2 v[0:1], v[2:3], off
.LBB239_1532:
	s_andn2_b64 vcc, exec, s[18:19]
	s_cbranch_vccnz .LBB239_1534
; %bb.1533:
	s_waitcnt vmcnt(0)
	v_lshlrev_b32_e32 v2, 16, v4
	v_cvt_i32_f32_e32 v2, v2
	global_store_dword v[0:1], v2, off
.LBB239_1534:
	s_mov_b64 s[18:19], 0
.LBB239_1535:
	s_andn2_b64 vcc, exec, s[18:19]
	s_cbranch_vccnz .LBB239_1537
; %bb.1536:
	s_waitcnt vmcnt(0)
	v_lshlrev_b32_e32 v2, 16, v4
	v_cvt_i32_f32_e32 v2, v2
	global_store_short v[0:1], v2, off
.LBB239_1537:
	s_mov_b64 s[18:19], 0
.LBB239_1538:
	s_andn2_b64 vcc, exec, s[18:19]
	s_cbranch_vccnz .LBB239_1543
; %bb.1539:
	s_sext_i32_i16 s20, s34
	s_mov_b64 s[18:19], -1
	s_cmp_gt_i32 s20, 0
	s_waitcnt vmcnt(0)
	v_lshlrev_b32_e32 v2, 16, v4
	s_cbranch_scc0 .LBB239_1541
; %bb.1540:
	v_cvt_i32_f32_e32 v3, v2
	s_mov_b64 s[18:19], 0
	global_store_byte v[0:1], v3, off
.LBB239_1541:
	s_andn2_b64 vcc, exec, s[18:19]
	s_cbranch_vccnz .LBB239_1543
; %bb.1542:
	v_trunc_f32_e32 v2, v2
	s_mov_b32 s18, 0x2f800000
	v_mul_f32_e64 v3, |v2|, s18
	v_floor_f32_e32 v3, v3
	s_mov_b32 s18, 0xcf800000
	v_fma_f32 v3, v3, s18, |v2|
	v_cvt_u32_f32_e32 v3, v3
	v_ashrrev_i32_e32 v2, 31, v2
	v_xor_b32_e32 v3, v3, v2
	v_sub_u32_e32 v2, v3, v2
	global_store_byte v[0:1], v2, off
.LBB239_1543:
	s_or_b64 exec, exec, s[0:1]
	s_and_b64 s[18:19], s[24:25], exec
                                        ; implicit-def: $vgpr2
.LBB239_1544:
	s_or_saveexec_b64 s[6:7], s[6:7]
	s_mov_b64 s[0:1], 0
                                        ; implicit-def: $sgpr22
                                        ; implicit-def: $vgpr0_vgpr1
                                        ; implicit-def: $vgpr4
	s_xor_b64 exec, exec, s[6:7]
	s_cbranch_execz .LBB239_3013
; %bb.1545:
	s_waitcnt vmcnt(0)
	v_mul_lo_u32 v5, s13, v2
	v_mov_b32_e32 v1, s11
	s_and_b32 s28, s56, 0xff
	s_cmp_lt_i32 s28, 11
	v_ashrrev_i32_e32 v3, 31, v5
	v_add_co_u32_e32 v0, vcc, s10, v5
	v_addc_co_u32_e32 v1, vcc, v1, v3, vcc
	s_cbranch_scc1 .LBB239_1552
; %bb.1546:
	s_and_b32 s26, 0xffff, s28
	s_cmp_gt_i32 s26, 25
	s_cbranch_scc0 .LBB239_1554
; %bb.1547:
	s_cmp_gt_i32 s26, 28
	s_cbranch_scc0 .LBB239_1555
; %bb.1548:
	;; [unrolled: 3-line block ×4, first 2 shown]
	s_cmp_eq_u32 s26, 46
	s_mov_b64 s[20:21], 0
	s_cbranch_scc0 .LBB239_1560
; %bb.1551:
	global_load_dword v3, v[0:1], off
	s_mov_b64 s[22:23], -1
	s_branch .LBB239_1561
.LBB239_1552:
	s_mov_b64 s[22:23], 0
                                        ; implicit-def: $vgpr3
	s_mov_b64 s[20:21], s[18:19]
	s_cbranch_execnz .LBB239_1623
.LBB239_1553:
	s_andn2_b64 vcc, exec, s[22:23]
	s_cbranch_vccz .LBB239_1668
	s_branch .LBB239_3011
.LBB239_1554:
	s_mov_b64 s[22:23], 0
                                        ; implicit-def: $vgpr3
	s_cbranch_execnz .LBB239_1588
	s_branch .LBB239_1619
.LBB239_1555:
	s_mov_b64 s[22:23], 0
                                        ; implicit-def: $vgpr3
	s_cbranch_execz .LBB239_1587
	s_branch .LBB239_1570
.LBB239_1556:
	s_mov_b64 s[22:23], 0
                                        ; implicit-def: $vgpr3
	s_cbranch_execnz .LBB239_1566
	s_branch .LBB239_1569
.LBB239_1557:
	s_mov_b64 s[20:21], -1
	s_mov_b64 s[22:23], 0
                                        ; implicit-def: $vgpr3
	s_branch .LBB239_1561
.LBB239_1558:
	s_andn2_saveexec_b64 s[28:29], s[28:29]
	s_cbranch_execz .LBB239_1457
.LBB239_1559:
	s_mov_b32 s30, 0x46000000
	v_add_f32_e64 v3, |v5|, s30
	v_and_b32_e32 v3, 0xff, v3
	v_cmp_ne_u32_e32 vcc, 0, v3
	s_andn2_b64 s[26:27], s[26:27], exec
	s_and_b64 s[30:31], vcc, exec
	s_or_b64 s[26:27], s[26:27], s[30:31]
	s_or_b64 exec, exec, s[28:29]
	v_mov_b32_e32 v6, 0
	s_and_saveexec_b64 s[28:29], s[26:27]
	s_cbranch_execnz .LBB239_1458
	s_branch .LBB239_1459
.LBB239_1560:
	s_mov_b64 s[0:1], -1
                                        ; implicit-def: $vgpr3
	s_mov_b64 s[22:23], 0
.LBB239_1561:
	s_and_b64 vcc, exec, s[20:21]
	s_cbranch_vccz .LBB239_1564
; %bb.1562:
	s_cmp_eq_u32 s26, 44
	s_cbranch_scc0 .LBB239_1565
; %bb.1563:
	global_load_ubyte v3, v[0:1], off
	s_movk_i32 s20, 0xff
	v_mov_b32_e32 v4, 0x7f800001
	v_mov_b32_e32 v6, 0x400000
	;; [unrolled: 1-line block ×3, first 2 shown]
	s_mov_b64 s[0:1], 0
	s_mov_b64 s[22:23], -1
	s_waitcnt vmcnt(0)
	v_lshlrev_b32_e32 v8, 23, v3
	v_cmp_ne_u32_e32 vcc, s20, v3
	v_cndmask_b32_e32 v4, v4, v8, vcc
	v_cmp_ne_u32_e32 vcc, 0, v3
	v_cndmask_b32_e32 v3, v6, v4, vcc
	v_add_u32_e32 v4, 0x7fff, v3
	v_cmp_o_f32_e32 vcc, v3, v3
	v_cndmask_b32_sdwa v3, v7, v4, vcc dst_sel:DWORD dst_unused:UNUSED_PAD src0_sel:DWORD src1_sel:WORD_1
.LBB239_1564:
	s_branch .LBB239_1569
.LBB239_1565:
	s_mov_b64 s[0:1], -1
                                        ; implicit-def: $vgpr3
	s_branch .LBB239_1569
.LBB239_1566:
	s_cmp_eq_u32 s26, 29
	s_cbranch_scc0 .LBB239_1568
; %bb.1567:
	global_load_dwordx2 v[3:4], v[0:1], off
	s_movk_i32 s20, 0x7fff
	s_mov_b64 s[0:1], 0
	s_mov_b64 s[22:23], -1
	s_waitcnt vmcnt(0)
	v_ffbh_u32_e32 v6, v4
	v_min_u32_e32 v6, 32, v6
	v_lshlrev_b64 v[3:4], v6, v[3:4]
	v_min_u32_e32 v3, 1, v3
	v_or_b32_e32 v3, v4, v3
	v_cvt_f32_u32_e32 v3, v3
	v_sub_u32_e32 v4, 32, v6
	v_ldexp_f32 v3, v3, v4
	v_bfe_u32 v4, v3, 16, 1
	v_add3_u32 v3, v3, v4, s20
	v_lshrrev_b32_e32 v3, 16, v3
	s_branch .LBB239_1569
.LBB239_1568:
	s_mov_b64 s[0:1], -1
                                        ; implicit-def: $vgpr3
.LBB239_1569:
	s_branch .LBB239_1587
.LBB239_1570:
	s_cmp_lt_i32 s26, 27
	s_cbranch_scc1 .LBB239_1573
; %bb.1571:
	s_cmp_gt_i32 s26, 27
	s_cbranch_scc0 .LBB239_1574
; %bb.1572:
	global_load_dword v3, v[0:1], off
	s_movk_i32 s20, 0x7fff
	s_waitcnt vmcnt(0)
	v_cvt_f32_u32_e32 v3, v3
	v_bfe_u32 v4, v3, 16, 1
	v_add3_u32 v3, v3, v4, s20
	v_lshrrev_b32_e32 v3, 16, v3
	s_mov_b64 s[20:21], 0
	s_branch .LBB239_1575
.LBB239_1573:
	s_mov_b64 s[20:21], -1
                                        ; implicit-def: $vgpr3
	s_branch .LBB239_1578
.LBB239_1574:
	s_mov_b64 s[20:21], -1
                                        ; implicit-def: $vgpr3
.LBB239_1575:
	s_andn2_b64 vcc, exec, s[20:21]
	s_cbranch_vccnz .LBB239_1577
; %bb.1576:
	global_load_ushort v3, v[0:1], off
	s_movk_i32 s20, 0x7fff
	s_waitcnt vmcnt(0)
	v_cvt_f32_u32_e32 v3, v3
	v_bfe_u32 v4, v3, 16, 1
	v_add3_u32 v3, v3, v4, s20
	v_lshrrev_b32_e32 v3, 16, v3
.LBB239_1577:
	s_mov_b64 s[20:21], 0
.LBB239_1578:
	s_andn2_b64 vcc, exec, s[20:21]
	s_cbranch_vccnz .LBB239_1586
; %bb.1579:
	global_load_ubyte v3, v[0:1], off
	s_movk_i32 s20, 0x7f
	s_waitcnt vmcnt(0)
	v_cmp_lt_i16_e32 vcc, s20, v3
	s_mov_b64 s[20:21], 0
	s_and_saveexec_b64 s[22:23], vcc
	s_xor_b64 s[22:23], exec, s[22:23]
	s_cbranch_execz .LBB239_1599
; %bb.1580:
	s_movk_i32 s20, 0x80
	v_cmp_eq_u16_e32 vcc, s20, v3
	s_mov_b64 s[20:21], -1
	s_and_saveexec_b64 s[24:25], vcc
; %bb.1581:
	s_xor_b64 s[20:21], exec, -1
; %bb.1582:
	s_or_b64 exec, exec, s[24:25]
	s_and_b64 s[20:21], s[20:21], exec
	s_or_saveexec_b64 s[22:23], s[22:23]
	v_mov_b32_e32 v4, 0x7f800001
	s_xor_b64 exec, exec, s[22:23]
	s_cbranch_execnz .LBB239_1600
.LBB239_1583:
	s_or_b64 exec, exec, s[22:23]
	s_and_saveexec_b64 s[22:23], s[20:21]
	s_cbranch_execz .LBB239_1585
.LBB239_1584:
	v_lshlrev_b32_e32 v4, 24, v3
	v_and_b32_e32 v3, 0xffff, v3
	v_and_b32_e32 v6, 7, v3
	v_ffbh_u32_e32 v8, v6
	v_min_u32_e32 v8, 32, v8
	v_subrev_u32_e32 v9, 28, v8
	v_bfe_u32 v7, v3, 3, 4
	v_lshlrev_b32_e32 v3, v9, v3
	v_sub_u32_e32 v8, 29, v8
	v_and_b32_e32 v3, 7, v3
	v_cmp_eq_u32_e32 vcc, 0, v7
	v_cndmask_b32_e32 v7, v7, v8, vcc
	v_cndmask_b32_e32 v3, v6, v3, vcc
	v_mov_b32_e32 v6, 0x3b800000
	v_lshlrev_b32_e32 v3, 20, v3
	v_and_b32_e32 v4, 0x80000000, v4
	v_lshl_add_u32 v6, v7, 23, v6
	v_or3_b32 v4, v4, v6, v3
.LBB239_1585:
	s_or_b64 exec, exec, s[22:23]
	v_bfe_u32 v3, v4, 16, 1
	s_movk_i32 s20, 0x7fff
	v_add3_u32 v3, v4, v3, s20
	v_cmp_o_f32_e32 vcc, v4, v4
	v_mov_b32_e32 v4, 0x7fc0
	v_cndmask_b32_sdwa v3, v4, v3, vcc dst_sel:DWORD dst_unused:UNUSED_PAD src0_sel:DWORD src1_sel:WORD_1
.LBB239_1586:
	s_mov_b64 s[22:23], -1
.LBB239_1587:
	s_branch .LBB239_1619
.LBB239_1588:
	s_cmp_gt_i32 s26, 22
	s_cbranch_scc0 .LBB239_1598
; %bb.1589:
	s_cmp_lt_i32 s26, 24
	s_cbranch_scc1 .LBB239_1601
; %bb.1590:
	s_cmp_gt_i32 s26, 24
	s_cbranch_scc0 .LBB239_1602
; %bb.1591:
	global_load_ubyte v3, v[0:1], off
	s_movk_i32 s4, 0x7f
	s_waitcnt vmcnt(0)
	v_cmp_lt_i16_e32 vcc, s4, v3
	s_mov_b64 s[4:5], 0
	s_and_saveexec_b64 s[20:21], vcc
	s_xor_b64 s[20:21], exec, s[20:21]
	s_cbranch_execz .LBB239_1613
; %bb.1592:
	s_movk_i32 s4, 0x80
	v_cmp_eq_u16_e32 vcc, s4, v3
	s_mov_b64 s[4:5], -1
	s_and_saveexec_b64 s[22:23], vcc
; %bb.1593:
	s_xor_b64 s[4:5], exec, -1
; %bb.1594:
	s_or_b64 exec, exec, s[22:23]
	s_and_b64 s[4:5], s[4:5], exec
	s_or_saveexec_b64 s[20:21], s[20:21]
	v_mov_b32_e32 v4, 0x7f800001
	s_xor_b64 exec, exec, s[20:21]
	s_cbranch_execnz .LBB239_1614
.LBB239_1595:
	s_or_b64 exec, exec, s[20:21]
	s_and_saveexec_b64 s[20:21], s[4:5]
	s_cbranch_execz .LBB239_1597
.LBB239_1596:
	v_lshlrev_b32_e32 v4, 24, v3
	v_and_b32_e32 v3, 0xffff, v3
	v_and_b32_e32 v6, 3, v3
	v_ffbh_u32_e32 v8, v6
	v_min_u32_e32 v8, 32, v8
	v_subrev_u32_e32 v9, 29, v8
	v_bfe_u32 v7, v3, 2, 5
	v_lshlrev_b32_e32 v3, v9, v3
	v_sub_u32_e32 v8, 30, v8
	v_and_b32_e32 v3, 3, v3
	v_cmp_eq_u32_e32 vcc, 0, v7
	v_cndmask_b32_e32 v7, v7, v8, vcc
	v_cndmask_b32_e32 v3, v6, v3, vcc
	v_mov_b32_e32 v6, 0x37800000
	v_lshlrev_b32_e32 v3, 21, v3
	v_and_b32_e32 v4, 0x80000000, v4
	v_lshl_add_u32 v6, v7, 23, v6
	v_or3_b32 v4, v4, v6, v3
.LBB239_1597:
	s_or_b64 exec, exec, s[20:21]
	v_bfe_u32 v3, v4, 16, 1
	s_movk_i32 s4, 0x7fff
	v_add3_u32 v3, v4, v3, s4
	v_cmp_o_f32_e32 vcc, v4, v4
	v_mov_b32_e32 v4, 0x7fc0
	v_cndmask_b32_sdwa v3, v4, v3, vcc dst_sel:DWORD dst_unused:UNUSED_PAD src0_sel:DWORD src1_sel:WORD_1
	s_mov_b64 s[4:5], 0
	s_branch .LBB239_1603
.LBB239_1598:
                                        ; implicit-def: $vgpr3
	s_mov_b64 s[4:5], 0
	s_branch .LBB239_1609
.LBB239_1599:
	s_or_saveexec_b64 s[22:23], s[22:23]
	v_mov_b32_e32 v4, 0x7f800001
	s_xor_b64 exec, exec, s[22:23]
	s_cbranch_execz .LBB239_1583
.LBB239_1600:
	v_cmp_ne_u16_e32 vcc, 0, v3
	s_andn2_b64 s[20:21], s[20:21], exec
	s_and_b64 s[24:25], vcc, exec
	v_mov_b32_e32 v4, 0
	s_or_b64 s[20:21], s[20:21], s[24:25]
	s_or_b64 exec, exec, s[22:23]
	s_and_saveexec_b64 s[22:23], s[20:21]
	s_cbranch_execnz .LBB239_1584
	s_branch .LBB239_1585
.LBB239_1601:
	s_mov_b64 s[4:5], -1
                                        ; implicit-def: $vgpr3
	s_branch .LBB239_1606
.LBB239_1602:
	s_mov_b64 s[4:5], -1
                                        ; implicit-def: $vgpr3
.LBB239_1603:
	s_and_b64 vcc, exec, s[4:5]
	s_cbranch_vccz .LBB239_1605
; %bb.1604:
	global_load_ubyte v3, v[0:1], off
	s_mov_b32 s4, 0x7f800000
	s_brev_b32 s5, 1
	s_movk_i32 s20, 0x7fff
	s_waitcnt vmcnt(0)
	v_lshlrev_b32_e32 v3, 24, v3
	v_and_b32_e32 v4, 0x7f000000, v3
	v_ffbh_u32_e32 v6, v4
	v_min_u32_e32 v6, 32, v6
	v_sub_u32_e64 v6, v6, 4 clamp
	v_lshlrev_b32_e32 v8, v6, v4
	v_lshlrev_b32_e32 v6, 23, v6
	v_lshrrev_b32_e32 v8, 4, v8
	v_add_u32_e32 v7, 0x1000000, v4
	v_sub_u32_e32 v6, v8, v6
	v_ashrrev_i32_e32 v7, 8, v7
	v_add_u32_e32 v6, 0x3c000000, v6
	v_and_or_b32 v6, v7, s4, v6
	v_cmp_ne_u32_e32 vcc, 0, v4
	v_cndmask_b32_e32 v4, 0, v6, vcc
	v_and_or_b32 v3, v3, s5, v4
	v_bfe_u32 v4, v4, 16, 1
	v_add3_u32 v4, v3, v4, s20
	v_cmp_o_f32_e32 vcc, v3, v3
	v_mov_b32_e32 v3, 0x7fc0
	v_cndmask_b32_sdwa v3, v3, v4, vcc dst_sel:DWORD dst_unused:UNUSED_PAD src0_sel:DWORD src1_sel:WORD_1
.LBB239_1605:
	s_mov_b64 s[4:5], 0
.LBB239_1606:
	s_andn2_b64 vcc, exec, s[4:5]
	s_cbranch_vccnz .LBB239_1608
; %bb.1607:
	global_load_ubyte v3, v[0:1], off
	s_movk_i32 s4, 0x7f00
	s_brev_b32 s5, 16
	s_brev_b32 s20, 1
	s_movk_i32 s21, 0x7fff
	s_waitcnt vmcnt(0)
	v_lshlrev_b16_e32 v4, 8, v3
	v_lshlrev_b32_e32 v3, 25, v3
	v_lshrrev_b32_e32 v6, 4, v3
	v_and_or_b32 v7, v4, s4, 0.5
	v_or_b32_e32 v6, 0x70000000, v6
	v_add_f32_e32 v7, -0.5, v7
	v_mul_f32_e32 v6, 0x7800000, v6
	v_cmp_gt_u32_e32 vcc, s5, v3
	v_bfe_i32 v4, v4, 0, 16
	v_cndmask_b32_e32 v3, v6, v7, vcc
	v_and_or_b32 v4, v4, s20, v3
	v_bfe_u32 v3, v3, 16, 1
	v_add3_u32 v3, v4, v3, s21
	v_cmp_o_f32_e32 vcc, v4, v4
	v_mov_b32_e32 v4, 0x7fc0
	v_cndmask_b32_sdwa v3, v4, v3, vcc dst_sel:DWORD dst_unused:UNUSED_PAD src0_sel:DWORD src1_sel:WORD_1
.LBB239_1608:
	s_mov_b64 s[22:23], -1
	s_mov_b64 s[4:5], 0
	s_cbranch_execnz .LBB239_1619
.LBB239_1609:
	s_cmp_gt_i32 s26, 14
	s_cbranch_scc0 .LBB239_1612
; %bb.1610:
	s_cmp_eq_u32 s26, 15
	s_cbranch_scc0 .LBB239_1615
; %bb.1611:
	global_load_ushort v3, v[0:1], off
	s_mov_b64 s[0:1], 0
	s_mov_b64 s[22:23], -1
	s_branch .LBB239_1616
.LBB239_1612:
	s_mov_b64 s[20:21], -1
                                        ; implicit-def: $vgpr3
	s_branch .LBB239_1617
.LBB239_1613:
	s_or_saveexec_b64 s[20:21], s[20:21]
	v_mov_b32_e32 v4, 0x7f800001
	s_xor_b64 exec, exec, s[20:21]
	s_cbranch_execz .LBB239_1595
.LBB239_1614:
	v_cmp_ne_u16_e32 vcc, 0, v3
	s_andn2_b64 s[4:5], s[4:5], exec
	s_and_b64 s[22:23], vcc, exec
	v_mov_b32_e32 v4, 0
	s_or_b64 s[4:5], s[4:5], s[22:23]
	s_or_b64 exec, exec, s[20:21]
	s_and_saveexec_b64 s[20:21], s[4:5]
	s_cbranch_execnz .LBB239_1596
	s_branch .LBB239_1597
.LBB239_1615:
	s_mov_b64 s[0:1], -1
                                        ; implicit-def: $vgpr3
.LBB239_1616:
	s_mov_b64 s[20:21], 0
.LBB239_1617:
	s_and_b64 vcc, exec, s[20:21]
	s_cbranch_vccz .LBB239_1619
; %bb.1618:
	s_cmp_lg_u32 s26, 11
	s_mov_b64 s[4:5], -1
	s_cselect_b64 s[0:1], -1, 0
.LBB239_1619:
	s_and_b64 vcc, exec, s[0:1]
	s_mov_b64 s[20:21], s[18:19]
	s_cbranch_vccnz .LBB239_1680
; %bb.1620:
	s_andn2_b64 vcc, exec, s[4:5]
	s_cbranch_vccnz .LBB239_1622
.LBB239_1621:
	global_load_ubyte v3, v[0:1], off
	s_mov_b64 s[22:23], -1
	s_waitcnt vmcnt(0)
	v_cmp_ne_u16_e32 vcc, 0, v3
	v_cndmask_b32_e64 v3, 0, 1.0, vcc
	v_lshrrev_b32_e32 v3, 16, v3
.LBB239_1622:
	s_branch .LBB239_1553
.LBB239_1623:
	s_and_b32 s4, 0xffff, s28
	s_cmp_lt_i32 s4, 5
	s_cbranch_scc1 .LBB239_1628
; %bb.1624:
	s_cmp_lt_i32 s4, 8
	s_cbranch_scc1 .LBB239_1629
; %bb.1625:
	;; [unrolled: 3-line block ×3, first 2 shown]
	s_cmp_gt_i32 s4, 9
	s_cbranch_scc0 .LBB239_1631
; %bb.1627:
	global_load_dwordx2 v[3:4], v[0:1], off
	s_movk_i32 s0, 0x7fff
	s_waitcnt vmcnt(0)
	v_cvt_f32_f64_e32 v3, v[3:4]
	v_mov_b32_e32 v4, 0x7fc0
	v_bfe_u32 v6, v3, 16, 1
	v_cmp_o_f32_e32 vcc, v3, v3
	v_add3_u32 v3, v3, v6, s0
	v_cndmask_b32_sdwa v3, v4, v3, vcc dst_sel:DWORD dst_unused:UNUSED_PAD src0_sel:DWORD src1_sel:WORD_1
	s_mov_b64 s[0:1], 0
	s_branch .LBB239_1632
.LBB239_1628:
                                        ; implicit-def: $vgpr3
	s_branch .LBB239_1649
.LBB239_1629:
                                        ; implicit-def: $vgpr3
	s_branch .LBB239_1638
.LBB239_1630:
	s_mov_b64 s[0:1], -1
                                        ; implicit-def: $vgpr3
	s_branch .LBB239_1635
.LBB239_1631:
	s_mov_b64 s[0:1], -1
                                        ; implicit-def: $vgpr3
.LBB239_1632:
	s_andn2_b64 vcc, exec, s[0:1]
	s_cbranch_vccnz .LBB239_1634
; %bb.1633:
	global_load_dword v3, v[0:1], off
	s_movk_i32 s0, 0x7fff
	v_mov_b32_e32 v4, 0x7fc0
	s_waitcnt vmcnt(0)
	v_bfe_u32 v6, v3, 16, 1
	v_cmp_o_f32_e32 vcc, v3, v3
	v_add3_u32 v3, v3, v6, s0
	v_cndmask_b32_sdwa v3, v4, v3, vcc dst_sel:DWORD dst_unused:UNUSED_PAD src0_sel:DWORD src1_sel:WORD_1
.LBB239_1634:
	s_mov_b64 s[0:1], 0
.LBB239_1635:
	s_andn2_b64 vcc, exec, s[0:1]
	s_cbranch_vccnz .LBB239_1637
; %bb.1636:
	global_load_dword v3, v[0:1], off
	s_movk_i32 s0, 0x7fff
	v_mov_b32_e32 v6, 0x7fc0
	s_waitcnt vmcnt(0)
	v_cvt_f32_f16_e32 v4, v3
	v_cmp_o_f16_e32 vcc, v3, v3
	v_bfe_u32 v3, v4, 16, 1
	v_add3_u32 v3, v4, v3, s0
	v_cndmask_b32_sdwa v3, v6, v3, vcc dst_sel:DWORD dst_unused:UNUSED_PAD src0_sel:DWORD src1_sel:WORD_1
.LBB239_1637:
	s_cbranch_execnz .LBB239_1648
.LBB239_1638:
	s_cmp_lt_i32 s4, 6
	s_cbranch_scc1 .LBB239_1641
; %bb.1639:
	s_cmp_gt_i32 s4, 6
	s_cbranch_scc0 .LBB239_1642
; %bb.1640:
	global_load_dwordx2 v[3:4], v[0:1], off
	s_movk_i32 s0, 0x7fff
	s_waitcnt vmcnt(0)
	v_cvt_f32_f64_e32 v3, v[3:4]
	v_mov_b32_e32 v4, 0x7fc0
	v_bfe_u32 v6, v3, 16, 1
	v_cmp_o_f32_e32 vcc, v3, v3
	v_add3_u32 v3, v3, v6, s0
	v_cndmask_b32_sdwa v3, v4, v3, vcc dst_sel:DWORD dst_unused:UNUSED_PAD src0_sel:DWORD src1_sel:WORD_1
	s_mov_b64 s[0:1], 0
	s_branch .LBB239_1643
.LBB239_1641:
	s_mov_b64 s[0:1], -1
                                        ; implicit-def: $vgpr3
	s_branch .LBB239_1646
.LBB239_1642:
	s_mov_b64 s[0:1], -1
                                        ; implicit-def: $vgpr3
.LBB239_1643:
	s_andn2_b64 vcc, exec, s[0:1]
	s_cbranch_vccnz .LBB239_1645
; %bb.1644:
	global_load_dword v3, v[0:1], off
	s_movk_i32 s0, 0x7fff
	v_mov_b32_e32 v4, 0x7fc0
	s_waitcnt vmcnt(0)
	v_bfe_u32 v6, v3, 16, 1
	v_cmp_o_f32_e32 vcc, v3, v3
	v_add3_u32 v3, v3, v6, s0
	v_cndmask_b32_sdwa v3, v4, v3, vcc dst_sel:DWORD dst_unused:UNUSED_PAD src0_sel:DWORD src1_sel:WORD_1
.LBB239_1645:
	s_mov_b64 s[0:1], 0
.LBB239_1646:
	s_andn2_b64 vcc, exec, s[0:1]
	s_cbranch_vccnz .LBB239_1648
; %bb.1647:
	global_load_ushort v3, v[0:1], off
	s_movk_i32 s0, 0x7fff
	v_mov_b32_e32 v6, 0x7fc0
	s_waitcnt vmcnt(0)
	v_cvt_f32_f16_e32 v4, v3
	v_cmp_o_f16_e32 vcc, v3, v3
	v_bfe_u32 v3, v4, 16, 1
	v_add3_u32 v3, v4, v3, s0
	v_cndmask_b32_sdwa v3, v6, v3, vcc dst_sel:DWORD dst_unused:UNUSED_PAD src0_sel:DWORD src1_sel:WORD_1
.LBB239_1648:
	s_cbranch_execnz .LBB239_1667
.LBB239_1649:
	s_cmp_lt_i32 s4, 2
	s_cbranch_scc1 .LBB239_1653
; %bb.1650:
	s_cmp_lt_i32 s4, 3
	s_cbranch_scc1 .LBB239_1654
; %bb.1651:
	s_cmp_gt_i32 s4, 3
	s_cbranch_scc0 .LBB239_1655
; %bb.1652:
	global_load_dwordx2 v[3:4], v[0:1], off
	s_movk_i32 s0, 0x7fff
	s_waitcnt vmcnt(0)
	v_xor_b32_e32 v7, v3, v4
	v_ffbh_i32_e32 v6, v4
	v_ashrrev_i32_e32 v7, 31, v7
	v_add_u32_e32 v6, -1, v6
	v_add_u32_e32 v7, 32, v7
	v_min_u32_e32 v6, v6, v7
	v_lshlrev_b64 v[3:4], v6, v[3:4]
	v_min_u32_e32 v3, 1, v3
	v_or_b32_e32 v3, v4, v3
	v_cvt_f32_i32_e32 v3, v3
	v_sub_u32_e32 v4, 32, v6
	v_ldexp_f32 v3, v3, v4
	v_bfe_u32 v4, v3, 16, 1
	v_add3_u32 v3, v3, v4, s0
	v_lshrrev_b32_e32 v3, 16, v3
	s_mov_b64 s[0:1], 0
	s_branch .LBB239_1656
.LBB239_1653:
                                        ; implicit-def: $vgpr3
	s_branch .LBB239_1662
.LBB239_1654:
	s_mov_b64 s[0:1], -1
                                        ; implicit-def: $vgpr3
	s_branch .LBB239_1659
.LBB239_1655:
	s_mov_b64 s[0:1], -1
                                        ; implicit-def: $vgpr3
.LBB239_1656:
	s_andn2_b64 vcc, exec, s[0:1]
	s_cbranch_vccnz .LBB239_1658
; %bb.1657:
	global_load_dword v3, v[0:1], off
	s_movk_i32 s0, 0x7fff
	s_waitcnt vmcnt(0)
	v_cvt_f32_i32_e32 v3, v3
	v_bfe_u32 v4, v3, 16, 1
	v_add3_u32 v3, v3, v4, s0
	v_lshrrev_b32_e32 v3, 16, v3
.LBB239_1658:
	s_mov_b64 s[0:1], 0
.LBB239_1659:
	s_andn2_b64 vcc, exec, s[0:1]
	s_cbranch_vccnz .LBB239_1661
; %bb.1660:
	global_load_sshort v3, v[0:1], off
	s_movk_i32 s0, 0x7fff
	s_waitcnt vmcnt(0)
	v_cvt_f32_i32_e32 v3, v3
	v_bfe_u32 v4, v3, 16, 1
	v_add3_u32 v3, v3, v4, s0
	v_lshrrev_b32_e32 v3, 16, v3
.LBB239_1661:
	s_cbranch_execnz .LBB239_1667
.LBB239_1662:
	s_cmp_gt_i32 s4, 0
	s_cbranch_scc0 .LBB239_1664
; %bb.1663:
	global_load_sbyte v3, v[0:1], off
	s_movk_i32 s0, 0x7fff
	s_waitcnt vmcnt(0)
	v_cvt_f32_i32_e32 v3, v3
	v_bfe_u32 v4, v3, 16, 1
	v_add3_u32 v3, v3, v4, s0
	v_lshrrev_b32_e32 v3, 16, v3
	s_mov_b64 s[0:1], 0
	s_branch .LBB239_1665
.LBB239_1664:
	s_mov_b64 s[0:1], -1
                                        ; implicit-def: $vgpr3
.LBB239_1665:
	s_andn2_b64 vcc, exec, s[0:1]
	s_cbranch_vccnz .LBB239_1667
; %bb.1666:
	global_load_ubyte v0, v[0:1], off
	s_movk_i32 s0, 0x7fff
	s_waitcnt vmcnt(0)
	v_cvt_f32_ubyte0_e32 v0, v0
	v_bfe_u32 v1, v0, 16, 1
	v_add3_u32 v0, v0, v1, s0
	v_lshrrev_b32_e32 v3, 16, v0
.LBB239_1667:
.LBB239_1668:
	v_mul_lo_u32 v6, s14, v2
	v_mov_b32_e32 v1, s17
	s_and_b32 s29, s15, 0xff
	s_cmp_lt_i32 s29, 11
	v_ashrrev_i32_e32 v4, 31, v6
	v_add_co_u32_e32 v0, vcc, s16, v6
	v_addc_co_u32_e32 v1, vcc, v1, v4, vcc
	s_cbranch_scc1 .LBB239_1675
; %bb.1669:
	s_and_b32 s15, 0xffff, s29
	s_cmp_gt_i32 s15, 25
	s_mov_b64 s[4:5], 0
	s_cbranch_scc0 .LBB239_1677
; %bb.1670:
	s_cmp_gt_i32 s15, 28
	s_cbranch_scc0 .LBB239_1678
; %bb.1671:
	s_cmp_gt_i32 s15, 43
	;; [unrolled: 3-line block ×3, first 2 shown]
	s_cbranch_scc0 .LBB239_1681
; %bb.1673:
	s_cmp_eq_u32 s15, 46
	s_mov_b64 s[24:25], 0
	s_cbranch_scc0 .LBB239_1684
; %bb.1674:
	global_load_dword v4, v[0:1], off
	s_mov_b64 s[0:1], 0
	s_mov_b64 s[22:23], -1
	s_branch .LBB239_1685
.LBB239_1675:
	s_mov_b64 s[22:23], 0
                                        ; implicit-def: $vgpr4
	s_cbranch_execnz .LBB239_1750
.LBB239_1676:
	s_andn2_b64 vcc, exec, s[22:23]
	s_cbranch_vccnz .LBB239_3011
	s_branch .LBB239_1797
.LBB239_1677:
	s_mov_b64 s[22:23], 0
	s_mov_b64 s[0:1], 0
                                        ; implicit-def: $vgpr4
	s_cbranch_execnz .LBB239_1714
	s_branch .LBB239_1746
.LBB239_1678:
	s_mov_b64 s[24:25], -1
	s_mov_b64 s[22:23], 0
	s_mov_b64 s[0:1], 0
                                        ; implicit-def: $vgpr4
	s_branch .LBB239_1695
.LBB239_1679:
	s_mov_b64 s[24:25], -1
	s_mov_b64 s[22:23], 0
	s_mov_b64 s[0:1], 0
                                        ; implicit-def: $vgpr4
	s_branch .LBB239_1690
.LBB239_1680:
	s_or_b64 s[20:21], s[18:19], exec
	s_trap 2
	s_cbranch_execz .LBB239_1621
	s_branch .LBB239_1622
.LBB239_1681:
	s_mov_b64 s[24:25], -1
	s_mov_b64 s[22:23], 0
	s_mov_b64 s[0:1], 0
                                        ; implicit-def: $vgpr4
	s_branch .LBB239_1685
.LBB239_1682:
	s_andn2_saveexec_b64 s[30:31], s[30:31]
	s_cbranch_execz .LBB239_1469
.LBB239_1683:
	s_mov_b32 s36, 0x42800000
	v_add_f32_e64 v3, |v5|, s36
	v_and_b32_e32 v3, 0xff, v3
	v_cmp_ne_u32_e32 vcc, 0, v3
	s_andn2_b64 s[28:29], s[28:29], exec
	s_and_b64 s[36:37], vcc, exec
	s_or_b64 s[28:29], s[28:29], s[36:37]
	s_or_b64 exec, exec, s[30:31]
	v_mov_b32_e32 v6, 0
	s_and_saveexec_b64 s[30:31], s[28:29]
	s_cbranch_execnz .LBB239_1470
	s_branch .LBB239_1471
.LBB239_1684:
	s_mov_b64 s[0:1], -1
                                        ; implicit-def: $vgpr4
	s_mov_b64 s[22:23], 0
.LBB239_1685:
	s_and_b64 vcc, exec, s[24:25]
	s_cbranch_vccz .LBB239_1689
; %bb.1686:
	s_cmp_eq_u32 s15, 44
	s_cbranch_scc0 .LBB239_1688
; %bb.1687:
	global_load_ubyte v4, v[0:1], off
	s_movk_i32 s22, 0xff
	v_mov_b32_e32 v7, 0x7f800001
	v_mov_b32_e32 v8, 0x400000
	v_mov_b32_e32 v9, 0x7fc0
	s_mov_b64 s[0:1], 0
	s_waitcnt vmcnt(0)
	v_lshlrev_b32_e32 v10, 23, v4
	v_cmp_ne_u32_e32 vcc, s22, v4
	v_cndmask_b32_e32 v7, v7, v10, vcc
	v_cmp_ne_u32_e32 vcc, 0, v4
	v_cndmask_b32_e32 v4, v8, v7, vcc
	v_add_u32_e32 v7, 0x7fff, v4
	v_cmp_o_f32_e32 vcc, v4, v4
	v_cndmask_b32_sdwa v4, v9, v7, vcc dst_sel:DWORD dst_unused:UNUSED_PAD src0_sel:DWORD src1_sel:WORD_1
	s_mov_b64 s[22:23], -1
	s_branch .LBB239_1689
.LBB239_1688:
	s_mov_b64 s[0:1], -1
                                        ; implicit-def: $vgpr4
.LBB239_1689:
	s_mov_b64 s[24:25], 0
.LBB239_1690:
	s_and_b64 vcc, exec, s[24:25]
	s_cbranch_vccz .LBB239_1694
; %bb.1691:
	s_cmp_eq_u32 s15, 29
	s_cbranch_scc0 .LBB239_1693
; %bb.1692:
	global_load_dwordx2 v[7:8], v[0:1], off
	s_movk_i32 s22, 0x7fff
	s_mov_b64 s[0:1], 0
	s_mov_b64 s[24:25], 0
	s_waitcnt vmcnt(0)
	v_ffbh_u32_e32 v4, v8
	v_min_u32_e32 v4, 32, v4
	v_lshlrev_b64 v[7:8], v4, v[7:8]
	v_sub_u32_e32 v4, 32, v4
	v_min_u32_e32 v7, 1, v7
	v_or_b32_e32 v7, v8, v7
	v_cvt_f32_u32_e32 v7, v7
	v_ldexp_f32 v4, v7, v4
	v_bfe_u32 v7, v4, 16, 1
	v_add3_u32 v4, v4, v7, s22
	v_lshrrev_b32_e32 v4, 16, v4
	s_mov_b64 s[22:23], -1
	s_branch .LBB239_1695
.LBB239_1693:
	s_mov_b64 s[0:1], -1
                                        ; implicit-def: $vgpr4
.LBB239_1694:
	s_mov_b64 s[24:25], 0
.LBB239_1695:
	s_and_b64 vcc, exec, s[24:25]
	s_cbranch_vccz .LBB239_1713
; %bb.1696:
	s_cmp_lt_i32 s15, 27
	s_cbranch_scc1 .LBB239_1699
; %bb.1697:
	s_cmp_gt_i32 s15, 27
	s_cbranch_scc0 .LBB239_1700
; %bb.1698:
	global_load_dword v4, v[0:1], off
	s_movk_i32 s22, 0x7fff
	s_waitcnt vmcnt(0)
	v_cvt_f32_u32_e32 v4, v4
	v_bfe_u32 v7, v4, 16, 1
	v_add3_u32 v4, v4, v7, s22
	v_lshrrev_b32_e32 v4, 16, v4
	s_mov_b64 s[22:23], 0
	s_branch .LBB239_1701
.LBB239_1699:
	s_mov_b64 s[22:23], -1
                                        ; implicit-def: $vgpr4
	s_branch .LBB239_1704
.LBB239_1700:
	s_mov_b64 s[22:23], -1
                                        ; implicit-def: $vgpr4
.LBB239_1701:
	s_andn2_b64 vcc, exec, s[22:23]
	s_cbranch_vccnz .LBB239_1703
; %bb.1702:
	global_load_ushort v4, v[0:1], off
	s_movk_i32 s22, 0x7fff
	s_waitcnt vmcnt(0)
	v_cvt_f32_u32_e32 v4, v4
	v_bfe_u32 v7, v4, 16, 1
	v_add3_u32 v4, v4, v7, s22
	v_lshrrev_b32_e32 v4, 16, v4
.LBB239_1703:
	s_mov_b64 s[22:23], 0
.LBB239_1704:
	s_andn2_b64 vcc, exec, s[22:23]
	s_cbranch_vccnz .LBB239_1712
; %bb.1705:
	global_load_ubyte v4, v[0:1], off
	s_movk_i32 s22, 0x7f
	s_waitcnt vmcnt(0)
	v_cmp_lt_i16_e32 vcc, s22, v4
	s_mov_b64 s[22:23], 0
	s_and_saveexec_b64 s[24:25], vcc
	s_xor_b64 s[24:25], exec, s[24:25]
	s_cbranch_execz .LBB239_1725
; %bb.1706:
	s_movk_i32 s22, 0x80
	v_cmp_eq_u16_e32 vcc, s22, v4
	s_mov_b64 s[22:23], -1
	s_and_saveexec_b64 s[26:27], vcc
; %bb.1707:
	s_xor_b64 s[22:23], exec, -1
; %bb.1708:
	s_or_b64 exec, exec, s[26:27]
	s_and_b64 s[22:23], s[22:23], exec
	s_or_saveexec_b64 s[24:25], s[24:25]
	v_mov_b32_e32 v7, 0x7f800001
	s_xor_b64 exec, exec, s[24:25]
	s_cbranch_execnz .LBB239_1726
.LBB239_1709:
	s_or_b64 exec, exec, s[24:25]
	s_and_saveexec_b64 s[24:25], s[22:23]
	s_cbranch_execz .LBB239_1711
.LBB239_1710:
	v_lshlrev_b32_e32 v7, 24, v4
	v_and_b32_e32 v4, 0xffff, v4
	v_and_b32_e32 v8, 7, v4
	v_ffbh_u32_e32 v10, v8
	v_min_u32_e32 v10, 32, v10
	v_subrev_u32_e32 v11, 28, v10
	v_bfe_u32 v9, v4, 3, 4
	v_lshlrev_b32_e32 v4, v11, v4
	v_sub_u32_e32 v10, 29, v10
	v_and_b32_e32 v4, 7, v4
	v_cmp_eq_u32_e32 vcc, 0, v9
	v_cndmask_b32_e32 v9, v9, v10, vcc
	v_cndmask_b32_e32 v4, v8, v4, vcc
	v_mov_b32_e32 v8, 0x3b800000
	v_lshlrev_b32_e32 v4, 20, v4
	v_and_b32_e32 v7, 0x80000000, v7
	v_lshl_add_u32 v8, v9, 23, v8
	v_or3_b32 v7, v7, v8, v4
.LBB239_1711:
	s_or_b64 exec, exec, s[24:25]
	v_bfe_u32 v4, v7, 16, 1
	s_movk_i32 s22, 0x7fff
	v_add3_u32 v4, v7, v4, s22
	v_cmp_o_f32_e32 vcc, v7, v7
	v_mov_b32_e32 v7, 0x7fc0
	v_cndmask_b32_sdwa v4, v7, v4, vcc dst_sel:DWORD dst_unused:UNUSED_PAD src0_sel:DWORD src1_sel:WORD_1
.LBB239_1712:
	s_mov_b64 s[22:23], -1
.LBB239_1713:
	s_branch .LBB239_1746
.LBB239_1714:
	s_cmp_gt_i32 s15, 22
	s_cbranch_scc0 .LBB239_1724
; %bb.1715:
	s_cmp_lt_i32 s15, 24
	s_cbranch_scc1 .LBB239_1727
; %bb.1716:
	s_cmp_gt_i32 s15, 24
	s_cbranch_scc0 .LBB239_1728
; %bb.1717:
	global_load_ubyte v4, v[0:1], off
	s_movk_i32 s4, 0x7f
	s_waitcnt vmcnt(0)
	v_cmp_lt_i16_e32 vcc, s4, v4
	s_mov_b64 s[4:5], 0
	s_and_saveexec_b64 s[22:23], vcc
	s_xor_b64 s[22:23], exec, s[22:23]
	s_cbranch_execz .LBB239_1740
; %bb.1718:
	s_movk_i32 s4, 0x80
	v_cmp_eq_u16_e32 vcc, s4, v4
	s_mov_b64 s[4:5], -1
	s_and_saveexec_b64 s[24:25], vcc
; %bb.1719:
	s_xor_b64 s[4:5], exec, -1
; %bb.1720:
	s_or_b64 exec, exec, s[24:25]
	s_and_b64 s[4:5], s[4:5], exec
	s_or_saveexec_b64 s[22:23], s[22:23]
	v_mov_b32_e32 v7, 0x7f800001
	s_xor_b64 exec, exec, s[22:23]
	s_cbranch_execnz .LBB239_1741
.LBB239_1721:
	s_or_b64 exec, exec, s[22:23]
	s_and_saveexec_b64 s[22:23], s[4:5]
	s_cbranch_execz .LBB239_1723
.LBB239_1722:
	v_lshlrev_b32_e32 v7, 24, v4
	v_and_b32_e32 v4, 0xffff, v4
	v_and_b32_e32 v8, 3, v4
	v_ffbh_u32_e32 v10, v8
	v_min_u32_e32 v10, 32, v10
	v_subrev_u32_e32 v11, 29, v10
	v_bfe_u32 v9, v4, 2, 5
	v_lshlrev_b32_e32 v4, v11, v4
	v_sub_u32_e32 v10, 30, v10
	v_and_b32_e32 v4, 3, v4
	v_cmp_eq_u32_e32 vcc, 0, v9
	v_cndmask_b32_e32 v9, v9, v10, vcc
	v_cndmask_b32_e32 v4, v8, v4, vcc
	v_mov_b32_e32 v8, 0x37800000
	v_lshlrev_b32_e32 v4, 21, v4
	v_and_b32_e32 v7, 0x80000000, v7
	v_lshl_add_u32 v8, v9, 23, v8
	v_or3_b32 v7, v7, v8, v4
.LBB239_1723:
	s_or_b64 exec, exec, s[22:23]
	v_bfe_u32 v4, v7, 16, 1
	s_movk_i32 s4, 0x7fff
	v_add3_u32 v4, v7, v4, s4
	v_cmp_o_f32_e32 vcc, v7, v7
	v_mov_b32_e32 v7, 0x7fc0
	v_cndmask_b32_sdwa v4, v7, v4, vcc dst_sel:DWORD dst_unused:UNUSED_PAD src0_sel:DWORD src1_sel:WORD_1
	s_mov_b64 s[4:5], 0
	s_branch .LBB239_1729
.LBB239_1724:
	s_mov_b64 s[4:5], -1
                                        ; implicit-def: $vgpr4
	s_branch .LBB239_1735
.LBB239_1725:
	s_or_saveexec_b64 s[24:25], s[24:25]
	v_mov_b32_e32 v7, 0x7f800001
	s_xor_b64 exec, exec, s[24:25]
	s_cbranch_execz .LBB239_1709
.LBB239_1726:
	v_cmp_ne_u16_e32 vcc, 0, v4
	s_andn2_b64 s[22:23], s[22:23], exec
	s_and_b64 s[26:27], vcc, exec
	v_mov_b32_e32 v7, 0
	s_or_b64 s[22:23], s[22:23], s[26:27]
	s_or_b64 exec, exec, s[24:25]
	s_and_saveexec_b64 s[24:25], s[22:23]
	s_cbranch_execnz .LBB239_1710
	s_branch .LBB239_1711
.LBB239_1727:
	s_mov_b64 s[4:5], -1
                                        ; implicit-def: $vgpr4
	s_branch .LBB239_1732
.LBB239_1728:
	s_mov_b64 s[4:5], -1
                                        ; implicit-def: $vgpr4
.LBB239_1729:
	s_and_b64 vcc, exec, s[4:5]
	s_cbranch_vccz .LBB239_1731
; %bb.1730:
	global_load_ubyte v4, v[0:1], off
	s_mov_b32 s4, 0x7f800000
	s_brev_b32 s5, 1
	s_movk_i32 s22, 0x7fff
	s_waitcnt vmcnt(0)
	v_lshlrev_b32_e32 v4, 24, v4
	v_and_b32_e32 v7, 0x7f000000, v4
	v_ffbh_u32_e32 v8, v7
	v_min_u32_e32 v8, 32, v8
	v_sub_u32_e64 v8, v8, 4 clamp
	v_lshlrev_b32_e32 v10, v8, v7
	v_lshlrev_b32_e32 v8, 23, v8
	v_lshrrev_b32_e32 v10, 4, v10
	v_add_u32_e32 v9, 0x1000000, v7
	v_sub_u32_e32 v8, v10, v8
	v_ashrrev_i32_e32 v9, 8, v9
	v_add_u32_e32 v8, 0x3c000000, v8
	v_and_or_b32 v8, v9, s4, v8
	v_cmp_ne_u32_e32 vcc, 0, v7
	v_cndmask_b32_e32 v7, 0, v8, vcc
	v_and_or_b32 v4, v4, s5, v7
	v_bfe_u32 v7, v7, 16, 1
	v_add3_u32 v7, v4, v7, s22
	v_cmp_o_f32_e32 vcc, v4, v4
	v_mov_b32_e32 v4, 0x7fc0
	v_cndmask_b32_sdwa v4, v4, v7, vcc dst_sel:DWORD dst_unused:UNUSED_PAD src0_sel:DWORD src1_sel:WORD_1
.LBB239_1731:
	s_mov_b64 s[4:5], 0
.LBB239_1732:
	s_andn2_b64 vcc, exec, s[4:5]
	s_cbranch_vccnz .LBB239_1734
; %bb.1733:
	global_load_ubyte v4, v[0:1], off
	s_movk_i32 s4, 0x7f00
	s_brev_b32 s5, 16
	s_brev_b32 s22, 1
	s_movk_i32 s23, 0x7fff
	s_waitcnt vmcnt(0)
	v_lshlrev_b16_e32 v7, 8, v4
	v_lshlrev_b32_e32 v4, 25, v4
	v_lshrrev_b32_e32 v8, 4, v4
	v_and_or_b32 v9, v7, s4, 0.5
	v_or_b32_e32 v8, 0x70000000, v8
	v_add_f32_e32 v9, -0.5, v9
	v_mul_f32_e32 v8, 0x7800000, v8
	v_cmp_gt_u32_e32 vcc, s5, v4
	v_bfe_i32 v7, v7, 0, 16
	v_cndmask_b32_e32 v4, v8, v9, vcc
	v_and_or_b32 v7, v7, s22, v4
	v_bfe_u32 v4, v4, 16, 1
	v_add3_u32 v4, v7, v4, s23
	v_cmp_o_f32_e32 vcc, v7, v7
	v_mov_b32_e32 v7, 0x7fc0
	v_cndmask_b32_sdwa v4, v7, v4, vcc dst_sel:DWORD dst_unused:UNUSED_PAD src0_sel:DWORD src1_sel:WORD_1
.LBB239_1734:
	s_mov_b64 s[4:5], 0
	s_mov_b64 s[22:23], -1
.LBB239_1735:
	s_andn2_b64 vcc, exec, s[4:5]
	s_mov_b64 s[4:5], 0
	s_cbranch_vccnz .LBB239_1746
; %bb.1736:
	s_cmp_gt_i32 s15, 14
	s_cbranch_scc0 .LBB239_1739
; %bb.1737:
	s_cmp_eq_u32 s15, 15
	s_cbranch_scc0 .LBB239_1742
; %bb.1738:
	global_load_ushort v4, v[0:1], off
	s_mov_b64 s[0:1], 0
	s_mov_b64 s[22:23], -1
	s_branch .LBB239_1743
.LBB239_1739:
	s_mov_b64 s[24:25], -1
                                        ; implicit-def: $vgpr4
	s_branch .LBB239_1744
.LBB239_1740:
	s_or_saveexec_b64 s[22:23], s[22:23]
	v_mov_b32_e32 v7, 0x7f800001
	s_xor_b64 exec, exec, s[22:23]
	s_cbranch_execz .LBB239_1721
.LBB239_1741:
	v_cmp_ne_u16_e32 vcc, 0, v4
	s_andn2_b64 s[4:5], s[4:5], exec
	s_and_b64 s[24:25], vcc, exec
	v_mov_b32_e32 v7, 0
	s_or_b64 s[4:5], s[4:5], s[24:25]
	s_or_b64 exec, exec, s[22:23]
	s_and_saveexec_b64 s[22:23], s[4:5]
	s_cbranch_execnz .LBB239_1722
	s_branch .LBB239_1723
.LBB239_1742:
	s_mov_b64 s[0:1], -1
                                        ; implicit-def: $vgpr4
.LBB239_1743:
	s_mov_b64 s[24:25], 0
.LBB239_1744:
	s_and_b64 vcc, exec, s[24:25]
	s_cbranch_vccz .LBB239_1746
; %bb.1745:
	s_cmp_lg_u32 s15, 11
	s_mov_b64 s[4:5], -1
	s_cselect_b64 s[0:1], -1, 0
.LBB239_1746:
	s_and_b64 vcc, exec, s[0:1]
	s_cbranch_vccnz .LBB239_1809
; %bb.1747:
	s_andn2_b64 vcc, exec, s[4:5]
	s_cbranch_vccnz .LBB239_1749
.LBB239_1748:
	global_load_ubyte v4, v[0:1], off
	s_mov_b64 s[22:23], -1
	s_waitcnt vmcnt(0)
	v_cmp_ne_u16_e32 vcc, 0, v4
	v_cndmask_b32_e64 v4, 0, 1.0, vcc
	v_lshrrev_b32_e32 v4, 16, v4
.LBB239_1749:
	s_branch .LBB239_1676
.LBB239_1750:
	s_and_b32 s4, 0xffff, s29
	s_cmp_lt_i32 s4, 5
	s_cbranch_scc1 .LBB239_1755
; %bb.1751:
	s_cmp_lt_i32 s4, 8
	s_cbranch_scc1 .LBB239_1756
; %bb.1752:
	;; [unrolled: 3-line block ×3, first 2 shown]
	s_cmp_gt_i32 s4, 9
	s_cbranch_scc0 .LBB239_1758
; %bb.1754:
	global_load_dwordx2 v[7:8], v[0:1], off
	s_movk_i32 s0, 0x7fff
	s_waitcnt vmcnt(0)
	v_cvt_f32_f64_e32 v4, v[7:8]
	v_mov_b32_e32 v7, 0x7fc0
	v_bfe_u32 v8, v4, 16, 1
	v_cmp_o_f32_e32 vcc, v4, v4
	v_add3_u32 v4, v4, v8, s0
	v_cndmask_b32_sdwa v4, v7, v4, vcc dst_sel:DWORD dst_unused:UNUSED_PAD src0_sel:DWORD src1_sel:WORD_1
	s_mov_b64 s[0:1], 0
	s_branch .LBB239_1759
.LBB239_1755:
                                        ; implicit-def: $vgpr4
	s_branch .LBB239_1777
.LBB239_1756:
	s_mov_b64 s[0:1], -1
                                        ; implicit-def: $vgpr4
	s_branch .LBB239_1765
.LBB239_1757:
	s_mov_b64 s[0:1], -1
                                        ; implicit-def: $vgpr4
	s_branch .LBB239_1762
.LBB239_1758:
	s_mov_b64 s[0:1], -1
                                        ; implicit-def: $vgpr4
.LBB239_1759:
	s_andn2_b64 vcc, exec, s[0:1]
	s_cbranch_vccnz .LBB239_1761
; %bb.1760:
	global_load_dword v4, v[0:1], off
	s_movk_i32 s0, 0x7fff
	v_mov_b32_e32 v7, 0x7fc0
	s_waitcnt vmcnt(0)
	v_bfe_u32 v8, v4, 16, 1
	v_cmp_o_f32_e32 vcc, v4, v4
	v_add3_u32 v4, v4, v8, s0
	v_cndmask_b32_sdwa v4, v7, v4, vcc dst_sel:DWORD dst_unused:UNUSED_PAD src0_sel:DWORD src1_sel:WORD_1
.LBB239_1761:
	s_mov_b64 s[0:1], 0
.LBB239_1762:
	s_andn2_b64 vcc, exec, s[0:1]
	s_cbranch_vccnz .LBB239_1764
; %bb.1763:
	global_load_dword v4, v[0:1], off
	s_movk_i32 s0, 0x7fff
	v_mov_b32_e32 v8, 0x7fc0
	s_waitcnt vmcnt(0)
	v_cvt_f32_f16_e32 v7, v4
	v_cmp_o_f16_e32 vcc, v4, v4
	v_bfe_u32 v4, v7, 16, 1
	v_add3_u32 v4, v7, v4, s0
	v_cndmask_b32_sdwa v4, v8, v4, vcc dst_sel:DWORD dst_unused:UNUSED_PAD src0_sel:DWORD src1_sel:WORD_1
.LBB239_1764:
	s_mov_b64 s[0:1], 0
.LBB239_1765:
	s_andn2_b64 vcc, exec, s[0:1]
	s_cbranch_vccnz .LBB239_1776
; %bb.1766:
	s_cmp_lt_i32 s4, 6
	s_cbranch_scc1 .LBB239_1769
; %bb.1767:
	s_cmp_gt_i32 s4, 6
	s_cbranch_scc0 .LBB239_1770
; %bb.1768:
	global_load_dwordx2 v[7:8], v[0:1], off
	s_movk_i32 s0, 0x7fff
	s_waitcnt vmcnt(0)
	v_cvt_f32_f64_e32 v4, v[7:8]
	v_mov_b32_e32 v7, 0x7fc0
	v_bfe_u32 v8, v4, 16, 1
	v_cmp_o_f32_e32 vcc, v4, v4
	v_add3_u32 v4, v4, v8, s0
	v_cndmask_b32_sdwa v4, v7, v4, vcc dst_sel:DWORD dst_unused:UNUSED_PAD src0_sel:DWORD src1_sel:WORD_1
	s_mov_b64 s[0:1], 0
	s_branch .LBB239_1771
.LBB239_1769:
	s_mov_b64 s[0:1], -1
                                        ; implicit-def: $vgpr4
	s_branch .LBB239_1774
.LBB239_1770:
	s_mov_b64 s[0:1], -1
                                        ; implicit-def: $vgpr4
.LBB239_1771:
	s_andn2_b64 vcc, exec, s[0:1]
	s_cbranch_vccnz .LBB239_1773
; %bb.1772:
	global_load_dword v4, v[0:1], off
	s_movk_i32 s0, 0x7fff
	v_mov_b32_e32 v7, 0x7fc0
	s_waitcnt vmcnt(0)
	v_bfe_u32 v8, v4, 16, 1
	v_cmp_o_f32_e32 vcc, v4, v4
	v_add3_u32 v4, v4, v8, s0
	v_cndmask_b32_sdwa v4, v7, v4, vcc dst_sel:DWORD dst_unused:UNUSED_PAD src0_sel:DWORD src1_sel:WORD_1
.LBB239_1773:
	s_mov_b64 s[0:1], 0
.LBB239_1774:
	s_andn2_b64 vcc, exec, s[0:1]
	s_cbranch_vccnz .LBB239_1776
; %bb.1775:
	global_load_ushort v4, v[0:1], off
	s_movk_i32 s0, 0x7fff
	v_mov_b32_e32 v8, 0x7fc0
	s_waitcnt vmcnt(0)
	v_cvt_f32_f16_e32 v7, v4
	v_cmp_o_f16_e32 vcc, v4, v4
	v_bfe_u32 v4, v7, 16, 1
	v_add3_u32 v4, v7, v4, s0
	v_cndmask_b32_sdwa v4, v8, v4, vcc dst_sel:DWORD dst_unused:UNUSED_PAD src0_sel:DWORD src1_sel:WORD_1
.LBB239_1776:
	s_cbranch_execnz .LBB239_1796
.LBB239_1777:
	s_cmp_lt_i32 s4, 2
	s_cbranch_scc1 .LBB239_1781
; %bb.1778:
	s_cmp_lt_i32 s4, 3
	s_cbranch_scc1 .LBB239_1782
; %bb.1779:
	s_cmp_gt_i32 s4, 3
	s_cbranch_scc0 .LBB239_1783
; %bb.1780:
	global_load_dwordx2 v[7:8], v[0:1], off
	s_movk_i32 s0, 0x7fff
	s_waitcnt vmcnt(0)
	v_xor_b32_e32 v9, v7, v8
	v_ffbh_i32_e32 v4, v8
	v_ashrrev_i32_e32 v9, 31, v9
	v_add_u32_e32 v4, -1, v4
	v_add_u32_e32 v9, 32, v9
	v_min_u32_e32 v4, v4, v9
	v_lshlrev_b64 v[7:8], v4, v[7:8]
	v_sub_u32_e32 v4, 32, v4
	v_min_u32_e32 v7, 1, v7
	v_or_b32_e32 v7, v8, v7
	v_cvt_f32_i32_e32 v7, v7
	v_ldexp_f32 v4, v7, v4
	v_bfe_u32 v7, v4, 16, 1
	v_add3_u32 v4, v4, v7, s0
	v_lshrrev_b32_e32 v4, 16, v4
	s_mov_b64 s[0:1], 0
	s_branch .LBB239_1784
.LBB239_1781:
	s_mov_b64 s[0:1], -1
                                        ; implicit-def: $vgpr4
	s_branch .LBB239_1790
.LBB239_1782:
	s_mov_b64 s[0:1], -1
                                        ; implicit-def: $vgpr4
	s_branch .LBB239_1787
.LBB239_1783:
	s_mov_b64 s[0:1], -1
                                        ; implicit-def: $vgpr4
.LBB239_1784:
	s_andn2_b64 vcc, exec, s[0:1]
	s_cbranch_vccnz .LBB239_1786
; %bb.1785:
	global_load_dword v4, v[0:1], off
	s_movk_i32 s0, 0x7fff
	s_waitcnt vmcnt(0)
	v_cvt_f32_i32_e32 v4, v4
	v_bfe_u32 v7, v4, 16, 1
	v_add3_u32 v4, v4, v7, s0
	v_lshrrev_b32_e32 v4, 16, v4
.LBB239_1786:
	s_mov_b64 s[0:1], 0
.LBB239_1787:
	s_andn2_b64 vcc, exec, s[0:1]
	s_cbranch_vccnz .LBB239_1789
; %bb.1788:
	global_load_sshort v4, v[0:1], off
	s_movk_i32 s0, 0x7fff
	s_waitcnt vmcnt(0)
	v_cvt_f32_i32_e32 v4, v4
	v_bfe_u32 v7, v4, 16, 1
	v_add3_u32 v4, v4, v7, s0
	v_lshrrev_b32_e32 v4, 16, v4
.LBB239_1789:
	s_mov_b64 s[0:1], 0
.LBB239_1790:
	s_andn2_b64 vcc, exec, s[0:1]
	s_cbranch_vccnz .LBB239_1796
; %bb.1791:
	s_cmp_gt_i32 s4, 0
	s_cbranch_scc0 .LBB239_1793
; %bb.1792:
	global_load_sbyte v4, v[0:1], off
	s_movk_i32 s0, 0x7fff
	s_waitcnt vmcnt(0)
	v_cvt_f32_i32_e32 v4, v4
	v_bfe_u32 v7, v4, 16, 1
	v_add3_u32 v4, v4, v7, s0
	v_lshrrev_b32_e32 v4, 16, v4
	s_mov_b64 s[0:1], 0
	s_branch .LBB239_1794
.LBB239_1793:
	s_mov_b64 s[0:1], -1
                                        ; implicit-def: $vgpr4
.LBB239_1794:
	s_andn2_b64 vcc, exec, s[0:1]
	s_cbranch_vccnz .LBB239_1796
; %bb.1795:
	global_load_ubyte v0, v[0:1], off
	s_movk_i32 s0, 0x7fff
	s_waitcnt vmcnt(0)
	v_cvt_f32_ubyte0_e32 v0, v0
	v_bfe_u32 v1, v0, 16, 1
	v_add3_u32 v0, v0, v1, s0
	v_lshrrev_b32_e32 v4, 16, v0
.LBB239_1796:
.LBB239_1797:
	s_lshl_b32 s13, s13, 7
	v_add_u32_e32 v7, s13, v5
	v_ashrrev_i32_e32 v1, 31, v7
	v_mov_b32_e32 v5, s11
	v_add_co_u32_e32 v0, vcc, s10, v7
	s_cmp_lt_i32 s28, 11
	v_addc_co_u32_e32 v1, vcc, v5, v1, vcc
	s_cbranch_scc1 .LBB239_1804
; %bb.1798:
	s_and_b32 s15, 0xffff, s28
	s_cmp_gt_i32 s15, 25
	s_mov_b64 s[4:5], 0
	s_cbranch_scc0 .LBB239_1806
; %bb.1799:
	s_cmp_gt_i32 s15, 28
	s_cbranch_scc0 .LBB239_1807
; %bb.1800:
	s_cmp_gt_i32 s15, 43
	s_cbranch_scc0 .LBB239_1808
; %bb.1801:
	s_cmp_gt_i32 s15, 45
	s_cbranch_scc0 .LBB239_1810
; %bb.1802:
	s_cmp_eq_u32 s15, 46
	s_mov_b64 s[24:25], 0
	s_cbranch_scc0 .LBB239_1811
; %bb.1803:
	global_load_dword v5, v[0:1], off
	s_mov_b64 s[0:1], 0
	s_mov_b64 s[22:23], -1
	s_branch .LBB239_1812
.LBB239_1804:
	s_mov_b64 s[22:23], 0
                                        ; implicit-def: $vgpr5
	s_cbranch_execnz .LBB239_1878
.LBB239_1805:
	s_andn2_b64 vcc, exec, s[22:23]
	s_cbranch_vccnz .LBB239_3011
	s_branch .LBB239_1926
.LBB239_1806:
	s_mov_b64 s[24:25], -1
	s_mov_b64 s[22:23], 0
	s_mov_b64 s[0:1], 0
                                        ; implicit-def: $vgpr5
	s_branch .LBB239_1841
.LBB239_1807:
	s_mov_b64 s[24:25], -1
	s_mov_b64 s[22:23], 0
	s_mov_b64 s[0:1], 0
                                        ; implicit-def: $vgpr5
	s_branch .LBB239_1822
.LBB239_1808:
	s_mov_b64 s[24:25], -1
	s_mov_b64 s[22:23], 0
	s_mov_b64 s[0:1], 0
                                        ; implicit-def: $vgpr5
	s_branch .LBB239_1817
.LBB239_1809:
	s_trap 2
	s_or_b64 s[20:21], s[20:21], exec
	s_cbranch_execz .LBB239_1748
	s_branch .LBB239_1749
.LBB239_1810:
	s_mov_b64 s[24:25], -1
	s_mov_b64 s[22:23], 0
	s_mov_b64 s[0:1], 0
                                        ; implicit-def: $vgpr5
	s_branch .LBB239_1812
.LBB239_1811:
	s_mov_b64 s[0:1], -1
                                        ; implicit-def: $vgpr5
	s_mov_b64 s[22:23], 0
.LBB239_1812:
	s_and_b64 vcc, exec, s[24:25]
	s_cbranch_vccz .LBB239_1816
; %bb.1813:
	s_cmp_eq_u32 s15, 44
	s_cbranch_scc0 .LBB239_1815
; %bb.1814:
	global_load_ubyte v5, v[0:1], off
	s_movk_i32 s22, 0xff
	v_mov_b32_e32 v8, 0x7f800001
	v_mov_b32_e32 v9, 0x400000
	;; [unrolled: 1-line block ×3, first 2 shown]
	s_mov_b64 s[0:1], 0
	s_waitcnt vmcnt(0)
	v_lshlrev_b32_e32 v11, 23, v5
	v_cmp_ne_u32_e32 vcc, s22, v5
	v_cndmask_b32_e32 v8, v8, v11, vcc
	v_cmp_ne_u32_e32 vcc, 0, v5
	v_cndmask_b32_e32 v5, v9, v8, vcc
	v_add_u32_e32 v8, 0x7fff, v5
	v_cmp_o_f32_e32 vcc, v5, v5
	v_cndmask_b32_sdwa v5, v10, v8, vcc dst_sel:DWORD dst_unused:UNUSED_PAD src0_sel:DWORD src1_sel:WORD_1
	s_mov_b64 s[22:23], -1
	s_branch .LBB239_1816
.LBB239_1815:
	s_mov_b64 s[0:1], -1
                                        ; implicit-def: $vgpr5
.LBB239_1816:
	s_mov_b64 s[24:25], 0
.LBB239_1817:
	s_and_b64 vcc, exec, s[24:25]
	s_cbranch_vccz .LBB239_1821
; %bb.1818:
	s_cmp_eq_u32 s15, 29
	s_cbranch_scc0 .LBB239_1820
; %bb.1819:
	global_load_dwordx2 v[8:9], v[0:1], off
	s_movk_i32 s22, 0x7fff
	s_mov_b64 s[0:1], 0
	s_mov_b64 s[24:25], 0
	s_waitcnt vmcnt(0)
	v_ffbh_u32_e32 v5, v9
	v_min_u32_e32 v5, 32, v5
	v_lshlrev_b64 v[8:9], v5, v[8:9]
	v_sub_u32_e32 v5, 32, v5
	v_min_u32_e32 v8, 1, v8
	v_or_b32_e32 v8, v9, v8
	v_cvt_f32_u32_e32 v8, v8
	v_ldexp_f32 v5, v8, v5
	v_bfe_u32 v8, v5, 16, 1
	v_add3_u32 v5, v5, v8, s22
	v_lshrrev_b32_e32 v5, 16, v5
	s_mov_b64 s[22:23], -1
	s_branch .LBB239_1822
.LBB239_1820:
	s_mov_b64 s[0:1], -1
                                        ; implicit-def: $vgpr5
.LBB239_1821:
	s_mov_b64 s[24:25], 0
.LBB239_1822:
	s_and_b64 vcc, exec, s[24:25]
	s_cbranch_vccz .LBB239_1840
; %bb.1823:
	s_cmp_lt_i32 s15, 27
	s_cbranch_scc1 .LBB239_1826
; %bb.1824:
	s_cmp_gt_i32 s15, 27
	s_cbranch_scc0 .LBB239_1827
; %bb.1825:
	global_load_dword v5, v[0:1], off
	s_movk_i32 s22, 0x7fff
	s_waitcnt vmcnt(0)
	v_cvt_f32_u32_e32 v5, v5
	v_bfe_u32 v8, v5, 16, 1
	v_add3_u32 v5, v5, v8, s22
	v_lshrrev_b32_e32 v5, 16, v5
	s_mov_b64 s[22:23], 0
	s_branch .LBB239_1828
.LBB239_1826:
	s_mov_b64 s[22:23], -1
                                        ; implicit-def: $vgpr5
	s_branch .LBB239_1831
.LBB239_1827:
	s_mov_b64 s[22:23], -1
                                        ; implicit-def: $vgpr5
.LBB239_1828:
	s_andn2_b64 vcc, exec, s[22:23]
	s_cbranch_vccnz .LBB239_1830
; %bb.1829:
	global_load_ushort v5, v[0:1], off
	s_movk_i32 s22, 0x7fff
	s_waitcnt vmcnt(0)
	v_cvt_f32_u32_e32 v5, v5
	v_bfe_u32 v8, v5, 16, 1
	v_add3_u32 v5, v5, v8, s22
	v_lshrrev_b32_e32 v5, 16, v5
.LBB239_1830:
	s_mov_b64 s[22:23], 0
.LBB239_1831:
	s_andn2_b64 vcc, exec, s[22:23]
	s_cbranch_vccnz .LBB239_1839
; %bb.1832:
	global_load_ubyte v5, v[0:1], off
	s_movk_i32 s22, 0x7f
	s_waitcnt vmcnt(0)
	v_cmp_lt_i16_e32 vcc, s22, v5
	s_mov_b64 s[22:23], 0
	s_and_saveexec_b64 s[24:25], vcc
	s_xor_b64 s[24:25], exec, s[24:25]
	s_cbranch_execz .LBB239_1853
; %bb.1833:
	s_movk_i32 s22, 0x80
	v_cmp_eq_u16_e32 vcc, s22, v5
	s_mov_b64 s[22:23], -1
	s_and_saveexec_b64 s[26:27], vcc
; %bb.1834:
	s_xor_b64 s[22:23], exec, -1
; %bb.1835:
	s_or_b64 exec, exec, s[26:27]
	s_and_b64 s[22:23], s[22:23], exec
	s_or_saveexec_b64 s[24:25], s[24:25]
	v_mov_b32_e32 v8, 0x7f800001
	s_xor_b64 exec, exec, s[24:25]
	s_cbranch_execnz .LBB239_1854
.LBB239_1836:
	s_or_b64 exec, exec, s[24:25]
	s_and_saveexec_b64 s[24:25], s[22:23]
	s_cbranch_execz .LBB239_1838
.LBB239_1837:
	v_lshlrev_b32_e32 v8, 24, v5
	v_and_b32_e32 v5, 0xffff, v5
	v_and_b32_e32 v9, 7, v5
	v_ffbh_u32_e32 v11, v9
	v_min_u32_e32 v11, 32, v11
	v_subrev_u32_e32 v12, 28, v11
	v_bfe_u32 v10, v5, 3, 4
	v_lshlrev_b32_e32 v5, v12, v5
	v_sub_u32_e32 v11, 29, v11
	v_and_b32_e32 v5, 7, v5
	v_cmp_eq_u32_e32 vcc, 0, v10
	v_cndmask_b32_e32 v10, v10, v11, vcc
	v_cndmask_b32_e32 v5, v9, v5, vcc
	v_mov_b32_e32 v9, 0x3b800000
	v_lshlrev_b32_e32 v5, 20, v5
	v_and_b32_e32 v8, 0x80000000, v8
	v_lshl_add_u32 v9, v10, 23, v9
	v_or3_b32 v8, v8, v9, v5
.LBB239_1838:
	s_or_b64 exec, exec, s[24:25]
	v_bfe_u32 v5, v8, 16, 1
	s_movk_i32 s22, 0x7fff
	v_add3_u32 v5, v8, v5, s22
	v_cmp_o_f32_e32 vcc, v8, v8
	v_mov_b32_e32 v8, 0x7fc0
	v_cndmask_b32_sdwa v5, v8, v5, vcc dst_sel:DWORD dst_unused:UNUSED_PAD src0_sel:DWORD src1_sel:WORD_1
.LBB239_1839:
	s_mov_b64 s[22:23], -1
.LBB239_1840:
	s_mov_b64 s[24:25], 0
.LBB239_1841:
	s_and_b64 vcc, exec, s[24:25]
	s_cbranch_vccz .LBB239_1874
; %bb.1842:
	s_cmp_gt_i32 s15, 22
	s_cbranch_scc0 .LBB239_1852
; %bb.1843:
	s_cmp_lt_i32 s15, 24
	s_cbranch_scc1 .LBB239_1855
; %bb.1844:
	s_cmp_gt_i32 s15, 24
	s_cbranch_scc0 .LBB239_1856
; %bb.1845:
	global_load_ubyte v5, v[0:1], off
	s_movk_i32 s4, 0x7f
	s_waitcnt vmcnt(0)
	v_cmp_lt_i16_e32 vcc, s4, v5
	s_mov_b64 s[4:5], 0
	s_and_saveexec_b64 s[22:23], vcc
	s_xor_b64 s[22:23], exec, s[22:23]
	s_cbranch_execz .LBB239_1868
; %bb.1846:
	s_movk_i32 s4, 0x80
	v_cmp_eq_u16_e32 vcc, s4, v5
	s_mov_b64 s[4:5], -1
	s_and_saveexec_b64 s[24:25], vcc
; %bb.1847:
	s_xor_b64 s[4:5], exec, -1
; %bb.1848:
	s_or_b64 exec, exec, s[24:25]
	s_and_b64 s[4:5], s[4:5], exec
	s_or_saveexec_b64 s[22:23], s[22:23]
	v_mov_b32_e32 v8, 0x7f800001
	s_xor_b64 exec, exec, s[22:23]
	s_cbranch_execnz .LBB239_1869
.LBB239_1849:
	s_or_b64 exec, exec, s[22:23]
	s_and_saveexec_b64 s[22:23], s[4:5]
	s_cbranch_execz .LBB239_1851
.LBB239_1850:
	v_lshlrev_b32_e32 v8, 24, v5
	v_and_b32_e32 v5, 0xffff, v5
	v_and_b32_e32 v9, 3, v5
	v_ffbh_u32_e32 v11, v9
	v_min_u32_e32 v11, 32, v11
	v_subrev_u32_e32 v12, 29, v11
	v_bfe_u32 v10, v5, 2, 5
	v_lshlrev_b32_e32 v5, v12, v5
	v_sub_u32_e32 v11, 30, v11
	v_and_b32_e32 v5, 3, v5
	v_cmp_eq_u32_e32 vcc, 0, v10
	v_cndmask_b32_e32 v10, v10, v11, vcc
	v_cndmask_b32_e32 v5, v9, v5, vcc
	v_mov_b32_e32 v9, 0x37800000
	v_lshlrev_b32_e32 v5, 21, v5
	v_and_b32_e32 v8, 0x80000000, v8
	v_lshl_add_u32 v9, v10, 23, v9
	v_or3_b32 v8, v8, v9, v5
.LBB239_1851:
	s_or_b64 exec, exec, s[22:23]
	v_bfe_u32 v5, v8, 16, 1
	s_movk_i32 s4, 0x7fff
	v_add3_u32 v5, v8, v5, s4
	v_cmp_o_f32_e32 vcc, v8, v8
	v_mov_b32_e32 v8, 0x7fc0
	v_cndmask_b32_sdwa v5, v8, v5, vcc dst_sel:DWORD dst_unused:UNUSED_PAD src0_sel:DWORD src1_sel:WORD_1
	s_mov_b64 s[4:5], 0
	s_branch .LBB239_1857
.LBB239_1852:
	s_mov_b64 s[4:5], -1
                                        ; implicit-def: $vgpr5
	s_branch .LBB239_1863
.LBB239_1853:
	s_or_saveexec_b64 s[24:25], s[24:25]
	v_mov_b32_e32 v8, 0x7f800001
	s_xor_b64 exec, exec, s[24:25]
	s_cbranch_execz .LBB239_1836
.LBB239_1854:
	v_cmp_ne_u16_e32 vcc, 0, v5
	s_andn2_b64 s[22:23], s[22:23], exec
	s_and_b64 s[26:27], vcc, exec
	v_mov_b32_e32 v8, 0
	s_or_b64 s[22:23], s[22:23], s[26:27]
	s_or_b64 exec, exec, s[24:25]
	s_and_saveexec_b64 s[24:25], s[22:23]
	s_cbranch_execnz .LBB239_1837
	s_branch .LBB239_1838
.LBB239_1855:
	s_mov_b64 s[4:5], -1
                                        ; implicit-def: $vgpr5
	s_branch .LBB239_1860
.LBB239_1856:
	s_mov_b64 s[4:5], -1
                                        ; implicit-def: $vgpr5
.LBB239_1857:
	s_and_b64 vcc, exec, s[4:5]
	s_cbranch_vccz .LBB239_1859
; %bb.1858:
	global_load_ubyte v5, v[0:1], off
	s_mov_b32 s4, 0x7f800000
	s_brev_b32 s5, 1
	s_movk_i32 s22, 0x7fff
	s_waitcnt vmcnt(0)
	v_lshlrev_b32_e32 v5, 24, v5
	v_and_b32_e32 v8, 0x7f000000, v5
	v_ffbh_u32_e32 v9, v8
	v_min_u32_e32 v9, 32, v9
	v_sub_u32_e64 v9, v9, 4 clamp
	v_lshlrev_b32_e32 v11, v9, v8
	v_lshlrev_b32_e32 v9, 23, v9
	v_lshrrev_b32_e32 v11, 4, v11
	v_add_u32_e32 v10, 0x1000000, v8
	v_sub_u32_e32 v9, v11, v9
	v_ashrrev_i32_e32 v10, 8, v10
	v_add_u32_e32 v9, 0x3c000000, v9
	v_and_or_b32 v9, v10, s4, v9
	v_cmp_ne_u32_e32 vcc, 0, v8
	v_cndmask_b32_e32 v8, 0, v9, vcc
	v_and_or_b32 v5, v5, s5, v8
	v_bfe_u32 v8, v8, 16, 1
	v_add3_u32 v8, v5, v8, s22
	v_cmp_o_f32_e32 vcc, v5, v5
	v_mov_b32_e32 v5, 0x7fc0
	v_cndmask_b32_sdwa v5, v5, v8, vcc dst_sel:DWORD dst_unused:UNUSED_PAD src0_sel:DWORD src1_sel:WORD_1
.LBB239_1859:
	s_mov_b64 s[4:5], 0
.LBB239_1860:
	s_andn2_b64 vcc, exec, s[4:5]
	s_cbranch_vccnz .LBB239_1862
; %bb.1861:
	global_load_ubyte v5, v[0:1], off
	s_movk_i32 s4, 0x7f00
	s_brev_b32 s5, 16
	s_brev_b32 s22, 1
	s_movk_i32 s23, 0x7fff
	s_waitcnt vmcnt(0)
	v_lshlrev_b16_e32 v8, 8, v5
	v_lshlrev_b32_e32 v5, 25, v5
	v_lshrrev_b32_e32 v9, 4, v5
	v_and_or_b32 v10, v8, s4, 0.5
	v_or_b32_e32 v9, 0x70000000, v9
	v_add_f32_e32 v10, -0.5, v10
	v_mul_f32_e32 v9, 0x7800000, v9
	v_cmp_gt_u32_e32 vcc, s5, v5
	v_bfe_i32 v8, v8, 0, 16
	v_cndmask_b32_e32 v5, v9, v10, vcc
	v_and_or_b32 v8, v8, s22, v5
	v_bfe_u32 v5, v5, 16, 1
	v_add3_u32 v5, v8, v5, s23
	v_cmp_o_f32_e32 vcc, v8, v8
	v_mov_b32_e32 v8, 0x7fc0
	v_cndmask_b32_sdwa v5, v8, v5, vcc dst_sel:DWORD dst_unused:UNUSED_PAD src0_sel:DWORD src1_sel:WORD_1
.LBB239_1862:
	s_mov_b64 s[4:5], 0
	s_mov_b64 s[22:23], -1
.LBB239_1863:
	s_andn2_b64 vcc, exec, s[4:5]
	s_mov_b64 s[4:5], 0
	s_cbranch_vccnz .LBB239_1874
; %bb.1864:
	s_cmp_gt_i32 s15, 14
	s_cbranch_scc0 .LBB239_1867
; %bb.1865:
	s_cmp_eq_u32 s15, 15
	s_cbranch_scc0 .LBB239_1870
; %bb.1866:
	global_load_ushort v5, v[0:1], off
	s_mov_b64 s[0:1], 0
	s_mov_b64 s[22:23], -1
	s_branch .LBB239_1871
.LBB239_1867:
	s_mov_b64 s[24:25], -1
                                        ; implicit-def: $vgpr5
	s_branch .LBB239_1872
.LBB239_1868:
	s_or_saveexec_b64 s[22:23], s[22:23]
	v_mov_b32_e32 v8, 0x7f800001
	s_xor_b64 exec, exec, s[22:23]
	s_cbranch_execz .LBB239_1849
.LBB239_1869:
	v_cmp_ne_u16_e32 vcc, 0, v5
	s_andn2_b64 s[4:5], s[4:5], exec
	s_and_b64 s[24:25], vcc, exec
	v_mov_b32_e32 v8, 0
	s_or_b64 s[4:5], s[4:5], s[24:25]
	s_or_b64 exec, exec, s[22:23]
	s_and_saveexec_b64 s[22:23], s[4:5]
	s_cbranch_execnz .LBB239_1850
	s_branch .LBB239_1851
.LBB239_1870:
	s_mov_b64 s[0:1], -1
                                        ; implicit-def: $vgpr5
.LBB239_1871:
	s_mov_b64 s[24:25], 0
.LBB239_1872:
	s_and_b64 vcc, exec, s[24:25]
	s_cbranch_vccz .LBB239_1874
; %bb.1873:
	s_cmp_lg_u32 s15, 11
	s_mov_b64 s[4:5], -1
	s_cselect_b64 s[0:1], -1, 0
.LBB239_1874:
	s_and_b64 vcc, exec, s[0:1]
	s_cbranch_vccnz .LBB239_1937
; %bb.1875:
	s_andn2_b64 vcc, exec, s[4:5]
	s_cbranch_vccnz .LBB239_1877
.LBB239_1876:
	global_load_ubyte v5, v[0:1], off
	s_mov_b64 s[22:23], -1
	s_waitcnt vmcnt(0)
	v_cmp_ne_u16_e32 vcc, 0, v5
	v_cndmask_b32_e64 v5, 0, 1.0, vcc
	v_lshrrev_b32_e32 v5, 16, v5
.LBB239_1877:
	s_branch .LBB239_1805
.LBB239_1878:
	s_and_b32 s4, 0xffff, s28
	s_cmp_lt_i32 s4, 5
	s_cbranch_scc1 .LBB239_1883
; %bb.1879:
	s_cmp_lt_i32 s4, 8
	s_cbranch_scc1 .LBB239_1884
; %bb.1880:
	;; [unrolled: 3-line block ×3, first 2 shown]
	s_cmp_gt_i32 s4, 9
	s_cbranch_scc0 .LBB239_1886
; %bb.1882:
	global_load_dwordx2 v[8:9], v[0:1], off
	s_movk_i32 s0, 0x7fff
	s_waitcnt vmcnt(0)
	v_cvt_f32_f64_e32 v5, v[8:9]
	v_mov_b32_e32 v8, 0x7fc0
	v_bfe_u32 v9, v5, 16, 1
	v_cmp_o_f32_e32 vcc, v5, v5
	v_add3_u32 v5, v5, v9, s0
	v_cndmask_b32_sdwa v5, v8, v5, vcc dst_sel:DWORD dst_unused:UNUSED_PAD src0_sel:DWORD src1_sel:WORD_1
	s_mov_b64 s[0:1], 0
	s_branch .LBB239_1887
.LBB239_1883:
	s_mov_b64 s[0:1], -1
                                        ; implicit-def: $vgpr5
	s_branch .LBB239_1905
.LBB239_1884:
	s_mov_b64 s[0:1], -1
                                        ; implicit-def: $vgpr5
	s_branch .LBB239_1893
.LBB239_1885:
	s_mov_b64 s[0:1], -1
                                        ; implicit-def: $vgpr5
	s_branch .LBB239_1890
.LBB239_1886:
	s_mov_b64 s[0:1], -1
                                        ; implicit-def: $vgpr5
.LBB239_1887:
	s_andn2_b64 vcc, exec, s[0:1]
	s_cbranch_vccnz .LBB239_1889
; %bb.1888:
	global_load_dword v5, v[0:1], off
	s_movk_i32 s0, 0x7fff
	v_mov_b32_e32 v8, 0x7fc0
	s_waitcnt vmcnt(0)
	v_bfe_u32 v9, v5, 16, 1
	v_cmp_o_f32_e32 vcc, v5, v5
	v_add3_u32 v5, v5, v9, s0
	v_cndmask_b32_sdwa v5, v8, v5, vcc dst_sel:DWORD dst_unused:UNUSED_PAD src0_sel:DWORD src1_sel:WORD_1
.LBB239_1889:
	s_mov_b64 s[0:1], 0
.LBB239_1890:
	s_andn2_b64 vcc, exec, s[0:1]
	s_cbranch_vccnz .LBB239_1892
; %bb.1891:
	global_load_dword v5, v[0:1], off
	s_movk_i32 s0, 0x7fff
	v_mov_b32_e32 v9, 0x7fc0
	s_waitcnt vmcnt(0)
	v_cvt_f32_f16_e32 v8, v5
	v_cmp_o_f16_e32 vcc, v5, v5
	v_bfe_u32 v5, v8, 16, 1
	v_add3_u32 v5, v8, v5, s0
	v_cndmask_b32_sdwa v5, v9, v5, vcc dst_sel:DWORD dst_unused:UNUSED_PAD src0_sel:DWORD src1_sel:WORD_1
.LBB239_1892:
	s_mov_b64 s[0:1], 0
.LBB239_1893:
	s_andn2_b64 vcc, exec, s[0:1]
	s_cbranch_vccnz .LBB239_1904
; %bb.1894:
	s_cmp_lt_i32 s4, 6
	s_cbranch_scc1 .LBB239_1897
; %bb.1895:
	s_cmp_gt_i32 s4, 6
	s_cbranch_scc0 .LBB239_1898
; %bb.1896:
	global_load_dwordx2 v[8:9], v[0:1], off
	s_movk_i32 s0, 0x7fff
	s_waitcnt vmcnt(0)
	v_cvt_f32_f64_e32 v5, v[8:9]
	v_mov_b32_e32 v8, 0x7fc0
	v_bfe_u32 v9, v5, 16, 1
	v_cmp_o_f32_e32 vcc, v5, v5
	v_add3_u32 v5, v5, v9, s0
	v_cndmask_b32_sdwa v5, v8, v5, vcc dst_sel:DWORD dst_unused:UNUSED_PAD src0_sel:DWORD src1_sel:WORD_1
	s_mov_b64 s[0:1], 0
	s_branch .LBB239_1899
.LBB239_1897:
	s_mov_b64 s[0:1], -1
                                        ; implicit-def: $vgpr5
	s_branch .LBB239_1902
.LBB239_1898:
	s_mov_b64 s[0:1], -1
                                        ; implicit-def: $vgpr5
.LBB239_1899:
	s_andn2_b64 vcc, exec, s[0:1]
	s_cbranch_vccnz .LBB239_1901
; %bb.1900:
	global_load_dword v5, v[0:1], off
	s_movk_i32 s0, 0x7fff
	v_mov_b32_e32 v8, 0x7fc0
	s_waitcnt vmcnt(0)
	v_bfe_u32 v9, v5, 16, 1
	v_cmp_o_f32_e32 vcc, v5, v5
	v_add3_u32 v5, v5, v9, s0
	v_cndmask_b32_sdwa v5, v8, v5, vcc dst_sel:DWORD dst_unused:UNUSED_PAD src0_sel:DWORD src1_sel:WORD_1
.LBB239_1901:
	s_mov_b64 s[0:1], 0
.LBB239_1902:
	s_andn2_b64 vcc, exec, s[0:1]
	s_cbranch_vccnz .LBB239_1904
; %bb.1903:
	global_load_ushort v5, v[0:1], off
	s_movk_i32 s0, 0x7fff
	v_mov_b32_e32 v9, 0x7fc0
	s_waitcnt vmcnt(0)
	v_cvt_f32_f16_e32 v8, v5
	v_cmp_o_f16_e32 vcc, v5, v5
	v_bfe_u32 v5, v8, 16, 1
	v_add3_u32 v5, v8, v5, s0
	v_cndmask_b32_sdwa v5, v9, v5, vcc dst_sel:DWORD dst_unused:UNUSED_PAD src0_sel:DWORD src1_sel:WORD_1
.LBB239_1904:
	s_mov_b64 s[0:1], 0
.LBB239_1905:
	s_andn2_b64 vcc, exec, s[0:1]
	s_cbranch_vccnz .LBB239_1925
; %bb.1906:
	s_cmp_lt_i32 s4, 2
	s_cbranch_scc1 .LBB239_1910
; %bb.1907:
	s_cmp_lt_i32 s4, 3
	s_cbranch_scc1 .LBB239_1911
; %bb.1908:
	s_cmp_gt_i32 s4, 3
	s_cbranch_scc0 .LBB239_1912
; %bb.1909:
	global_load_dwordx2 v[8:9], v[0:1], off
	s_movk_i32 s0, 0x7fff
	s_waitcnt vmcnt(0)
	v_xor_b32_e32 v10, v8, v9
	v_ffbh_i32_e32 v5, v9
	v_ashrrev_i32_e32 v10, 31, v10
	v_add_u32_e32 v5, -1, v5
	v_add_u32_e32 v10, 32, v10
	v_min_u32_e32 v5, v5, v10
	v_lshlrev_b64 v[8:9], v5, v[8:9]
	v_sub_u32_e32 v5, 32, v5
	v_min_u32_e32 v8, 1, v8
	v_or_b32_e32 v8, v9, v8
	v_cvt_f32_i32_e32 v8, v8
	v_ldexp_f32 v5, v8, v5
	v_bfe_u32 v8, v5, 16, 1
	v_add3_u32 v5, v5, v8, s0
	v_lshrrev_b32_e32 v5, 16, v5
	s_mov_b64 s[0:1], 0
	s_branch .LBB239_1913
.LBB239_1910:
	s_mov_b64 s[0:1], -1
                                        ; implicit-def: $vgpr5
	s_branch .LBB239_1919
.LBB239_1911:
	s_mov_b64 s[0:1], -1
                                        ; implicit-def: $vgpr5
	s_branch .LBB239_1916
.LBB239_1912:
	s_mov_b64 s[0:1], -1
                                        ; implicit-def: $vgpr5
.LBB239_1913:
	s_andn2_b64 vcc, exec, s[0:1]
	s_cbranch_vccnz .LBB239_1915
; %bb.1914:
	global_load_dword v5, v[0:1], off
	s_movk_i32 s0, 0x7fff
	s_waitcnt vmcnt(0)
	v_cvt_f32_i32_e32 v5, v5
	v_bfe_u32 v8, v5, 16, 1
	v_add3_u32 v5, v5, v8, s0
	v_lshrrev_b32_e32 v5, 16, v5
.LBB239_1915:
	s_mov_b64 s[0:1], 0
.LBB239_1916:
	s_andn2_b64 vcc, exec, s[0:1]
	s_cbranch_vccnz .LBB239_1918
; %bb.1917:
	global_load_sshort v5, v[0:1], off
	s_movk_i32 s0, 0x7fff
	s_waitcnt vmcnt(0)
	v_cvt_f32_i32_e32 v5, v5
	v_bfe_u32 v8, v5, 16, 1
	v_add3_u32 v5, v5, v8, s0
	v_lshrrev_b32_e32 v5, 16, v5
.LBB239_1918:
	s_mov_b64 s[0:1], 0
.LBB239_1919:
	s_andn2_b64 vcc, exec, s[0:1]
	s_cbranch_vccnz .LBB239_1925
; %bb.1920:
	s_cmp_gt_i32 s4, 0
	s_cbranch_scc0 .LBB239_1922
; %bb.1921:
	global_load_sbyte v5, v[0:1], off
	s_movk_i32 s0, 0x7fff
	s_waitcnt vmcnt(0)
	v_cvt_f32_i32_e32 v5, v5
	v_bfe_u32 v8, v5, 16, 1
	v_add3_u32 v5, v5, v8, s0
	v_lshrrev_b32_e32 v5, 16, v5
	s_mov_b64 s[0:1], 0
	s_branch .LBB239_1923
.LBB239_1922:
	s_mov_b64 s[0:1], -1
                                        ; implicit-def: $vgpr5
.LBB239_1923:
	s_andn2_b64 vcc, exec, s[0:1]
	s_cbranch_vccnz .LBB239_1925
; %bb.1924:
	global_load_ubyte v0, v[0:1], off
	s_movk_i32 s0, 0x7fff
	s_waitcnt vmcnt(0)
	v_cvt_f32_ubyte0_e32 v0, v0
	v_bfe_u32 v1, v0, 16, 1
	v_add3_u32 v0, v0, v1, s0
	v_lshrrev_b32_e32 v5, 16, v0
.LBB239_1925:
.LBB239_1926:
	s_lshl_b32 s26, s14, 7
	v_add_u32_e32 v8, s26, v6
	v_ashrrev_i32_e32 v1, 31, v8
	v_mov_b32_e32 v6, s17
	v_add_co_u32_e32 v0, vcc, s16, v8
	s_cmp_lt_i32 s29, 11
	v_addc_co_u32_e32 v1, vcc, v6, v1, vcc
	s_cbranch_scc1 .LBB239_1933
; %bb.1927:
	s_and_b32 s27, 0xffff, s29
	s_cmp_gt_i32 s27, 25
	s_mov_b64 s[4:5], 0
	s_cbranch_scc0 .LBB239_1934
; %bb.1928:
	s_cmp_gt_i32 s27, 28
	s_cbranch_scc0 .LBB239_1935
; %bb.1929:
	s_cmp_gt_i32 s27, 43
	;; [unrolled: 3-line block ×3, first 2 shown]
	s_cbranch_scc0 .LBB239_1938
; %bb.1931:
	s_cmp_eq_u32 s27, 46
	s_mov_b64 s[22:23], 0
	s_cbranch_scc0 .LBB239_1939
; %bb.1932:
	global_load_dword v6, v[0:1], off
	s_mov_b64 s[0:1], 0
	s_mov_b64 s[14:15], -1
	s_branch .LBB239_1940
.LBB239_1933:
	s_mov_b64 s[0:1], -1
	s_mov_b64 s[14:15], 0
                                        ; implicit-def: $vgpr6
	s_branch .LBB239_2006
.LBB239_1934:
	s_mov_b64 s[22:23], -1
	s_mov_b64 s[14:15], 0
	s_mov_b64 s[0:1], 0
                                        ; implicit-def: $vgpr6
	s_branch .LBB239_1969
.LBB239_1935:
	s_mov_b64 s[22:23], -1
	s_mov_b64 s[14:15], 0
	s_mov_b64 s[0:1], 0
                                        ; implicit-def: $vgpr6
	s_branch .LBB239_1950
.LBB239_1936:
	s_mov_b64 s[22:23], -1
	s_mov_b64 s[14:15], 0
	s_mov_b64 s[0:1], 0
                                        ; implicit-def: $vgpr6
	s_branch .LBB239_1945
.LBB239_1937:
	s_trap 2
	s_or_b64 s[20:21], s[20:21], exec
	s_cbranch_execz .LBB239_1876
	s_branch .LBB239_1877
.LBB239_1938:
	s_mov_b64 s[22:23], -1
	s_mov_b64 s[14:15], 0
	s_mov_b64 s[0:1], 0
                                        ; implicit-def: $vgpr6
	s_branch .LBB239_1940
.LBB239_1939:
	s_mov_b64 s[0:1], -1
                                        ; implicit-def: $vgpr6
	s_mov_b64 s[14:15], 0
.LBB239_1940:
	s_and_b64 vcc, exec, s[22:23]
	s_cbranch_vccz .LBB239_1944
; %bb.1941:
	s_cmp_eq_u32 s27, 44
	s_cbranch_scc0 .LBB239_1943
; %bb.1942:
	global_load_ubyte v6, v[0:1], off
	s_movk_i32 s14, 0xff
	v_mov_b32_e32 v9, 0x7f800001
	v_mov_b32_e32 v10, 0x400000
	;; [unrolled: 1-line block ×3, first 2 shown]
	s_mov_b64 s[0:1], 0
	s_waitcnt vmcnt(0)
	v_lshlrev_b32_e32 v12, 23, v6
	v_cmp_ne_u32_e32 vcc, s14, v6
	v_cndmask_b32_e32 v9, v9, v12, vcc
	v_cmp_ne_u32_e32 vcc, 0, v6
	v_cndmask_b32_e32 v6, v10, v9, vcc
	v_add_u32_e32 v9, 0x7fff, v6
	v_cmp_o_f32_e32 vcc, v6, v6
	v_cndmask_b32_sdwa v6, v11, v9, vcc dst_sel:DWORD dst_unused:UNUSED_PAD src0_sel:DWORD src1_sel:WORD_1
	s_mov_b64 s[14:15], -1
	s_branch .LBB239_1944
.LBB239_1943:
	s_mov_b64 s[0:1], -1
                                        ; implicit-def: $vgpr6
.LBB239_1944:
	s_mov_b64 s[22:23], 0
.LBB239_1945:
	s_and_b64 vcc, exec, s[22:23]
	s_cbranch_vccz .LBB239_1949
; %bb.1946:
	s_cmp_eq_u32 s27, 29
	s_cbranch_scc0 .LBB239_1948
; %bb.1947:
	global_load_dwordx2 v[9:10], v[0:1], off
	s_movk_i32 s14, 0x7fff
	s_mov_b64 s[0:1], 0
	s_mov_b64 s[22:23], 0
	s_waitcnt vmcnt(0)
	v_ffbh_u32_e32 v6, v10
	v_min_u32_e32 v6, 32, v6
	v_lshlrev_b64 v[9:10], v6, v[9:10]
	v_sub_u32_e32 v6, 32, v6
	v_min_u32_e32 v9, 1, v9
	v_or_b32_e32 v9, v10, v9
	v_cvt_f32_u32_e32 v9, v9
	v_ldexp_f32 v6, v9, v6
	v_bfe_u32 v9, v6, 16, 1
	v_add3_u32 v6, v6, v9, s14
	v_lshrrev_b32_e32 v6, 16, v6
	s_mov_b64 s[14:15], -1
	s_branch .LBB239_1950
.LBB239_1948:
	s_mov_b64 s[0:1], -1
                                        ; implicit-def: $vgpr6
.LBB239_1949:
	s_mov_b64 s[22:23], 0
.LBB239_1950:
	s_and_b64 vcc, exec, s[22:23]
	s_cbranch_vccz .LBB239_1968
; %bb.1951:
	s_cmp_lt_i32 s27, 27
	s_cbranch_scc1 .LBB239_1954
; %bb.1952:
	s_cmp_gt_i32 s27, 27
	s_cbranch_scc0 .LBB239_1955
; %bb.1953:
	global_load_dword v6, v[0:1], off
	s_movk_i32 s14, 0x7fff
	s_waitcnt vmcnt(0)
	v_cvt_f32_u32_e32 v6, v6
	v_bfe_u32 v9, v6, 16, 1
	v_add3_u32 v6, v6, v9, s14
	v_lshrrev_b32_e32 v6, 16, v6
	s_mov_b64 s[14:15], 0
	s_branch .LBB239_1956
.LBB239_1954:
	s_mov_b64 s[14:15], -1
                                        ; implicit-def: $vgpr6
	s_branch .LBB239_1959
.LBB239_1955:
	s_mov_b64 s[14:15], -1
                                        ; implicit-def: $vgpr6
.LBB239_1956:
	s_andn2_b64 vcc, exec, s[14:15]
	s_cbranch_vccnz .LBB239_1958
; %bb.1957:
	global_load_ushort v6, v[0:1], off
	s_movk_i32 s14, 0x7fff
	s_waitcnt vmcnt(0)
	v_cvt_f32_u32_e32 v6, v6
	v_bfe_u32 v9, v6, 16, 1
	v_add3_u32 v6, v6, v9, s14
	v_lshrrev_b32_e32 v6, 16, v6
.LBB239_1958:
	s_mov_b64 s[14:15], 0
.LBB239_1959:
	s_andn2_b64 vcc, exec, s[14:15]
	s_cbranch_vccnz .LBB239_1967
; %bb.1960:
	global_load_ubyte v6, v[0:1], off
	s_movk_i32 s14, 0x7f
	s_waitcnt vmcnt(0)
	v_cmp_lt_i16_e32 vcc, s14, v6
	s_mov_b64 s[14:15], 0
	s_and_saveexec_b64 s[22:23], vcc
	s_xor_b64 s[22:23], exec, s[22:23]
	s_cbranch_execz .LBB239_1981
; %bb.1961:
	s_movk_i32 s14, 0x80
	v_cmp_eq_u16_e32 vcc, s14, v6
	s_mov_b64 s[14:15], -1
	s_and_saveexec_b64 s[24:25], vcc
; %bb.1962:
	s_xor_b64 s[14:15], exec, -1
; %bb.1963:
	s_or_b64 exec, exec, s[24:25]
	s_and_b64 s[14:15], s[14:15], exec
	s_or_saveexec_b64 s[22:23], s[22:23]
	v_mov_b32_e32 v9, 0x7f800001
	s_xor_b64 exec, exec, s[22:23]
	s_cbranch_execnz .LBB239_1982
.LBB239_1964:
	s_or_b64 exec, exec, s[22:23]
	s_and_saveexec_b64 s[22:23], s[14:15]
	s_cbranch_execz .LBB239_1966
.LBB239_1965:
	v_lshlrev_b32_e32 v9, 24, v6
	v_and_b32_e32 v6, 0xffff, v6
	v_and_b32_e32 v10, 7, v6
	v_ffbh_u32_e32 v12, v10
	v_min_u32_e32 v12, 32, v12
	v_subrev_u32_e32 v13, 28, v12
	v_bfe_u32 v11, v6, 3, 4
	v_lshlrev_b32_e32 v6, v13, v6
	v_sub_u32_e32 v12, 29, v12
	v_and_b32_e32 v6, 7, v6
	v_cmp_eq_u32_e32 vcc, 0, v11
	v_cndmask_b32_e32 v11, v11, v12, vcc
	v_cndmask_b32_e32 v6, v10, v6, vcc
	v_mov_b32_e32 v10, 0x3b800000
	v_lshlrev_b32_e32 v6, 20, v6
	v_and_b32_e32 v9, 0x80000000, v9
	v_lshl_add_u32 v10, v11, 23, v10
	v_or3_b32 v9, v9, v10, v6
.LBB239_1966:
	s_or_b64 exec, exec, s[22:23]
	v_bfe_u32 v6, v9, 16, 1
	s_movk_i32 s14, 0x7fff
	v_add3_u32 v6, v9, v6, s14
	v_cmp_o_f32_e32 vcc, v9, v9
	v_mov_b32_e32 v9, 0x7fc0
	v_cndmask_b32_sdwa v6, v9, v6, vcc dst_sel:DWORD dst_unused:UNUSED_PAD src0_sel:DWORD src1_sel:WORD_1
.LBB239_1967:
	s_mov_b64 s[14:15], -1
.LBB239_1968:
	s_mov_b64 s[22:23], 0
.LBB239_1969:
	s_and_b64 vcc, exec, s[22:23]
	s_cbranch_vccz .LBB239_2002
; %bb.1970:
	s_cmp_gt_i32 s27, 22
	s_cbranch_scc0 .LBB239_1980
; %bb.1971:
	s_cmp_lt_i32 s27, 24
	s_cbranch_scc1 .LBB239_1983
; %bb.1972:
	s_cmp_gt_i32 s27, 24
	s_cbranch_scc0 .LBB239_1984
; %bb.1973:
	global_load_ubyte v6, v[0:1], off
	s_movk_i32 s4, 0x7f
	s_waitcnt vmcnt(0)
	v_cmp_lt_i16_e32 vcc, s4, v6
	s_mov_b64 s[4:5], 0
	s_and_saveexec_b64 s[14:15], vcc
	s_xor_b64 s[14:15], exec, s[14:15]
	s_cbranch_execz .LBB239_1996
; %bb.1974:
	s_movk_i32 s4, 0x80
	v_cmp_eq_u16_e32 vcc, s4, v6
	s_mov_b64 s[4:5], -1
	s_and_saveexec_b64 s[22:23], vcc
; %bb.1975:
	s_xor_b64 s[4:5], exec, -1
; %bb.1976:
	s_or_b64 exec, exec, s[22:23]
	s_and_b64 s[4:5], s[4:5], exec
	s_or_saveexec_b64 s[14:15], s[14:15]
	v_mov_b32_e32 v9, 0x7f800001
	s_xor_b64 exec, exec, s[14:15]
	s_cbranch_execnz .LBB239_1997
.LBB239_1977:
	s_or_b64 exec, exec, s[14:15]
	s_and_saveexec_b64 s[14:15], s[4:5]
	s_cbranch_execz .LBB239_1979
.LBB239_1978:
	v_lshlrev_b32_e32 v9, 24, v6
	v_and_b32_e32 v6, 0xffff, v6
	v_and_b32_e32 v10, 3, v6
	v_ffbh_u32_e32 v12, v10
	v_min_u32_e32 v12, 32, v12
	v_subrev_u32_e32 v13, 29, v12
	v_bfe_u32 v11, v6, 2, 5
	v_lshlrev_b32_e32 v6, v13, v6
	v_sub_u32_e32 v12, 30, v12
	v_and_b32_e32 v6, 3, v6
	v_cmp_eq_u32_e32 vcc, 0, v11
	v_cndmask_b32_e32 v11, v11, v12, vcc
	v_cndmask_b32_e32 v6, v10, v6, vcc
	v_mov_b32_e32 v10, 0x37800000
	v_lshlrev_b32_e32 v6, 21, v6
	v_and_b32_e32 v9, 0x80000000, v9
	v_lshl_add_u32 v10, v11, 23, v10
	v_or3_b32 v9, v9, v10, v6
.LBB239_1979:
	s_or_b64 exec, exec, s[14:15]
	v_bfe_u32 v6, v9, 16, 1
	s_movk_i32 s4, 0x7fff
	v_add3_u32 v6, v9, v6, s4
	v_cmp_o_f32_e32 vcc, v9, v9
	v_mov_b32_e32 v9, 0x7fc0
	v_cndmask_b32_sdwa v6, v9, v6, vcc dst_sel:DWORD dst_unused:UNUSED_PAD src0_sel:DWORD src1_sel:WORD_1
	s_mov_b64 s[4:5], 0
	s_branch .LBB239_1985
.LBB239_1980:
	s_mov_b64 s[4:5], -1
                                        ; implicit-def: $vgpr6
	s_branch .LBB239_1991
.LBB239_1981:
	s_or_saveexec_b64 s[22:23], s[22:23]
	v_mov_b32_e32 v9, 0x7f800001
	s_xor_b64 exec, exec, s[22:23]
	s_cbranch_execz .LBB239_1964
.LBB239_1982:
	v_cmp_ne_u16_e32 vcc, 0, v6
	s_andn2_b64 s[14:15], s[14:15], exec
	s_and_b64 s[24:25], vcc, exec
	v_mov_b32_e32 v9, 0
	s_or_b64 s[14:15], s[14:15], s[24:25]
	s_or_b64 exec, exec, s[22:23]
	s_and_saveexec_b64 s[22:23], s[14:15]
	s_cbranch_execnz .LBB239_1965
	s_branch .LBB239_1966
.LBB239_1983:
	s_mov_b64 s[4:5], -1
                                        ; implicit-def: $vgpr6
	s_branch .LBB239_1988
.LBB239_1984:
	s_mov_b64 s[4:5], -1
                                        ; implicit-def: $vgpr6
.LBB239_1985:
	s_and_b64 vcc, exec, s[4:5]
	s_cbranch_vccz .LBB239_1987
; %bb.1986:
	global_load_ubyte v6, v[0:1], off
	s_mov_b32 s4, 0x7f800000
	s_brev_b32 s5, 1
	s_movk_i32 s14, 0x7fff
	s_waitcnt vmcnt(0)
	v_lshlrev_b32_e32 v6, 24, v6
	v_and_b32_e32 v9, 0x7f000000, v6
	v_ffbh_u32_e32 v10, v9
	v_min_u32_e32 v10, 32, v10
	v_sub_u32_e64 v10, v10, 4 clamp
	v_lshlrev_b32_e32 v12, v10, v9
	v_lshlrev_b32_e32 v10, 23, v10
	v_lshrrev_b32_e32 v12, 4, v12
	v_add_u32_e32 v11, 0x1000000, v9
	v_sub_u32_e32 v10, v12, v10
	v_ashrrev_i32_e32 v11, 8, v11
	v_add_u32_e32 v10, 0x3c000000, v10
	v_and_or_b32 v10, v11, s4, v10
	v_cmp_ne_u32_e32 vcc, 0, v9
	v_cndmask_b32_e32 v9, 0, v10, vcc
	v_and_or_b32 v6, v6, s5, v9
	v_bfe_u32 v9, v9, 16, 1
	v_add3_u32 v9, v6, v9, s14
	v_cmp_o_f32_e32 vcc, v6, v6
	v_mov_b32_e32 v6, 0x7fc0
	v_cndmask_b32_sdwa v6, v6, v9, vcc dst_sel:DWORD dst_unused:UNUSED_PAD src0_sel:DWORD src1_sel:WORD_1
.LBB239_1987:
	s_mov_b64 s[4:5], 0
.LBB239_1988:
	s_andn2_b64 vcc, exec, s[4:5]
	s_cbranch_vccnz .LBB239_1990
; %bb.1989:
	global_load_ubyte v6, v[0:1], off
	s_movk_i32 s4, 0x7f00
	s_brev_b32 s5, 16
	s_brev_b32 s14, 1
	s_movk_i32 s15, 0x7fff
	s_waitcnt vmcnt(0)
	v_lshlrev_b16_e32 v9, 8, v6
	v_lshlrev_b32_e32 v6, 25, v6
	v_lshrrev_b32_e32 v10, 4, v6
	v_and_or_b32 v11, v9, s4, 0.5
	v_or_b32_e32 v10, 0x70000000, v10
	v_add_f32_e32 v11, -0.5, v11
	v_mul_f32_e32 v10, 0x7800000, v10
	v_cmp_gt_u32_e32 vcc, s5, v6
	v_bfe_i32 v9, v9, 0, 16
	v_cndmask_b32_e32 v6, v10, v11, vcc
	v_and_or_b32 v9, v9, s14, v6
	v_bfe_u32 v6, v6, 16, 1
	v_add3_u32 v6, v9, v6, s15
	v_cmp_o_f32_e32 vcc, v9, v9
	v_mov_b32_e32 v9, 0x7fc0
	v_cndmask_b32_sdwa v6, v9, v6, vcc dst_sel:DWORD dst_unused:UNUSED_PAD src0_sel:DWORD src1_sel:WORD_1
.LBB239_1990:
	s_mov_b64 s[4:5], 0
	s_mov_b64 s[14:15], -1
.LBB239_1991:
	s_andn2_b64 vcc, exec, s[4:5]
	s_mov_b64 s[4:5], 0
	s_cbranch_vccnz .LBB239_2002
; %bb.1992:
	s_cmp_gt_i32 s27, 14
	s_cbranch_scc0 .LBB239_1995
; %bb.1993:
	s_cmp_eq_u32 s27, 15
	s_cbranch_scc0 .LBB239_1998
; %bb.1994:
	global_load_ushort v6, v[0:1], off
	s_mov_b64 s[0:1], 0
	s_mov_b64 s[14:15], -1
	s_branch .LBB239_1999
.LBB239_1995:
	s_mov_b64 s[22:23], -1
                                        ; implicit-def: $vgpr6
	s_branch .LBB239_2000
.LBB239_1996:
	s_or_saveexec_b64 s[14:15], s[14:15]
	v_mov_b32_e32 v9, 0x7f800001
	s_xor_b64 exec, exec, s[14:15]
	s_cbranch_execz .LBB239_1977
.LBB239_1997:
	v_cmp_ne_u16_e32 vcc, 0, v6
	s_andn2_b64 s[4:5], s[4:5], exec
	s_and_b64 s[22:23], vcc, exec
	v_mov_b32_e32 v9, 0
	s_or_b64 s[4:5], s[4:5], s[22:23]
	s_or_b64 exec, exec, s[14:15]
	s_and_saveexec_b64 s[14:15], s[4:5]
	s_cbranch_execnz .LBB239_1978
	s_branch .LBB239_1979
.LBB239_1998:
	s_mov_b64 s[0:1], -1
                                        ; implicit-def: $vgpr6
.LBB239_1999:
	s_mov_b64 s[22:23], 0
.LBB239_2000:
	s_and_b64 vcc, exec, s[22:23]
	s_cbranch_vccz .LBB239_2002
; %bb.2001:
	s_cmp_lg_u32 s27, 11
	s_mov_b64 s[4:5], -1
	s_cselect_b64 s[0:1], -1, 0
.LBB239_2002:
	s_and_b64 vcc, exec, s[0:1]
	s_cbranch_vccnz .LBB239_2067
; %bb.2003:
	s_andn2_b64 vcc, exec, s[4:5]
	s_cbranch_vccnz .LBB239_2005
.LBB239_2004:
	global_load_ubyte v6, v[0:1], off
	s_mov_b64 s[14:15], -1
	s_waitcnt vmcnt(0)
	v_cmp_ne_u16_e32 vcc, 0, v6
	v_cndmask_b32_e64 v6, 0, 1.0, vcc
	v_lshrrev_b32_e32 v6, 16, v6
.LBB239_2005:
	s_mov_b64 s[0:1], 0
.LBB239_2006:
	s_and_b64 vcc, exec, s[0:1]
	s_cbranch_vccz .LBB239_2055
; %bb.2007:
	s_and_b32 s4, 0xffff, s29
	s_cmp_lt_i32 s4, 5
	s_cbranch_scc1 .LBB239_2012
; %bb.2008:
	s_cmp_lt_i32 s4, 8
	s_cbranch_scc1 .LBB239_2013
; %bb.2009:
	;; [unrolled: 3-line block ×3, first 2 shown]
	s_cmp_gt_i32 s4, 9
	s_cbranch_scc0 .LBB239_2015
; %bb.2011:
	global_load_dwordx2 v[9:10], v[0:1], off
	s_movk_i32 s0, 0x7fff
	s_waitcnt vmcnt(0)
	v_cvt_f32_f64_e32 v6, v[9:10]
	v_mov_b32_e32 v9, 0x7fc0
	v_bfe_u32 v10, v6, 16, 1
	v_cmp_o_f32_e32 vcc, v6, v6
	v_add3_u32 v6, v6, v10, s0
	v_cndmask_b32_sdwa v6, v9, v6, vcc dst_sel:DWORD dst_unused:UNUSED_PAD src0_sel:DWORD src1_sel:WORD_1
	s_mov_b64 s[0:1], 0
	s_branch .LBB239_2016
.LBB239_2012:
	s_mov_b64 s[0:1], -1
                                        ; implicit-def: $vgpr6
	s_branch .LBB239_2034
.LBB239_2013:
	s_mov_b64 s[0:1], -1
                                        ; implicit-def: $vgpr6
	s_branch .LBB239_2022
.LBB239_2014:
	s_mov_b64 s[0:1], -1
                                        ; implicit-def: $vgpr6
	s_branch .LBB239_2019
.LBB239_2015:
	s_mov_b64 s[0:1], -1
                                        ; implicit-def: $vgpr6
.LBB239_2016:
	s_andn2_b64 vcc, exec, s[0:1]
	s_cbranch_vccnz .LBB239_2018
; %bb.2017:
	global_load_dword v6, v[0:1], off
	s_movk_i32 s0, 0x7fff
	v_mov_b32_e32 v9, 0x7fc0
	s_waitcnt vmcnt(0)
	v_bfe_u32 v10, v6, 16, 1
	v_cmp_o_f32_e32 vcc, v6, v6
	v_add3_u32 v6, v6, v10, s0
	v_cndmask_b32_sdwa v6, v9, v6, vcc dst_sel:DWORD dst_unused:UNUSED_PAD src0_sel:DWORD src1_sel:WORD_1
.LBB239_2018:
	s_mov_b64 s[0:1], 0
.LBB239_2019:
	s_andn2_b64 vcc, exec, s[0:1]
	s_cbranch_vccnz .LBB239_2021
; %bb.2020:
	global_load_dword v6, v[0:1], off
	s_movk_i32 s0, 0x7fff
	v_mov_b32_e32 v10, 0x7fc0
	s_waitcnt vmcnt(0)
	v_cvt_f32_f16_e32 v9, v6
	v_cmp_o_f16_e32 vcc, v6, v6
	v_bfe_u32 v6, v9, 16, 1
	v_add3_u32 v6, v9, v6, s0
	v_cndmask_b32_sdwa v6, v10, v6, vcc dst_sel:DWORD dst_unused:UNUSED_PAD src0_sel:DWORD src1_sel:WORD_1
.LBB239_2021:
	s_mov_b64 s[0:1], 0
.LBB239_2022:
	s_andn2_b64 vcc, exec, s[0:1]
	s_cbranch_vccnz .LBB239_2033
; %bb.2023:
	s_cmp_lt_i32 s4, 6
	s_cbranch_scc1 .LBB239_2026
; %bb.2024:
	s_cmp_gt_i32 s4, 6
	s_cbranch_scc0 .LBB239_2027
; %bb.2025:
	global_load_dwordx2 v[9:10], v[0:1], off
	s_movk_i32 s0, 0x7fff
	s_waitcnt vmcnt(0)
	v_cvt_f32_f64_e32 v6, v[9:10]
	v_mov_b32_e32 v9, 0x7fc0
	v_bfe_u32 v10, v6, 16, 1
	v_cmp_o_f32_e32 vcc, v6, v6
	v_add3_u32 v6, v6, v10, s0
	v_cndmask_b32_sdwa v6, v9, v6, vcc dst_sel:DWORD dst_unused:UNUSED_PAD src0_sel:DWORD src1_sel:WORD_1
	s_mov_b64 s[0:1], 0
	s_branch .LBB239_2028
.LBB239_2026:
	s_mov_b64 s[0:1], -1
                                        ; implicit-def: $vgpr6
	s_branch .LBB239_2031
.LBB239_2027:
	s_mov_b64 s[0:1], -1
                                        ; implicit-def: $vgpr6
.LBB239_2028:
	s_andn2_b64 vcc, exec, s[0:1]
	s_cbranch_vccnz .LBB239_2030
; %bb.2029:
	global_load_dword v6, v[0:1], off
	s_movk_i32 s0, 0x7fff
	v_mov_b32_e32 v9, 0x7fc0
	s_waitcnt vmcnt(0)
	v_bfe_u32 v10, v6, 16, 1
	v_cmp_o_f32_e32 vcc, v6, v6
	v_add3_u32 v6, v6, v10, s0
	v_cndmask_b32_sdwa v6, v9, v6, vcc dst_sel:DWORD dst_unused:UNUSED_PAD src0_sel:DWORD src1_sel:WORD_1
.LBB239_2030:
	s_mov_b64 s[0:1], 0
.LBB239_2031:
	s_andn2_b64 vcc, exec, s[0:1]
	s_cbranch_vccnz .LBB239_2033
; %bb.2032:
	global_load_ushort v6, v[0:1], off
	s_movk_i32 s0, 0x7fff
	v_mov_b32_e32 v10, 0x7fc0
	s_waitcnt vmcnt(0)
	v_cvt_f32_f16_e32 v9, v6
	v_cmp_o_f16_e32 vcc, v6, v6
	v_bfe_u32 v6, v9, 16, 1
	v_add3_u32 v6, v9, v6, s0
	v_cndmask_b32_sdwa v6, v10, v6, vcc dst_sel:DWORD dst_unused:UNUSED_PAD src0_sel:DWORD src1_sel:WORD_1
.LBB239_2033:
	s_mov_b64 s[0:1], 0
.LBB239_2034:
	s_andn2_b64 vcc, exec, s[0:1]
	s_cbranch_vccnz .LBB239_2054
; %bb.2035:
	s_cmp_lt_i32 s4, 2
	s_cbranch_scc1 .LBB239_2039
; %bb.2036:
	s_cmp_lt_i32 s4, 3
	s_cbranch_scc1 .LBB239_2040
; %bb.2037:
	s_cmp_gt_i32 s4, 3
	s_cbranch_scc0 .LBB239_2041
; %bb.2038:
	global_load_dwordx2 v[9:10], v[0:1], off
	s_movk_i32 s0, 0x7fff
	s_waitcnt vmcnt(0)
	v_xor_b32_e32 v11, v9, v10
	v_ffbh_i32_e32 v6, v10
	v_ashrrev_i32_e32 v11, 31, v11
	v_add_u32_e32 v6, -1, v6
	v_add_u32_e32 v11, 32, v11
	v_min_u32_e32 v6, v6, v11
	v_lshlrev_b64 v[9:10], v6, v[9:10]
	v_sub_u32_e32 v6, 32, v6
	v_min_u32_e32 v9, 1, v9
	v_or_b32_e32 v9, v10, v9
	v_cvt_f32_i32_e32 v9, v9
	v_ldexp_f32 v6, v9, v6
	v_bfe_u32 v9, v6, 16, 1
	v_add3_u32 v6, v6, v9, s0
	v_lshrrev_b32_e32 v6, 16, v6
	s_mov_b64 s[0:1], 0
	s_branch .LBB239_2042
.LBB239_2039:
	s_mov_b64 s[0:1], -1
                                        ; implicit-def: $vgpr6
	s_branch .LBB239_2048
.LBB239_2040:
	s_mov_b64 s[0:1], -1
                                        ; implicit-def: $vgpr6
	s_branch .LBB239_2045
.LBB239_2041:
	s_mov_b64 s[0:1], -1
                                        ; implicit-def: $vgpr6
.LBB239_2042:
	s_andn2_b64 vcc, exec, s[0:1]
	s_cbranch_vccnz .LBB239_2044
; %bb.2043:
	global_load_dword v6, v[0:1], off
	s_movk_i32 s0, 0x7fff
	s_waitcnt vmcnt(0)
	v_cvt_f32_i32_e32 v6, v6
	v_bfe_u32 v9, v6, 16, 1
	v_add3_u32 v6, v6, v9, s0
	v_lshrrev_b32_e32 v6, 16, v6
.LBB239_2044:
	s_mov_b64 s[0:1], 0
.LBB239_2045:
	s_andn2_b64 vcc, exec, s[0:1]
	s_cbranch_vccnz .LBB239_2047
; %bb.2046:
	global_load_sshort v6, v[0:1], off
	s_movk_i32 s0, 0x7fff
	s_waitcnt vmcnt(0)
	v_cvt_f32_i32_e32 v6, v6
	v_bfe_u32 v9, v6, 16, 1
	v_add3_u32 v6, v6, v9, s0
	v_lshrrev_b32_e32 v6, 16, v6
.LBB239_2047:
	s_mov_b64 s[0:1], 0
.LBB239_2048:
	s_andn2_b64 vcc, exec, s[0:1]
	s_cbranch_vccnz .LBB239_2054
; %bb.2049:
	s_cmp_gt_i32 s4, 0
	s_cbranch_scc0 .LBB239_2051
; %bb.2050:
	global_load_sbyte v6, v[0:1], off
	s_movk_i32 s0, 0x7fff
	s_waitcnt vmcnt(0)
	v_cvt_f32_i32_e32 v6, v6
	v_bfe_u32 v9, v6, 16, 1
	v_add3_u32 v6, v6, v9, s0
	v_lshrrev_b32_e32 v6, 16, v6
	s_mov_b64 s[0:1], 0
	s_branch .LBB239_2052
.LBB239_2051:
	s_mov_b64 s[0:1], -1
                                        ; implicit-def: $vgpr6
.LBB239_2052:
	s_andn2_b64 vcc, exec, s[0:1]
	s_cbranch_vccnz .LBB239_2054
; %bb.2053:
	global_load_ubyte v0, v[0:1], off
	s_movk_i32 s0, 0x7fff
	s_waitcnt vmcnt(0)
	v_cvt_f32_ubyte0_e32 v0, v0
	v_bfe_u32 v1, v0, 16, 1
	v_add3_u32 v0, v0, v1, s0
	v_lshrrev_b32_e32 v6, 16, v0
.LBB239_2054:
	s_mov_b64 s[14:15], -1
.LBB239_2055:
	s_andn2_b64 vcc, exec, s[14:15]
	s_cbranch_vccnz .LBB239_3011
; %bb.2056:
	v_add_u32_e32 v9, s13, v7
	v_ashrrev_i32_e32 v1, 31, v9
	v_mov_b32_e32 v7, s11
	v_add_co_u32_e32 v0, vcc, s10, v9
	s_cmp_lt_i32 s28, 11
	v_addc_co_u32_e32 v1, vcc, v7, v1, vcc
	s_cbranch_scc1 .LBB239_2063
; %bb.2057:
	s_and_b32 s27, 0xffff, s28
	s_cmp_gt_i32 s27, 25
	s_mov_b64 s[4:5], 0
	s_cbranch_scc0 .LBB239_2064
; %bb.2058:
	s_cmp_gt_i32 s27, 28
	s_cbranch_scc0 .LBB239_2065
; %bb.2059:
	s_cmp_gt_i32 s27, 43
	;; [unrolled: 3-line block ×3, first 2 shown]
	s_cbranch_scc0 .LBB239_2068
; %bb.2061:
	s_cmp_eq_u32 s27, 46
	s_mov_b64 s[22:23], 0
	s_cbranch_scc0 .LBB239_2069
; %bb.2062:
	global_load_dword v7, v[0:1], off
	s_mov_b64 s[0:1], 0
	s_mov_b64 s[14:15], -1
	s_branch .LBB239_2070
.LBB239_2063:
	s_mov_b64 s[0:1], -1
	s_mov_b64 s[14:15], 0
                                        ; implicit-def: $vgpr7
	s_branch .LBB239_2136
.LBB239_2064:
	s_mov_b64 s[22:23], -1
	s_mov_b64 s[14:15], 0
	s_mov_b64 s[0:1], 0
                                        ; implicit-def: $vgpr7
	s_branch .LBB239_2099
.LBB239_2065:
	s_mov_b64 s[22:23], -1
	s_mov_b64 s[14:15], 0
	s_mov_b64 s[0:1], 0
                                        ; implicit-def: $vgpr7
	s_branch .LBB239_2080
.LBB239_2066:
	s_mov_b64 s[22:23], -1
	s_mov_b64 s[14:15], 0
	s_mov_b64 s[0:1], 0
                                        ; implicit-def: $vgpr7
	s_branch .LBB239_2075
.LBB239_2067:
	s_trap 2
	s_or_b64 s[20:21], s[20:21], exec
	s_cbranch_execz .LBB239_2004
	s_branch .LBB239_2005
.LBB239_2068:
	s_mov_b64 s[22:23], -1
	s_mov_b64 s[14:15], 0
	s_mov_b64 s[0:1], 0
                                        ; implicit-def: $vgpr7
	s_branch .LBB239_2070
.LBB239_2069:
	s_mov_b64 s[0:1], -1
                                        ; implicit-def: $vgpr7
	s_mov_b64 s[14:15], 0
.LBB239_2070:
	s_and_b64 vcc, exec, s[22:23]
	s_cbranch_vccz .LBB239_2074
; %bb.2071:
	s_cmp_eq_u32 s27, 44
	s_cbranch_scc0 .LBB239_2073
; %bb.2072:
	global_load_ubyte v7, v[0:1], off
	s_movk_i32 s14, 0xff
	v_mov_b32_e32 v10, 0x7f800001
	v_mov_b32_e32 v11, 0x400000
	;; [unrolled: 1-line block ×3, first 2 shown]
	s_mov_b64 s[0:1], 0
	s_waitcnt vmcnt(0)
	v_lshlrev_b32_e32 v13, 23, v7
	v_cmp_ne_u32_e32 vcc, s14, v7
	v_cndmask_b32_e32 v10, v10, v13, vcc
	v_cmp_ne_u32_e32 vcc, 0, v7
	v_cndmask_b32_e32 v7, v11, v10, vcc
	v_add_u32_e32 v10, 0x7fff, v7
	v_cmp_o_f32_e32 vcc, v7, v7
	v_cndmask_b32_sdwa v7, v12, v10, vcc dst_sel:DWORD dst_unused:UNUSED_PAD src0_sel:DWORD src1_sel:WORD_1
	s_mov_b64 s[14:15], -1
	s_branch .LBB239_2074
.LBB239_2073:
	s_mov_b64 s[0:1], -1
                                        ; implicit-def: $vgpr7
.LBB239_2074:
	s_mov_b64 s[22:23], 0
.LBB239_2075:
	s_and_b64 vcc, exec, s[22:23]
	s_cbranch_vccz .LBB239_2079
; %bb.2076:
	s_cmp_eq_u32 s27, 29
	s_cbranch_scc0 .LBB239_2078
; %bb.2077:
	global_load_dwordx2 v[10:11], v[0:1], off
	s_movk_i32 s14, 0x7fff
	s_mov_b64 s[0:1], 0
	s_mov_b64 s[22:23], 0
	s_waitcnt vmcnt(0)
	v_ffbh_u32_e32 v7, v11
	v_min_u32_e32 v7, 32, v7
	v_lshlrev_b64 v[10:11], v7, v[10:11]
	v_sub_u32_e32 v7, 32, v7
	v_min_u32_e32 v10, 1, v10
	v_or_b32_e32 v10, v11, v10
	v_cvt_f32_u32_e32 v10, v10
	v_ldexp_f32 v7, v10, v7
	v_bfe_u32 v10, v7, 16, 1
	v_add3_u32 v7, v7, v10, s14
	v_lshrrev_b32_e32 v7, 16, v7
	s_mov_b64 s[14:15], -1
	s_branch .LBB239_2080
.LBB239_2078:
	s_mov_b64 s[0:1], -1
                                        ; implicit-def: $vgpr7
.LBB239_2079:
	s_mov_b64 s[22:23], 0
.LBB239_2080:
	s_and_b64 vcc, exec, s[22:23]
	s_cbranch_vccz .LBB239_2098
; %bb.2081:
	s_cmp_lt_i32 s27, 27
	s_cbranch_scc1 .LBB239_2084
; %bb.2082:
	s_cmp_gt_i32 s27, 27
	s_cbranch_scc0 .LBB239_2085
; %bb.2083:
	global_load_dword v7, v[0:1], off
	s_movk_i32 s14, 0x7fff
	s_waitcnt vmcnt(0)
	v_cvt_f32_u32_e32 v7, v7
	v_bfe_u32 v10, v7, 16, 1
	v_add3_u32 v7, v7, v10, s14
	v_lshrrev_b32_e32 v7, 16, v7
	s_mov_b64 s[14:15], 0
	s_branch .LBB239_2086
.LBB239_2084:
	s_mov_b64 s[14:15], -1
                                        ; implicit-def: $vgpr7
	s_branch .LBB239_2089
.LBB239_2085:
	s_mov_b64 s[14:15], -1
                                        ; implicit-def: $vgpr7
.LBB239_2086:
	s_andn2_b64 vcc, exec, s[14:15]
	s_cbranch_vccnz .LBB239_2088
; %bb.2087:
	global_load_ushort v7, v[0:1], off
	s_movk_i32 s14, 0x7fff
	s_waitcnt vmcnt(0)
	v_cvt_f32_u32_e32 v7, v7
	v_bfe_u32 v10, v7, 16, 1
	v_add3_u32 v7, v7, v10, s14
	v_lshrrev_b32_e32 v7, 16, v7
.LBB239_2088:
	s_mov_b64 s[14:15], 0
.LBB239_2089:
	s_andn2_b64 vcc, exec, s[14:15]
	s_cbranch_vccnz .LBB239_2097
; %bb.2090:
	global_load_ubyte v7, v[0:1], off
	s_movk_i32 s14, 0x7f
	s_waitcnt vmcnt(0)
	v_cmp_lt_i16_e32 vcc, s14, v7
	s_mov_b64 s[14:15], 0
	s_and_saveexec_b64 s[22:23], vcc
	s_xor_b64 s[22:23], exec, s[22:23]
	s_cbranch_execz .LBB239_2111
; %bb.2091:
	s_movk_i32 s14, 0x80
	v_cmp_eq_u16_e32 vcc, s14, v7
	s_mov_b64 s[14:15], -1
	s_and_saveexec_b64 s[24:25], vcc
; %bb.2092:
	s_xor_b64 s[14:15], exec, -1
; %bb.2093:
	s_or_b64 exec, exec, s[24:25]
	s_and_b64 s[14:15], s[14:15], exec
	s_or_saveexec_b64 s[22:23], s[22:23]
	v_mov_b32_e32 v10, 0x7f800001
	s_xor_b64 exec, exec, s[22:23]
	s_cbranch_execnz .LBB239_2112
.LBB239_2094:
	s_or_b64 exec, exec, s[22:23]
	s_and_saveexec_b64 s[22:23], s[14:15]
	s_cbranch_execz .LBB239_2096
.LBB239_2095:
	v_lshlrev_b32_e32 v10, 24, v7
	v_and_b32_e32 v7, 0xffff, v7
	v_and_b32_e32 v11, 7, v7
	v_ffbh_u32_e32 v13, v11
	v_min_u32_e32 v13, 32, v13
	v_subrev_u32_e32 v14, 28, v13
	v_bfe_u32 v12, v7, 3, 4
	v_lshlrev_b32_e32 v7, v14, v7
	v_sub_u32_e32 v13, 29, v13
	v_and_b32_e32 v7, 7, v7
	v_cmp_eq_u32_e32 vcc, 0, v12
	v_cndmask_b32_e32 v12, v12, v13, vcc
	v_cndmask_b32_e32 v7, v11, v7, vcc
	v_mov_b32_e32 v11, 0x3b800000
	v_lshlrev_b32_e32 v7, 20, v7
	v_and_b32_e32 v10, 0x80000000, v10
	v_lshl_add_u32 v11, v12, 23, v11
	v_or3_b32 v10, v10, v11, v7
.LBB239_2096:
	s_or_b64 exec, exec, s[22:23]
	v_bfe_u32 v7, v10, 16, 1
	s_movk_i32 s14, 0x7fff
	v_add3_u32 v7, v10, v7, s14
	v_cmp_o_f32_e32 vcc, v10, v10
	v_mov_b32_e32 v10, 0x7fc0
	v_cndmask_b32_sdwa v7, v10, v7, vcc dst_sel:DWORD dst_unused:UNUSED_PAD src0_sel:DWORD src1_sel:WORD_1
.LBB239_2097:
	s_mov_b64 s[14:15], -1
.LBB239_2098:
	s_mov_b64 s[22:23], 0
.LBB239_2099:
	s_and_b64 vcc, exec, s[22:23]
	s_cbranch_vccz .LBB239_2132
; %bb.2100:
	s_cmp_gt_i32 s27, 22
	s_cbranch_scc0 .LBB239_2110
; %bb.2101:
	s_cmp_lt_i32 s27, 24
	s_cbranch_scc1 .LBB239_2113
; %bb.2102:
	s_cmp_gt_i32 s27, 24
	s_cbranch_scc0 .LBB239_2114
; %bb.2103:
	global_load_ubyte v7, v[0:1], off
	s_movk_i32 s4, 0x7f
	s_waitcnt vmcnt(0)
	v_cmp_lt_i16_e32 vcc, s4, v7
	s_mov_b64 s[4:5], 0
	s_and_saveexec_b64 s[14:15], vcc
	s_xor_b64 s[14:15], exec, s[14:15]
	s_cbranch_execz .LBB239_2126
; %bb.2104:
	s_movk_i32 s4, 0x80
	v_cmp_eq_u16_e32 vcc, s4, v7
	s_mov_b64 s[4:5], -1
	s_and_saveexec_b64 s[22:23], vcc
; %bb.2105:
	s_xor_b64 s[4:5], exec, -1
; %bb.2106:
	s_or_b64 exec, exec, s[22:23]
	s_and_b64 s[4:5], s[4:5], exec
	s_or_saveexec_b64 s[14:15], s[14:15]
	v_mov_b32_e32 v10, 0x7f800001
	s_xor_b64 exec, exec, s[14:15]
	s_cbranch_execnz .LBB239_2127
.LBB239_2107:
	s_or_b64 exec, exec, s[14:15]
	s_and_saveexec_b64 s[14:15], s[4:5]
	s_cbranch_execz .LBB239_2109
.LBB239_2108:
	v_lshlrev_b32_e32 v10, 24, v7
	v_and_b32_e32 v7, 0xffff, v7
	v_and_b32_e32 v11, 3, v7
	v_ffbh_u32_e32 v13, v11
	v_min_u32_e32 v13, 32, v13
	v_subrev_u32_e32 v14, 29, v13
	v_bfe_u32 v12, v7, 2, 5
	v_lshlrev_b32_e32 v7, v14, v7
	v_sub_u32_e32 v13, 30, v13
	v_and_b32_e32 v7, 3, v7
	v_cmp_eq_u32_e32 vcc, 0, v12
	v_cndmask_b32_e32 v12, v12, v13, vcc
	v_cndmask_b32_e32 v7, v11, v7, vcc
	v_mov_b32_e32 v11, 0x37800000
	v_lshlrev_b32_e32 v7, 21, v7
	v_and_b32_e32 v10, 0x80000000, v10
	v_lshl_add_u32 v11, v12, 23, v11
	v_or3_b32 v10, v10, v11, v7
.LBB239_2109:
	s_or_b64 exec, exec, s[14:15]
	v_bfe_u32 v7, v10, 16, 1
	s_movk_i32 s4, 0x7fff
	v_add3_u32 v7, v10, v7, s4
	v_cmp_o_f32_e32 vcc, v10, v10
	v_mov_b32_e32 v10, 0x7fc0
	v_cndmask_b32_sdwa v7, v10, v7, vcc dst_sel:DWORD dst_unused:UNUSED_PAD src0_sel:DWORD src1_sel:WORD_1
	s_mov_b64 s[4:5], 0
	s_branch .LBB239_2115
.LBB239_2110:
	s_mov_b64 s[4:5], -1
                                        ; implicit-def: $vgpr7
	s_branch .LBB239_2121
.LBB239_2111:
	s_or_saveexec_b64 s[22:23], s[22:23]
	v_mov_b32_e32 v10, 0x7f800001
	s_xor_b64 exec, exec, s[22:23]
	s_cbranch_execz .LBB239_2094
.LBB239_2112:
	v_cmp_ne_u16_e32 vcc, 0, v7
	s_andn2_b64 s[14:15], s[14:15], exec
	s_and_b64 s[24:25], vcc, exec
	v_mov_b32_e32 v10, 0
	s_or_b64 s[14:15], s[14:15], s[24:25]
	s_or_b64 exec, exec, s[22:23]
	s_and_saveexec_b64 s[22:23], s[14:15]
	s_cbranch_execnz .LBB239_2095
	s_branch .LBB239_2096
.LBB239_2113:
	s_mov_b64 s[4:5], -1
                                        ; implicit-def: $vgpr7
	s_branch .LBB239_2118
.LBB239_2114:
	s_mov_b64 s[4:5], -1
                                        ; implicit-def: $vgpr7
.LBB239_2115:
	s_and_b64 vcc, exec, s[4:5]
	s_cbranch_vccz .LBB239_2117
; %bb.2116:
	global_load_ubyte v7, v[0:1], off
	s_mov_b32 s4, 0x7f800000
	s_brev_b32 s5, 1
	s_movk_i32 s14, 0x7fff
	s_waitcnt vmcnt(0)
	v_lshlrev_b32_e32 v7, 24, v7
	v_and_b32_e32 v10, 0x7f000000, v7
	v_ffbh_u32_e32 v11, v10
	v_min_u32_e32 v11, 32, v11
	v_sub_u32_e64 v11, v11, 4 clamp
	v_lshlrev_b32_e32 v13, v11, v10
	v_lshlrev_b32_e32 v11, 23, v11
	v_lshrrev_b32_e32 v13, 4, v13
	v_add_u32_e32 v12, 0x1000000, v10
	v_sub_u32_e32 v11, v13, v11
	v_ashrrev_i32_e32 v12, 8, v12
	v_add_u32_e32 v11, 0x3c000000, v11
	v_and_or_b32 v11, v12, s4, v11
	v_cmp_ne_u32_e32 vcc, 0, v10
	v_cndmask_b32_e32 v10, 0, v11, vcc
	v_and_or_b32 v7, v7, s5, v10
	v_bfe_u32 v10, v10, 16, 1
	v_add3_u32 v10, v7, v10, s14
	v_cmp_o_f32_e32 vcc, v7, v7
	v_mov_b32_e32 v7, 0x7fc0
	v_cndmask_b32_sdwa v7, v7, v10, vcc dst_sel:DWORD dst_unused:UNUSED_PAD src0_sel:DWORD src1_sel:WORD_1
.LBB239_2117:
	s_mov_b64 s[4:5], 0
.LBB239_2118:
	s_andn2_b64 vcc, exec, s[4:5]
	s_cbranch_vccnz .LBB239_2120
; %bb.2119:
	global_load_ubyte v7, v[0:1], off
	s_movk_i32 s4, 0x7f00
	s_brev_b32 s5, 16
	s_brev_b32 s14, 1
	s_movk_i32 s15, 0x7fff
	s_waitcnt vmcnt(0)
	v_lshlrev_b16_e32 v10, 8, v7
	v_lshlrev_b32_e32 v7, 25, v7
	v_lshrrev_b32_e32 v11, 4, v7
	v_and_or_b32 v12, v10, s4, 0.5
	v_or_b32_e32 v11, 0x70000000, v11
	v_add_f32_e32 v12, -0.5, v12
	v_mul_f32_e32 v11, 0x7800000, v11
	v_cmp_gt_u32_e32 vcc, s5, v7
	v_bfe_i32 v10, v10, 0, 16
	v_cndmask_b32_e32 v7, v11, v12, vcc
	v_and_or_b32 v10, v10, s14, v7
	v_bfe_u32 v7, v7, 16, 1
	v_add3_u32 v7, v10, v7, s15
	v_cmp_o_f32_e32 vcc, v10, v10
	v_mov_b32_e32 v10, 0x7fc0
	v_cndmask_b32_sdwa v7, v10, v7, vcc dst_sel:DWORD dst_unused:UNUSED_PAD src0_sel:DWORD src1_sel:WORD_1
.LBB239_2120:
	s_mov_b64 s[4:5], 0
	s_mov_b64 s[14:15], -1
.LBB239_2121:
	s_andn2_b64 vcc, exec, s[4:5]
	s_mov_b64 s[4:5], 0
	s_cbranch_vccnz .LBB239_2132
; %bb.2122:
	s_cmp_gt_i32 s27, 14
	s_cbranch_scc0 .LBB239_2125
; %bb.2123:
	s_cmp_eq_u32 s27, 15
	s_cbranch_scc0 .LBB239_2128
; %bb.2124:
	global_load_ushort v7, v[0:1], off
	s_mov_b64 s[0:1], 0
	s_mov_b64 s[14:15], -1
	s_branch .LBB239_2129
.LBB239_2125:
	s_mov_b64 s[22:23], -1
                                        ; implicit-def: $vgpr7
	s_branch .LBB239_2130
.LBB239_2126:
	s_or_saveexec_b64 s[14:15], s[14:15]
	v_mov_b32_e32 v10, 0x7f800001
	s_xor_b64 exec, exec, s[14:15]
	s_cbranch_execz .LBB239_2107
.LBB239_2127:
	v_cmp_ne_u16_e32 vcc, 0, v7
	s_andn2_b64 s[4:5], s[4:5], exec
	s_and_b64 s[22:23], vcc, exec
	v_mov_b32_e32 v10, 0
	s_or_b64 s[4:5], s[4:5], s[22:23]
	s_or_b64 exec, exec, s[14:15]
	s_and_saveexec_b64 s[14:15], s[4:5]
	s_cbranch_execnz .LBB239_2108
	s_branch .LBB239_2109
.LBB239_2128:
	s_mov_b64 s[0:1], -1
                                        ; implicit-def: $vgpr7
.LBB239_2129:
	s_mov_b64 s[22:23], 0
.LBB239_2130:
	s_and_b64 vcc, exec, s[22:23]
	s_cbranch_vccz .LBB239_2132
; %bb.2131:
	s_cmp_lg_u32 s27, 11
	s_mov_b64 s[4:5], -1
	s_cselect_b64 s[0:1], -1, 0
.LBB239_2132:
	s_and_b64 vcc, exec, s[0:1]
	s_cbranch_vccnz .LBB239_2197
; %bb.2133:
	s_andn2_b64 vcc, exec, s[4:5]
	s_cbranch_vccnz .LBB239_2135
.LBB239_2134:
	global_load_ubyte v7, v[0:1], off
	s_mov_b64 s[14:15], -1
	s_waitcnt vmcnt(0)
	v_cmp_ne_u16_e32 vcc, 0, v7
	v_cndmask_b32_e64 v7, 0, 1.0, vcc
	v_lshrrev_b32_e32 v7, 16, v7
.LBB239_2135:
	s_mov_b64 s[0:1], 0
.LBB239_2136:
	s_and_b64 vcc, exec, s[0:1]
	s_cbranch_vccz .LBB239_2185
; %bb.2137:
	s_and_b32 s4, 0xffff, s28
	s_cmp_lt_i32 s4, 5
	s_cbranch_scc1 .LBB239_2142
; %bb.2138:
	s_cmp_lt_i32 s4, 8
	s_cbranch_scc1 .LBB239_2143
; %bb.2139:
	;; [unrolled: 3-line block ×3, first 2 shown]
	s_cmp_gt_i32 s4, 9
	s_cbranch_scc0 .LBB239_2145
; %bb.2141:
	global_load_dwordx2 v[10:11], v[0:1], off
	s_movk_i32 s0, 0x7fff
	s_waitcnt vmcnt(0)
	v_cvt_f32_f64_e32 v7, v[10:11]
	v_mov_b32_e32 v10, 0x7fc0
	v_bfe_u32 v11, v7, 16, 1
	v_cmp_o_f32_e32 vcc, v7, v7
	v_add3_u32 v7, v7, v11, s0
	v_cndmask_b32_sdwa v7, v10, v7, vcc dst_sel:DWORD dst_unused:UNUSED_PAD src0_sel:DWORD src1_sel:WORD_1
	s_mov_b64 s[0:1], 0
	s_branch .LBB239_2146
.LBB239_2142:
	s_mov_b64 s[0:1], -1
                                        ; implicit-def: $vgpr7
	s_branch .LBB239_2164
.LBB239_2143:
	s_mov_b64 s[0:1], -1
                                        ; implicit-def: $vgpr7
	s_branch .LBB239_2152
.LBB239_2144:
	s_mov_b64 s[0:1], -1
                                        ; implicit-def: $vgpr7
	s_branch .LBB239_2149
.LBB239_2145:
	s_mov_b64 s[0:1], -1
                                        ; implicit-def: $vgpr7
.LBB239_2146:
	s_andn2_b64 vcc, exec, s[0:1]
	s_cbranch_vccnz .LBB239_2148
; %bb.2147:
	global_load_dword v7, v[0:1], off
	s_movk_i32 s0, 0x7fff
	v_mov_b32_e32 v10, 0x7fc0
	s_waitcnt vmcnt(0)
	v_bfe_u32 v11, v7, 16, 1
	v_cmp_o_f32_e32 vcc, v7, v7
	v_add3_u32 v7, v7, v11, s0
	v_cndmask_b32_sdwa v7, v10, v7, vcc dst_sel:DWORD dst_unused:UNUSED_PAD src0_sel:DWORD src1_sel:WORD_1
.LBB239_2148:
	s_mov_b64 s[0:1], 0
.LBB239_2149:
	s_andn2_b64 vcc, exec, s[0:1]
	s_cbranch_vccnz .LBB239_2151
; %bb.2150:
	global_load_dword v7, v[0:1], off
	s_movk_i32 s0, 0x7fff
	v_mov_b32_e32 v11, 0x7fc0
	s_waitcnt vmcnt(0)
	v_cvt_f32_f16_e32 v10, v7
	v_cmp_o_f16_e32 vcc, v7, v7
	v_bfe_u32 v7, v10, 16, 1
	v_add3_u32 v7, v10, v7, s0
	v_cndmask_b32_sdwa v7, v11, v7, vcc dst_sel:DWORD dst_unused:UNUSED_PAD src0_sel:DWORD src1_sel:WORD_1
.LBB239_2151:
	s_mov_b64 s[0:1], 0
.LBB239_2152:
	s_andn2_b64 vcc, exec, s[0:1]
	s_cbranch_vccnz .LBB239_2163
; %bb.2153:
	s_cmp_lt_i32 s4, 6
	s_cbranch_scc1 .LBB239_2156
; %bb.2154:
	s_cmp_gt_i32 s4, 6
	s_cbranch_scc0 .LBB239_2157
; %bb.2155:
	global_load_dwordx2 v[10:11], v[0:1], off
	s_movk_i32 s0, 0x7fff
	s_waitcnt vmcnt(0)
	v_cvt_f32_f64_e32 v7, v[10:11]
	v_mov_b32_e32 v10, 0x7fc0
	v_bfe_u32 v11, v7, 16, 1
	v_cmp_o_f32_e32 vcc, v7, v7
	v_add3_u32 v7, v7, v11, s0
	v_cndmask_b32_sdwa v7, v10, v7, vcc dst_sel:DWORD dst_unused:UNUSED_PAD src0_sel:DWORD src1_sel:WORD_1
	s_mov_b64 s[0:1], 0
	s_branch .LBB239_2158
.LBB239_2156:
	s_mov_b64 s[0:1], -1
                                        ; implicit-def: $vgpr7
	s_branch .LBB239_2161
.LBB239_2157:
	s_mov_b64 s[0:1], -1
                                        ; implicit-def: $vgpr7
.LBB239_2158:
	s_andn2_b64 vcc, exec, s[0:1]
	s_cbranch_vccnz .LBB239_2160
; %bb.2159:
	global_load_dword v7, v[0:1], off
	s_movk_i32 s0, 0x7fff
	v_mov_b32_e32 v10, 0x7fc0
	s_waitcnt vmcnt(0)
	v_bfe_u32 v11, v7, 16, 1
	v_cmp_o_f32_e32 vcc, v7, v7
	v_add3_u32 v7, v7, v11, s0
	v_cndmask_b32_sdwa v7, v10, v7, vcc dst_sel:DWORD dst_unused:UNUSED_PAD src0_sel:DWORD src1_sel:WORD_1
.LBB239_2160:
	s_mov_b64 s[0:1], 0
.LBB239_2161:
	s_andn2_b64 vcc, exec, s[0:1]
	s_cbranch_vccnz .LBB239_2163
; %bb.2162:
	global_load_ushort v7, v[0:1], off
	s_movk_i32 s0, 0x7fff
	v_mov_b32_e32 v11, 0x7fc0
	s_waitcnt vmcnt(0)
	v_cvt_f32_f16_e32 v10, v7
	v_cmp_o_f16_e32 vcc, v7, v7
	v_bfe_u32 v7, v10, 16, 1
	v_add3_u32 v7, v10, v7, s0
	v_cndmask_b32_sdwa v7, v11, v7, vcc dst_sel:DWORD dst_unused:UNUSED_PAD src0_sel:DWORD src1_sel:WORD_1
.LBB239_2163:
	s_mov_b64 s[0:1], 0
.LBB239_2164:
	s_andn2_b64 vcc, exec, s[0:1]
	s_cbranch_vccnz .LBB239_2184
; %bb.2165:
	s_cmp_lt_i32 s4, 2
	s_cbranch_scc1 .LBB239_2169
; %bb.2166:
	s_cmp_lt_i32 s4, 3
	s_cbranch_scc1 .LBB239_2170
; %bb.2167:
	s_cmp_gt_i32 s4, 3
	s_cbranch_scc0 .LBB239_2171
; %bb.2168:
	global_load_dwordx2 v[10:11], v[0:1], off
	s_movk_i32 s0, 0x7fff
	s_waitcnt vmcnt(0)
	v_xor_b32_e32 v12, v10, v11
	v_ffbh_i32_e32 v7, v11
	v_ashrrev_i32_e32 v12, 31, v12
	v_add_u32_e32 v7, -1, v7
	v_add_u32_e32 v12, 32, v12
	v_min_u32_e32 v7, v7, v12
	v_lshlrev_b64 v[10:11], v7, v[10:11]
	v_sub_u32_e32 v7, 32, v7
	v_min_u32_e32 v10, 1, v10
	v_or_b32_e32 v10, v11, v10
	v_cvt_f32_i32_e32 v10, v10
	v_ldexp_f32 v7, v10, v7
	v_bfe_u32 v10, v7, 16, 1
	v_add3_u32 v7, v7, v10, s0
	v_lshrrev_b32_e32 v7, 16, v7
	s_mov_b64 s[0:1], 0
	s_branch .LBB239_2172
.LBB239_2169:
	s_mov_b64 s[0:1], -1
                                        ; implicit-def: $vgpr7
	s_branch .LBB239_2178
.LBB239_2170:
	s_mov_b64 s[0:1], -1
                                        ; implicit-def: $vgpr7
	s_branch .LBB239_2175
.LBB239_2171:
	s_mov_b64 s[0:1], -1
                                        ; implicit-def: $vgpr7
.LBB239_2172:
	s_andn2_b64 vcc, exec, s[0:1]
	s_cbranch_vccnz .LBB239_2174
; %bb.2173:
	global_load_dword v7, v[0:1], off
	s_movk_i32 s0, 0x7fff
	s_waitcnt vmcnt(0)
	v_cvt_f32_i32_e32 v7, v7
	v_bfe_u32 v10, v7, 16, 1
	v_add3_u32 v7, v7, v10, s0
	v_lshrrev_b32_e32 v7, 16, v7
.LBB239_2174:
	s_mov_b64 s[0:1], 0
.LBB239_2175:
	s_andn2_b64 vcc, exec, s[0:1]
	s_cbranch_vccnz .LBB239_2177
; %bb.2176:
	global_load_sshort v7, v[0:1], off
	s_movk_i32 s0, 0x7fff
	s_waitcnt vmcnt(0)
	v_cvt_f32_i32_e32 v7, v7
	v_bfe_u32 v10, v7, 16, 1
	v_add3_u32 v7, v7, v10, s0
	v_lshrrev_b32_e32 v7, 16, v7
.LBB239_2177:
	s_mov_b64 s[0:1], 0
.LBB239_2178:
	s_andn2_b64 vcc, exec, s[0:1]
	s_cbranch_vccnz .LBB239_2184
; %bb.2179:
	s_cmp_gt_i32 s4, 0
	s_cbranch_scc0 .LBB239_2181
; %bb.2180:
	global_load_sbyte v7, v[0:1], off
	s_movk_i32 s0, 0x7fff
	s_waitcnt vmcnt(0)
	v_cvt_f32_i32_e32 v7, v7
	v_bfe_u32 v10, v7, 16, 1
	v_add3_u32 v7, v7, v10, s0
	v_lshrrev_b32_e32 v7, 16, v7
	s_mov_b64 s[0:1], 0
	s_branch .LBB239_2182
.LBB239_2181:
	s_mov_b64 s[0:1], -1
                                        ; implicit-def: $vgpr7
.LBB239_2182:
	s_andn2_b64 vcc, exec, s[0:1]
	s_cbranch_vccnz .LBB239_2184
; %bb.2183:
	global_load_ubyte v0, v[0:1], off
	s_movk_i32 s0, 0x7fff
	s_waitcnt vmcnt(0)
	v_cvt_f32_ubyte0_e32 v0, v0
	v_bfe_u32 v1, v0, 16, 1
	v_add3_u32 v0, v0, v1, s0
	v_lshrrev_b32_e32 v7, 16, v0
.LBB239_2184:
	s_mov_b64 s[14:15], -1
.LBB239_2185:
	s_andn2_b64 vcc, exec, s[14:15]
	s_cbranch_vccnz .LBB239_3011
; %bb.2186:
	v_add_u32_e32 v10, s26, v8
	v_ashrrev_i32_e32 v1, 31, v10
	v_mov_b32_e32 v8, s17
	v_add_co_u32_e32 v0, vcc, s16, v10
	s_cmp_lt_i32 s29, 11
	v_addc_co_u32_e32 v1, vcc, v8, v1, vcc
	s_cbranch_scc1 .LBB239_2193
; %bb.2187:
	s_and_b32 s27, 0xffff, s29
	s_cmp_gt_i32 s27, 25
	s_mov_b64 s[4:5], 0
	s_cbranch_scc0 .LBB239_2194
; %bb.2188:
	s_cmp_gt_i32 s27, 28
	s_cbranch_scc0 .LBB239_2195
; %bb.2189:
	s_cmp_gt_i32 s27, 43
	;; [unrolled: 3-line block ×3, first 2 shown]
	s_cbranch_scc0 .LBB239_2198
; %bb.2191:
	s_cmp_eq_u32 s27, 46
	s_mov_b64 s[22:23], 0
	s_cbranch_scc0 .LBB239_2201
; %bb.2192:
	global_load_dword v8, v[0:1], off
	s_mov_b64 s[0:1], 0
	s_mov_b64 s[14:15], -1
	s_branch .LBB239_2202
.LBB239_2193:
	s_mov_b64 s[0:1], -1
	s_mov_b64 s[14:15], 0
                                        ; implicit-def: $vgpr8
	s_branch .LBB239_2268
.LBB239_2194:
	s_mov_b64 s[22:23], -1
	s_mov_b64 s[14:15], 0
	s_mov_b64 s[0:1], 0
                                        ; implicit-def: $vgpr8
	s_branch .LBB239_2231
.LBB239_2195:
	s_mov_b64 s[22:23], -1
	s_mov_b64 s[14:15], 0
	s_mov_b64 s[0:1], 0
                                        ; implicit-def: $vgpr8
	s_branch .LBB239_2212
.LBB239_2196:
	s_mov_b64 s[22:23], -1
	s_mov_b64 s[14:15], 0
	s_mov_b64 s[0:1], 0
                                        ; implicit-def: $vgpr8
	s_branch .LBB239_2207
.LBB239_2197:
	s_trap 2
	s_or_b64 s[20:21], s[20:21], exec
	s_cbranch_execz .LBB239_2134
	s_branch .LBB239_2135
.LBB239_2198:
	s_mov_b64 s[22:23], -1
	s_mov_b64 s[14:15], 0
	s_mov_b64 s[0:1], 0
                                        ; implicit-def: $vgpr8
	s_branch .LBB239_2202
.LBB239_2199:
	s_andn2_saveexec_b64 s[46:47], s[46:47]
	s_cbranch_execz .LBB239_1085
.LBB239_2200:
	s_mov_b32 s51, 0x42800000
	v_add_f32_e64 v5, |v6|, s51
	v_and_b32_e32 v5, 0xff, v5
	v_cmp_ne_u32_e32 vcc, 0, v5
	s_andn2_b64 s[44:45], s[44:45], exec
	s_and_b64 s[52:53], vcc, exec
	s_or_b64 s[44:45], s[44:45], s[52:53]
	s_or_b64 exec, exec, s[46:47]
	v_mov_b32_e32 v7, 0
	s_and_saveexec_b64 s[46:47], s[44:45]
	s_cbranch_execnz .LBB239_1086
	s_branch .LBB239_1087
.LBB239_2201:
	s_mov_b64 s[0:1], -1
                                        ; implicit-def: $vgpr8
	s_mov_b64 s[14:15], 0
.LBB239_2202:
	s_and_b64 vcc, exec, s[22:23]
	s_cbranch_vccz .LBB239_2206
; %bb.2203:
	s_cmp_eq_u32 s27, 44
	s_cbranch_scc0 .LBB239_2205
; %bb.2204:
	global_load_ubyte v8, v[0:1], off
	s_movk_i32 s14, 0xff
	v_mov_b32_e32 v11, 0x7f800001
	v_mov_b32_e32 v12, 0x400000
	;; [unrolled: 1-line block ×3, first 2 shown]
	s_mov_b64 s[0:1], 0
	s_waitcnt vmcnt(0)
	v_lshlrev_b32_e32 v14, 23, v8
	v_cmp_ne_u32_e32 vcc, s14, v8
	v_cndmask_b32_e32 v11, v11, v14, vcc
	v_cmp_ne_u32_e32 vcc, 0, v8
	v_cndmask_b32_e32 v8, v12, v11, vcc
	v_add_u32_e32 v11, 0x7fff, v8
	v_cmp_o_f32_e32 vcc, v8, v8
	v_cndmask_b32_sdwa v8, v13, v11, vcc dst_sel:DWORD dst_unused:UNUSED_PAD src0_sel:DWORD src1_sel:WORD_1
	s_mov_b64 s[14:15], -1
	s_branch .LBB239_2206
.LBB239_2205:
	s_mov_b64 s[0:1], -1
                                        ; implicit-def: $vgpr8
.LBB239_2206:
	s_mov_b64 s[22:23], 0
.LBB239_2207:
	s_and_b64 vcc, exec, s[22:23]
	s_cbranch_vccz .LBB239_2211
; %bb.2208:
	s_cmp_eq_u32 s27, 29
	s_cbranch_scc0 .LBB239_2210
; %bb.2209:
	global_load_dwordx2 v[11:12], v[0:1], off
	s_movk_i32 s14, 0x7fff
	s_mov_b64 s[0:1], 0
	s_mov_b64 s[22:23], 0
	s_waitcnt vmcnt(0)
	v_ffbh_u32_e32 v8, v12
	v_min_u32_e32 v8, 32, v8
	v_lshlrev_b64 v[11:12], v8, v[11:12]
	v_sub_u32_e32 v8, 32, v8
	v_min_u32_e32 v11, 1, v11
	v_or_b32_e32 v11, v12, v11
	v_cvt_f32_u32_e32 v11, v11
	v_ldexp_f32 v8, v11, v8
	v_bfe_u32 v11, v8, 16, 1
	v_add3_u32 v8, v8, v11, s14
	v_lshrrev_b32_e32 v8, 16, v8
	s_mov_b64 s[14:15], -1
	s_branch .LBB239_2212
.LBB239_2210:
	s_mov_b64 s[0:1], -1
                                        ; implicit-def: $vgpr8
.LBB239_2211:
	s_mov_b64 s[22:23], 0
.LBB239_2212:
	s_and_b64 vcc, exec, s[22:23]
	s_cbranch_vccz .LBB239_2230
; %bb.2213:
	s_cmp_lt_i32 s27, 27
	s_cbranch_scc1 .LBB239_2216
; %bb.2214:
	s_cmp_gt_i32 s27, 27
	s_cbranch_scc0 .LBB239_2217
; %bb.2215:
	global_load_dword v8, v[0:1], off
	s_movk_i32 s14, 0x7fff
	s_waitcnt vmcnt(0)
	v_cvt_f32_u32_e32 v8, v8
	v_bfe_u32 v11, v8, 16, 1
	v_add3_u32 v8, v8, v11, s14
	v_lshrrev_b32_e32 v8, 16, v8
	s_mov_b64 s[14:15], 0
	s_branch .LBB239_2218
.LBB239_2216:
	s_mov_b64 s[14:15], -1
                                        ; implicit-def: $vgpr8
	s_branch .LBB239_2221
.LBB239_2217:
	s_mov_b64 s[14:15], -1
                                        ; implicit-def: $vgpr8
.LBB239_2218:
	s_andn2_b64 vcc, exec, s[14:15]
	s_cbranch_vccnz .LBB239_2220
; %bb.2219:
	global_load_ushort v8, v[0:1], off
	s_movk_i32 s14, 0x7fff
	s_waitcnt vmcnt(0)
	v_cvt_f32_u32_e32 v8, v8
	v_bfe_u32 v11, v8, 16, 1
	v_add3_u32 v8, v8, v11, s14
	v_lshrrev_b32_e32 v8, 16, v8
.LBB239_2220:
	s_mov_b64 s[14:15], 0
.LBB239_2221:
	s_andn2_b64 vcc, exec, s[14:15]
	s_cbranch_vccnz .LBB239_2229
; %bb.2222:
	global_load_ubyte v8, v[0:1], off
	s_movk_i32 s14, 0x7f
	s_waitcnt vmcnt(0)
	v_cmp_lt_i16_e32 vcc, s14, v8
	s_mov_b64 s[14:15], 0
	s_and_saveexec_b64 s[22:23], vcc
	s_xor_b64 s[22:23], exec, s[22:23]
	s_cbranch_execz .LBB239_2243
; %bb.2223:
	s_movk_i32 s14, 0x80
	v_cmp_eq_u16_e32 vcc, s14, v8
	s_mov_b64 s[14:15], -1
	s_and_saveexec_b64 s[24:25], vcc
; %bb.2224:
	s_xor_b64 s[14:15], exec, -1
; %bb.2225:
	s_or_b64 exec, exec, s[24:25]
	s_and_b64 s[14:15], s[14:15], exec
	s_or_saveexec_b64 s[22:23], s[22:23]
	v_mov_b32_e32 v11, 0x7f800001
	s_xor_b64 exec, exec, s[22:23]
	s_cbranch_execnz .LBB239_2244
.LBB239_2226:
	s_or_b64 exec, exec, s[22:23]
	s_and_saveexec_b64 s[22:23], s[14:15]
	s_cbranch_execz .LBB239_2228
.LBB239_2227:
	v_lshlrev_b32_e32 v11, 24, v8
	v_and_b32_e32 v8, 0xffff, v8
	v_and_b32_e32 v12, 7, v8
	v_ffbh_u32_e32 v14, v12
	v_min_u32_e32 v14, 32, v14
	v_subrev_u32_e32 v15, 28, v14
	v_bfe_u32 v13, v8, 3, 4
	v_lshlrev_b32_e32 v8, v15, v8
	v_sub_u32_e32 v14, 29, v14
	v_and_b32_e32 v8, 7, v8
	v_cmp_eq_u32_e32 vcc, 0, v13
	v_cndmask_b32_e32 v13, v13, v14, vcc
	v_cndmask_b32_e32 v8, v12, v8, vcc
	v_mov_b32_e32 v12, 0x3b800000
	v_lshlrev_b32_e32 v8, 20, v8
	v_and_b32_e32 v11, 0x80000000, v11
	v_lshl_add_u32 v12, v13, 23, v12
	v_or3_b32 v11, v11, v12, v8
.LBB239_2228:
	s_or_b64 exec, exec, s[22:23]
	v_bfe_u32 v8, v11, 16, 1
	s_movk_i32 s14, 0x7fff
	v_add3_u32 v8, v11, v8, s14
	v_cmp_o_f32_e32 vcc, v11, v11
	v_mov_b32_e32 v11, 0x7fc0
	v_cndmask_b32_sdwa v8, v11, v8, vcc dst_sel:DWORD dst_unused:UNUSED_PAD src0_sel:DWORD src1_sel:WORD_1
.LBB239_2229:
	s_mov_b64 s[14:15], -1
.LBB239_2230:
	s_mov_b64 s[22:23], 0
.LBB239_2231:
	s_and_b64 vcc, exec, s[22:23]
	s_cbranch_vccz .LBB239_2264
; %bb.2232:
	s_cmp_gt_i32 s27, 22
	s_cbranch_scc0 .LBB239_2242
; %bb.2233:
	s_cmp_lt_i32 s27, 24
	s_cbranch_scc1 .LBB239_2245
; %bb.2234:
	s_cmp_gt_i32 s27, 24
	s_cbranch_scc0 .LBB239_2246
; %bb.2235:
	global_load_ubyte v8, v[0:1], off
	s_movk_i32 s4, 0x7f
	s_waitcnt vmcnt(0)
	v_cmp_lt_i16_e32 vcc, s4, v8
	s_mov_b64 s[4:5], 0
	s_and_saveexec_b64 s[14:15], vcc
	s_xor_b64 s[14:15], exec, s[14:15]
	s_cbranch_execz .LBB239_2258
; %bb.2236:
	s_movk_i32 s4, 0x80
	v_cmp_eq_u16_e32 vcc, s4, v8
	s_mov_b64 s[4:5], -1
	s_and_saveexec_b64 s[22:23], vcc
; %bb.2237:
	s_xor_b64 s[4:5], exec, -1
; %bb.2238:
	s_or_b64 exec, exec, s[22:23]
	s_and_b64 s[4:5], s[4:5], exec
	s_or_saveexec_b64 s[14:15], s[14:15]
	v_mov_b32_e32 v11, 0x7f800001
	s_xor_b64 exec, exec, s[14:15]
	s_cbranch_execnz .LBB239_2259
.LBB239_2239:
	s_or_b64 exec, exec, s[14:15]
	s_and_saveexec_b64 s[14:15], s[4:5]
	s_cbranch_execz .LBB239_2241
.LBB239_2240:
	v_lshlrev_b32_e32 v11, 24, v8
	v_and_b32_e32 v8, 0xffff, v8
	v_and_b32_e32 v12, 3, v8
	v_ffbh_u32_e32 v14, v12
	v_min_u32_e32 v14, 32, v14
	v_subrev_u32_e32 v15, 29, v14
	v_bfe_u32 v13, v8, 2, 5
	v_lshlrev_b32_e32 v8, v15, v8
	v_sub_u32_e32 v14, 30, v14
	v_and_b32_e32 v8, 3, v8
	v_cmp_eq_u32_e32 vcc, 0, v13
	v_cndmask_b32_e32 v13, v13, v14, vcc
	v_cndmask_b32_e32 v8, v12, v8, vcc
	v_mov_b32_e32 v12, 0x37800000
	v_lshlrev_b32_e32 v8, 21, v8
	v_and_b32_e32 v11, 0x80000000, v11
	v_lshl_add_u32 v12, v13, 23, v12
	v_or3_b32 v11, v11, v12, v8
.LBB239_2241:
	s_or_b64 exec, exec, s[14:15]
	v_bfe_u32 v8, v11, 16, 1
	s_movk_i32 s4, 0x7fff
	v_add3_u32 v8, v11, v8, s4
	v_cmp_o_f32_e32 vcc, v11, v11
	v_mov_b32_e32 v11, 0x7fc0
	v_cndmask_b32_sdwa v8, v11, v8, vcc dst_sel:DWORD dst_unused:UNUSED_PAD src0_sel:DWORD src1_sel:WORD_1
	s_mov_b64 s[4:5], 0
	s_branch .LBB239_2247
.LBB239_2242:
	s_mov_b64 s[4:5], -1
                                        ; implicit-def: $vgpr8
	s_branch .LBB239_2253
.LBB239_2243:
	s_or_saveexec_b64 s[22:23], s[22:23]
	v_mov_b32_e32 v11, 0x7f800001
	s_xor_b64 exec, exec, s[22:23]
	s_cbranch_execz .LBB239_2226
.LBB239_2244:
	v_cmp_ne_u16_e32 vcc, 0, v8
	s_andn2_b64 s[14:15], s[14:15], exec
	s_and_b64 s[24:25], vcc, exec
	v_mov_b32_e32 v11, 0
	s_or_b64 s[14:15], s[14:15], s[24:25]
	s_or_b64 exec, exec, s[22:23]
	s_and_saveexec_b64 s[22:23], s[14:15]
	s_cbranch_execnz .LBB239_2227
	s_branch .LBB239_2228
.LBB239_2245:
	s_mov_b64 s[4:5], -1
                                        ; implicit-def: $vgpr8
	s_branch .LBB239_2250
.LBB239_2246:
	s_mov_b64 s[4:5], -1
                                        ; implicit-def: $vgpr8
.LBB239_2247:
	s_and_b64 vcc, exec, s[4:5]
	s_cbranch_vccz .LBB239_2249
; %bb.2248:
	global_load_ubyte v8, v[0:1], off
	s_mov_b32 s4, 0x7f800000
	s_brev_b32 s5, 1
	s_movk_i32 s14, 0x7fff
	s_waitcnt vmcnt(0)
	v_lshlrev_b32_e32 v8, 24, v8
	v_and_b32_e32 v11, 0x7f000000, v8
	v_ffbh_u32_e32 v12, v11
	v_min_u32_e32 v12, 32, v12
	v_sub_u32_e64 v12, v12, 4 clamp
	v_lshlrev_b32_e32 v14, v12, v11
	v_lshlrev_b32_e32 v12, 23, v12
	v_lshrrev_b32_e32 v14, 4, v14
	v_add_u32_e32 v13, 0x1000000, v11
	v_sub_u32_e32 v12, v14, v12
	v_ashrrev_i32_e32 v13, 8, v13
	v_add_u32_e32 v12, 0x3c000000, v12
	v_and_or_b32 v12, v13, s4, v12
	v_cmp_ne_u32_e32 vcc, 0, v11
	v_cndmask_b32_e32 v11, 0, v12, vcc
	v_and_or_b32 v8, v8, s5, v11
	v_bfe_u32 v11, v11, 16, 1
	v_add3_u32 v11, v8, v11, s14
	v_cmp_o_f32_e32 vcc, v8, v8
	v_mov_b32_e32 v8, 0x7fc0
	v_cndmask_b32_sdwa v8, v8, v11, vcc dst_sel:DWORD dst_unused:UNUSED_PAD src0_sel:DWORD src1_sel:WORD_1
.LBB239_2249:
	s_mov_b64 s[4:5], 0
.LBB239_2250:
	s_andn2_b64 vcc, exec, s[4:5]
	s_cbranch_vccnz .LBB239_2252
; %bb.2251:
	global_load_ubyte v8, v[0:1], off
	s_movk_i32 s4, 0x7f00
	s_brev_b32 s5, 16
	s_brev_b32 s14, 1
	s_movk_i32 s15, 0x7fff
	s_waitcnt vmcnt(0)
	v_lshlrev_b16_e32 v11, 8, v8
	v_lshlrev_b32_e32 v8, 25, v8
	v_lshrrev_b32_e32 v12, 4, v8
	v_and_or_b32 v13, v11, s4, 0.5
	v_or_b32_e32 v12, 0x70000000, v12
	v_add_f32_e32 v13, -0.5, v13
	v_mul_f32_e32 v12, 0x7800000, v12
	v_cmp_gt_u32_e32 vcc, s5, v8
	v_bfe_i32 v11, v11, 0, 16
	v_cndmask_b32_e32 v8, v12, v13, vcc
	v_and_or_b32 v11, v11, s14, v8
	v_bfe_u32 v8, v8, 16, 1
	v_add3_u32 v8, v11, v8, s15
	v_cmp_o_f32_e32 vcc, v11, v11
	v_mov_b32_e32 v11, 0x7fc0
	v_cndmask_b32_sdwa v8, v11, v8, vcc dst_sel:DWORD dst_unused:UNUSED_PAD src0_sel:DWORD src1_sel:WORD_1
.LBB239_2252:
	s_mov_b64 s[4:5], 0
	s_mov_b64 s[14:15], -1
.LBB239_2253:
	s_andn2_b64 vcc, exec, s[4:5]
	s_mov_b64 s[4:5], 0
	s_cbranch_vccnz .LBB239_2264
; %bb.2254:
	s_cmp_gt_i32 s27, 14
	s_cbranch_scc0 .LBB239_2257
; %bb.2255:
	s_cmp_eq_u32 s27, 15
	s_cbranch_scc0 .LBB239_2260
; %bb.2256:
	global_load_ushort v8, v[0:1], off
	s_mov_b64 s[0:1], 0
	s_mov_b64 s[14:15], -1
	s_branch .LBB239_2261
.LBB239_2257:
	s_mov_b64 s[22:23], -1
                                        ; implicit-def: $vgpr8
	s_branch .LBB239_2262
.LBB239_2258:
	s_or_saveexec_b64 s[14:15], s[14:15]
	v_mov_b32_e32 v11, 0x7f800001
	s_xor_b64 exec, exec, s[14:15]
	s_cbranch_execz .LBB239_2239
.LBB239_2259:
	v_cmp_ne_u16_e32 vcc, 0, v8
	s_andn2_b64 s[4:5], s[4:5], exec
	s_and_b64 s[22:23], vcc, exec
	v_mov_b32_e32 v11, 0
	s_or_b64 s[4:5], s[4:5], s[22:23]
	s_or_b64 exec, exec, s[14:15]
	s_and_saveexec_b64 s[14:15], s[4:5]
	s_cbranch_execnz .LBB239_2240
	s_branch .LBB239_2241
.LBB239_2260:
	s_mov_b64 s[0:1], -1
                                        ; implicit-def: $vgpr8
.LBB239_2261:
	s_mov_b64 s[22:23], 0
.LBB239_2262:
	s_and_b64 vcc, exec, s[22:23]
	s_cbranch_vccz .LBB239_2264
; %bb.2263:
	s_cmp_lg_u32 s27, 11
	s_mov_b64 s[4:5], -1
	s_cselect_b64 s[0:1], -1, 0
.LBB239_2264:
	s_and_b64 vcc, exec, s[0:1]
	s_cbranch_vccnz .LBB239_2329
; %bb.2265:
	s_andn2_b64 vcc, exec, s[4:5]
	s_cbranch_vccnz .LBB239_2267
.LBB239_2266:
	global_load_ubyte v8, v[0:1], off
	s_mov_b64 s[14:15], -1
	s_waitcnt vmcnt(0)
	v_cmp_ne_u16_e32 vcc, 0, v8
	v_cndmask_b32_e64 v8, 0, 1.0, vcc
	v_lshrrev_b32_e32 v8, 16, v8
.LBB239_2267:
	s_mov_b64 s[0:1], 0
.LBB239_2268:
	s_and_b64 vcc, exec, s[0:1]
	s_cbranch_vccz .LBB239_2317
; %bb.2269:
	s_and_b32 s4, 0xffff, s29
	s_cmp_lt_i32 s4, 5
	s_cbranch_scc1 .LBB239_2274
; %bb.2270:
	s_cmp_lt_i32 s4, 8
	s_cbranch_scc1 .LBB239_2275
; %bb.2271:
	;; [unrolled: 3-line block ×3, first 2 shown]
	s_cmp_gt_i32 s4, 9
	s_cbranch_scc0 .LBB239_2277
; %bb.2273:
	global_load_dwordx2 v[11:12], v[0:1], off
	s_movk_i32 s0, 0x7fff
	s_waitcnt vmcnt(0)
	v_cvt_f32_f64_e32 v8, v[11:12]
	v_mov_b32_e32 v11, 0x7fc0
	v_bfe_u32 v12, v8, 16, 1
	v_cmp_o_f32_e32 vcc, v8, v8
	v_add3_u32 v8, v8, v12, s0
	v_cndmask_b32_sdwa v8, v11, v8, vcc dst_sel:DWORD dst_unused:UNUSED_PAD src0_sel:DWORD src1_sel:WORD_1
	s_mov_b64 s[0:1], 0
	s_branch .LBB239_2278
.LBB239_2274:
	s_mov_b64 s[0:1], -1
                                        ; implicit-def: $vgpr8
	s_branch .LBB239_2296
.LBB239_2275:
	s_mov_b64 s[0:1], -1
                                        ; implicit-def: $vgpr8
	s_branch .LBB239_2284
.LBB239_2276:
	s_mov_b64 s[0:1], -1
                                        ; implicit-def: $vgpr8
	s_branch .LBB239_2281
.LBB239_2277:
	s_mov_b64 s[0:1], -1
                                        ; implicit-def: $vgpr8
.LBB239_2278:
	s_andn2_b64 vcc, exec, s[0:1]
	s_cbranch_vccnz .LBB239_2280
; %bb.2279:
	global_load_dword v8, v[0:1], off
	s_movk_i32 s0, 0x7fff
	v_mov_b32_e32 v11, 0x7fc0
	s_waitcnt vmcnt(0)
	v_bfe_u32 v12, v8, 16, 1
	v_cmp_o_f32_e32 vcc, v8, v8
	v_add3_u32 v8, v8, v12, s0
	v_cndmask_b32_sdwa v8, v11, v8, vcc dst_sel:DWORD dst_unused:UNUSED_PAD src0_sel:DWORD src1_sel:WORD_1
.LBB239_2280:
	s_mov_b64 s[0:1], 0
.LBB239_2281:
	s_andn2_b64 vcc, exec, s[0:1]
	s_cbranch_vccnz .LBB239_2283
; %bb.2282:
	global_load_dword v8, v[0:1], off
	s_movk_i32 s0, 0x7fff
	v_mov_b32_e32 v12, 0x7fc0
	s_waitcnt vmcnt(0)
	v_cvt_f32_f16_e32 v11, v8
	v_cmp_o_f16_e32 vcc, v8, v8
	v_bfe_u32 v8, v11, 16, 1
	v_add3_u32 v8, v11, v8, s0
	v_cndmask_b32_sdwa v8, v12, v8, vcc dst_sel:DWORD dst_unused:UNUSED_PAD src0_sel:DWORD src1_sel:WORD_1
.LBB239_2283:
	s_mov_b64 s[0:1], 0
.LBB239_2284:
	s_andn2_b64 vcc, exec, s[0:1]
	s_cbranch_vccnz .LBB239_2295
; %bb.2285:
	s_cmp_lt_i32 s4, 6
	s_cbranch_scc1 .LBB239_2288
; %bb.2286:
	s_cmp_gt_i32 s4, 6
	s_cbranch_scc0 .LBB239_2289
; %bb.2287:
	global_load_dwordx2 v[11:12], v[0:1], off
	s_movk_i32 s0, 0x7fff
	s_waitcnt vmcnt(0)
	v_cvt_f32_f64_e32 v8, v[11:12]
	v_mov_b32_e32 v11, 0x7fc0
	v_bfe_u32 v12, v8, 16, 1
	v_cmp_o_f32_e32 vcc, v8, v8
	v_add3_u32 v8, v8, v12, s0
	v_cndmask_b32_sdwa v8, v11, v8, vcc dst_sel:DWORD dst_unused:UNUSED_PAD src0_sel:DWORD src1_sel:WORD_1
	s_mov_b64 s[0:1], 0
	s_branch .LBB239_2290
.LBB239_2288:
	s_mov_b64 s[0:1], -1
                                        ; implicit-def: $vgpr8
	s_branch .LBB239_2293
.LBB239_2289:
	s_mov_b64 s[0:1], -1
                                        ; implicit-def: $vgpr8
.LBB239_2290:
	s_andn2_b64 vcc, exec, s[0:1]
	s_cbranch_vccnz .LBB239_2292
; %bb.2291:
	global_load_dword v8, v[0:1], off
	s_movk_i32 s0, 0x7fff
	v_mov_b32_e32 v11, 0x7fc0
	s_waitcnt vmcnt(0)
	v_bfe_u32 v12, v8, 16, 1
	v_cmp_o_f32_e32 vcc, v8, v8
	v_add3_u32 v8, v8, v12, s0
	v_cndmask_b32_sdwa v8, v11, v8, vcc dst_sel:DWORD dst_unused:UNUSED_PAD src0_sel:DWORD src1_sel:WORD_1
.LBB239_2292:
	s_mov_b64 s[0:1], 0
.LBB239_2293:
	s_andn2_b64 vcc, exec, s[0:1]
	s_cbranch_vccnz .LBB239_2295
; %bb.2294:
	global_load_ushort v8, v[0:1], off
	s_movk_i32 s0, 0x7fff
	v_mov_b32_e32 v12, 0x7fc0
	s_waitcnt vmcnt(0)
	v_cvt_f32_f16_e32 v11, v8
	v_cmp_o_f16_e32 vcc, v8, v8
	v_bfe_u32 v8, v11, 16, 1
	v_add3_u32 v8, v11, v8, s0
	v_cndmask_b32_sdwa v8, v12, v8, vcc dst_sel:DWORD dst_unused:UNUSED_PAD src0_sel:DWORD src1_sel:WORD_1
.LBB239_2295:
	s_mov_b64 s[0:1], 0
.LBB239_2296:
	s_andn2_b64 vcc, exec, s[0:1]
	s_cbranch_vccnz .LBB239_2316
; %bb.2297:
	s_cmp_lt_i32 s4, 2
	s_cbranch_scc1 .LBB239_2301
; %bb.2298:
	s_cmp_lt_i32 s4, 3
	s_cbranch_scc1 .LBB239_2302
; %bb.2299:
	s_cmp_gt_i32 s4, 3
	s_cbranch_scc0 .LBB239_2303
; %bb.2300:
	global_load_dwordx2 v[11:12], v[0:1], off
	s_movk_i32 s0, 0x7fff
	s_waitcnt vmcnt(0)
	v_xor_b32_e32 v13, v11, v12
	v_ffbh_i32_e32 v8, v12
	v_ashrrev_i32_e32 v13, 31, v13
	v_add_u32_e32 v8, -1, v8
	v_add_u32_e32 v13, 32, v13
	v_min_u32_e32 v8, v8, v13
	v_lshlrev_b64 v[11:12], v8, v[11:12]
	v_sub_u32_e32 v8, 32, v8
	v_min_u32_e32 v11, 1, v11
	v_or_b32_e32 v11, v12, v11
	v_cvt_f32_i32_e32 v11, v11
	v_ldexp_f32 v8, v11, v8
	v_bfe_u32 v11, v8, 16, 1
	v_add3_u32 v8, v8, v11, s0
	v_lshrrev_b32_e32 v8, 16, v8
	s_mov_b64 s[0:1], 0
	s_branch .LBB239_2304
.LBB239_2301:
	s_mov_b64 s[0:1], -1
                                        ; implicit-def: $vgpr8
	s_branch .LBB239_2310
.LBB239_2302:
	s_mov_b64 s[0:1], -1
                                        ; implicit-def: $vgpr8
	s_branch .LBB239_2307
.LBB239_2303:
	s_mov_b64 s[0:1], -1
                                        ; implicit-def: $vgpr8
.LBB239_2304:
	s_andn2_b64 vcc, exec, s[0:1]
	s_cbranch_vccnz .LBB239_2306
; %bb.2305:
	global_load_dword v8, v[0:1], off
	s_movk_i32 s0, 0x7fff
	s_waitcnt vmcnt(0)
	v_cvt_f32_i32_e32 v8, v8
	v_bfe_u32 v11, v8, 16, 1
	v_add3_u32 v8, v8, v11, s0
	v_lshrrev_b32_e32 v8, 16, v8
.LBB239_2306:
	s_mov_b64 s[0:1], 0
.LBB239_2307:
	s_andn2_b64 vcc, exec, s[0:1]
	s_cbranch_vccnz .LBB239_2309
; %bb.2308:
	global_load_sshort v8, v[0:1], off
	s_movk_i32 s0, 0x7fff
	s_waitcnt vmcnt(0)
	v_cvt_f32_i32_e32 v8, v8
	v_bfe_u32 v11, v8, 16, 1
	v_add3_u32 v8, v8, v11, s0
	v_lshrrev_b32_e32 v8, 16, v8
.LBB239_2309:
	s_mov_b64 s[0:1], 0
.LBB239_2310:
	s_andn2_b64 vcc, exec, s[0:1]
	s_cbranch_vccnz .LBB239_2316
; %bb.2311:
	s_cmp_gt_i32 s4, 0
	s_cbranch_scc0 .LBB239_2313
; %bb.2312:
	global_load_sbyte v8, v[0:1], off
	s_movk_i32 s0, 0x7fff
	s_waitcnt vmcnt(0)
	v_cvt_f32_i32_e32 v8, v8
	v_bfe_u32 v11, v8, 16, 1
	v_add3_u32 v8, v8, v11, s0
	v_lshrrev_b32_e32 v8, 16, v8
	s_mov_b64 s[0:1], 0
	s_branch .LBB239_2314
.LBB239_2313:
	s_mov_b64 s[0:1], -1
                                        ; implicit-def: $vgpr8
.LBB239_2314:
	s_andn2_b64 vcc, exec, s[0:1]
	s_cbranch_vccnz .LBB239_2316
; %bb.2315:
	global_load_ubyte v0, v[0:1], off
	s_movk_i32 s0, 0x7fff
	s_waitcnt vmcnt(0)
	v_cvt_f32_ubyte0_e32 v0, v0
	v_bfe_u32 v1, v0, 16, 1
	v_add3_u32 v0, v0, v1, s0
	v_lshrrev_b32_e32 v8, 16, v0
.LBB239_2316:
	s_mov_b64 s[14:15], -1
.LBB239_2317:
	s_andn2_b64 vcc, exec, s[14:15]
	s_cbranch_vccnz .LBB239_3011
; %bb.2318:
	v_add_u32_e32 v0, s13, v9
	v_ashrrev_i32_e32 v1, 31, v0
	v_mov_b32_e32 v9, s11
	v_add_co_u32_e32 v0, vcc, s10, v0
	s_cmp_lt_i32 s28, 11
	v_addc_co_u32_e32 v1, vcc, v9, v1, vcc
	s_cbranch_scc1 .LBB239_2325
; %bb.2319:
	s_and_b32 s13, 0xffff, s28
	s_cmp_gt_i32 s13, 25
	s_mov_b64 s[4:5], 0
	s_cbranch_scc0 .LBB239_2326
; %bb.2320:
	s_cmp_gt_i32 s13, 28
	s_cbranch_scc0 .LBB239_2327
; %bb.2321:
	s_cmp_gt_i32 s13, 43
	;; [unrolled: 3-line block ×3, first 2 shown]
	s_cbranch_scc0 .LBB239_2330
; %bb.2323:
	s_cmp_eq_u32 s13, 46
	s_mov_b64 s[14:15], 0
	s_cbranch_scc0 .LBB239_2331
; %bb.2324:
	global_load_dword v9, v[0:1], off
	s_mov_b64 s[0:1], 0
	s_mov_b64 s[10:11], -1
	s_branch .LBB239_2332
.LBB239_2325:
	s_mov_b64 s[0:1], -1
	s_mov_b64 s[10:11], 0
                                        ; implicit-def: $vgpr9
	s_branch .LBB239_2398
.LBB239_2326:
	s_mov_b64 s[14:15], -1
	s_mov_b64 s[10:11], 0
	s_mov_b64 s[0:1], 0
                                        ; implicit-def: $vgpr9
	s_branch .LBB239_2361
.LBB239_2327:
	s_mov_b64 s[14:15], -1
	s_mov_b64 s[10:11], 0
	s_mov_b64 s[0:1], 0
                                        ; implicit-def: $vgpr9
	s_branch .LBB239_2342
.LBB239_2328:
	s_mov_b64 s[14:15], -1
	s_mov_b64 s[10:11], 0
	s_mov_b64 s[0:1], 0
                                        ; implicit-def: $vgpr9
	s_branch .LBB239_2337
.LBB239_2329:
	s_trap 2
	s_or_b64 s[20:21], s[20:21], exec
	s_cbranch_execz .LBB239_2266
	s_branch .LBB239_2267
.LBB239_2330:
	s_mov_b64 s[14:15], -1
	s_mov_b64 s[10:11], 0
	s_mov_b64 s[0:1], 0
                                        ; implicit-def: $vgpr9
	s_branch .LBB239_2332
.LBB239_2331:
	s_mov_b64 s[0:1], -1
                                        ; implicit-def: $vgpr9
	s_mov_b64 s[10:11], 0
.LBB239_2332:
	s_and_b64 vcc, exec, s[14:15]
	s_cbranch_vccz .LBB239_2336
; %bb.2333:
	s_cmp_eq_u32 s13, 44
	s_cbranch_scc0 .LBB239_2335
; %bb.2334:
	global_load_ubyte v9, v[0:1], off
	s_movk_i32 s10, 0xff
	v_mov_b32_e32 v11, 0x7f800001
	v_mov_b32_e32 v12, 0x400000
	;; [unrolled: 1-line block ×3, first 2 shown]
	s_mov_b64 s[0:1], 0
	s_waitcnt vmcnt(0)
	v_lshlrev_b32_e32 v14, 23, v9
	v_cmp_ne_u32_e32 vcc, s10, v9
	v_cndmask_b32_e32 v11, v11, v14, vcc
	v_cmp_ne_u32_e32 vcc, 0, v9
	v_cndmask_b32_e32 v9, v12, v11, vcc
	v_add_u32_e32 v11, 0x7fff, v9
	v_cmp_o_f32_e32 vcc, v9, v9
	v_cndmask_b32_sdwa v9, v13, v11, vcc dst_sel:DWORD dst_unused:UNUSED_PAD src0_sel:DWORD src1_sel:WORD_1
	s_mov_b64 s[10:11], -1
	s_branch .LBB239_2336
.LBB239_2335:
	s_mov_b64 s[0:1], -1
                                        ; implicit-def: $vgpr9
.LBB239_2336:
	s_mov_b64 s[14:15], 0
.LBB239_2337:
	s_and_b64 vcc, exec, s[14:15]
	s_cbranch_vccz .LBB239_2341
; %bb.2338:
	s_cmp_eq_u32 s13, 29
	s_cbranch_scc0 .LBB239_2340
; %bb.2339:
	global_load_dwordx2 v[11:12], v[0:1], off
	s_movk_i32 s10, 0x7fff
	s_mov_b64 s[0:1], 0
	s_mov_b64 s[14:15], 0
	s_waitcnt vmcnt(0)
	v_ffbh_u32_e32 v9, v12
	v_min_u32_e32 v9, 32, v9
	v_lshlrev_b64 v[11:12], v9, v[11:12]
	v_sub_u32_e32 v9, 32, v9
	v_min_u32_e32 v11, 1, v11
	v_or_b32_e32 v11, v12, v11
	v_cvt_f32_u32_e32 v11, v11
	v_ldexp_f32 v9, v11, v9
	v_bfe_u32 v11, v9, 16, 1
	v_add3_u32 v9, v9, v11, s10
	v_lshrrev_b32_e32 v9, 16, v9
	s_mov_b64 s[10:11], -1
	s_branch .LBB239_2342
.LBB239_2340:
	s_mov_b64 s[0:1], -1
                                        ; implicit-def: $vgpr9
.LBB239_2341:
	s_mov_b64 s[14:15], 0
.LBB239_2342:
	s_and_b64 vcc, exec, s[14:15]
	s_cbranch_vccz .LBB239_2360
; %bb.2343:
	s_cmp_lt_i32 s13, 27
	s_cbranch_scc1 .LBB239_2346
; %bb.2344:
	s_cmp_gt_i32 s13, 27
	s_cbranch_scc0 .LBB239_2347
; %bb.2345:
	global_load_dword v9, v[0:1], off
	s_movk_i32 s10, 0x7fff
	s_waitcnt vmcnt(0)
	v_cvt_f32_u32_e32 v9, v9
	v_bfe_u32 v11, v9, 16, 1
	v_add3_u32 v9, v9, v11, s10
	v_lshrrev_b32_e32 v9, 16, v9
	s_mov_b64 s[10:11], 0
	s_branch .LBB239_2348
.LBB239_2346:
	s_mov_b64 s[10:11], -1
                                        ; implicit-def: $vgpr9
	s_branch .LBB239_2351
.LBB239_2347:
	s_mov_b64 s[10:11], -1
                                        ; implicit-def: $vgpr9
.LBB239_2348:
	s_andn2_b64 vcc, exec, s[10:11]
	s_cbranch_vccnz .LBB239_2350
; %bb.2349:
	global_load_ushort v9, v[0:1], off
	s_movk_i32 s10, 0x7fff
	s_waitcnt vmcnt(0)
	v_cvt_f32_u32_e32 v9, v9
	v_bfe_u32 v11, v9, 16, 1
	v_add3_u32 v9, v9, v11, s10
	v_lshrrev_b32_e32 v9, 16, v9
.LBB239_2350:
	s_mov_b64 s[10:11], 0
.LBB239_2351:
	s_andn2_b64 vcc, exec, s[10:11]
	s_cbranch_vccnz .LBB239_2359
; %bb.2352:
	global_load_ubyte v9, v[0:1], off
	s_movk_i32 s10, 0x7f
	s_waitcnt vmcnt(0)
	v_cmp_lt_i16_e32 vcc, s10, v9
	s_mov_b64 s[10:11], 0
	s_and_saveexec_b64 s[14:15], vcc
	s_xor_b64 s[14:15], exec, s[14:15]
	s_cbranch_execz .LBB239_2373
; %bb.2353:
	s_movk_i32 s10, 0x80
	v_cmp_eq_u16_e32 vcc, s10, v9
	s_mov_b64 s[10:11], -1
	s_and_saveexec_b64 s[22:23], vcc
; %bb.2354:
	s_xor_b64 s[10:11], exec, -1
; %bb.2355:
	s_or_b64 exec, exec, s[22:23]
	s_and_b64 s[10:11], s[10:11], exec
	s_or_saveexec_b64 s[14:15], s[14:15]
	v_mov_b32_e32 v11, 0x7f800001
	s_xor_b64 exec, exec, s[14:15]
	s_cbranch_execnz .LBB239_2374
.LBB239_2356:
	s_or_b64 exec, exec, s[14:15]
	s_and_saveexec_b64 s[14:15], s[10:11]
	s_cbranch_execz .LBB239_2358
.LBB239_2357:
	v_lshlrev_b32_e32 v11, 24, v9
	v_and_b32_e32 v9, 0xffff, v9
	v_and_b32_e32 v12, 7, v9
	v_ffbh_u32_e32 v14, v12
	v_min_u32_e32 v14, 32, v14
	v_subrev_u32_e32 v15, 28, v14
	v_bfe_u32 v13, v9, 3, 4
	v_lshlrev_b32_e32 v9, v15, v9
	v_sub_u32_e32 v14, 29, v14
	v_and_b32_e32 v9, 7, v9
	v_cmp_eq_u32_e32 vcc, 0, v13
	v_cndmask_b32_e32 v13, v13, v14, vcc
	v_cndmask_b32_e32 v9, v12, v9, vcc
	v_mov_b32_e32 v12, 0x3b800000
	v_lshlrev_b32_e32 v9, 20, v9
	v_and_b32_e32 v11, 0x80000000, v11
	v_lshl_add_u32 v12, v13, 23, v12
	v_or3_b32 v11, v11, v12, v9
.LBB239_2358:
	s_or_b64 exec, exec, s[14:15]
	v_bfe_u32 v9, v11, 16, 1
	s_movk_i32 s10, 0x7fff
	v_add3_u32 v9, v11, v9, s10
	v_cmp_o_f32_e32 vcc, v11, v11
	v_mov_b32_e32 v11, 0x7fc0
	v_cndmask_b32_sdwa v9, v11, v9, vcc dst_sel:DWORD dst_unused:UNUSED_PAD src0_sel:DWORD src1_sel:WORD_1
.LBB239_2359:
	s_mov_b64 s[10:11], -1
.LBB239_2360:
	s_mov_b64 s[14:15], 0
.LBB239_2361:
	s_and_b64 vcc, exec, s[14:15]
	s_cbranch_vccz .LBB239_2394
; %bb.2362:
	s_cmp_gt_i32 s13, 22
	s_cbranch_scc0 .LBB239_2372
; %bb.2363:
	s_cmp_lt_i32 s13, 24
	s_cbranch_scc1 .LBB239_2375
; %bb.2364:
	s_cmp_gt_i32 s13, 24
	s_cbranch_scc0 .LBB239_2376
; %bb.2365:
	global_load_ubyte v9, v[0:1], off
	s_movk_i32 s4, 0x7f
	s_waitcnt vmcnt(0)
	v_cmp_lt_i16_e32 vcc, s4, v9
	s_mov_b64 s[4:5], 0
	s_and_saveexec_b64 s[10:11], vcc
	s_xor_b64 s[10:11], exec, s[10:11]
	s_cbranch_execz .LBB239_2388
; %bb.2366:
	s_movk_i32 s4, 0x80
	v_cmp_eq_u16_e32 vcc, s4, v9
	s_mov_b64 s[4:5], -1
	s_and_saveexec_b64 s[14:15], vcc
; %bb.2367:
	s_xor_b64 s[4:5], exec, -1
; %bb.2368:
	s_or_b64 exec, exec, s[14:15]
	s_and_b64 s[4:5], s[4:5], exec
	s_or_saveexec_b64 s[10:11], s[10:11]
	v_mov_b32_e32 v11, 0x7f800001
	s_xor_b64 exec, exec, s[10:11]
	s_cbranch_execnz .LBB239_2389
.LBB239_2369:
	s_or_b64 exec, exec, s[10:11]
	s_and_saveexec_b64 s[10:11], s[4:5]
	s_cbranch_execz .LBB239_2371
.LBB239_2370:
	v_lshlrev_b32_e32 v11, 24, v9
	v_and_b32_e32 v9, 0xffff, v9
	v_and_b32_e32 v12, 3, v9
	v_ffbh_u32_e32 v14, v12
	v_min_u32_e32 v14, 32, v14
	v_subrev_u32_e32 v15, 29, v14
	v_bfe_u32 v13, v9, 2, 5
	v_lshlrev_b32_e32 v9, v15, v9
	v_sub_u32_e32 v14, 30, v14
	v_and_b32_e32 v9, 3, v9
	v_cmp_eq_u32_e32 vcc, 0, v13
	v_cndmask_b32_e32 v13, v13, v14, vcc
	v_cndmask_b32_e32 v9, v12, v9, vcc
	v_mov_b32_e32 v12, 0x37800000
	v_lshlrev_b32_e32 v9, 21, v9
	v_and_b32_e32 v11, 0x80000000, v11
	v_lshl_add_u32 v12, v13, 23, v12
	v_or3_b32 v11, v11, v12, v9
.LBB239_2371:
	s_or_b64 exec, exec, s[10:11]
	v_bfe_u32 v9, v11, 16, 1
	s_movk_i32 s4, 0x7fff
	v_add3_u32 v9, v11, v9, s4
	v_cmp_o_f32_e32 vcc, v11, v11
	v_mov_b32_e32 v11, 0x7fc0
	v_cndmask_b32_sdwa v9, v11, v9, vcc dst_sel:DWORD dst_unused:UNUSED_PAD src0_sel:DWORD src1_sel:WORD_1
	s_mov_b64 s[4:5], 0
	s_branch .LBB239_2377
.LBB239_2372:
	s_mov_b64 s[4:5], -1
                                        ; implicit-def: $vgpr9
	s_branch .LBB239_2383
.LBB239_2373:
	s_or_saveexec_b64 s[14:15], s[14:15]
	v_mov_b32_e32 v11, 0x7f800001
	s_xor_b64 exec, exec, s[14:15]
	s_cbranch_execz .LBB239_2356
.LBB239_2374:
	v_cmp_ne_u16_e32 vcc, 0, v9
	s_andn2_b64 s[10:11], s[10:11], exec
	s_and_b64 s[22:23], vcc, exec
	v_mov_b32_e32 v11, 0
	s_or_b64 s[10:11], s[10:11], s[22:23]
	s_or_b64 exec, exec, s[14:15]
	s_and_saveexec_b64 s[14:15], s[10:11]
	s_cbranch_execnz .LBB239_2357
	s_branch .LBB239_2358
.LBB239_2375:
	s_mov_b64 s[4:5], -1
                                        ; implicit-def: $vgpr9
	s_branch .LBB239_2380
.LBB239_2376:
	s_mov_b64 s[4:5], -1
                                        ; implicit-def: $vgpr9
.LBB239_2377:
	s_and_b64 vcc, exec, s[4:5]
	s_cbranch_vccz .LBB239_2379
; %bb.2378:
	global_load_ubyte v9, v[0:1], off
	s_mov_b32 s4, 0x7f800000
	s_brev_b32 s5, 1
	s_movk_i32 s10, 0x7fff
	s_waitcnt vmcnt(0)
	v_lshlrev_b32_e32 v9, 24, v9
	v_and_b32_e32 v11, 0x7f000000, v9
	v_ffbh_u32_e32 v12, v11
	v_min_u32_e32 v12, 32, v12
	v_sub_u32_e64 v12, v12, 4 clamp
	v_lshlrev_b32_e32 v14, v12, v11
	v_lshlrev_b32_e32 v12, 23, v12
	v_lshrrev_b32_e32 v14, 4, v14
	v_add_u32_e32 v13, 0x1000000, v11
	v_sub_u32_e32 v12, v14, v12
	v_ashrrev_i32_e32 v13, 8, v13
	v_add_u32_e32 v12, 0x3c000000, v12
	v_and_or_b32 v12, v13, s4, v12
	v_cmp_ne_u32_e32 vcc, 0, v11
	v_cndmask_b32_e32 v11, 0, v12, vcc
	v_and_or_b32 v9, v9, s5, v11
	v_bfe_u32 v11, v11, 16, 1
	v_add3_u32 v11, v9, v11, s10
	v_cmp_o_f32_e32 vcc, v9, v9
	v_mov_b32_e32 v9, 0x7fc0
	v_cndmask_b32_sdwa v9, v9, v11, vcc dst_sel:DWORD dst_unused:UNUSED_PAD src0_sel:DWORD src1_sel:WORD_1
.LBB239_2379:
	s_mov_b64 s[4:5], 0
.LBB239_2380:
	s_andn2_b64 vcc, exec, s[4:5]
	s_cbranch_vccnz .LBB239_2382
; %bb.2381:
	global_load_ubyte v9, v[0:1], off
	s_movk_i32 s4, 0x7f00
	s_brev_b32 s5, 16
	s_brev_b32 s10, 1
	s_movk_i32 s11, 0x7fff
	s_waitcnt vmcnt(0)
	v_lshlrev_b16_e32 v11, 8, v9
	v_lshlrev_b32_e32 v9, 25, v9
	v_lshrrev_b32_e32 v12, 4, v9
	v_and_or_b32 v13, v11, s4, 0.5
	v_or_b32_e32 v12, 0x70000000, v12
	v_add_f32_e32 v13, -0.5, v13
	v_mul_f32_e32 v12, 0x7800000, v12
	v_cmp_gt_u32_e32 vcc, s5, v9
	v_bfe_i32 v11, v11, 0, 16
	v_cndmask_b32_e32 v9, v12, v13, vcc
	v_and_or_b32 v11, v11, s10, v9
	v_bfe_u32 v9, v9, 16, 1
	v_add3_u32 v9, v11, v9, s11
	v_cmp_o_f32_e32 vcc, v11, v11
	v_mov_b32_e32 v11, 0x7fc0
	v_cndmask_b32_sdwa v9, v11, v9, vcc dst_sel:DWORD dst_unused:UNUSED_PAD src0_sel:DWORD src1_sel:WORD_1
.LBB239_2382:
	s_mov_b64 s[4:5], 0
	s_mov_b64 s[10:11], -1
.LBB239_2383:
	s_andn2_b64 vcc, exec, s[4:5]
	s_mov_b64 s[4:5], 0
	s_cbranch_vccnz .LBB239_2394
; %bb.2384:
	s_cmp_gt_i32 s13, 14
	s_cbranch_scc0 .LBB239_2387
; %bb.2385:
	s_cmp_eq_u32 s13, 15
	s_cbranch_scc0 .LBB239_2390
; %bb.2386:
	global_load_ushort v9, v[0:1], off
	s_mov_b64 s[0:1], 0
	s_mov_b64 s[10:11], -1
	s_branch .LBB239_2391
.LBB239_2387:
	s_mov_b64 s[14:15], -1
                                        ; implicit-def: $vgpr9
	s_branch .LBB239_2392
.LBB239_2388:
	s_or_saveexec_b64 s[10:11], s[10:11]
	v_mov_b32_e32 v11, 0x7f800001
	s_xor_b64 exec, exec, s[10:11]
	s_cbranch_execz .LBB239_2369
.LBB239_2389:
	v_cmp_ne_u16_e32 vcc, 0, v9
	s_andn2_b64 s[4:5], s[4:5], exec
	s_and_b64 s[14:15], vcc, exec
	v_mov_b32_e32 v11, 0
	s_or_b64 s[4:5], s[4:5], s[14:15]
	s_or_b64 exec, exec, s[10:11]
	s_and_saveexec_b64 s[10:11], s[4:5]
	s_cbranch_execnz .LBB239_2370
	s_branch .LBB239_2371
.LBB239_2390:
	s_mov_b64 s[0:1], -1
                                        ; implicit-def: $vgpr9
.LBB239_2391:
	s_mov_b64 s[14:15], 0
.LBB239_2392:
	s_and_b64 vcc, exec, s[14:15]
	s_cbranch_vccz .LBB239_2394
; %bb.2393:
	s_cmp_lg_u32 s13, 11
	s_mov_b64 s[4:5], -1
	s_cselect_b64 s[0:1], -1, 0
.LBB239_2394:
	s_and_b64 vcc, exec, s[0:1]
	s_cbranch_vccnz .LBB239_2459
; %bb.2395:
	s_andn2_b64 vcc, exec, s[4:5]
	s_cbranch_vccnz .LBB239_2397
.LBB239_2396:
	global_load_ubyte v9, v[0:1], off
	s_mov_b64 s[10:11], -1
	s_waitcnt vmcnt(0)
	v_cmp_ne_u16_e32 vcc, 0, v9
	v_cndmask_b32_e64 v9, 0, 1.0, vcc
	v_lshrrev_b32_e32 v9, 16, v9
.LBB239_2397:
	s_mov_b64 s[0:1], 0
.LBB239_2398:
	s_and_b64 vcc, exec, s[0:1]
	s_cbranch_vccz .LBB239_2447
; %bb.2399:
	s_and_b32 s4, 0xffff, s28
	s_cmp_lt_i32 s4, 5
	s_cbranch_scc1 .LBB239_2404
; %bb.2400:
	s_cmp_lt_i32 s4, 8
	s_cbranch_scc1 .LBB239_2405
; %bb.2401:
	;; [unrolled: 3-line block ×3, first 2 shown]
	s_cmp_gt_i32 s4, 9
	s_cbranch_scc0 .LBB239_2407
; %bb.2403:
	global_load_dwordx2 v[11:12], v[0:1], off
	s_movk_i32 s0, 0x7fff
	s_waitcnt vmcnt(0)
	v_cvt_f32_f64_e32 v9, v[11:12]
	v_mov_b32_e32 v11, 0x7fc0
	v_bfe_u32 v12, v9, 16, 1
	v_cmp_o_f32_e32 vcc, v9, v9
	v_add3_u32 v9, v9, v12, s0
	v_cndmask_b32_sdwa v9, v11, v9, vcc dst_sel:DWORD dst_unused:UNUSED_PAD src0_sel:DWORD src1_sel:WORD_1
	s_mov_b64 s[0:1], 0
	s_branch .LBB239_2408
.LBB239_2404:
	s_mov_b64 s[0:1], -1
                                        ; implicit-def: $vgpr9
	s_branch .LBB239_2426
.LBB239_2405:
	s_mov_b64 s[0:1], -1
                                        ; implicit-def: $vgpr9
	s_branch .LBB239_2414
.LBB239_2406:
	s_mov_b64 s[0:1], -1
                                        ; implicit-def: $vgpr9
	s_branch .LBB239_2411
.LBB239_2407:
	s_mov_b64 s[0:1], -1
                                        ; implicit-def: $vgpr9
.LBB239_2408:
	s_andn2_b64 vcc, exec, s[0:1]
	s_cbranch_vccnz .LBB239_2410
; %bb.2409:
	global_load_dword v9, v[0:1], off
	s_movk_i32 s0, 0x7fff
	v_mov_b32_e32 v11, 0x7fc0
	s_waitcnt vmcnt(0)
	v_bfe_u32 v12, v9, 16, 1
	v_cmp_o_f32_e32 vcc, v9, v9
	v_add3_u32 v9, v9, v12, s0
	v_cndmask_b32_sdwa v9, v11, v9, vcc dst_sel:DWORD dst_unused:UNUSED_PAD src0_sel:DWORD src1_sel:WORD_1
.LBB239_2410:
	s_mov_b64 s[0:1], 0
.LBB239_2411:
	s_andn2_b64 vcc, exec, s[0:1]
	s_cbranch_vccnz .LBB239_2413
; %bb.2412:
	global_load_dword v9, v[0:1], off
	s_movk_i32 s0, 0x7fff
	v_mov_b32_e32 v12, 0x7fc0
	s_waitcnt vmcnt(0)
	v_cvt_f32_f16_e32 v11, v9
	v_cmp_o_f16_e32 vcc, v9, v9
	v_bfe_u32 v9, v11, 16, 1
	v_add3_u32 v9, v11, v9, s0
	v_cndmask_b32_sdwa v9, v12, v9, vcc dst_sel:DWORD dst_unused:UNUSED_PAD src0_sel:DWORD src1_sel:WORD_1
.LBB239_2413:
	s_mov_b64 s[0:1], 0
.LBB239_2414:
	s_andn2_b64 vcc, exec, s[0:1]
	s_cbranch_vccnz .LBB239_2425
; %bb.2415:
	s_cmp_lt_i32 s4, 6
	s_cbranch_scc1 .LBB239_2418
; %bb.2416:
	s_cmp_gt_i32 s4, 6
	s_cbranch_scc0 .LBB239_2419
; %bb.2417:
	global_load_dwordx2 v[11:12], v[0:1], off
	s_movk_i32 s0, 0x7fff
	s_waitcnt vmcnt(0)
	v_cvt_f32_f64_e32 v9, v[11:12]
	v_mov_b32_e32 v11, 0x7fc0
	v_bfe_u32 v12, v9, 16, 1
	v_cmp_o_f32_e32 vcc, v9, v9
	v_add3_u32 v9, v9, v12, s0
	v_cndmask_b32_sdwa v9, v11, v9, vcc dst_sel:DWORD dst_unused:UNUSED_PAD src0_sel:DWORD src1_sel:WORD_1
	s_mov_b64 s[0:1], 0
	s_branch .LBB239_2420
.LBB239_2418:
	s_mov_b64 s[0:1], -1
                                        ; implicit-def: $vgpr9
	s_branch .LBB239_2423
.LBB239_2419:
	s_mov_b64 s[0:1], -1
                                        ; implicit-def: $vgpr9
.LBB239_2420:
	s_andn2_b64 vcc, exec, s[0:1]
	s_cbranch_vccnz .LBB239_2422
; %bb.2421:
	global_load_dword v9, v[0:1], off
	s_movk_i32 s0, 0x7fff
	v_mov_b32_e32 v11, 0x7fc0
	s_waitcnt vmcnt(0)
	v_bfe_u32 v12, v9, 16, 1
	v_cmp_o_f32_e32 vcc, v9, v9
	v_add3_u32 v9, v9, v12, s0
	v_cndmask_b32_sdwa v9, v11, v9, vcc dst_sel:DWORD dst_unused:UNUSED_PAD src0_sel:DWORD src1_sel:WORD_1
.LBB239_2422:
	s_mov_b64 s[0:1], 0
.LBB239_2423:
	s_andn2_b64 vcc, exec, s[0:1]
	s_cbranch_vccnz .LBB239_2425
; %bb.2424:
	global_load_ushort v9, v[0:1], off
	s_movk_i32 s0, 0x7fff
	v_mov_b32_e32 v12, 0x7fc0
	s_waitcnt vmcnt(0)
	v_cvt_f32_f16_e32 v11, v9
	v_cmp_o_f16_e32 vcc, v9, v9
	v_bfe_u32 v9, v11, 16, 1
	v_add3_u32 v9, v11, v9, s0
	v_cndmask_b32_sdwa v9, v12, v9, vcc dst_sel:DWORD dst_unused:UNUSED_PAD src0_sel:DWORD src1_sel:WORD_1
.LBB239_2425:
	s_mov_b64 s[0:1], 0
.LBB239_2426:
	s_andn2_b64 vcc, exec, s[0:1]
	s_cbranch_vccnz .LBB239_2446
; %bb.2427:
	s_cmp_lt_i32 s4, 2
	s_cbranch_scc1 .LBB239_2431
; %bb.2428:
	s_cmp_lt_i32 s4, 3
	s_cbranch_scc1 .LBB239_2432
; %bb.2429:
	s_cmp_gt_i32 s4, 3
	s_cbranch_scc0 .LBB239_2433
; %bb.2430:
	global_load_dwordx2 v[11:12], v[0:1], off
	s_movk_i32 s0, 0x7fff
	s_waitcnt vmcnt(0)
	v_xor_b32_e32 v13, v11, v12
	v_ffbh_i32_e32 v9, v12
	v_ashrrev_i32_e32 v13, 31, v13
	v_add_u32_e32 v9, -1, v9
	v_add_u32_e32 v13, 32, v13
	v_min_u32_e32 v9, v9, v13
	v_lshlrev_b64 v[11:12], v9, v[11:12]
	v_sub_u32_e32 v9, 32, v9
	v_min_u32_e32 v11, 1, v11
	v_or_b32_e32 v11, v12, v11
	v_cvt_f32_i32_e32 v11, v11
	v_ldexp_f32 v9, v11, v9
	v_bfe_u32 v11, v9, 16, 1
	v_add3_u32 v9, v9, v11, s0
	v_lshrrev_b32_e32 v9, 16, v9
	s_mov_b64 s[0:1], 0
	s_branch .LBB239_2434
.LBB239_2431:
	s_mov_b64 s[0:1], -1
                                        ; implicit-def: $vgpr9
	s_branch .LBB239_2440
.LBB239_2432:
	s_mov_b64 s[0:1], -1
                                        ; implicit-def: $vgpr9
	s_branch .LBB239_2437
.LBB239_2433:
	s_mov_b64 s[0:1], -1
                                        ; implicit-def: $vgpr9
.LBB239_2434:
	s_andn2_b64 vcc, exec, s[0:1]
	s_cbranch_vccnz .LBB239_2436
; %bb.2435:
	global_load_dword v9, v[0:1], off
	s_movk_i32 s0, 0x7fff
	s_waitcnt vmcnt(0)
	v_cvt_f32_i32_e32 v9, v9
	v_bfe_u32 v11, v9, 16, 1
	v_add3_u32 v9, v9, v11, s0
	v_lshrrev_b32_e32 v9, 16, v9
.LBB239_2436:
	s_mov_b64 s[0:1], 0
.LBB239_2437:
	s_andn2_b64 vcc, exec, s[0:1]
	s_cbranch_vccnz .LBB239_2439
; %bb.2438:
	global_load_sshort v9, v[0:1], off
	s_movk_i32 s0, 0x7fff
	s_waitcnt vmcnt(0)
	v_cvt_f32_i32_e32 v9, v9
	v_bfe_u32 v11, v9, 16, 1
	v_add3_u32 v9, v9, v11, s0
	v_lshrrev_b32_e32 v9, 16, v9
.LBB239_2439:
	s_mov_b64 s[0:1], 0
.LBB239_2440:
	s_andn2_b64 vcc, exec, s[0:1]
	s_cbranch_vccnz .LBB239_2446
; %bb.2441:
	s_cmp_gt_i32 s4, 0
	s_cbranch_scc0 .LBB239_2443
; %bb.2442:
	global_load_sbyte v9, v[0:1], off
	s_movk_i32 s0, 0x7fff
	s_waitcnt vmcnt(0)
	v_cvt_f32_i32_e32 v9, v9
	v_bfe_u32 v11, v9, 16, 1
	v_add3_u32 v9, v9, v11, s0
	v_lshrrev_b32_e32 v9, 16, v9
	s_mov_b64 s[0:1], 0
	s_branch .LBB239_2444
.LBB239_2443:
	s_mov_b64 s[0:1], -1
                                        ; implicit-def: $vgpr9
.LBB239_2444:
	s_andn2_b64 vcc, exec, s[0:1]
	s_cbranch_vccnz .LBB239_2446
; %bb.2445:
	global_load_ubyte v0, v[0:1], off
	s_movk_i32 s0, 0x7fff
	s_waitcnt vmcnt(0)
	v_cvt_f32_ubyte0_e32 v0, v0
	v_bfe_u32 v1, v0, 16, 1
	v_add3_u32 v0, v0, v1, s0
	v_lshrrev_b32_e32 v9, 16, v0
.LBB239_2446:
	s_mov_b64 s[10:11], -1
.LBB239_2447:
	s_andn2_b64 vcc, exec, s[10:11]
	s_cbranch_vccnz .LBB239_3011
; %bb.2448:
	v_add_u32_e32 v0, s26, v10
	v_ashrrev_i32_e32 v1, 31, v0
	v_mov_b32_e32 v10, s17
	v_add_co_u32_e32 v0, vcc, s16, v0
	s_cmp_lt_i32 s29, 11
	v_addc_co_u32_e32 v1, vcc, v10, v1, vcc
	s_cbranch_scc1 .LBB239_2455
; %bb.2449:
	s_and_b32 s13, 0xffff, s29
	s_cmp_gt_i32 s13, 25
	s_mov_b64 s[4:5], 0
	s_cbranch_scc0 .LBB239_2456
; %bb.2450:
	s_cmp_gt_i32 s13, 28
	s_cbranch_scc0 .LBB239_2457
; %bb.2451:
	s_cmp_gt_i32 s13, 43
	;; [unrolled: 3-line block ×3, first 2 shown]
	s_cbranch_scc0 .LBB239_2460
; %bb.2453:
	s_cmp_eq_u32 s13, 46
	s_mov_b64 s[14:15], 0
	s_cbranch_scc0 .LBB239_2461
; %bb.2454:
	global_load_dword v10, v[0:1], off
	s_mov_b64 s[0:1], 0
	s_mov_b64 s[10:11], -1
	s_branch .LBB239_2462
.LBB239_2455:
	s_mov_b64 s[0:1], -1
	s_mov_b64 s[10:11], 0
                                        ; implicit-def: $vgpr10
	s_branch .LBB239_2528
.LBB239_2456:
	s_mov_b64 s[14:15], -1
	s_mov_b64 s[10:11], 0
	s_mov_b64 s[0:1], 0
                                        ; implicit-def: $vgpr10
	s_branch .LBB239_2491
.LBB239_2457:
	s_mov_b64 s[14:15], -1
	s_mov_b64 s[10:11], 0
	s_mov_b64 s[0:1], 0
                                        ; implicit-def: $vgpr10
	s_branch .LBB239_2472
.LBB239_2458:
	s_mov_b64 s[14:15], -1
	s_mov_b64 s[10:11], 0
	s_mov_b64 s[0:1], 0
                                        ; implicit-def: $vgpr10
	s_branch .LBB239_2467
.LBB239_2459:
	s_trap 2
	s_or_b64 s[20:21], s[20:21], exec
	s_cbranch_execz .LBB239_2396
	s_branch .LBB239_2397
.LBB239_2460:
	s_mov_b64 s[14:15], -1
	s_mov_b64 s[10:11], 0
	s_mov_b64 s[0:1], 0
                                        ; implicit-def: $vgpr10
	s_branch .LBB239_2462
.LBB239_2461:
	s_mov_b64 s[0:1], -1
                                        ; implicit-def: $vgpr10
	s_mov_b64 s[10:11], 0
.LBB239_2462:
	s_and_b64 vcc, exec, s[14:15]
	s_cbranch_vccz .LBB239_2466
; %bb.2463:
	s_cmp_eq_u32 s13, 44
	s_cbranch_scc0 .LBB239_2465
; %bb.2464:
	global_load_ubyte v10, v[0:1], off
	s_movk_i32 s10, 0xff
	v_mov_b32_e32 v11, 0x7f800001
	v_mov_b32_e32 v12, 0x400000
	;; [unrolled: 1-line block ×3, first 2 shown]
	s_mov_b64 s[0:1], 0
	s_waitcnt vmcnt(0)
	v_lshlrev_b32_e32 v14, 23, v10
	v_cmp_ne_u32_e32 vcc, s10, v10
	v_cndmask_b32_e32 v11, v11, v14, vcc
	v_cmp_ne_u32_e32 vcc, 0, v10
	v_cndmask_b32_e32 v10, v12, v11, vcc
	v_add_u32_e32 v11, 0x7fff, v10
	v_cmp_o_f32_e32 vcc, v10, v10
	v_cndmask_b32_sdwa v10, v13, v11, vcc dst_sel:DWORD dst_unused:UNUSED_PAD src0_sel:DWORD src1_sel:WORD_1
	s_mov_b64 s[10:11], -1
	s_branch .LBB239_2466
.LBB239_2465:
	s_mov_b64 s[0:1], -1
                                        ; implicit-def: $vgpr10
.LBB239_2466:
	s_mov_b64 s[14:15], 0
.LBB239_2467:
	s_and_b64 vcc, exec, s[14:15]
	s_cbranch_vccz .LBB239_2471
; %bb.2468:
	s_cmp_eq_u32 s13, 29
	s_cbranch_scc0 .LBB239_2470
; %bb.2469:
	global_load_dwordx2 v[10:11], v[0:1], off
	s_movk_i32 s10, 0x7fff
	s_mov_b64 s[0:1], 0
	s_mov_b64 s[14:15], 0
	s_waitcnt vmcnt(0)
	v_ffbh_u32_e32 v12, v11
	v_min_u32_e32 v12, 32, v12
	v_lshlrev_b64 v[10:11], v12, v[10:11]
	v_min_u32_e32 v10, 1, v10
	v_or_b32_e32 v10, v11, v10
	v_cvt_f32_u32_e32 v10, v10
	v_sub_u32_e32 v11, 32, v12
	v_ldexp_f32 v10, v10, v11
	v_bfe_u32 v11, v10, 16, 1
	v_add3_u32 v10, v10, v11, s10
	v_lshrrev_b32_e32 v10, 16, v10
	s_mov_b64 s[10:11], -1
	s_branch .LBB239_2472
.LBB239_2470:
	s_mov_b64 s[0:1], -1
                                        ; implicit-def: $vgpr10
.LBB239_2471:
	s_mov_b64 s[14:15], 0
.LBB239_2472:
	s_and_b64 vcc, exec, s[14:15]
	s_cbranch_vccz .LBB239_2490
; %bb.2473:
	s_cmp_lt_i32 s13, 27
	s_cbranch_scc1 .LBB239_2476
; %bb.2474:
	s_cmp_gt_i32 s13, 27
	s_cbranch_scc0 .LBB239_2477
; %bb.2475:
	global_load_dword v10, v[0:1], off
	s_movk_i32 s10, 0x7fff
	s_waitcnt vmcnt(0)
	v_cvt_f32_u32_e32 v10, v10
	v_bfe_u32 v11, v10, 16, 1
	v_add3_u32 v10, v10, v11, s10
	v_lshrrev_b32_e32 v10, 16, v10
	s_mov_b64 s[10:11], 0
	s_branch .LBB239_2478
.LBB239_2476:
	s_mov_b64 s[10:11], -1
                                        ; implicit-def: $vgpr10
	s_branch .LBB239_2481
.LBB239_2477:
	s_mov_b64 s[10:11], -1
                                        ; implicit-def: $vgpr10
.LBB239_2478:
	s_andn2_b64 vcc, exec, s[10:11]
	s_cbranch_vccnz .LBB239_2480
; %bb.2479:
	global_load_ushort v10, v[0:1], off
	s_movk_i32 s10, 0x7fff
	s_waitcnt vmcnt(0)
	v_cvt_f32_u32_e32 v10, v10
	v_bfe_u32 v11, v10, 16, 1
	v_add3_u32 v10, v10, v11, s10
	v_lshrrev_b32_e32 v10, 16, v10
.LBB239_2480:
	s_mov_b64 s[10:11], 0
.LBB239_2481:
	s_andn2_b64 vcc, exec, s[10:11]
	s_cbranch_vccnz .LBB239_2489
; %bb.2482:
	global_load_ubyte v10, v[0:1], off
	s_movk_i32 s10, 0x7f
	s_waitcnt vmcnt(0)
	v_cmp_lt_i16_e32 vcc, s10, v10
	s_mov_b64 s[10:11], 0
	s_and_saveexec_b64 s[14:15], vcc
	s_xor_b64 s[14:15], exec, s[14:15]
	s_cbranch_execz .LBB239_2503
; %bb.2483:
	s_movk_i32 s10, 0x80
	v_cmp_eq_u16_e32 vcc, s10, v10
	s_mov_b64 s[10:11], -1
	s_and_saveexec_b64 s[16:17], vcc
; %bb.2484:
	s_xor_b64 s[10:11], exec, -1
; %bb.2485:
	s_or_b64 exec, exec, s[16:17]
	s_and_b64 s[10:11], s[10:11], exec
	s_or_saveexec_b64 s[14:15], s[14:15]
	v_mov_b32_e32 v11, 0x7f800001
	s_xor_b64 exec, exec, s[14:15]
	s_cbranch_execnz .LBB239_2504
.LBB239_2486:
	s_or_b64 exec, exec, s[14:15]
	s_and_saveexec_b64 s[14:15], s[10:11]
	s_cbranch_execz .LBB239_2488
.LBB239_2487:
	v_lshlrev_b32_e32 v11, 24, v10
	v_and_b32_e32 v10, 0xffff, v10
	v_and_b32_e32 v12, 7, v10
	v_ffbh_u32_e32 v14, v12
	v_min_u32_e32 v14, 32, v14
	v_subrev_u32_e32 v15, 28, v14
	v_bfe_u32 v13, v10, 3, 4
	v_lshlrev_b32_e32 v10, v15, v10
	v_sub_u32_e32 v14, 29, v14
	v_and_b32_e32 v10, 7, v10
	v_cmp_eq_u32_e32 vcc, 0, v13
	v_cndmask_b32_e32 v13, v13, v14, vcc
	v_cndmask_b32_e32 v10, v12, v10, vcc
	v_mov_b32_e32 v12, 0x3b800000
	v_lshlrev_b32_e32 v10, 20, v10
	v_and_b32_e32 v11, 0x80000000, v11
	v_lshl_add_u32 v12, v13, 23, v12
	v_or3_b32 v11, v11, v12, v10
.LBB239_2488:
	s_or_b64 exec, exec, s[14:15]
	v_bfe_u32 v10, v11, 16, 1
	s_movk_i32 s10, 0x7fff
	v_add3_u32 v10, v11, v10, s10
	v_cmp_o_f32_e32 vcc, v11, v11
	v_mov_b32_e32 v11, 0x7fc0
	v_cndmask_b32_sdwa v10, v11, v10, vcc dst_sel:DWORD dst_unused:UNUSED_PAD src0_sel:DWORD src1_sel:WORD_1
.LBB239_2489:
	s_mov_b64 s[10:11], -1
.LBB239_2490:
	s_mov_b64 s[14:15], 0
.LBB239_2491:
	s_and_b64 vcc, exec, s[14:15]
	s_cbranch_vccz .LBB239_2524
; %bb.2492:
	s_cmp_gt_i32 s13, 22
	s_cbranch_scc0 .LBB239_2502
; %bb.2493:
	s_cmp_lt_i32 s13, 24
	s_cbranch_scc1 .LBB239_2505
; %bb.2494:
	s_cmp_gt_i32 s13, 24
	s_cbranch_scc0 .LBB239_2506
; %bb.2495:
	global_load_ubyte v10, v[0:1], off
	s_movk_i32 s4, 0x7f
	s_waitcnt vmcnt(0)
	v_cmp_lt_i16_e32 vcc, s4, v10
	s_mov_b64 s[4:5], 0
	s_and_saveexec_b64 s[10:11], vcc
	s_xor_b64 s[10:11], exec, s[10:11]
	s_cbranch_execz .LBB239_2518
; %bb.2496:
	s_movk_i32 s4, 0x80
	v_cmp_eq_u16_e32 vcc, s4, v10
	s_mov_b64 s[4:5], -1
	s_and_saveexec_b64 s[14:15], vcc
; %bb.2497:
	s_xor_b64 s[4:5], exec, -1
; %bb.2498:
	s_or_b64 exec, exec, s[14:15]
	s_and_b64 s[4:5], s[4:5], exec
	s_or_saveexec_b64 s[10:11], s[10:11]
	v_mov_b32_e32 v11, 0x7f800001
	s_xor_b64 exec, exec, s[10:11]
	s_cbranch_execnz .LBB239_2519
.LBB239_2499:
	s_or_b64 exec, exec, s[10:11]
	s_and_saveexec_b64 s[10:11], s[4:5]
	s_cbranch_execz .LBB239_2501
.LBB239_2500:
	v_lshlrev_b32_e32 v11, 24, v10
	v_and_b32_e32 v10, 0xffff, v10
	v_and_b32_e32 v12, 3, v10
	v_ffbh_u32_e32 v14, v12
	v_min_u32_e32 v14, 32, v14
	v_subrev_u32_e32 v15, 29, v14
	v_bfe_u32 v13, v10, 2, 5
	v_lshlrev_b32_e32 v10, v15, v10
	v_sub_u32_e32 v14, 30, v14
	v_and_b32_e32 v10, 3, v10
	v_cmp_eq_u32_e32 vcc, 0, v13
	v_cndmask_b32_e32 v13, v13, v14, vcc
	v_cndmask_b32_e32 v10, v12, v10, vcc
	v_mov_b32_e32 v12, 0x37800000
	v_lshlrev_b32_e32 v10, 21, v10
	v_and_b32_e32 v11, 0x80000000, v11
	v_lshl_add_u32 v12, v13, 23, v12
	v_or3_b32 v11, v11, v12, v10
.LBB239_2501:
	s_or_b64 exec, exec, s[10:11]
	v_bfe_u32 v10, v11, 16, 1
	s_movk_i32 s4, 0x7fff
	v_add3_u32 v10, v11, v10, s4
	v_cmp_o_f32_e32 vcc, v11, v11
	v_mov_b32_e32 v11, 0x7fc0
	v_cndmask_b32_sdwa v10, v11, v10, vcc dst_sel:DWORD dst_unused:UNUSED_PAD src0_sel:DWORD src1_sel:WORD_1
	s_mov_b64 s[4:5], 0
	s_branch .LBB239_2507
.LBB239_2502:
	s_mov_b64 s[4:5], -1
                                        ; implicit-def: $vgpr10
	s_branch .LBB239_2513
.LBB239_2503:
	s_or_saveexec_b64 s[14:15], s[14:15]
	v_mov_b32_e32 v11, 0x7f800001
	s_xor_b64 exec, exec, s[14:15]
	s_cbranch_execz .LBB239_2486
.LBB239_2504:
	v_cmp_ne_u16_e32 vcc, 0, v10
	s_andn2_b64 s[10:11], s[10:11], exec
	s_and_b64 s[16:17], vcc, exec
	v_mov_b32_e32 v11, 0
	s_or_b64 s[10:11], s[10:11], s[16:17]
	s_or_b64 exec, exec, s[14:15]
	s_and_saveexec_b64 s[14:15], s[10:11]
	s_cbranch_execnz .LBB239_2487
	s_branch .LBB239_2488
.LBB239_2505:
	s_mov_b64 s[4:5], -1
                                        ; implicit-def: $vgpr10
	s_branch .LBB239_2510
.LBB239_2506:
	s_mov_b64 s[4:5], -1
                                        ; implicit-def: $vgpr10
.LBB239_2507:
	s_and_b64 vcc, exec, s[4:5]
	s_cbranch_vccz .LBB239_2509
; %bb.2508:
	global_load_ubyte v10, v[0:1], off
	s_mov_b32 s4, 0x7f800000
	s_brev_b32 s5, 1
	s_movk_i32 s10, 0x7fff
	s_waitcnt vmcnt(0)
	v_lshlrev_b32_e32 v10, 24, v10
	v_and_b32_e32 v11, 0x7f000000, v10
	v_ffbh_u32_e32 v12, v11
	v_min_u32_e32 v12, 32, v12
	v_sub_u32_e64 v12, v12, 4 clamp
	v_lshlrev_b32_e32 v14, v12, v11
	v_lshlrev_b32_e32 v12, 23, v12
	v_lshrrev_b32_e32 v14, 4, v14
	v_add_u32_e32 v13, 0x1000000, v11
	v_sub_u32_e32 v12, v14, v12
	v_ashrrev_i32_e32 v13, 8, v13
	v_add_u32_e32 v12, 0x3c000000, v12
	v_and_or_b32 v12, v13, s4, v12
	v_cmp_ne_u32_e32 vcc, 0, v11
	v_cndmask_b32_e32 v11, 0, v12, vcc
	v_and_or_b32 v10, v10, s5, v11
	v_bfe_u32 v11, v11, 16, 1
	v_add3_u32 v11, v10, v11, s10
	v_cmp_o_f32_e32 vcc, v10, v10
	v_mov_b32_e32 v10, 0x7fc0
	v_cndmask_b32_sdwa v10, v10, v11, vcc dst_sel:DWORD dst_unused:UNUSED_PAD src0_sel:DWORD src1_sel:WORD_1
.LBB239_2509:
	s_mov_b64 s[4:5], 0
.LBB239_2510:
	s_andn2_b64 vcc, exec, s[4:5]
	s_cbranch_vccnz .LBB239_2512
; %bb.2511:
	global_load_ubyte v10, v[0:1], off
	s_movk_i32 s4, 0x7f00
	s_brev_b32 s5, 16
	s_brev_b32 s10, 1
	s_movk_i32 s11, 0x7fff
	s_waitcnt vmcnt(0)
	v_lshlrev_b16_e32 v11, 8, v10
	v_lshlrev_b32_e32 v10, 25, v10
	v_lshrrev_b32_e32 v12, 4, v10
	v_and_or_b32 v13, v11, s4, 0.5
	v_or_b32_e32 v12, 0x70000000, v12
	v_add_f32_e32 v13, -0.5, v13
	v_mul_f32_e32 v12, 0x7800000, v12
	v_cmp_gt_u32_e32 vcc, s5, v10
	v_bfe_i32 v11, v11, 0, 16
	v_cndmask_b32_e32 v10, v12, v13, vcc
	v_and_or_b32 v11, v11, s10, v10
	v_bfe_u32 v10, v10, 16, 1
	v_add3_u32 v10, v11, v10, s11
	v_cmp_o_f32_e32 vcc, v11, v11
	v_mov_b32_e32 v11, 0x7fc0
	v_cndmask_b32_sdwa v10, v11, v10, vcc dst_sel:DWORD dst_unused:UNUSED_PAD src0_sel:DWORD src1_sel:WORD_1
.LBB239_2512:
	s_mov_b64 s[4:5], 0
	s_mov_b64 s[10:11], -1
.LBB239_2513:
	s_andn2_b64 vcc, exec, s[4:5]
	s_mov_b64 s[4:5], 0
	s_cbranch_vccnz .LBB239_2524
; %bb.2514:
	s_cmp_gt_i32 s13, 14
	s_cbranch_scc0 .LBB239_2517
; %bb.2515:
	s_cmp_eq_u32 s13, 15
	s_cbranch_scc0 .LBB239_2520
; %bb.2516:
	global_load_ushort v10, v[0:1], off
	s_mov_b64 s[0:1], 0
	s_mov_b64 s[10:11], -1
	s_branch .LBB239_2521
.LBB239_2517:
	s_mov_b64 s[14:15], -1
                                        ; implicit-def: $vgpr10
	s_branch .LBB239_2522
.LBB239_2518:
	s_or_saveexec_b64 s[10:11], s[10:11]
	v_mov_b32_e32 v11, 0x7f800001
	s_xor_b64 exec, exec, s[10:11]
	s_cbranch_execz .LBB239_2499
.LBB239_2519:
	v_cmp_ne_u16_e32 vcc, 0, v10
	s_andn2_b64 s[4:5], s[4:5], exec
	s_and_b64 s[14:15], vcc, exec
	v_mov_b32_e32 v11, 0
	s_or_b64 s[4:5], s[4:5], s[14:15]
	s_or_b64 exec, exec, s[10:11]
	s_and_saveexec_b64 s[10:11], s[4:5]
	s_cbranch_execnz .LBB239_2500
	s_branch .LBB239_2501
.LBB239_2520:
	s_mov_b64 s[0:1], -1
                                        ; implicit-def: $vgpr10
.LBB239_2521:
	s_mov_b64 s[14:15], 0
.LBB239_2522:
	s_and_b64 vcc, exec, s[14:15]
	s_cbranch_vccz .LBB239_2524
; %bb.2523:
	s_cmp_lg_u32 s13, 11
	s_mov_b64 s[4:5], -1
	s_cselect_b64 s[0:1], -1, 0
.LBB239_2524:
	s_and_b64 vcc, exec, s[0:1]
	s_cbranch_vccnz .LBB239_3057
; %bb.2525:
	s_andn2_b64 vcc, exec, s[4:5]
	s_cbranch_vccnz .LBB239_2527
.LBB239_2526:
	global_load_ubyte v10, v[0:1], off
	s_mov_b64 s[10:11], -1
	s_waitcnt vmcnt(0)
	v_cmp_ne_u16_e32 vcc, 0, v10
	v_cndmask_b32_e64 v10, 0, 1.0, vcc
	v_lshrrev_b32_e32 v10, 16, v10
.LBB239_2527:
	s_mov_b64 s[0:1], 0
.LBB239_2528:
	s_and_b64 vcc, exec, s[0:1]
	s_cbranch_vccz .LBB239_2577
; %bb.2529:
	s_and_b32 s4, 0xffff, s29
	s_cmp_lt_i32 s4, 5
	s_cbranch_scc1 .LBB239_2534
; %bb.2530:
	s_cmp_lt_i32 s4, 8
	s_cbranch_scc1 .LBB239_2535
; %bb.2531:
	;; [unrolled: 3-line block ×3, first 2 shown]
	s_cmp_gt_i32 s4, 9
	s_cbranch_scc0 .LBB239_2537
; %bb.2533:
	global_load_dwordx2 v[10:11], v[0:1], off
	s_movk_i32 s0, 0x7fff
	s_waitcnt vmcnt(0)
	v_cvt_f32_f64_e32 v10, v[10:11]
	v_mov_b32_e32 v11, 0x7fc0
	v_bfe_u32 v12, v10, 16, 1
	v_cmp_o_f32_e32 vcc, v10, v10
	v_add3_u32 v10, v10, v12, s0
	v_cndmask_b32_sdwa v10, v11, v10, vcc dst_sel:DWORD dst_unused:UNUSED_PAD src0_sel:DWORD src1_sel:WORD_1
	s_mov_b64 s[0:1], 0
	s_branch .LBB239_2538
.LBB239_2534:
	s_mov_b64 s[0:1], -1
                                        ; implicit-def: $vgpr10
	s_branch .LBB239_2556
.LBB239_2535:
	s_mov_b64 s[0:1], -1
                                        ; implicit-def: $vgpr10
	s_branch .LBB239_2544
.LBB239_2536:
	s_mov_b64 s[0:1], -1
                                        ; implicit-def: $vgpr10
	s_branch .LBB239_2541
.LBB239_2537:
	s_mov_b64 s[0:1], -1
                                        ; implicit-def: $vgpr10
.LBB239_2538:
	s_andn2_b64 vcc, exec, s[0:1]
	s_cbranch_vccnz .LBB239_2540
; %bb.2539:
	global_load_dword v10, v[0:1], off
	s_movk_i32 s0, 0x7fff
	v_mov_b32_e32 v11, 0x7fc0
	s_waitcnt vmcnt(0)
	v_bfe_u32 v12, v10, 16, 1
	v_cmp_o_f32_e32 vcc, v10, v10
	v_add3_u32 v10, v10, v12, s0
	v_cndmask_b32_sdwa v10, v11, v10, vcc dst_sel:DWORD dst_unused:UNUSED_PAD src0_sel:DWORD src1_sel:WORD_1
.LBB239_2540:
	s_mov_b64 s[0:1], 0
.LBB239_2541:
	s_andn2_b64 vcc, exec, s[0:1]
	s_cbranch_vccnz .LBB239_2543
; %bb.2542:
	global_load_dword v10, v[0:1], off
	s_movk_i32 s0, 0x7fff
	v_mov_b32_e32 v12, 0x7fc0
	s_waitcnt vmcnt(0)
	v_cvt_f32_f16_e32 v11, v10
	v_cmp_o_f16_e32 vcc, v10, v10
	v_bfe_u32 v10, v11, 16, 1
	v_add3_u32 v10, v11, v10, s0
	v_cndmask_b32_sdwa v10, v12, v10, vcc dst_sel:DWORD dst_unused:UNUSED_PAD src0_sel:DWORD src1_sel:WORD_1
.LBB239_2543:
	s_mov_b64 s[0:1], 0
.LBB239_2544:
	s_andn2_b64 vcc, exec, s[0:1]
	s_cbranch_vccnz .LBB239_2555
; %bb.2545:
	s_cmp_lt_i32 s4, 6
	s_cbranch_scc1 .LBB239_2548
; %bb.2546:
	s_cmp_gt_i32 s4, 6
	s_cbranch_scc0 .LBB239_2549
; %bb.2547:
	global_load_dwordx2 v[10:11], v[0:1], off
	s_movk_i32 s0, 0x7fff
	s_waitcnt vmcnt(0)
	v_cvt_f32_f64_e32 v10, v[10:11]
	v_mov_b32_e32 v11, 0x7fc0
	v_bfe_u32 v12, v10, 16, 1
	v_cmp_o_f32_e32 vcc, v10, v10
	v_add3_u32 v10, v10, v12, s0
	v_cndmask_b32_sdwa v10, v11, v10, vcc dst_sel:DWORD dst_unused:UNUSED_PAD src0_sel:DWORD src1_sel:WORD_1
	s_mov_b64 s[0:1], 0
	s_branch .LBB239_2550
.LBB239_2548:
	s_mov_b64 s[0:1], -1
                                        ; implicit-def: $vgpr10
	s_branch .LBB239_2553
.LBB239_2549:
	s_mov_b64 s[0:1], -1
                                        ; implicit-def: $vgpr10
.LBB239_2550:
	s_andn2_b64 vcc, exec, s[0:1]
	s_cbranch_vccnz .LBB239_2552
; %bb.2551:
	global_load_dword v10, v[0:1], off
	s_movk_i32 s0, 0x7fff
	v_mov_b32_e32 v11, 0x7fc0
	s_waitcnt vmcnt(0)
	v_bfe_u32 v12, v10, 16, 1
	v_cmp_o_f32_e32 vcc, v10, v10
	v_add3_u32 v10, v10, v12, s0
	v_cndmask_b32_sdwa v10, v11, v10, vcc dst_sel:DWORD dst_unused:UNUSED_PAD src0_sel:DWORD src1_sel:WORD_1
.LBB239_2552:
	s_mov_b64 s[0:1], 0
.LBB239_2553:
	s_andn2_b64 vcc, exec, s[0:1]
	s_cbranch_vccnz .LBB239_2555
; %bb.2554:
	global_load_ushort v10, v[0:1], off
	s_movk_i32 s0, 0x7fff
	v_mov_b32_e32 v12, 0x7fc0
	s_waitcnt vmcnt(0)
	v_cvt_f32_f16_e32 v11, v10
	v_cmp_o_f16_e32 vcc, v10, v10
	v_bfe_u32 v10, v11, 16, 1
	v_add3_u32 v10, v11, v10, s0
	v_cndmask_b32_sdwa v10, v12, v10, vcc dst_sel:DWORD dst_unused:UNUSED_PAD src0_sel:DWORD src1_sel:WORD_1
.LBB239_2555:
	s_mov_b64 s[0:1], 0
.LBB239_2556:
	s_andn2_b64 vcc, exec, s[0:1]
	s_cbranch_vccnz .LBB239_2576
; %bb.2557:
	s_cmp_lt_i32 s4, 2
	s_cbranch_scc1 .LBB239_2561
; %bb.2558:
	s_cmp_lt_i32 s4, 3
	s_cbranch_scc1 .LBB239_2562
; %bb.2559:
	s_cmp_gt_i32 s4, 3
	s_cbranch_scc0 .LBB239_2563
; %bb.2560:
	global_load_dwordx2 v[10:11], v[0:1], off
	s_movk_i32 s0, 0x7fff
	s_waitcnt vmcnt(0)
	v_xor_b32_e32 v13, v10, v11
	v_ffbh_i32_e32 v12, v11
	v_ashrrev_i32_e32 v13, 31, v13
	v_add_u32_e32 v12, -1, v12
	v_add_u32_e32 v13, 32, v13
	v_min_u32_e32 v12, v12, v13
	v_lshlrev_b64 v[10:11], v12, v[10:11]
	v_min_u32_e32 v10, 1, v10
	v_or_b32_e32 v10, v11, v10
	v_cvt_f32_i32_e32 v10, v10
	v_sub_u32_e32 v11, 32, v12
	v_ldexp_f32 v10, v10, v11
	v_bfe_u32 v11, v10, 16, 1
	v_add3_u32 v10, v10, v11, s0
	v_lshrrev_b32_e32 v10, 16, v10
	s_mov_b64 s[0:1], 0
	s_branch .LBB239_2564
.LBB239_2561:
	s_mov_b64 s[0:1], -1
                                        ; implicit-def: $vgpr10
	s_branch .LBB239_2570
.LBB239_2562:
	s_mov_b64 s[0:1], -1
                                        ; implicit-def: $vgpr10
	s_branch .LBB239_2567
.LBB239_2563:
	s_mov_b64 s[0:1], -1
                                        ; implicit-def: $vgpr10
.LBB239_2564:
	s_andn2_b64 vcc, exec, s[0:1]
	s_cbranch_vccnz .LBB239_2566
; %bb.2565:
	global_load_dword v10, v[0:1], off
	s_movk_i32 s0, 0x7fff
	s_waitcnt vmcnt(0)
	v_cvt_f32_i32_e32 v10, v10
	v_bfe_u32 v11, v10, 16, 1
	v_add3_u32 v10, v10, v11, s0
	v_lshrrev_b32_e32 v10, 16, v10
.LBB239_2566:
	s_mov_b64 s[0:1], 0
.LBB239_2567:
	s_andn2_b64 vcc, exec, s[0:1]
	s_cbranch_vccnz .LBB239_2569
; %bb.2568:
	global_load_sshort v10, v[0:1], off
	s_movk_i32 s0, 0x7fff
	s_waitcnt vmcnt(0)
	v_cvt_f32_i32_e32 v10, v10
	v_bfe_u32 v11, v10, 16, 1
	v_add3_u32 v10, v10, v11, s0
	v_lshrrev_b32_e32 v10, 16, v10
.LBB239_2569:
	s_mov_b64 s[0:1], 0
.LBB239_2570:
	s_andn2_b64 vcc, exec, s[0:1]
	s_cbranch_vccnz .LBB239_2576
; %bb.2571:
	s_cmp_gt_i32 s4, 0
	s_cbranch_scc0 .LBB239_2573
; %bb.2572:
	global_load_sbyte v10, v[0:1], off
	s_movk_i32 s0, 0x7fff
	s_waitcnt vmcnt(0)
	v_cvt_f32_i32_e32 v10, v10
	v_bfe_u32 v11, v10, 16, 1
	v_add3_u32 v10, v10, v11, s0
	v_lshrrev_b32_e32 v10, 16, v10
	s_mov_b64 s[0:1], 0
	s_branch .LBB239_2574
.LBB239_2573:
	s_mov_b64 s[0:1], -1
                                        ; implicit-def: $vgpr10
.LBB239_2574:
	s_andn2_b64 vcc, exec, s[0:1]
	s_cbranch_vccnz .LBB239_2576
; %bb.2575:
	global_load_ubyte v0, v[0:1], off
	s_movk_i32 s0, 0x7fff
	s_waitcnt vmcnt(0)
	v_cvt_f32_ubyte0_e32 v0, v0
	v_bfe_u32 v1, v0, 16, 1
	v_add3_u32 v0, v0, v1, s0
	v_lshrrev_b32_e32 v10, 16, v0
.LBB239_2576:
	s_mov_b64 s[10:11], -1
.LBB239_2577:
	s_andn2_b64 vcc, exec, s[10:11]
	s_cbranch_vccnz .LBB239_3011
; %bb.2578:
	v_mul_lo_u32 v2, s12, v2
	s_lshl_b32 s16, s2, 16
	s_waitcnt vmcnt(0)
	v_lshlrev_b32_e32 v0, 16, v3
	v_mov_b32_e32 v1, s33
	v_cmp_ge_f32_e32 vcc, s16, v0
	v_cndmask_b32_e32 v3, v4, v1, vcc
	v_ashrrev_i32_e32 v1, 31, v2
	v_mov_b32_e32 v4, s9
	s_and_b32 s22, s3, 0xff
	v_add_co_u32_e32 v0, vcc, s8, v2
	s_cmp_lt_i32 s22, 11
	v_addc_co_u32_e32 v1, vcc, v4, v1, vcc
	s_cbranch_scc1 .LBB239_2656
; %bb.2579:
	s_and_b32 s13, 0xffff, s22
	s_mov_b64 s[10:11], -1
	s_mov_b64 s[2:3], 0
	s_cmp_gt_i32 s13, 25
	s_mov_b64 s[4:5], 0
	s_mov_b64 s[0:1], 0
	s_cbranch_scc0 .LBB239_2612
; %bb.2580:
	s_cmp_gt_i32 s13, 28
	s_cbranch_scc0 .LBB239_2595
; %bb.2581:
	s_cmp_gt_i32 s13, 43
	;; [unrolled: 3-line block ×3, first 2 shown]
	s_cbranch_scc0 .LBB239_2585
; %bb.2583:
	s_mov_b64 s[0:1], -1
	s_mov_b64 s[10:11], 0
	s_cmp_eq_u32 s13, 46
	s_cbranch_scc0 .LBB239_2585
; %bb.2584:
	v_and_b32_e32 v4, 0xffff, v3
	global_store_dword v[0:1], v4, off
	s_mov_b64 s[0:1], 0
	s_mov_b64 s[4:5], -1
.LBB239_2585:
	s_and_b64 vcc, exec, s[10:11]
	s_cbranch_vccz .LBB239_2590
; %bb.2586:
	s_cmp_eq_u32 s13, 44
	s_mov_b64 s[0:1], -1
	s_cbranch_scc0 .LBB239_2590
; %bb.2587:
	v_and_b32_e32 v11, 0xffff, v3
	v_bfe_u32 v4, v11, 7, 8
	s_movk_i32 s0, 0xff
	v_cmp_ne_u32_e32 vcc, s0, v4
	v_mov_b32_e32 v12, 0xff
	s_and_saveexec_b64 s[4:5], vcc
	s_cbranch_execz .LBB239_2589
; %bb.2588:
	v_lshlrev_b32_e32 v13, 16, v11
	s_mov_b32 s0, 0x3f0000
	v_lshrrev_b32_e32 v12, 7, v11
	v_and_b32_e32 v11, 64, v11
	v_and_or_b32 v4, v13, s0, v4
	v_cmp_ne_u32_e32 vcc, 0, v11
	v_cmp_ne_u32_e64 s[0:1], 0, v4
	s_and_b64 s[0:1], vcc, s[0:1]
	v_cndmask_b32_e64 v4, 0, 1, s[0:1]
	v_add_u32_e32 v12, v12, v4
.LBB239_2589:
	s_or_b64 exec, exec, s[4:5]
	s_mov_b64 s[0:1], 0
	s_mov_b64 s[4:5], -1
	global_store_byte v[0:1], v12, off
.LBB239_2590:
	s_mov_b64 s[10:11], 0
.LBB239_2591:
	s_and_b64 vcc, exec, s[10:11]
	s_cbranch_vccz .LBB239_2594
; %bb.2592:
	s_cmp_eq_u32 s13, 29
	s_mov_b64 s[0:1], -1
	s_cbranch_scc0 .LBB239_2594
; %bb.2593:
	v_lshlrev_b32_e32 v4, 16, v3
	v_trunc_f32_e32 v4, v4
	v_mul_f32_e32 v11, 0x2f800000, v4
	v_floor_f32_e32 v11, v11
	v_fmac_f32_e32 v4, 0xcf800000, v11
	v_cvt_u32_f32_e32 v12, v11
	v_cvt_u32_f32_e32 v11, v4
	s_mov_b64 s[0:1], 0
	s_mov_b64 s[4:5], -1
	global_store_dwordx2 v[0:1], v[11:12], off
.LBB239_2594:
	s_mov_b64 s[10:11], 0
.LBB239_2595:
	s_and_b64 vcc, exec, s[10:11]
	s_cbranch_vccz .LBB239_2611
; %bb.2596:
	s_cmp_lt_i32 s13, 27
	s_mov_b64 s[4:5], -1
	s_cbranch_scc1 .LBB239_2602
; %bb.2597:
	s_cmp_gt_i32 s13, 27
	s_cbranch_scc0 .LBB239_2599
; %bb.2598:
	v_lshlrev_b32_e32 v4, 16, v3
	v_cvt_u32_f32_e32 v4, v4
	s_mov_b64 s[4:5], 0
	global_store_dword v[0:1], v4, off
.LBB239_2599:
	s_andn2_b64 vcc, exec, s[4:5]
	s_cbranch_vccnz .LBB239_2601
; %bb.2600:
	v_lshlrev_b32_e32 v4, 16, v3
	v_cvt_u32_f32_e32 v4, v4
	global_store_short v[0:1], v4, off
.LBB239_2601:
	s_mov_b64 s[4:5], 0
.LBB239_2602:
	s_andn2_b64 vcc, exec, s[4:5]
	s_cbranch_vccnz .LBB239_2610
; %bb.2603:
	v_lshlrev_b32_e32 v12, 16, v3
	v_and_b32_e32 v11, 0x7fffffff, v12
	s_mov_b32 s4, 0x43800000
	v_cmp_gt_u32_e32 vcc, s4, v11
	v_mov_b32_e32 v13, 0x80
	s_and_saveexec_b64 s[4:5], vcc
	s_cbranch_execz .LBB239_2609
; %bb.2604:
	s_mov_b32 s10, 0x3bffffff
	v_and_b32_e32 v4, 0xffff, v3
	v_cmp_lt_u32_e32 vcc, s10, v11
	s_mov_b64 s[10:11], 0
                                        ; implicit-def: $vgpr11
	s_and_saveexec_b64 s[14:15], vcc
	s_xor_b64 s[14:15], exec, s[14:15]
	s_cbranch_execz .LBB239_3058
; %bb.2605:
	v_bfe_u32 v11, v4, 4, 1
	s_mov_b32 s17, 0x487ffff
	v_add3_u32 v11, v12, v11, s17
	s_mov_b64 s[10:11], exec
	v_lshrrev_b32_e32 v11, 20, v11
                                        ; implicit-def: $vgpr12
	s_andn2_saveexec_b64 s[14:15], s[14:15]
	s_cbranch_execnz .LBB239_3059
.LBB239_2606:
	s_or_b64 exec, exec, s[14:15]
	v_mov_b32_e32 v13, 0
	s_and_saveexec_b64 s[14:15], s[10:11]
.LBB239_2607:
	v_lshrrev_b32_e32 v4, 8, v4
	s_movk_i32 s10, 0x80
	v_and_or_b32 v13, v4, s10, v11
.LBB239_2608:
	s_or_b64 exec, exec, s[14:15]
.LBB239_2609:
	s_or_b64 exec, exec, s[4:5]
	global_store_byte v[0:1], v13, off
.LBB239_2610:
	s_mov_b64 s[4:5], -1
.LBB239_2611:
	s_mov_b64 s[10:11], 0
.LBB239_2612:
	s_and_b64 vcc, exec, s[10:11]
	s_cbranch_vccz .LBB239_2652
; %bb.2613:
	s_cmp_gt_i32 s13, 22
	s_mov_b64 s[2:3], -1
	s_cbranch_scc0 .LBB239_2645
; %bb.2614:
	s_cmp_lt_i32 s13, 24
	s_cbranch_scc1 .LBB239_2634
; %bb.2615:
	s_cmp_gt_i32 s13, 24
	s_cbranch_scc0 .LBB239_2623
; %bb.2616:
	v_lshlrev_b32_e32 v12, 16, v3
	v_and_b32_e32 v11, 0x7fffffff, v12
	s_mov_b32 s2, 0x47800000
	v_cmp_gt_u32_e32 vcc, s2, v11
	v_mov_b32_e32 v13, 0x80
	s_and_saveexec_b64 s[2:3], vcc
	s_cbranch_execz .LBB239_2622
; %bb.2617:
	s_mov_b32 s4, 0x37ffffff
	v_and_b32_e32 v4, 0xffff, v3
	v_cmp_lt_u32_e32 vcc, s4, v11
	s_mov_b64 s[4:5], 0
                                        ; implicit-def: $vgpr11
	s_and_saveexec_b64 s[10:11], vcc
	s_xor_b64 s[10:11], exec, s[10:11]
	s_cbranch_execz .LBB239_3061
; %bb.2618:
	v_bfe_u32 v11, v4, 5, 1
	s_mov_b32 s14, 0x88fffff
	v_add3_u32 v11, v12, v11, s14
	s_mov_b64 s[4:5], exec
	v_lshrrev_b32_e32 v11, 21, v11
                                        ; implicit-def: $vgpr12
	s_andn2_saveexec_b64 s[10:11], s[10:11]
	s_cbranch_execnz .LBB239_3062
.LBB239_2619:
	s_or_b64 exec, exec, s[10:11]
	v_mov_b32_e32 v13, 0
	s_and_saveexec_b64 s[10:11], s[4:5]
.LBB239_2620:
	v_lshrrev_b32_e32 v4, 8, v4
	s_movk_i32 s4, 0x80
	v_and_or_b32 v13, v4, s4, v11
.LBB239_2621:
	s_or_b64 exec, exec, s[10:11]
.LBB239_2622:
	s_or_b64 exec, exec, s[2:3]
	s_mov_b64 s[2:3], 0
	global_store_byte v[0:1], v13, off
.LBB239_2623:
	s_and_b64 vcc, exec, s[2:3]
	s_cbranch_vccz .LBB239_2633
; %bb.2624:
	v_lshlrev_b32_e32 v12, 16, v3
	v_and_b32_e32 v13, 0x7fffffff, v12
	s_mov_b32 s2, 0x43f00000
	v_and_b32_e32 v4, 0xffff, v3
	v_cmp_gt_u32_e32 vcc, s2, v13
                                        ; implicit-def: $vgpr11
	s_and_saveexec_b64 s[2:3], vcc
	s_xor_b64 s[2:3], exec, s[2:3]
	s_cbranch_execz .LBB239_2630
; %bb.2625:
	s_mov_b32 s4, 0x3c7fffff
	v_cmp_lt_u32_e32 vcc, s4, v13
                                        ; implicit-def: $vgpr11
	s_and_saveexec_b64 s[4:5], vcc
	s_xor_b64 s[4:5], exec, s[4:5]
; %bb.2626:
	v_bfe_u32 v11, v4, 4, 1
	s_mov_b32 s10, 0x407ffff
	v_add3_u32 v11, v12, v11, s10
	v_lshrrev_b32_e32 v12, 20, v11
	v_and_b32_e32 v11, 0xff00000, v11
	s_mov_b32 s10, 0x7f00000
	v_mov_b32_e32 v13, 0x7e
	v_cmp_ne_u32_e32 vcc, s10, v11
	v_cndmask_b32_e32 v11, v13, v12, vcc
                                        ; implicit-def: $vgpr12
; %bb.2627:
	s_andn2_saveexec_b64 s[4:5], s[4:5]
; %bb.2628:
	s_mov_b32 s10, 0x46800000
	v_add_f32_e64 v11, |v12|, s10
; %bb.2629:
	s_or_b64 exec, exec, s[4:5]
                                        ; implicit-def: $vgpr13
.LBB239_2630:
	s_andn2_saveexec_b64 s[2:3], s[2:3]
; %bb.2631:
	s_mov_b32 s4, 0x7f800000
	v_mov_b32_e32 v11, 0x7e
	v_mov_b32_e32 v12, 0x7f
	v_cmp_lt_u32_e32 vcc, s4, v13
	v_cndmask_b32_e32 v11, v11, v12, vcc
; %bb.2632:
	s_or_b64 exec, exec, s[2:3]
	v_lshrrev_b32_e32 v4, 8, v4
	s_movk_i32 s2, 0x80
	v_and_or_b32 v4, v4, s2, v11
	global_store_byte v[0:1], v4, off
.LBB239_2633:
	s_mov_b64 s[2:3], 0
.LBB239_2634:
	s_andn2_b64 vcc, exec, s[2:3]
	s_cbranch_vccnz .LBB239_2644
; %bb.2635:
	v_lshlrev_b32_e32 v12, 16, v3
	v_and_b32_e32 v13, 0x7fffffff, v12
	s_mov_b32 s2, 0x47800000
	v_and_b32_e32 v4, 0xffff, v3
	v_cmp_gt_u32_e32 vcc, s2, v13
                                        ; implicit-def: $vgpr11
	s_and_saveexec_b64 s[2:3], vcc
	s_xor_b64 s[2:3], exec, s[2:3]
	s_cbranch_execz .LBB239_2641
; %bb.2636:
	s_mov_b32 s4, 0x387fffff
	v_cmp_lt_u32_e32 vcc, s4, v13
                                        ; implicit-def: $vgpr11
	s_and_saveexec_b64 s[4:5], vcc
	s_xor_b64 s[4:5], exec, s[4:5]
; %bb.2637:
	v_bfe_u32 v11, v4, 5, 1
	s_mov_b32 s10, 0x80fffff
	v_add3_u32 v11, v12, v11, s10
	v_lshrrev_b32_e32 v11, 21, v11
                                        ; implicit-def: $vgpr12
; %bb.2638:
	s_andn2_saveexec_b64 s[4:5], s[4:5]
; %bb.2639:
	s_mov_b32 s10, 0x43000000
	v_add_f32_e64 v11, |v12|, s10
; %bb.2640:
	s_or_b64 exec, exec, s[4:5]
                                        ; implicit-def: $vgpr13
.LBB239_2641:
	s_andn2_saveexec_b64 s[2:3], s[2:3]
; %bb.2642:
	s_mov_b32 s4, 0x7f800000
	v_mov_b32_e32 v11, 0x7c
	v_mov_b32_e32 v12, 0x7f
	v_cmp_lt_u32_e32 vcc, s4, v13
	v_cndmask_b32_e32 v11, v11, v12, vcc
; %bb.2643:
	s_or_b64 exec, exec, s[2:3]
	v_lshrrev_b32_e32 v4, 8, v4
	s_movk_i32 s2, 0x80
	v_and_or_b32 v4, v4, s2, v11
	global_store_byte v[0:1], v4, off
.LBB239_2644:
	s_mov_b64 s[2:3], 0
	s_mov_b64 s[4:5], -1
.LBB239_2645:
	s_andn2_b64 vcc, exec, s[2:3]
	s_mov_b64 s[2:3], 0
	s_cbranch_vccnz .LBB239_2652
; %bb.2646:
	s_cmp_gt_i32 s13, 14
	s_mov_b64 s[10:11], -1
	s_cbranch_scc0 .LBB239_2650
; %bb.2647:
	s_cmp_eq_u32 s13, 15
	s_mov_b64 s[0:1], -1
	s_cbranch_scc0 .LBB239_2649
; %bb.2648:
	global_store_short v[0:1], v3, off
	s_mov_b64 s[0:1], 0
	s_mov_b64 s[4:5], -1
.LBB239_2649:
	s_mov_b64 s[10:11], 0
.LBB239_2650:
	s_and_b64 vcc, exec, s[10:11]
	s_cbranch_vccz .LBB239_2652
; %bb.2651:
	s_cmp_lg_u32 s13, 11
	s_mov_b64 s[2:3], -1
	s_cselect_b64 s[0:1], -1, 0
.LBB239_2652:
	s_and_b64 vcc, exec, s[0:1]
	s_cbranch_vccnz .LBB239_3060
; %bb.2653:
	s_andn2_b64 vcc, exec, s[2:3]
	s_cbranch_vccnz .LBB239_2655
.LBB239_2654:
	v_and_b32_e32 v4, 0x7fff, v3
	v_cmp_ne_u16_e32 vcc, 0, v4
	v_cndmask_b32_e64 v4, 0, 1, vcc
	s_mov_b64 s[4:5], -1
	global_store_byte v[0:1], v4, off
.LBB239_2655:
	s_mov_b64 s[0:1], 0
	s_branch .LBB239_2657
.LBB239_2656:
	s_mov_b64 s[0:1], -1
	s_mov_b64 s[4:5], 0
.LBB239_2657:
	s_and_b64 vcc, exec, s[0:1]
	s_cbranch_vccz .LBB239_2696
; %bb.2658:
	s_and_b32 s2, 0xffff, s22
	s_cmp_lt_i32 s2, 5
	s_mov_b64 s[0:1], -1
	s_cbranch_scc1 .LBB239_2679
; %bb.2659:
	s_cmp_lt_i32 s2, 8
	s_cbranch_scc1 .LBB239_2669
; %bb.2660:
	s_cmp_lt_i32 s2, 9
	s_cbranch_scc1 .LBB239_2666
; %bb.2661:
	s_cmp_gt_i32 s2, 9
	s_cbranch_scc0 .LBB239_2663
; %bb.2662:
	v_lshlrev_b32_e32 v4, 16, v3
	v_cvt_f64_f32_e32 v[11:12], v4
	v_mov_b32_e32 v13, 0
	v_mov_b32_e32 v14, v13
	s_mov_b64 s[0:1], 0
	global_store_dwordx4 v[0:1], v[11:14], off
.LBB239_2663:
	s_andn2_b64 vcc, exec, s[0:1]
	s_cbranch_vccnz .LBB239_2665
; %bb.2664:
	v_lshlrev_b32_e32 v11, 16, v3
	v_mov_b32_e32 v12, 0
	global_store_dwordx2 v[0:1], v[11:12], off
.LBB239_2665:
	s_mov_b64 s[0:1], 0
.LBB239_2666:
	s_andn2_b64 vcc, exec, s[0:1]
	s_cbranch_vccnz .LBB239_2668
; %bb.2667:
	v_lshlrev_b32_e32 v4, 16, v3
	v_cvt_f16_f32_e32 v4, v4
	global_store_dword v[0:1], v4, off
.LBB239_2668:
	s_mov_b64 s[0:1], 0
.LBB239_2669:
	s_andn2_b64 vcc, exec, s[0:1]
	s_cbranch_vccnz .LBB239_2678
; %bb.2670:
	s_cmp_lt_i32 s2, 6
	s_mov_b64 s[0:1], -1
	s_cbranch_scc1 .LBB239_2676
; %bb.2671:
	s_cmp_gt_i32 s2, 6
	s_cbranch_scc0 .LBB239_2673
; %bb.2672:
	v_lshlrev_b32_e32 v4, 16, v3
	v_cvt_f64_f32_e32 v[11:12], v4
	s_mov_b64 s[0:1], 0
	global_store_dwordx2 v[0:1], v[11:12], off
.LBB239_2673:
	s_andn2_b64 vcc, exec, s[0:1]
	s_cbranch_vccnz .LBB239_2675
; %bb.2674:
	v_lshlrev_b32_e32 v4, 16, v3
	global_store_dword v[0:1], v4, off
.LBB239_2675:
	s_mov_b64 s[0:1], 0
.LBB239_2676:
	s_andn2_b64 vcc, exec, s[0:1]
	s_cbranch_vccnz .LBB239_2678
; %bb.2677:
	v_lshlrev_b32_e32 v4, 16, v3
	v_cvt_f16_f32_e32 v4, v4
	global_store_short v[0:1], v4, off
.LBB239_2678:
	s_mov_b64 s[0:1], 0
.LBB239_2679:
	s_andn2_b64 vcc, exec, s[0:1]
	s_cbranch_vccnz .LBB239_2695
; %bb.2680:
	s_cmp_lt_i32 s2, 2
	s_mov_b64 s[0:1], -1
	s_cbranch_scc1 .LBB239_2690
; %bb.2681:
	s_cmp_lt_i32 s2, 3
	s_cbranch_scc1 .LBB239_2687
; %bb.2682:
	s_cmp_gt_i32 s2, 3
	s_cbranch_scc0 .LBB239_2684
; %bb.2683:
	v_lshlrev_b32_e32 v4, 16, v3
	v_trunc_f32_e32 v4, v4
	s_mov_b32 s0, 0x2f800000
	v_mul_f32_e64 v11, |v4|, s0
	v_floor_f32_e32 v11, v11
	s_mov_b32 s0, 0xcf800000
	v_cvt_u32_f32_e32 v12, v11
	v_fma_f32 v11, v11, s0, |v4|
	v_cvt_u32_f32_e32 v11, v11
	v_ashrrev_i32_e32 v4, 31, v4
	v_xor_b32_e32 v12, v12, v4
	s_mov_b64 s[0:1], 0
	v_xor_b32_e32 v11, v11, v4
	v_sub_co_u32_e32 v11, vcc, v11, v4
	v_subb_co_u32_e32 v12, vcc, v12, v4, vcc
	global_store_dwordx2 v[0:1], v[11:12], off
.LBB239_2684:
	s_andn2_b64 vcc, exec, s[0:1]
	s_cbranch_vccnz .LBB239_2686
; %bb.2685:
	v_lshlrev_b32_e32 v4, 16, v3
	v_cvt_i32_f32_e32 v4, v4
	global_store_dword v[0:1], v4, off
.LBB239_2686:
	s_mov_b64 s[0:1], 0
.LBB239_2687:
	s_andn2_b64 vcc, exec, s[0:1]
	s_cbranch_vccnz .LBB239_2689
; %bb.2688:
	v_lshlrev_b32_e32 v4, 16, v3
	v_cvt_i32_f32_e32 v4, v4
	global_store_short v[0:1], v4, off
.LBB239_2689:
	s_mov_b64 s[0:1], 0
.LBB239_2690:
	s_andn2_b64 vcc, exec, s[0:1]
	s_cbranch_vccnz .LBB239_2695
; %bb.2691:
	s_mov_b64 s[0:1], -1
	s_cmp_gt_i32 s2, 0
	v_lshlrev_b32_e32 v3, 16, v3
	s_cbranch_scc0 .LBB239_2693
; %bb.2692:
	v_cvt_i32_f32_e32 v4, v3
	s_mov_b64 s[0:1], 0
	global_store_byte v[0:1], v4, off
.LBB239_2693:
	s_andn2_b64 vcc, exec, s[0:1]
	s_cbranch_vccnz .LBB239_2695
; %bb.2694:
	v_trunc_f32_e32 v3, v3
	s_mov_b32 s0, 0x2f800000
	v_mul_f32_e64 v4, |v3|, s0
	v_floor_f32_e32 v4, v4
	s_mov_b32 s0, 0xcf800000
	v_fma_f32 v4, v4, s0, |v3|
	v_cvt_u32_f32_e32 v4, v4
	v_ashrrev_i32_e32 v3, 31, v3
	v_xor_b32_e32 v4, v4, v3
	v_sub_u32_e32 v3, v4, v3
	global_store_byte v[0:1], v3, off
.LBB239_2695:
	s_mov_b64 s[4:5], -1
.LBB239_2696:
	s_andn2_b64 vcc, exec, s[4:5]
	s_cbranch_vccnz .LBB239_3011
; %bb.2697:
	v_lshlrev_b32_e32 v0, 16, v5
	s_lshl_b32 s14, s12, 7
	v_mov_b32_e32 v1, s33
	v_cmp_ge_f32_e32 vcc, s16, v0
	v_add_u32_e32 v2, s14, v2
	v_cndmask_b32_e32 v3, v6, v1, vcc
	v_ashrrev_i32_e32 v1, 31, v2
	v_mov_b32_e32 v4, s9
	v_add_co_u32_e32 v0, vcc, s8, v2
	s_cmp_lt_i32 s22, 11
	v_addc_co_u32_e32 v1, vcc, v4, v1, vcc
	s_cbranch_scc1 .LBB239_2775
; %bb.2698:
	s_and_b32 s15, 0xffff, s22
	s_mov_b64 s[10:11], -1
	s_mov_b64 s[2:3], 0
	s_cmp_gt_i32 s15, 25
	s_mov_b64 s[4:5], 0
	s_mov_b64 s[0:1], 0
	s_cbranch_scc0 .LBB239_2731
; %bb.2699:
	s_cmp_gt_i32 s15, 28
	s_cbranch_scc0 .LBB239_2714
; %bb.2700:
	s_cmp_gt_i32 s15, 43
	;; [unrolled: 3-line block ×3, first 2 shown]
	s_cbranch_scc0 .LBB239_2704
; %bb.2702:
	s_mov_b64 s[0:1], -1
	s_mov_b64 s[10:11], 0
	s_cmp_eq_u32 s15, 46
	s_cbranch_scc0 .LBB239_2704
; %bb.2703:
	v_and_b32_e32 v4, 0xffff, v3
	global_store_dword v[0:1], v4, off
	s_mov_b64 s[0:1], 0
	s_mov_b64 s[4:5], -1
.LBB239_2704:
	s_and_b64 vcc, exec, s[10:11]
	s_cbranch_vccz .LBB239_2709
; %bb.2705:
	s_cmp_eq_u32 s15, 44
	s_mov_b64 s[0:1], -1
	s_cbranch_scc0 .LBB239_2709
; %bb.2706:
	v_and_b32_e32 v5, 0xffff, v3
	v_bfe_u32 v4, v5, 7, 8
	s_movk_i32 s0, 0xff
	v_cmp_ne_u32_e32 vcc, s0, v4
	v_mov_b32_e32 v6, 0xff
	s_and_saveexec_b64 s[4:5], vcc
	s_cbranch_execz .LBB239_2708
; %bb.2707:
	v_lshlrev_b32_e32 v11, 16, v5
	s_mov_b32 s0, 0x3f0000
	v_lshrrev_b32_e32 v6, 7, v5
	v_and_b32_e32 v5, 64, v5
	v_and_or_b32 v4, v11, s0, v4
	v_cmp_ne_u32_e32 vcc, 0, v5
	v_cmp_ne_u32_e64 s[0:1], 0, v4
	s_and_b64 s[0:1], vcc, s[0:1]
	v_cndmask_b32_e64 v4, 0, 1, s[0:1]
	v_add_u32_e32 v6, v6, v4
.LBB239_2708:
	s_or_b64 exec, exec, s[4:5]
	s_mov_b64 s[0:1], 0
	s_mov_b64 s[4:5], -1
	global_store_byte v[0:1], v6, off
.LBB239_2709:
	s_mov_b64 s[10:11], 0
.LBB239_2710:
	s_and_b64 vcc, exec, s[10:11]
	s_cbranch_vccz .LBB239_2713
; %bb.2711:
	s_cmp_eq_u32 s15, 29
	s_mov_b64 s[0:1], -1
	s_cbranch_scc0 .LBB239_2713
; %bb.2712:
	v_lshlrev_b32_e32 v4, 16, v3
	v_trunc_f32_e32 v4, v4
	v_mul_f32_e32 v5, 0x2f800000, v4
	v_floor_f32_e32 v6, v5
	v_fmac_f32_e32 v4, 0xcf800000, v6
	v_cvt_u32_f32_e32 v5, v6
	v_cvt_u32_f32_e32 v4, v4
	s_mov_b64 s[0:1], 0
	s_mov_b64 s[4:5], -1
	global_store_dwordx2 v[0:1], v[4:5], off
.LBB239_2713:
	s_mov_b64 s[10:11], 0
.LBB239_2714:
	s_and_b64 vcc, exec, s[10:11]
	s_cbranch_vccz .LBB239_2730
; %bb.2715:
	s_cmp_lt_i32 s15, 27
	s_mov_b64 s[4:5], -1
	s_cbranch_scc1 .LBB239_2721
; %bb.2716:
	s_cmp_gt_i32 s15, 27
	s_cbranch_scc0 .LBB239_2718
; %bb.2717:
	v_lshlrev_b32_e32 v4, 16, v3
	v_cvt_u32_f32_e32 v4, v4
	s_mov_b64 s[4:5], 0
	global_store_dword v[0:1], v4, off
.LBB239_2718:
	s_andn2_b64 vcc, exec, s[4:5]
	s_cbranch_vccnz .LBB239_2720
; %bb.2719:
	v_lshlrev_b32_e32 v4, 16, v3
	v_cvt_u32_f32_e32 v4, v4
	global_store_short v[0:1], v4, off
.LBB239_2720:
	s_mov_b64 s[4:5], 0
.LBB239_2721:
	s_andn2_b64 vcc, exec, s[4:5]
	s_cbranch_vccnz .LBB239_2729
; %bb.2722:
	v_lshlrev_b32_e32 v6, 16, v3
	v_and_b32_e32 v5, 0x7fffffff, v6
	s_mov_b32 s4, 0x43800000
	v_cmp_gt_u32_e32 vcc, s4, v5
	v_mov_b32_e32 v11, 0x80
	s_and_saveexec_b64 s[4:5], vcc
	s_cbranch_execz .LBB239_2728
; %bb.2723:
	s_mov_b32 s10, 0x3bffffff
	v_and_b32_e32 v4, 0xffff, v3
	v_cmp_lt_u32_e32 vcc, s10, v5
	s_mov_b64 s[10:11], 0
                                        ; implicit-def: $vgpr5
	s_and_saveexec_b64 s[12:13], vcc
	s_xor_b64 s[12:13], exec, s[12:13]
	s_cbranch_execz .LBB239_3063
; %bb.2724:
	v_bfe_u32 v5, v4, 4, 1
	s_mov_b32 s17, 0x487ffff
	v_add3_u32 v5, v6, v5, s17
	s_mov_b64 s[10:11], exec
	v_lshrrev_b32_e32 v5, 20, v5
                                        ; implicit-def: $vgpr6
	s_andn2_saveexec_b64 s[12:13], s[12:13]
	s_cbranch_execnz .LBB239_3064
.LBB239_2725:
	s_or_b64 exec, exec, s[12:13]
	v_mov_b32_e32 v11, 0
	s_and_saveexec_b64 s[12:13], s[10:11]
.LBB239_2726:
	v_lshrrev_b32_e32 v4, 8, v4
	s_movk_i32 s10, 0x80
	v_and_or_b32 v11, v4, s10, v5
.LBB239_2727:
	s_or_b64 exec, exec, s[12:13]
.LBB239_2728:
	s_or_b64 exec, exec, s[4:5]
	global_store_byte v[0:1], v11, off
.LBB239_2729:
	s_mov_b64 s[4:5], -1
.LBB239_2730:
	s_mov_b64 s[10:11], 0
.LBB239_2731:
	s_and_b64 vcc, exec, s[10:11]
	s_cbranch_vccz .LBB239_2771
; %bb.2732:
	s_cmp_gt_i32 s15, 22
	s_mov_b64 s[2:3], -1
	s_cbranch_scc0 .LBB239_2764
; %bb.2733:
	s_cmp_lt_i32 s15, 24
	s_cbranch_scc1 .LBB239_2753
; %bb.2734:
	s_cmp_gt_i32 s15, 24
	s_cbranch_scc0 .LBB239_2742
; %bb.2735:
	v_lshlrev_b32_e32 v6, 16, v3
	v_and_b32_e32 v5, 0x7fffffff, v6
	s_mov_b32 s2, 0x47800000
	v_cmp_gt_u32_e32 vcc, s2, v5
	v_mov_b32_e32 v11, 0x80
	s_and_saveexec_b64 s[2:3], vcc
	s_cbranch_execz .LBB239_2741
; %bb.2736:
	s_mov_b32 s4, 0x37ffffff
	v_and_b32_e32 v4, 0xffff, v3
	v_cmp_lt_u32_e32 vcc, s4, v5
	s_mov_b64 s[4:5], 0
                                        ; implicit-def: $vgpr5
	s_and_saveexec_b64 s[10:11], vcc
	s_xor_b64 s[10:11], exec, s[10:11]
	s_cbranch_execz .LBB239_3066
; %bb.2737:
	v_bfe_u32 v5, v4, 5, 1
	s_mov_b32 s12, 0x88fffff
	v_add3_u32 v5, v6, v5, s12
	s_mov_b64 s[4:5], exec
	v_lshrrev_b32_e32 v5, 21, v5
                                        ; implicit-def: $vgpr6
	s_andn2_saveexec_b64 s[10:11], s[10:11]
	s_cbranch_execnz .LBB239_3067
.LBB239_2738:
	s_or_b64 exec, exec, s[10:11]
	v_mov_b32_e32 v11, 0
	s_and_saveexec_b64 s[10:11], s[4:5]
.LBB239_2739:
	v_lshrrev_b32_e32 v4, 8, v4
	s_movk_i32 s4, 0x80
	v_and_or_b32 v11, v4, s4, v5
.LBB239_2740:
	s_or_b64 exec, exec, s[10:11]
.LBB239_2741:
	s_or_b64 exec, exec, s[2:3]
	s_mov_b64 s[2:3], 0
	global_store_byte v[0:1], v11, off
.LBB239_2742:
	s_and_b64 vcc, exec, s[2:3]
	s_cbranch_vccz .LBB239_2752
; %bb.2743:
	v_lshlrev_b32_e32 v6, 16, v3
	v_and_b32_e32 v11, 0x7fffffff, v6
	s_mov_b32 s2, 0x43f00000
	v_and_b32_e32 v4, 0xffff, v3
	v_cmp_gt_u32_e32 vcc, s2, v11
                                        ; implicit-def: $vgpr5
	s_and_saveexec_b64 s[2:3], vcc
	s_xor_b64 s[2:3], exec, s[2:3]
	s_cbranch_execz .LBB239_2749
; %bb.2744:
	s_mov_b32 s4, 0x3c7fffff
	v_cmp_lt_u32_e32 vcc, s4, v11
                                        ; implicit-def: $vgpr5
	s_and_saveexec_b64 s[4:5], vcc
	s_xor_b64 s[4:5], exec, s[4:5]
; %bb.2745:
	v_bfe_u32 v5, v4, 4, 1
	s_mov_b32 s10, 0x407ffff
	v_add3_u32 v5, v6, v5, s10
	v_lshrrev_b32_e32 v6, 20, v5
	v_and_b32_e32 v5, 0xff00000, v5
	s_mov_b32 s10, 0x7f00000
	v_mov_b32_e32 v11, 0x7e
	v_cmp_ne_u32_e32 vcc, s10, v5
	v_cndmask_b32_e32 v5, v11, v6, vcc
                                        ; implicit-def: $vgpr6
; %bb.2746:
	s_andn2_saveexec_b64 s[4:5], s[4:5]
; %bb.2747:
	s_mov_b32 s10, 0x46800000
	v_add_f32_e64 v5, |v6|, s10
; %bb.2748:
	s_or_b64 exec, exec, s[4:5]
                                        ; implicit-def: $vgpr11
.LBB239_2749:
	s_andn2_saveexec_b64 s[2:3], s[2:3]
; %bb.2750:
	s_mov_b32 s4, 0x7f800000
	v_mov_b32_e32 v5, 0x7e
	v_mov_b32_e32 v6, 0x7f
	v_cmp_lt_u32_e32 vcc, s4, v11
	v_cndmask_b32_e32 v5, v5, v6, vcc
; %bb.2751:
	s_or_b64 exec, exec, s[2:3]
	v_lshrrev_b32_e32 v4, 8, v4
	s_movk_i32 s2, 0x80
	v_and_or_b32 v4, v4, s2, v5
	global_store_byte v[0:1], v4, off
.LBB239_2752:
	s_mov_b64 s[2:3], 0
.LBB239_2753:
	s_andn2_b64 vcc, exec, s[2:3]
	s_cbranch_vccnz .LBB239_2763
; %bb.2754:
	v_lshlrev_b32_e32 v6, 16, v3
	v_and_b32_e32 v11, 0x7fffffff, v6
	s_mov_b32 s2, 0x47800000
	v_and_b32_e32 v4, 0xffff, v3
	v_cmp_gt_u32_e32 vcc, s2, v11
                                        ; implicit-def: $vgpr5
	s_and_saveexec_b64 s[2:3], vcc
	s_xor_b64 s[2:3], exec, s[2:3]
	s_cbranch_execz .LBB239_2760
; %bb.2755:
	s_mov_b32 s4, 0x387fffff
	v_cmp_lt_u32_e32 vcc, s4, v11
                                        ; implicit-def: $vgpr5
	s_and_saveexec_b64 s[4:5], vcc
	s_xor_b64 s[4:5], exec, s[4:5]
; %bb.2756:
	v_bfe_u32 v5, v4, 5, 1
	s_mov_b32 s10, 0x80fffff
	v_add3_u32 v5, v6, v5, s10
	v_lshrrev_b32_e32 v5, 21, v5
                                        ; implicit-def: $vgpr6
; %bb.2757:
	s_andn2_saveexec_b64 s[4:5], s[4:5]
; %bb.2758:
	s_mov_b32 s10, 0x43000000
	v_add_f32_e64 v5, |v6|, s10
; %bb.2759:
	s_or_b64 exec, exec, s[4:5]
                                        ; implicit-def: $vgpr11
.LBB239_2760:
	s_andn2_saveexec_b64 s[2:3], s[2:3]
; %bb.2761:
	s_mov_b32 s4, 0x7f800000
	v_mov_b32_e32 v5, 0x7c
	v_mov_b32_e32 v6, 0x7f
	v_cmp_lt_u32_e32 vcc, s4, v11
	v_cndmask_b32_e32 v5, v5, v6, vcc
; %bb.2762:
	s_or_b64 exec, exec, s[2:3]
	v_lshrrev_b32_e32 v4, 8, v4
	s_movk_i32 s2, 0x80
	v_and_or_b32 v4, v4, s2, v5
	global_store_byte v[0:1], v4, off
.LBB239_2763:
	s_mov_b64 s[2:3], 0
	s_mov_b64 s[4:5], -1
.LBB239_2764:
	s_andn2_b64 vcc, exec, s[2:3]
	s_mov_b64 s[2:3], 0
	s_cbranch_vccnz .LBB239_2771
; %bb.2765:
	s_cmp_gt_i32 s15, 14
	s_mov_b64 s[10:11], -1
	s_cbranch_scc0 .LBB239_2769
; %bb.2766:
	s_cmp_eq_u32 s15, 15
	s_mov_b64 s[0:1], -1
	s_cbranch_scc0 .LBB239_2768
; %bb.2767:
	global_store_short v[0:1], v3, off
	s_mov_b64 s[0:1], 0
	s_mov_b64 s[4:5], -1
.LBB239_2768:
	s_mov_b64 s[10:11], 0
.LBB239_2769:
	s_and_b64 vcc, exec, s[10:11]
	s_cbranch_vccz .LBB239_2771
; %bb.2770:
	s_cmp_lg_u32 s15, 11
	s_mov_b64 s[2:3], -1
	s_cselect_b64 s[0:1], -1, 0
.LBB239_2771:
	s_and_b64 vcc, exec, s[0:1]
	s_cbranch_vccnz .LBB239_3065
; %bb.2772:
	s_andn2_b64 vcc, exec, s[2:3]
	s_cbranch_vccnz .LBB239_2774
.LBB239_2773:
	v_and_b32_e32 v4, 0x7fff, v3
	v_cmp_ne_u16_e32 vcc, 0, v4
	v_cndmask_b32_e64 v4, 0, 1, vcc
	s_mov_b64 s[4:5], -1
	global_store_byte v[0:1], v4, off
.LBB239_2774:
	s_mov_b64 s[0:1], 0
	s_branch .LBB239_2776
.LBB239_2775:
	s_mov_b64 s[0:1], -1
	s_mov_b64 s[4:5], 0
.LBB239_2776:
	s_and_b64 vcc, exec, s[0:1]
	s_cbranch_vccz .LBB239_2815
; %bb.2777:
	s_and_b32 s2, 0xffff, s22
	s_cmp_lt_i32 s2, 5
	s_mov_b64 s[0:1], -1
	s_cbranch_scc1 .LBB239_2798
; %bb.2778:
	s_cmp_lt_i32 s2, 8
	s_cbranch_scc1 .LBB239_2788
; %bb.2779:
	s_cmp_lt_i32 s2, 9
	s_cbranch_scc1 .LBB239_2785
; %bb.2780:
	s_cmp_gt_i32 s2, 9
	s_cbranch_scc0 .LBB239_2782
; %bb.2781:
	v_lshlrev_b32_e32 v4, 16, v3
	v_cvt_f64_f32_e32 v[11:12], v4
	v_mov_b32_e32 v13, 0
	v_mov_b32_e32 v14, v13
	s_mov_b64 s[0:1], 0
	global_store_dwordx4 v[0:1], v[11:14], off
.LBB239_2782:
	s_andn2_b64 vcc, exec, s[0:1]
	s_cbranch_vccnz .LBB239_2784
; %bb.2783:
	v_lshlrev_b32_e32 v4, 16, v3
	v_mov_b32_e32 v5, 0
	global_store_dwordx2 v[0:1], v[4:5], off
.LBB239_2784:
	s_mov_b64 s[0:1], 0
.LBB239_2785:
	s_andn2_b64 vcc, exec, s[0:1]
	s_cbranch_vccnz .LBB239_2787
; %bb.2786:
	v_lshlrev_b32_e32 v4, 16, v3
	v_cvt_f16_f32_e32 v4, v4
	global_store_dword v[0:1], v4, off
.LBB239_2787:
	s_mov_b64 s[0:1], 0
.LBB239_2788:
	s_andn2_b64 vcc, exec, s[0:1]
	s_cbranch_vccnz .LBB239_2797
; %bb.2789:
	s_cmp_lt_i32 s2, 6
	s_mov_b64 s[0:1], -1
	s_cbranch_scc1 .LBB239_2795
; %bb.2790:
	s_cmp_gt_i32 s2, 6
	s_cbranch_scc0 .LBB239_2792
; %bb.2791:
	v_lshlrev_b32_e32 v4, 16, v3
	v_cvt_f64_f32_e32 v[4:5], v4
	s_mov_b64 s[0:1], 0
	global_store_dwordx2 v[0:1], v[4:5], off
.LBB239_2792:
	s_andn2_b64 vcc, exec, s[0:1]
	s_cbranch_vccnz .LBB239_2794
; %bb.2793:
	v_lshlrev_b32_e32 v4, 16, v3
	global_store_dword v[0:1], v4, off
.LBB239_2794:
	s_mov_b64 s[0:1], 0
.LBB239_2795:
	s_andn2_b64 vcc, exec, s[0:1]
	s_cbranch_vccnz .LBB239_2797
; %bb.2796:
	v_lshlrev_b32_e32 v4, 16, v3
	v_cvt_f16_f32_e32 v4, v4
	global_store_short v[0:1], v4, off
.LBB239_2797:
	s_mov_b64 s[0:1], 0
.LBB239_2798:
	s_andn2_b64 vcc, exec, s[0:1]
	s_cbranch_vccnz .LBB239_2814
; %bb.2799:
	s_cmp_lt_i32 s2, 2
	s_mov_b64 s[0:1], -1
	s_cbranch_scc1 .LBB239_2809
; %bb.2800:
	s_cmp_lt_i32 s2, 3
	s_cbranch_scc1 .LBB239_2806
; %bb.2801:
	s_cmp_gt_i32 s2, 3
	s_cbranch_scc0 .LBB239_2803
; %bb.2802:
	v_lshlrev_b32_e32 v4, 16, v3
	v_trunc_f32_e32 v4, v4
	s_mov_b32 s0, 0x2f800000
	v_mul_f32_e64 v5, |v4|, s0
	v_floor_f32_e32 v5, v5
	s_mov_b32 s0, 0xcf800000
	v_cvt_u32_f32_e32 v6, v5
	v_fma_f32 v5, v5, s0, |v4|
	v_cvt_u32_f32_e32 v5, v5
	v_ashrrev_i32_e32 v11, 31, v4
	v_xor_b32_e32 v6, v6, v11
	s_mov_b64 s[0:1], 0
	v_xor_b32_e32 v4, v5, v11
	v_sub_co_u32_e32 v4, vcc, v4, v11
	v_subb_co_u32_e32 v5, vcc, v6, v11, vcc
	global_store_dwordx2 v[0:1], v[4:5], off
.LBB239_2803:
	s_andn2_b64 vcc, exec, s[0:1]
	s_cbranch_vccnz .LBB239_2805
; %bb.2804:
	v_lshlrev_b32_e32 v4, 16, v3
	v_cvt_i32_f32_e32 v4, v4
	global_store_dword v[0:1], v4, off
.LBB239_2805:
	s_mov_b64 s[0:1], 0
.LBB239_2806:
	s_andn2_b64 vcc, exec, s[0:1]
	s_cbranch_vccnz .LBB239_2808
; %bb.2807:
	v_lshlrev_b32_e32 v4, 16, v3
	v_cvt_i32_f32_e32 v4, v4
	global_store_short v[0:1], v4, off
.LBB239_2808:
	s_mov_b64 s[0:1], 0
.LBB239_2809:
	s_andn2_b64 vcc, exec, s[0:1]
	s_cbranch_vccnz .LBB239_2814
; %bb.2810:
	s_mov_b64 s[0:1], -1
	s_cmp_gt_i32 s2, 0
	v_lshlrev_b32_e32 v3, 16, v3
	s_cbranch_scc0 .LBB239_2812
; %bb.2811:
	v_cvt_i32_f32_e32 v4, v3
	s_mov_b64 s[0:1], 0
	global_store_byte v[0:1], v4, off
.LBB239_2812:
	s_andn2_b64 vcc, exec, s[0:1]
	s_cbranch_vccnz .LBB239_2814
; %bb.2813:
	v_trunc_f32_e32 v3, v3
	s_mov_b32 s0, 0x2f800000
	v_mul_f32_e64 v4, |v3|, s0
	v_floor_f32_e32 v4, v4
	s_mov_b32 s0, 0xcf800000
	v_fma_f32 v4, v4, s0, |v3|
	v_cvt_u32_f32_e32 v4, v4
	v_ashrrev_i32_e32 v3, 31, v3
	v_xor_b32_e32 v4, v4, v3
	v_sub_u32_e32 v3, v4, v3
	global_store_byte v[0:1], v3, off
.LBB239_2814:
	s_mov_b64 s[4:5], -1
.LBB239_2815:
	s_andn2_b64 vcc, exec, s[4:5]
	s_cbranch_vccnz .LBB239_3011
; %bb.2816:
	v_lshlrev_b32_e32 v0, 16, v7
	v_mov_b32_e32 v1, s33
	v_cmp_ge_f32_e32 vcc, s16, v0
	v_add_u32_e32 v2, s14, v2
	v_cndmask_b32_e32 v3, v8, v1, vcc
	v_ashrrev_i32_e32 v1, 31, v2
	v_mov_b32_e32 v4, s9
	v_add_co_u32_e32 v0, vcc, s8, v2
	s_cmp_lt_i32 s22, 11
	v_addc_co_u32_e32 v1, vcc, v4, v1, vcc
	s_cbranch_scc1 .LBB239_2894
; %bb.2817:
	s_and_b32 s15, 0xffff, s22
	s_mov_b64 s[10:11], -1
	s_mov_b64 s[2:3], 0
	s_cmp_gt_i32 s15, 25
	s_mov_b64 s[4:5], 0
	s_mov_b64 s[0:1], 0
	s_cbranch_scc0 .LBB239_2850
; %bb.2818:
	s_cmp_gt_i32 s15, 28
	s_cbranch_scc0 .LBB239_2833
; %bb.2819:
	s_cmp_gt_i32 s15, 43
	;; [unrolled: 3-line block ×3, first 2 shown]
	s_cbranch_scc0 .LBB239_2823
; %bb.2821:
	s_mov_b64 s[0:1], -1
	s_mov_b64 s[10:11], 0
	s_cmp_eq_u32 s15, 46
	s_cbranch_scc0 .LBB239_2823
; %bb.2822:
	v_and_b32_e32 v4, 0xffff, v3
	global_store_dword v[0:1], v4, off
	s_mov_b64 s[0:1], 0
	s_mov_b64 s[4:5], -1
.LBB239_2823:
	s_and_b64 vcc, exec, s[10:11]
	s_cbranch_vccz .LBB239_2828
; %bb.2824:
	s_cmp_eq_u32 s15, 44
	s_mov_b64 s[0:1], -1
	s_cbranch_scc0 .LBB239_2828
; %bb.2825:
	v_and_b32_e32 v5, 0xffff, v3
	v_bfe_u32 v4, v5, 7, 8
	s_movk_i32 s0, 0xff
	v_cmp_ne_u32_e32 vcc, s0, v4
	v_mov_b32_e32 v6, 0xff
	s_and_saveexec_b64 s[4:5], vcc
	s_cbranch_execz .LBB239_2827
; %bb.2826:
	v_lshlrev_b32_e32 v7, 16, v5
	s_mov_b32 s0, 0x3f0000
	v_lshrrev_b32_e32 v6, 7, v5
	v_and_b32_e32 v5, 64, v5
	v_and_or_b32 v4, v7, s0, v4
	v_cmp_ne_u32_e32 vcc, 0, v5
	v_cmp_ne_u32_e64 s[0:1], 0, v4
	s_and_b64 s[0:1], vcc, s[0:1]
	v_cndmask_b32_e64 v4, 0, 1, s[0:1]
	v_add_u32_e32 v6, v6, v4
.LBB239_2827:
	s_or_b64 exec, exec, s[4:5]
	s_mov_b64 s[0:1], 0
	s_mov_b64 s[4:5], -1
	global_store_byte v[0:1], v6, off
.LBB239_2828:
	s_mov_b64 s[10:11], 0
.LBB239_2829:
	s_and_b64 vcc, exec, s[10:11]
	s_cbranch_vccz .LBB239_2832
; %bb.2830:
	s_cmp_eq_u32 s15, 29
	s_mov_b64 s[0:1], -1
	s_cbranch_scc0 .LBB239_2832
; %bb.2831:
	v_lshlrev_b32_e32 v4, 16, v3
	v_trunc_f32_e32 v4, v4
	v_mul_f32_e32 v5, 0x2f800000, v4
	v_floor_f32_e32 v6, v5
	v_fmac_f32_e32 v4, 0xcf800000, v6
	v_cvt_u32_f32_e32 v5, v6
	v_cvt_u32_f32_e32 v4, v4
	s_mov_b64 s[0:1], 0
	s_mov_b64 s[4:5], -1
	global_store_dwordx2 v[0:1], v[4:5], off
.LBB239_2832:
	s_mov_b64 s[10:11], 0
.LBB239_2833:
	s_and_b64 vcc, exec, s[10:11]
	s_cbranch_vccz .LBB239_2849
; %bb.2834:
	s_cmp_lt_i32 s15, 27
	s_mov_b64 s[4:5], -1
	s_cbranch_scc1 .LBB239_2840
; %bb.2835:
	s_cmp_gt_i32 s15, 27
	s_cbranch_scc0 .LBB239_2837
; %bb.2836:
	v_lshlrev_b32_e32 v4, 16, v3
	v_cvt_u32_f32_e32 v4, v4
	s_mov_b64 s[4:5], 0
	global_store_dword v[0:1], v4, off
.LBB239_2837:
	s_andn2_b64 vcc, exec, s[4:5]
	s_cbranch_vccnz .LBB239_2839
; %bb.2838:
	v_lshlrev_b32_e32 v4, 16, v3
	v_cvt_u32_f32_e32 v4, v4
	global_store_short v[0:1], v4, off
.LBB239_2839:
	s_mov_b64 s[4:5], 0
.LBB239_2840:
	s_andn2_b64 vcc, exec, s[4:5]
	s_cbranch_vccnz .LBB239_2848
; %bb.2841:
	v_lshlrev_b32_e32 v6, 16, v3
	v_and_b32_e32 v5, 0x7fffffff, v6
	s_mov_b32 s4, 0x43800000
	v_cmp_gt_u32_e32 vcc, s4, v5
	v_mov_b32_e32 v7, 0x80
	s_and_saveexec_b64 s[4:5], vcc
	s_cbranch_execz .LBB239_2847
; %bb.2842:
	s_mov_b32 s10, 0x3bffffff
	v_and_b32_e32 v4, 0xffff, v3
	v_cmp_lt_u32_e32 vcc, s10, v5
	s_mov_b64 s[10:11], 0
                                        ; implicit-def: $vgpr5
	s_and_saveexec_b64 s[12:13], vcc
	s_xor_b64 s[12:13], exec, s[12:13]
	s_cbranch_execz .LBB239_3068
; %bb.2843:
	v_bfe_u32 v5, v4, 4, 1
	s_mov_b32 s17, 0x487ffff
	v_add3_u32 v5, v6, v5, s17
	s_mov_b64 s[10:11], exec
	v_lshrrev_b32_e32 v5, 20, v5
                                        ; implicit-def: $vgpr6
	s_andn2_saveexec_b64 s[12:13], s[12:13]
	s_cbranch_execnz .LBB239_3069
.LBB239_2844:
	s_or_b64 exec, exec, s[12:13]
	v_mov_b32_e32 v7, 0
	s_and_saveexec_b64 s[12:13], s[10:11]
.LBB239_2845:
	v_lshrrev_b32_e32 v4, 8, v4
	s_movk_i32 s10, 0x80
	v_and_or_b32 v7, v4, s10, v5
.LBB239_2846:
	s_or_b64 exec, exec, s[12:13]
.LBB239_2847:
	s_or_b64 exec, exec, s[4:5]
	global_store_byte v[0:1], v7, off
.LBB239_2848:
	s_mov_b64 s[4:5], -1
.LBB239_2849:
	s_mov_b64 s[10:11], 0
.LBB239_2850:
	s_and_b64 vcc, exec, s[10:11]
	s_cbranch_vccz .LBB239_2890
; %bb.2851:
	s_cmp_gt_i32 s15, 22
	s_mov_b64 s[2:3], -1
	s_cbranch_scc0 .LBB239_2883
; %bb.2852:
	s_cmp_lt_i32 s15, 24
	s_cbranch_scc1 .LBB239_2872
; %bb.2853:
	s_cmp_gt_i32 s15, 24
	s_cbranch_scc0 .LBB239_2861
; %bb.2854:
	v_lshlrev_b32_e32 v6, 16, v3
	v_and_b32_e32 v5, 0x7fffffff, v6
	s_mov_b32 s2, 0x47800000
	v_cmp_gt_u32_e32 vcc, s2, v5
	v_mov_b32_e32 v7, 0x80
	s_and_saveexec_b64 s[2:3], vcc
	s_cbranch_execz .LBB239_2860
; %bb.2855:
	s_mov_b32 s4, 0x37ffffff
	v_and_b32_e32 v4, 0xffff, v3
	v_cmp_lt_u32_e32 vcc, s4, v5
	s_mov_b64 s[4:5], 0
                                        ; implicit-def: $vgpr5
	s_and_saveexec_b64 s[10:11], vcc
	s_xor_b64 s[10:11], exec, s[10:11]
	s_cbranch_execz .LBB239_3071
; %bb.2856:
	v_bfe_u32 v5, v4, 5, 1
	s_mov_b32 s12, 0x88fffff
	v_add3_u32 v5, v6, v5, s12
	s_mov_b64 s[4:5], exec
	v_lshrrev_b32_e32 v5, 21, v5
                                        ; implicit-def: $vgpr6
	s_andn2_saveexec_b64 s[10:11], s[10:11]
	s_cbranch_execnz .LBB239_3072
.LBB239_2857:
	s_or_b64 exec, exec, s[10:11]
	v_mov_b32_e32 v7, 0
	s_and_saveexec_b64 s[10:11], s[4:5]
.LBB239_2858:
	v_lshrrev_b32_e32 v4, 8, v4
	s_movk_i32 s4, 0x80
	v_and_or_b32 v7, v4, s4, v5
.LBB239_2859:
	s_or_b64 exec, exec, s[10:11]
.LBB239_2860:
	s_or_b64 exec, exec, s[2:3]
	s_mov_b64 s[2:3], 0
	global_store_byte v[0:1], v7, off
.LBB239_2861:
	s_and_b64 vcc, exec, s[2:3]
	s_cbranch_vccz .LBB239_2871
; %bb.2862:
	v_lshlrev_b32_e32 v6, 16, v3
	v_and_b32_e32 v7, 0x7fffffff, v6
	s_mov_b32 s2, 0x43f00000
	v_and_b32_e32 v4, 0xffff, v3
	v_cmp_gt_u32_e32 vcc, s2, v7
                                        ; implicit-def: $vgpr5
	s_and_saveexec_b64 s[2:3], vcc
	s_xor_b64 s[2:3], exec, s[2:3]
	s_cbranch_execz .LBB239_2868
; %bb.2863:
	s_mov_b32 s4, 0x3c7fffff
	v_cmp_lt_u32_e32 vcc, s4, v7
                                        ; implicit-def: $vgpr5
	s_and_saveexec_b64 s[4:5], vcc
	s_xor_b64 s[4:5], exec, s[4:5]
; %bb.2864:
	v_bfe_u32 v5, v4, 4, 1
	s_mov_b32 s10, 0x407ffff
	v_add3_u32 v5, v6, v5, s10
	v_lshrrev_b32_e32 v6, 20, v5
	v_and_b32_e32 v5, 0xff00000, v5
	s_mov_b32 s10, 0x7f00000
	v_mov_b32_e32 v7, 0x7e
	v_cmp_ne_u32_e32 vcc, s10, v5
	v_cndmask_b32_e32 v5, v7, v6, vcc
                                        ; implicit-def: $vgpr6
; %bb.2865:
	s_andn2_saveexec_b64 s[4:5], s[4:5]
; %bb.2866:
	s_mov_b32 s10, 0x46800000
	v_add_f32_e64 v5, |v6|, s10
; %bb.2867:
	s_or_b64 exec, exec, s[4:5]
                                        ; implicit-def: $vgpr7
.LBB239_2868:
	s_andn2_saveexec_b64 s[2:3], s[2:3]
; %bb.2869:
	s_mov_b32 s4, 0x7f800000
	v_mov_b32_e32 v5, 0x7e
	v_mov_b32_e32 v6, 0x7f
	v_cmp_lt_u32_e32 vcc, s4, v7
	v_cndmask_b32_e32 v5, v5, v6, vcc
; %bb.2870:
	s_or_b64 exec, exec, s[2:3]
	v_lshrrev_b32_e32 v4, 8, v4
	s_movk_i32 s2, 0x80
	v_and_or_b32 v4, v4, s2, v5
	global_store_byte v[0:1], v4, off
.LBB239_2871:
	s_mov_b64 s[2:3], 0
.LBB239_2872:
	s_andn2_b64 vcc, exec, s[2:3]
	s_cbranch_vccnz .LBB239_2882
; %bb.2873:
	v_lshlrev_b32_e32 v6, 16, v3
	v_and_b32_e32 v7, 0x7fffffff, v6
	s_mov_b32 s2, 0x47800000
	v_and_b32_e32 v4, 0xffff, v3
	v_cmp_gt_u32_e32 vcc, s2, v7
                                        ; implicit-def: $vgpr5
	s_and_saveexec_b64 s[2:3], vcc
	s_xor_b64 s[2:3], exec, s[2:3]
	s_cbranch_execz .LBB239_2879
; %bb.2874:
	s_mov_b32 s4, 0x387fffff
	v_cmp_lt_u32_e32 vcc, s4, v7
                                        ; implicit-def: $vgpr5
	s_and_saveexec_b64 s[4:5], vcc
	s_xor_b64 s[4:5], exec, s[4:5]
; %bb.2875:
	v_bfe_u32 v5, v4, 5, 1
	s_mov_b32 s10, 0x80fffff
	v_add3_u32 v5, v6, v5, s10
	v_lshrrev_b32_e32 v5, 21, v5
                                        ; implicit-def: $vgpr6
; %bb.2876:
	s_andn2_saveexec_b64 s[4:5], s[4:5]
; %bb.2877:
	s_mov_b32 s10, 0x43000000
	v_add_f32_e64 v5, |v6|, s10
; %bb.2878:
	s_or_b64 exec, exec, s[4:5]
                                        ; implicit-def: $vgpr7
.LBB239_2879:
	s_andn2_saveexec_b64 s[2:3], s[2:3]
; %bb.2880:
	s_mov_b32 s4, 0x7f800000
	v_mov_b32_e32 v5, 0x7c
	v_mov_b32_e32 v6, 0x7f
	v_cmp_lt_u32_e32 vcc, s4, v7
	v_cndmask_b32_e32 v5, v5, v6, vcc
; %bb.2881:
	s_or_b64 exec, exec, s[2:3]
	v_lshrrev_b32_e32 v4, 8, v4
	s_movk_i32 s2, 0x80
	v_and_or_b32 v4, v4, s2, v5
	global_store_byte v[0:1], v4, off
.LBB239_2882:
	s_mov_b64 s[2:3], 0
	s_mov_b64 s[4:5], -1
.LBB239_2883:
	s_andn2_b64 vcc, exec, s[2:3]
	s_mov_b64 s[2:3], 0
	s_cbranch_vccnz .LBB239_2890
; %bb.2884:
	s_cmp_gt_i32 s15, 14
	s_mov_b64 s[10:11], -1
	s_cbranch_scc0 .LBB239_2888
; %bb.2885:
	s_cmp_eq_u32 s15, 15
	s_mov_b64 s[0:1], -1
	s_cbranch_scc0 .LBB239_2887
; %bb.2886:
	global_store_short v[0:1], v3, off
	s_mov_b64 s[0:1], 0
	s_mov_b64 s[4:5], -1
.LBB239_2887:
	s_mov_b64 s[10:11], 0
.LBB239_2888:
	s_and_b64 vcc, exec, s[10:11]
	s_cbranch_vccz .LBB239_2890
; %bb.2889:
	s_cmp_lg_u32 s15, 11
	s_mov_b64 s[2:3], -1
	s_cselect_b64 s[0:1], -1, 0
.LBB239_2890:
	s_and_b64 vcc, exec, s[0:1]
	s_cbranch_vccnz .LBB239_3070
; %bb.2891:
	s_andn2_b64 vcc, exec, s[2:3]
	s_cbranch_vccnz .LBB239_2893
.LBB239_2892:
	v_and_b32_e32 v4, 0x7fff, v3
	v_cmp_ne_u16_e32 vcc, 0, v4
	v_cndmask_b32_e64 v4, 0, 1, vcc
	s_mov_b64 s[4:5], -1
	global_store_byte v[0:1], v4, off
.LBB239_2893:
	s_mov_b64 s[0:1], 0
	s_branch .LBB239_2895
.LBB239_2894:
	s_mov_b64 s[0:1], -1
	s_mov_b64 s[4:5], 0
.LBB239_2895:
	s_and_b64 vcc, exec, s[0:1]
	s_cbranch_vccz .LBB239_2934
; %bb.2896:
	s_and_b32 s2, 0xffff, s22
	s_cmp_lt_i32 s2, 5
	s_mov_b64 s[0:1], -1
	s_cbranch_scc1 .LBB239_2917
; %bb.2897:
	s_cmp_lt_i32 s2, 8
	s_cbranch_scc1 .LBB239_2907
; %bb.2898:
	s_cmp_lt_i32 s2, 9
	s_cbranch_scc1 .LBB239_2904
; %bb.2899:
	s_cmp_gt_i32 s2, 9
	s_cbranch_scc0 .LBB239_2901
; %bb.2900:
	v_lshlrev_b32_e32 v4, 16, v3
	v_cvt_f64_f32_e32 v[4:5], v4
	v_mov_b32_e32 v6, 0
	v_mov_b32_e32 v7, v6
	s_mov_b64 s[0:1], 0
	global_store_dwordx4 v[0:1], v[4:7], off
.LBB239_2901:
	s_andn2_b64 vcc, exec, s[0:1]
	s_cbranch_vccnz .LBB239_2903
; %bb.2902:
	v_lshlrev_b32_e32 v4, 16, v3
	v_mov_b32_e32 v5, 0
	global_store_dwordx2 v[0:1], v[4:5], off
.LBB239_2903:
	s_mov_b64 s[0:1], 0
.LBB239_2904:
	s_andn2_b64 vcc, exec, s[0:1]
	s_cbranch_vccnz .LBB239_2906
; %bb.2905:
	v_lshlrev_b32_e32 v4, 16, v3
	v_cvt_f16_f32_e32 v4, v4
	global_store_dword v[0:1], v4, off
.LBB239_2906:
	s_mov_b64 s[0:1], 0
.LBB239_2907:
	s_andn2_b64 vcc, exec, s[0:1]
	s_cbranch_vccnz .LBB239_2916
; %bb.2908:
	s_cmp_lt_i32 s2, 6
	s_mov_b64 s[0:1], -1
	s_cbranch_scc1 .LBB239_2914
; %bb.2909:
	s_cmp_gt_i32 s2, 6
	s_cbranch_scc0 .LBB239_2911
; %bb.2910:
	v_lshlrev_b32_e32 v4, 16, v3
	v_cvt_f64_f32_e32 v[4:5], v4
	s_mov_b64 s[0:1], 0
	global_store_dwordx2 v[0:1], v[4:5], off
.LBB239_2911:
	s_andn2_b64 vcc, exec, s[0:1]
	s_cbranch_vccnz .LBB239_2913
; %bb.2912:
	v_lshlrev_b32_e32 v4, 16, v3
	global_store_dword v[0:1], v4, off
.LBB239_2913:
	s_mov_b64 s[0:1], 0
.LBB239_2914:
	s_andn2_b64 vcc, exec, s[0:1]
	s_cbranch_vccnz .LBB239_2916
; %bb.2915:
	v_lshlrev_b32_e32 v4, 16, v3
	v_cvt_f16_f32_e32 v4, v4
	global_store_short v[0:1], v4, off
.LBB239_2916:
	s_mov_b64 s[0:1], 0
.LBB239_2917:
	s_andn2_b64 vcc, exec, s[0:1]
	s_cbranch_vccnz .LBB239_2933
; %bb.2918:
	s_cmp_lt_i32 s2, 2
	s_mov_b64 s[0:1], -1
	s_cbranch_scc1 .LBB239_2928
; %bb.2919:
	s_cmp_lt_i32 s2, 3
	s_cbranch_scc1 .LBB239_2925
; %bb.2920:
	s_cmp_gt_i32 s2, 3
	s_cbranch_scc0 .LBB239_2922
; %bb.2921:
	v_lshlrev_b32_e32 v4, 16, v3
	v_trunc_f32_e32 v4, v4
	s_mov_b32 s0, 0x2f800000
	v_mul_f32_e64 v5, |v4|, s0
	v_floor_f32_e32 v5, v5
	s_mov_b32 s0, 0xcf800000
	v_cvt_u32_f32_e32 v6, v5
	v_fma_f32 v5, v5, s0, |v4|
	v_cvt_u32_f32_e32 v5, v5
	v_ashrrev_i32_e32 v7, 31, v4
	v_xor_b32_e32 v6, v6, v7
	s_mov_b64 s[0:1], 0
	v_xor_b32_e32 v4, v5, v7
	v_sub_co_u32_e32 v4, vcc, v4, v7
	v_subb_co_u32_e32 v5, vcc, v6, v7, vcc
	global_store_dwordx2 v[0:1], v[4:5], off
.LBB239_2922:
	s_andn2_b64 vcc, exec, s[0:1]
	s_cbranch_vccnz .LBB239_2924
; %bb.2923:
	v_lshlrev_b32_e32 v4, 16, v3
	v_cvt_i32_f32_e32 v4, v4
	global_store_dword v[0:1], v4, off
.LBB239_2924:
	s_mov_b64 s[0:1], 0
.LBB239_2925:
	s_andn2_b64 vcc, exec, s[0:1]
	s_cbranch_vccnz .LBB239_2927
; %bb.2926:
	v_lshlrev_b32_e32 v4, 16, v3
	v_cvt_i32_f32_e32 v4, v4
	global_store_short v[0:1], v4, off
.LBB239_2927:
	s_mov_b64 s[0:1], 0
.LBB239_2928:
	s_andn2_b64 vcc, exec, s[0:1]
	s_cbranch_vccnz .LBB239_2933
; %bb.2929:
	s_mov_b64 s[0:1], -1
	s_cmp_gt_i32 s2, 0
	v_lshlrev_b32_e32 v3, 16, v3
	s_cbranch_scc0 .LBB239_2931
; %bb.2930:
	v_cvt_i32_f32_e32 v4, v3
	s_mov_b64 s[0:1], 0
	global_store_byte v[0:1], v4, off
.LBB239_2931:
	s_andn2_b64 vcc, exec, s[0:1]
	s_cbranch_vccnz .LBB239_2933
; %bb.2932:
	v_trunc_f32_e32 v3, v3
	s_mov_b32 s0, 0x2f800000
	v_mul_f32_e64 v4, |v3|, s0
	v_floor_f32_e32 v4, v4
	s_mov_b32 s0, 0xcf800000
	v_fma_f32 v4, v4, s0, |v3|
	v_cvt_u32_f32_e32 v4, v4
	v_ashrrev_i32_e32 v3, 31, v3
	v_xor_b32_e32 v4, v4, v3
	v_sub_u32_e32 v3, v4, v3
	global_store_byte v[0:1], v3, off
.LBB239_2933:
	s_mov_b64 s[4:5], -1
.LBB239_2934:
	s_andn2_b64 vcc, exec, s[4:5]
	s_cbranch_vccnz .LBB239_3011
; %bb.2935:
	v_lshlrev_b32_e32 v0, 16, v9
	v_mov_b32_e32 v1, s33
	v_cmp_ge_f32_e32 vcc, s16, v0
	v_add_u32_e32 v0, s14, v2
	v_cndmask_b32_e32 v4, v10, v1, vcc
	v_ashrrev_i32_e32 v1, 31, v0
	v_mov_b32_e32 v2, s9
	v_add_co_u32_e32 v0, vcc, s8, v0
	s_cmp_lt_i32 s22, 11
	v_addc_co_u32_e32 v1, vcc, v2, v1, vcc
	s_cbranch_scc1 .LBB239_3056
; %bb.2936:
	s_and_b32 s12, 0xffff, s22
	s_mov_b64 s[4:5], -1
	s_mov_b64 s[2:3], 0
	s_cmp_gt_i32 s12, 25
	s_mov_b64 s[0:1], 0
	s_cbranch_scc0 .LBB239_2969
; %bb.2937:
	s_cmp_gt_i32 s12, 28
	s_cbranch_scc0 .LBB239_2953
; %bb.2938:
	s_cmp_gt_i32 s12, 43
	;; [unrolled: 3-line block ×3, first 2 shown]
	s_cbranch_scc0 .LBB239_2943
; %bb.2940:
	s_cmp_eq_u32 s12, 46
	s_mov_b64 s[0:1], -1
	s_cbranch_scc0 .LBB239_2942
; %bb.2941:
	v_and_b32_e32 v2, 0xffff, v4
	global_store_dword v[0:1], v2, off
	s_mov_b64 s[0:1], 0
.LBB239_2942:
	s_mov_b64 s[4:5], 0
.LBB239_2943:
	s_and_b64 vcc, exec, s[4:5]
	s_cbranch_vccz .LBB239_2948
; %bb.2944:
	s_cmp_eq_u32 s12, 44
	s_mov_b64 s[0:1], -1
	s_cbranch_scc0 .LBB239_2948
; %bb.2945:
	v_and_b32_e32 v3, 0xffff, v4
	v_bfe_u32 v2, v3, 7, 8
	s_movk_i32 s0, 0xff
	v_cmp_ne_u32_e32 vcc, s0, v2
	v_mov_b32_e32 v5, 0xff
	s_and_saveexec_b64 s[4:5], vcc
	s_cbranch_execz .LBB239_2947
; %bb.2946:
	v_lshlrev_b32_e32 v6, 16, v3
	s_mov_b32 s0, 0x3f0000
	v_lshrrev_b32_e32 v5, 7, v3
	v_and_b32_e32 v3, 64, v3
	v_and_or_b32 v2, v6, s0, v2
	v_cmp_ne_u32_e32 vcc, 0, v3
	v_cmp_ne_u32_e64 s[0:1], 0, v2
	s_and_b64 s[0:1], vcc, s[0:1]
	v_cndmask_b32_e64 v2, 0, 1, s[0:1]
	v_add_u32_e32 v5, v5, v2
.LBB239_2947:
	s_or_b64 exec, exec, s[4:5]
	s_mov_b64 s[0:1], 0
	global_store_byte v[0:1], v5, off
.LBB239_2948:
	s_mov_b64 s[4:5], 0
.LBB239_2949:
	s_and_b64 vcc, exec, s[4:5]
	s_cbranch_vccz .LBB239_2952
; %bb.2950:
	s_cmp_eq_u32 s12, 29
	s_mov_b64 s[0:1], -1
	s_cbranch_scc0 .LBB239_2952
; %bb.2951:
	v_lshlrev_b32_e32 v2, 16, v4
	v_trunc_f32_e32 v2, v2
	v_mul_f32_e32 v3, 0x2f800000, v2
	v_floor_f32_e32 v5, v3
	v_fmac_f32_e32 v2, 0xcf800000, v5
	v_cvt_u32_f32_e32 v3, v5
	v_cvt_u32_f32_e32 v2, v2
	s_mov_b64 s[0:1], 0
	global_store_dwordx2 v[0:1], v[2:3], off
.LBB239_2952:
	s_mov_b64 s[4:5], 0
.LBB239_2953:
	s_and_b64 vcc, exec, s[4:5]
	s_cbranch_vccz .LBB239_2968
; %bb.2954:
	s_cmp_lt_i32 s12, 27
	s_mov_b64 s[4:5], -1
	s_cbranch_scc1 .LBB239_2960
; %bb.2955:
	s_cmp_gt_i32 s12, 27
	s_cbranch_scc0 .LBB239_2957
; %bb.2956:
	v_lshlrev_b32_e32 v2, 16, v4
	v_cvt_u32_f32_e32 v2, v2
	s_mov_b64 s[4:5], 0
	global_store_dword v[0:1], v2, off
.LBB239_2957:
	s_andn2_b64 vcc, exec, s[4:5]
	s_cbranch_vccnz .LBB239_2959
; %bb.2958:
	v_lshlrev_b32_e32 v2, 16, v4
	v_cvt_u32_f32_e32 v2, v2
	global_store_short v[0:1], v2, off
.LBB239_2959:
	s_mov_b64 s[4:5], 0
.LBB239_2960:
	s_andn2_b64 vcc, exec, s[4:5]
	s_cbranch_vccnz .LBB239_2968
; %bb.2961:
	v_lshlrev_b32_e32 v5, 16, v4
	v_and_b32_e32 v3, 0x7fffffff, v5
	s_mov_b32 s4, 0x43800000
	v_cmp_gt_u32_e32 vcc, s4, v3
	v_mov_b32_e32 v6, 0x80
	s_and_saveexec_b64 s[4:5], vcc
	s_cbranch_execz .LBB239_2967
; %bb.2962:
	s_mov_b32 s8, 0x3bffffff
	v_and_b32_e32 v2, 0xffff, v4
	v_cmp_lt_u32_e32 vcc, s8, v3
	s_mov_b64 s[8:9], 0
                                        ; implicit-def: $vgpr3
	s_and_saveexec_b64 s[10:11], vcc
	s_xor_b64 s[10:11], exec, s[10:11]
	s_cbranch_execz .LBB239_3073
; %bb.2963:
	v_bfe_u32 v3, v2, 4, 1
	s_mov_b32 s13, 0x487ffff
	v_add3_u32 v3, v5, v3, s13
	s_mov_b64 s[8:9], exec
	v_lshrrev_b32_e32 v3, 20, v3
                                        ; implicit-def: $vgpr5
	s_andn2_saveexec_b64 s[10:11], s[10:11]
	s_cbranch_execnz .LBB239_3074
.LBB239_2964:
	s_or_b64 exec, exec, s[10:11]
	v_mov_b32_e32 v6, 0
	s_and_saveexec_b64 s[10:11], s[8:9]
.LBB239_2965:
	v_lshrrev_b32_e32 v2, 8, v2
	s_movk_i32 s8, 0x80
	v_and_or_b32 v6, v2, s8, v3
.LBB239_2966:
	s_or_b64 exec, exec, s[10:11]
.LBB239_2967:
	s_or_b64 exec, exec, s[4:5]
	global_store_byte v[0:1], v6, off
.LBB239_2968:
	s_mov_b64 s[4:5], 0
.LBB239_2969:
	s_and_b64 vcc, exec, s[4:5]
	s_cbranch_vccz .LBB239_3009
; %bb.2970:
	s_cmp_gt_i32 s12, 22
	s_mov_b64 s[2:3], -1
	s_cbranch_scc0 .LBB239_3002
; %bb.2971:
	s_cmp_lt_i32 s12, 24
	s_cbranch_scc1 .LBB239_2991
; %bb.2972:
	s_cmp_gt_i32 s12, 24
	s_cbranch_scc0 .LBB239_2980
; %bb.2973:
	v_lshlrev_b32_e32 v5, 16, v4
	v_and_b32_e32 v3, 0x7fffffff, v5
	s_mov_b32 s2, 0x47800000
	v_cmp_gt_u32_e32 vcc, s2, v3
	v_mov_b32_e32 v6, 0x80
	s_and_saveexec_b64 s[2:3], vcc
	s_cbranch_execz .LBB239_2979
; %bb.2974:
	s_mov_b32 s4, 0x37ffffff
	v_and_b32_e32 v2, 0xffff, v4
	v_cmp_lt_u32_e32 vcc, s4, v3
	s_mov_b64 s[4:5], 0
                                        ; implicit-def: $vgpr3
	s_and_saveexec_b64 s[8:9], vcc
	s_xor_b64 s[8:9], exec, s[8:9]
	s_cbranch_execz .LBB239_3076
; %bb.2975:
	v_bfe_u32 v3, v2, 5, 1
	s_mov_b32 s10, 0x88fffff
	v_add3_u32 v3, v5, v3, s10
	s_mov_b64 s[4:5], exec
	v_lshrrev_b32_e32 v3, 21, v3
                                        ; implicit-def: $vgpr5
	s_andn2_saveexec_b64 s[8:9], s[8:9]
	s_cbranch_execnz .LBB239_3077
.LBB239_2976:
	s_or_b64 exec, exec, s[8:9]
	v_mov_b32_e32 v6, 0
	s_and_saveexec_b64 s[8:9], s[4:5]
.LBB239_2977:
	v_lshrrev_b32_e32 v2, 8, v2
	s_movk_i32 s4, 0x80
	v_and_or_b32 v6, v2, s4, v3
.LBB239_2978:
	s_or_b64 exec, exec, s[8:9]
.LBB239_2979:
	s_or_b64 exec, exec, s[2:3]
	s_mov_b64 s[2:3], 0
	global_store_byte v[0:1], v6, off
.LBB239_2980:
	s_and_b64 vcc, exec, s[2:3]
	s_cbranch_vccz .LBB239_2990
; %bb.2981:
	v_lshlrev_b32_e32 v5, 16, v4
	v_and_b32_e32 v6, 0x7fffffff, v5
	s_mov_b32 s2, 0x43f00000
	v_and_b32_e32 v2, 0xffff, v4
	v_cmp_gt_u32_e32 vcc, s2, v6
                                        ; implicit-def: $vgpr3
	s_and_saveexec_b64 s[2:3], vcc
	s_xor_b64 s[2:3], exec, s[2:3]
	s_cbranch_execz .LBB239_2987
; %bb.2982:
	s_mov_b32 s4, 0x3c7fffff
	v_cmp_lt_u32_e32 vcc, s4, v6
                                        ; implicit-def: $vgpr3
	s_and_saveexec_b64 s[4:5], vcc
	s_xor_b64 s[4:5], exec, s[4:5]
; %bb.2983:
	v_bfe_u32 v3, v2, 4, 1
	s_mov_b32 s8, 0x407ffff
	v_add3_u32 v3, v5, v3, s8
	v_lshrrev_b32_e32 v5, 20, v3
	v_and_b32_e32 v3, 0xff00000, v3
	s_mov_b32 s8, 0x7f00000
	v_mov_b32_e32 v6, 0x7e
	v_cmp_ne_u32_e32 vcc, s8, v3
	v_cndmask_b32_e32 v3, v6, v5, vcc
                                        ; implicit-def: $vgpr5
; %bb.2984:
	s_andn2_saveexec_b64 s[4:5], s[4:5]
; %bb.2985:
	s_mov_b32 s8, 0x46800000
	v_add_f32_e64 v3, |v5|, s8
; %bb.2986:
	s_or_b64 exec, exec, s[4:5]
                                        ; implicit-def: $vgpr6
.LBB239_2987:
	s_andn2_saveexec_b64 s[2:3], s[2:3]
; %bb.2988:
	s_mov_b32 s4, 0x7f800000
	v_mov_b32_e32 v3, 0x7e
	v_mov_b32_e32 v5, 0x7f
	v_cmp_lt_u32_e32 vcc, s4, v6
	v_cndmask_b32_e32 v3, v3, v5, vcc
; %bb.2989:
	s_or_b64 exec, exec, s[2:3]
	v_lshrrev_b32_e32 v2, 8, v2
	s_movk_i32 s2, 0x80
	v_and_or_b32 v2, v2, s2, v3
	global_store_byte v[0:1], v2, off
.LBB239_2990:
	s_mov_b64 s[2:3], 0
.LBB239_2991:
	s_andn2_b64 vcc, exec, s[2:3]
	s_cbranch_vccnz .LBB239_3001
; %bb.2992:
	v_lshlrev_b32_e32 v5, 16, v4
	v_and_b32_e32 v6, 0x7fffffff, v5
	s_mov_b32 s2, 0x47800000
	v_and_b32_e32 v2, 0xffff, v4
	v_cmp_gt_u32_e32 vcc, s2, v6
                                        ; implicit-def: $vgpr3
	s_and_saveexec_b64 s[2:3], vcc
	s_xor_b64 s[2:3], exec, s[2:3]
	s_cbranch_execz .LBB239_2998
; %bb.2993:
	s_mov_b32 s4, 0x387fffff
	v_cmp_lt_u32_e32 vcc, s4, v6
                                        ; implicit-def: $vgpr3
	s_and_saveexec_b64 s[4:5], vcc
	s_xor_b64 s[4:5], exec, s[4:5]
; %bb.2994:
	v_bfe_u32 v3, v2, 5, 1
	s_mov_b32 s8, 0x80fffff
	v_add3_u32 v3, v5, v3, s8
	v_lshrrev_b32_e32 v3, 21, v3
                                        ; implicit-def: $vgpr5
; %bb.2995:
	s_andn2_saveexec_b64 s[4:5], s[4:5]
; %bb.2996:
	s_mov_b32 s8, 0x43000000
	v_add_f32_e64 v3, |v5|, s8
; %bb.2997:
	s_or_b64 exec, exec, s[4:5]
                                        ; implicit-def: $vgpr6
.LBB239_2998:
	s_andn2_saveexec_b64 s[2:3], s[2:3]
; %bb.2999:
	s_mov_b32 s4, 0x7f800000
	v_mov_b32_e32 v3, 0x7c
	v_mov_b32_e32 v5, 0x7f
	v_cmp_lt_u32_e32 vcc, s4, v6
	v_cndmask_b32_e32 v3, v3, v5, vcc
; %bb.3000:
	s_or_b64 exec, exec, s[2:3]
	v_lshrrev_b32_e32 v2, 8, v2
	s_movk_i32 s2, 0x80
	v_and_or_b32 v2, v2, s2, v3
	global_store_byte v[0:1], v2, off
.LBB239_3001:
	s_mov_b64 s[2:3], 0
.LBB239_3002:
	s_andn2_b64 vcc, exec, s[2:3]
	s_mov_b64 s[2:3], 0
	s_cbranch_vccnz .LBB239_3009
; %bb.3003:
	s_cmp_gt_i32 s12, 14
	s_mov_b64 s[4:5], -1
	s_cbranch_scc0 .LBB239_3007
; %bb.3004:
	s_cmp_eq_u32 s12, 15
	s_mov_b64 s[0:1], -1
	s_cbranch_scc0 .LBB239_3006
; %bb.3005:
	global_store_short v[0:1], v4, off
	s_mov_b64 s[0:1], 0
.LBB239_3006:
	s_mov_b64 s[4:5], 0
.LBB239_3007:
	s_and_b64 vcc, exec, s[4:5]
	s_cbranch_vccz .LBB239_3009
; %bb.3008:
	s_cmp_lg_u32 s12, 11
	s_mov_b64 s[2:3], -1
	s_cselect_b64 s[0:1], -1, 0
.LBB239_3009:
	s_and_b64 vcc, exec, s[0:1]
	s_cbranch_vccnz .LBB239_3075
.LBB239_3010:
	s_mov_b64 s[0:1], 0
	s_branch .LBB239_3012
.LBB239_3011:
	s_mov_b64 s[0:1], 0
	s_mov_b64 s[2:3], 0
                                        ; implicit-def: $sgpr22
                                        ; implicit-def: $vgpr0_vgpr1
                                        ; implicit-def: $vgpr4
.LBB239_3012:
	s_and_b64 s[4:5], s[2:3], exec
	s_andn2_b64 s[2:3], s[18:19], exec
	s_and_b64 s[8:9], s[20:21], exec
	s_and_b64 s[0:1], s[0:1], exec
	s_or_b64 s[18:19], s[2:3], s[8:9]
.LBB239_3013:
	s_or_b64 exec, exec, s[6:7]
	s_and_saveexec_b64 s[2:3], s[18:19]
	s_cbranch_execz .LBB239_3016
; %bb.3014:
	; divergent unreachable
	s_or_b64 exec, exec, s[2:3]
	s_and_saveexec_b64 s[2:3], s[4:5]
	s_xor_b64 s[2:3], exec, s[2:3]
	s_cbranch_execnz .LBB239_3017
.LBB239_3015:
	s_or_b64 exec, exec, s[2:3]
	s_and_saveexec_b64 s[2:3], s[0:1]
	s_cbranch_execnz .LBB239_3018
	s_branch .LBB239_3055
.LBB239_3016:
	s_or_b64 exec, exec, s[2:3]
	s_and_saveexec_b64 s[2:3], s[4:5]
	s_xor_b64 s[2:3], exec, s[2:3]
	s_cbranch_execz .LBB239_3015
.LBB239_3017:
	s_waitcnt vmcnt(0)
	v_and_b32_e32 v2, 0x7fff, v4
	v_cmp_ne_u16_e32 vcc, 0, v2
	v_cndmask_b32_e64 v2, 0, 1, vcc
	global_store_byte v[0:1], v2, off
	s_or_b64 exec, exec, s[2:3]
	s_and_saveexec_b64 s[2:3], s[0:1]
	s_cbranch_execz .LBB239_3055
.LBB239_3018:
	s_sext_i32_i16 s2, s22
	s_cmp_lt_i32 s2, 5
	s_mov_b64 s[0:1], -1
	s_cbranch_scc1 .LBB239_3039
; %bb.3019:
	s_cmp_lt_i32 s2, 8
	s_cbranch_scc1 .LBB239_3029
; %bb.3020:
	s_cmp_lt_i32 s2, 9
	s_cbranch_scc1 .LBB239_3026
; %bb.3021:
	s_cmp_gt_i32 s2, 9
	s_waitcnt vmcnt(0)
	v_lshlrev_b32_e32 v2, 16, v4
	s_cbranch_scc0 .LBB239_3023
; %bb.3022:
	v_cvt_f64_f32_e32 v[5:6], v2
	v_mov_b32_e32 v7, 0
	v_mov_b32_e32 v8, v7
	s_mov_b64 s[0:1], 0
	global_store_dwordx4 v[0:1], v[5:8], off
.LBB239_3023:
	s_andn2_b64 vcc, exec, s[0:1]
	s_cbranch_vccnz .LBB239_3025
; %bb.3024:
	v_mov_b32_e32 v3, 0
	global_store_dwordx2 v[0:1], v[2:3], off
.LBB239_3025:
	s_mov_b64 s[0:1], 0
.LBB239_3026:
	s_andn2_b64 vcc, exec, s[0:1]
	s_cbranch_vccnz .LBB239_3028
; %bb.3027:
	s_waitcnt vmcnt(0)
	v_lshlrev_b32_e32 v2, 16, v4
	v_cvt_f16_f32_e32 v2, v2
	global_store_dword v[0:1], v2, off
.LBB239_3028:
	s_mov_b64 s[0:1], 0
.LBB239_3029:
	s_andn2_b64 vcc, exec, s[0:1]
	s_cbranch_vccnz .LBB239_3038
; %bb.3030:
	s_sext_i32_i16 s2, s22
	s_cmp_lt_i32 s2, 6
	s_mov_b64 s[0:1], -1
	s_cbranch_scc1 .LBB239_3036
; %bb.3031:
	s_cmp_gt_i32 s2, 6
	s_waitcnt vmcnt(0)
	v_lshlrev_b32_e32 v2, 16, v4
	s_cbranch_scc0 .LBB239_3033
; %bb.3032:
	v_cvt_f64_f32_e32 v[5:6], v2
	s_mov_b64 s[0:1], 0
	global_store_dwordx2 v[0:1], v[5:6], off
.LBB239_3033:
	s_andn2_b64 vcc, exec, s[0:1]
	s_cbranch_vccnz .LBB239_3035
; %bb.3034:
	global_store_dword v[0:1], v2, off
.LBB239_3035:
	s_mov_b64 s[0:1], 0
.LBB239_3036:
	s_andn2_b64 vcc, exec, s[0:1]
	s_cbranch_vccnz .LBB239_3038
; %bb.3037:
	s_waitcnt vmcnt(0)
	v_lshlrev_b32_e32 v2, 16, v4
	v_cvt_f16_f32_e32 v2, v2
	global_store_short v[0:1], v2, off
.LBB239_3038:
	s_mov_b64 s[0:1], 0
.LBB239_3039:
	s_andn2_b64 vcc, exec, s[0:1]
	s_cbranch_vccnz .LBB239_3055
; %bb.3040:
	s_sext_i32_i16 s2, s22
	s_cmp_lt_i32 s2, 2
	s_mov_b64 s[0:1], -1
	s_cbranch_scc1 .LBB239_3050
; %bb.3041:
	s_cmp_lt_i32 s2, 3
	s_cbranch_scc1 .LBB239_3047
; %bb.3042:
	s_cmp_gt_i32 s2, 3
	s_waitcnt vmcnt(0)
	v_lshlrev_b32_e32 v2, 16, v4
	s_cbranch_scc0 .LBB239_3044
; %bb.3043:
	v_trunc_f32_e32 v3, v2
	s_mov_b32 s0, 0x2f800000
	v_mul_f32_e64 v5, |v3|, s0
	v_floor_f32_e32 v5, v5
	s_mov_b32 s0, 0xcf800000
	v_cvt_u32_f32_e32 v6, v5
	v_fma_f32 v5, v5, s0, |v3|
	v_cvt_u32_f32_e32 v5, v5
	v_ashrrev_i32_e32 v3, 31, v3
	v_xor_b32_e32 v6, v6, v3
	s_mov_b64 s[0:1], 0
	v_xor_b32_e32 v5, v5, v3
	v_sub_co_u32_e32 v5, vcc, v5, v3
	v_subb_co_u32_e32 v6, vcc, v6, v3, vcc
	global_store_dwordx2 v[0:1], v[5:6], off
.LBB239_3044:
	s_andn2_b64 vcc, exec, s[0:1]
	s_cbranch_vccnz .LBB239_3046
; %bb.3045:
	v_cvt_i32_f32_e32 v2, v2
	global_store_dword v[0:1], v2, off
.LBB239_3046:
	s_mov_b64 s[0:1], 0
.LBB239_3047:
	s_andn2_b64 vcc, exec, s[0:1]
	s_cbranch_vccnz .LBB239_3049
; %bb.3048:
	s_waitcnt vmcnt(0)
	v_lshlrev_b32_e32 v2, 16, v4
	v_cvt_i32_f32_e32 v2, v2
	global_store_short v[0:1], v2, off
.LBB239_3049:
	s_mov_b64 s[0:1], 0
.LBB239_3050:
	s_andn2_b64 vcc, exec, s[0:1]
	s_cbranch_vccnz .LBB239_3055
; %bb.3051:
	s_sext_i32_i16 s2, s22
	s_mov_b64 s[0:1], -1
	s_cmp_gt_i32 s2, 0
	s_waitcnt vmcnt(0)
	v_lshlrev_b32_e32 v2, 16, v4
	s_cbranch_scc0 .LBB239_3053
; %bb.3052:
	v_cvt_i32_f32_e32 v3, v2
	s_mov_b64 s[0:1], 0
	global_store_byte v[0:1], v3, off
.LBB239_3053:
	s_andn2_b64 vcc, exec, s[0:1]
	s_cbranch_vccnz .LBB239_3055
; %bb.3054:
	v_trunc_f32_e32 v2, v2
	s_mov_b32 s0, 0x2f800000
	v_mul_f32_e64 v3, |v2|, s0
	v_floor_f32_e32 v3, v3
	s_mov_b32 s0, 0xcf800000
	v_fma_f32 v3, v3, s0, |v2|
	v_cvt_u32_f32_e32 v3, v3
	v_ashrrev_i32_e32 v2, 31, v2
	v_xor_b32_e32 v3, v3, v2
	v_sub_u32_e32 v2, v3, v2
	global_store_byte v[0:1], v2, off
	s_endpgm
.LBB239_3055:
	s_endpgm
.LBB239_3056:
	s_mov_b64 s[2:3], 0
	s_mov_b64 s[0:1], -1
	s_branch .LBB239_3012
.LBB239_3057:
	s_trap 2
	s_or_b64 s[20:21], s[20:21], exec
	s_cbranch_execz .LBB239_2526
	s_branch .LBB239_2527
.LBB239_3058:
	s_andn2_saveexec_b64 s[14:15], s[14:15]
	s_cbranch_execz .LBB239_2606
.LBB239_3059:
	s_mov_b32 s17, 0x46000000
	v_add_f32_e64 v11, |v12|, s17
	v_and_b32_e32 v11, 0xff, v11
	v_cmp_ne_u32_e32 vcc, 0, v11
	s_andn2_b64 s[10:11], s[10:11], exec
	s_and_b64 s[24:25], vcc, exec
	s_or_b64 s[10:11], s[10:11], s[24:25]
	s_or_b64 exec, exec, s[14:15]
	v_mov_b32_e32 v13, 0
	s_and_saveexec_b64 s[14:15], s[10:11]
	s_cbranch_execnz .LBB239_2607
	s_branch .LBB239_2608
.LBB239_3060:
	s_trap 2
	s_or_b64 s[20:21], s[20:21], exec
	s_cbranch_execz .LBB239_2654
	s_branch .LBB239_2655
.LBB239_3061:
	s_andn2_saveexec_b64 s[10:11], s[10:11]
	s_cbranch_execz .LBB239_2619
.LBB239_3062:
	s_mov_b32 s14, 0x42800000
	v_add_f32_e64 v11, |v12|, s14
	v_and_b32_e32 v11, 0xff, v11
	v_cmp_ne_u32_e32 vcc, 0, v11
	s_andn2_b64 s[4:5], s[4:5], exec
	s_and_b64 s[14:15], vcc, exec
	s_or_b64 s[4:5], s[4:5], s[14:15]
	s_or_b64 exec, exec, s[10:11]
	v_mov_b32_e32 v13, 0
	s_and_saveexec_b64 s[10:11], s[4:5]
	s_cbranch_execnz .LBB239_2620
	s_branch .LBB239_2621
.LBB239_3063:
	s_andn2_saveexec_b64 s[12:13], s[12:13]
	s_cbranch_execz .LBB239_2725
.LBB239_3064:
	s_mov_b32 s17, 0x46000000
	v_add_f32_e64 v5, |v6|, s17
	v_and_b32_e32 v5, 0xff, v5
	v_cmp_ne_u32_e32 vcc, 0, v5
	s_andn2_b64 s[10:11], s[10:11], exec
	s_and_b64 s[24:25], vcc, exec
	s_or_b64 s[10:11], s[10:11], s[24:25]
	s_or_b64 exec, exec, s[12:13]
	v_mov_b32_e32 v11, 0
	s_and_saveexec_b64 s[12:13], s[10:11]
	s_cbranch_execnz .LBB239_2726
	s_branch .LBB239_2727
.LBB239_3065:
	s_trap 2
	s_or_b64 s[20:21], s[20:21], exec
	s_cbranch_execz .LBB239_2773
	s_branch .LBB239_2774
.LBB239_3066:
	s_andn2_saveexec_b64 s[10:11], s[10:11]
	s_cbranch_execz .LBB239_2738
.LBB239_3067:
	s_mov_b32 s12, 0x42800000
	v_add_f32_e64 v5, |v6|, s12
	v_and_b32_e32 v5, 0xff, v5
	v_cmp_ne_u32_e32 vcc, 0, v5
	s_andn2_b64 s[4:5], s[4:5], exec
	s_and_b64 s[12:13], vcc, exec
	s_or_b64 s[4:5], s[4:5], s[12:13]
	s_or_b64 exec, exec, s[10:11]
	v_mov_b32_e32 v11, 0
	s_and_saveexec_b64 s[10:11], s[4:5]
	s_cbranch_execnz .LBB239_2739
	s_branch .LBB239_2740
.LBB239_3068:
	s_andn2_saveexec_b64 s[12:13], s[12:13]
	s_cbranch_execz .LBB239_2844
.LBB239_3069:
	s_mov_b32 s17, 0x46000000
	v_add_f32_e64 v5, |v6|, s17
	v_and_b32_e32 v5, 0xff, v5
	v_cmp_ne_u32_e32 vcc, 0, v5
	s_andn2_b64 s[10:11], s[10:11], exec
	s_and_b64 s[24:25], vcc, exec
	s_or_b64 s[10:11], s[10:11], s[24:25]
	s_or_b64 exec, exec, s[12:13]
	v_mov_b32_e32 v7, 0
	s_and_saveexec_b64 s[12:13], s[10:11]
	s_cbranch_execnz .LBB239_2845
	s_branch .LBB239_2846
.LBB239_3070:
	s_trap 2
	s_or_b64 s[20:21], s[20:21], exec
	s_cbranch_execz .LBB239_2892
	s_branch .LBB239_2893
.LBB239_3071:
	s_andn2_saveexec_b64 s[10:11], s[10:11]
	s_cbranch_execz .LBB239_2857
.LBB239_3072:
	s_mov_b32 s12, 0x42800000
	v_add_f32_e64 v5, |v6|, s12
	v_and_b32_e32 v5, 0xff, v5
	v_cmp_ne_u32_e32 vcc, 0, v5
	s_andn2_b64 s[4:5], s[4:5], exec
	s_and_b64 s[12:13], vcc, exec
	s_or_b64 s[4:5], s[4:5], s[12:13]
	s_or_b64 exec, exec, s[10:11]
	v_mov_b32_e32 v7, 0
	s_and_saveexec_b64 s[10:11], s[4:5]
	s_cbranch_execnz .LBB239_2858
	s_branch .LBB239_2859
.LBB239_3073:
	s_andn2_saveexec_b64 s[10:11], s[10:11]
	s_cbranch_execz .LBB239_2964
.LBB239_3074:
	s_mov_b32 s13, 0x46000000
	v_add_f32_e64 v3, |v5|, s13
	v_and_b32_e32 v3, 0xff, v3
	v_cmp_ne_u32_e32 vcc, 0, v3
	s_andn2_b64 s[8:9], s[8:9], exec
	s_and_b64 s[14:15], vcc, exec
	s_or_b64 s[8:9], s[8:9], s[14:15]
	s_or_b64 exec, exec, s[10:11]
	v_mov_b32_e32 v6, 0
	s_and_saveexec_b64 s[10:11], s[8:9]
	s_cbranch_execnz .LBB239_2965
	s_branch .LBB239_2966
.LBB239_3075:
	s_mov_b64 s[2:3], 0
	s_or_b64 s[20:21], s[20:21], exec
	s_trap 2
	s_branch .LBB239_3010
.LBB239_3076:
	s_andn2_saveexec_b64 s[8:9], s[8:9]
	s_cbranch_execz .LBB239_2976
.LBB239_3077:
	s_mov_b32 s10, 0x42800000
	v_add_f32_e64 v3, |v5|, s10
	v_and_b32_e32 v3, 0xff, v3
	v_cmp_ne_u32_e32 vcc, 0, v3
	s_andn2_b64 s[4:5], s[4:5], exec
	s_and_b64 s[10:11], vcc, exec
	s_or_b64 s[4:5], s[4:5], s[10:11]
	s_or_b64 exec, exec, s[8:9]
	v_mov_b32_e32 v6, 0
	s_and_saveexec_b64 s[8:9], s[4:5]
	s_cbranch_execnz .LBB239_2977
	s_branch .LBB239_2978
	.section	.rodata,"a",@progbits
	.p2align	6, 0x0
	.amdhsa_kernel _ZN2at6native32elementwise_kernel_manual_unrollILi128ELi4EZNS0_15gpu_kernel_implINS0_13BinaryFunctorIN3c108BFloat16ES5_S5_ZNS0_12_GLOBAL__N_121threshold_kernel_implIS5_EEvRNS_18TensorIteratorBaseET_SA_EUlS5_S5_E_EEEEvS9_RKSA_EUlibE_EEviT1_
		.amdhsa_group_segment_fixed_size 0
		.amdhsa_private_segment_fixed_size 0
		.amdhsa_kernarg_size 56
		.amdhsa_user_sgpr_count 6
		.amdhsa_user_sgpr_private_segment_buffer 1
		.amdhsa_user_sgpr_dispatch_ptr 0
		.amdhsa_user_sgpr_queue_ptr 0
		.amdhsa_user_sgpr_kernarg_segment_ptr 1
		.amdhsa_user_sgpr_dispatch_id 0
		.amdhsa_user_sgpr_flat_scratch_init 0
		.amdhsa_user_sgpr_private_segment_size 0
		.amdhsa_uses_dynamic_stack 0
		.amdhsa_system_sgpr_private_segment_wavefront_offset 0
		.amdhsa_system_sgpr_workgroup_id_x 1
		.amdhsa_system_sgpr_workgroup_id_y 0
		.amdhsa_system_sgpr_workgroup_id_z 0
		.amdhsa_system_sgpr_workgroup_info 0
		.amdhsa_system_vgpr_workitem_id 0
		.amdhsa_next_free_vgpr 16
		.amdhsa_next_free_sgpr 59
		.amdhsa_reserve_vcc 1
		.amdhsa_reserve_flat_scratch 0
		.amdhsa_float_round_mode_32 0
		.amdhsa_float_round_mode_16_64 0
		.amdhsa_float_denorm_mode_32 3
		.amdhsa_float_denorm_mode_16_64 3
		.amdhsa_dx10_clamp 1
		.amdhsa_ieee_mode 1
		.amdhsa_fp16_overflow 0
		.amdhsa_exception_fp_ieee_invalid_op 0
		.amdhsa_exception_fp_denorm_src 0
		.amdhsa_exception_fp_ieee_div_zero 0
		.amdhsa_exception_fp_ieee_overflow 0
		.amdhsa_exception_fp_ieee_underflow 0
		.amdhsa_exception_fp_ieee_inexact 0
		.amdhsa_exception_int_div_zero 0
	.end_amdhsa_kernel
	.section	.text._ZN2at6native32elementwise_kernel_manual_unrollILi128ELi4EZNS0_15gpu_kernel_implINS0_13BinaryFunctorIN3c108BFloat16ES5_S5_ZNS0_12_GLOBAL__N_121threshold_kernel_implIS5_EEvRNS_18TensorIteratorBaseET_SA_EUlS5_S5_E_EEEEvS9_RKSA_EUlibE_EEviT1_,"axG",@progbits,_ZN2at6native32elementwise_kernel_manual_unrollILi128ELi4EZNS0_15gpu_kernel_implINS0_13BinaryFunctorIN3c108BFloat16ES5_S5_ZNS0_12_GLOBAL__N_121threshold_kernel_implIS5_EEvRNS_18TensorIteratorBaseET_SA_EUlS5_S5_E_EEEEvS9_RKSA_EUlibE_EEviT1_,comdat
.Lfunc_end239:
	.size	_ZN2at6native32elementwise_kernel_manual_unrollILi128ELi4EZNS0_15gpu_kernel_implINS0_13BinaryFunctorIN3c108BFloat16ES5_S5_ZNS0_12_GLOBAL__N_121threshold_kernel_implIS5_EEvRNS_18TensorIteratorBaseET_SA_EUlS5_S5_E_EEEEvS9_RKSA_EUlibE_EEviT1_, .Lfunc_end239-_ZN2at6native32elementwise_kernel_manual_unrollILi128ELi4EZNS0_15gpu_kernel_implINS0_13BinaryFunctorIN3c108BFloat16ES5_S5_ZNS0_12_GLOBAL__N_121threshold_kernel_implIS5_EEvRNS_18TensorIteratorBaseET_SA_EUlS5_S5_E_EEEEvS9_RKSA_EUlibE_EEviT1_
                                        ; -- End function
	.set _ZN2at6native32elementwise_kernel_manual_unrollILi128ELi4EZNS0_15gpu_kernel_implINS0_13BinaryFunctorIN3c108BFloat16ES5_S5_ZNS0_12_GLOBAL__N_121threshold_kernel_implIS5_EEvRNS_18TensorIteratorBaseET_SA_EUlS5_S5_E_EEEEvS9_RKSA_EUlibE_EEviT1_.num_vgpr, 16
	.set _ZN2at6native32elementwise_kernel_manual_unrollILi128ELi4EZNS0_15gpu_kernel_implINS0_13BinaryFunctorIN3c108BFloat16ES5_S5_ZNS0_12_GLOBAL__N_121threshold_kernel_implIS5_EEvRNS_18TensorIteratorBaseET_SA_EUlS5_S5_E_EEEEvS9_RKSA_EUlibE_EEviT1_.num_agpr, 0
	.set _ZN2at6native32elementwise_kernel_manual_unrollILi128ELi4EZNS0_15gpu_kernel_implINS0_13BinaryFunctorIN3c108BFloat16ES5_S5_ZNS0_12_GLOBAL__N_121threshold_kernel_implIS5_EEvRNS_18TensorIteratorBaseET_SA_EUlS5_S5_E_EEEEvS9_RKSA_EUlibE_EEviT1_.numbered_sgpr, 59
	.set _ZN2at6native32elementwise_kernel_manual_unrollILi128ELi4EZNS0_15gpu_kernel_implINS0_13BinaryFunctorIN3c108BFloat16ES5_S5_ZNS0_12_GLOBAL__N_121threshold_kernel_implIS5_EEvRNS_18TensorIteratorBaseET_SA_EUlS5_S5_E_EEEEvS9_RKSA_EUlibE_EEviT1_.num_named_barrier, 0
	.set _ZN2at6native32elementwise_kernel_manual_unrollILi128ELi4EZNS0_15gpu_kernel_implINS0_13BinaryFunctorIN3c108BFloat16ES5_S5_ZNS0_12_GLOBAL__N_121threshold_kernel_implIS5_EEvRNS_18TensorIteratorBaseET_SA_EUlS5_S5_E_EEEEvS9_RKSA_EUlibE_EEviT1_.private_seg_size, 0
	.set _ZN2at6native32elementwise_kernel_manual_unrollILi128ELi4EZNS0_15gpu_kernel_implINS0_13BinaryFunctorIN3c108BFloat16ES5_S5_ZNS0_12_GLOBAL__N_121threshold_kernel_implIS5_EEvRNS_18TensorIteratorBaseET_SA_EUlS5_S5_E_EEEEvS9_RKSA_EUlibE_EEviT1_.uses_vcc, 1
	.set _ZN2at6native32elementwise_kernel_manual_unrollILi128ELi4EZNS0_15gpu_kernel_implINS0_13BinaryFunctorIN3c108BFloat16ES5_S5_ZNS0_12_GLOBAL__N_121threshold_kernel_implIS5_EEvRNS_18TensorIteratorBaseET_SA_EUlS5_S5_E_EEEEvS9_RKSA_EUlibE_EEviT1_.uses_flat_scratch, 0
	.set _ZN2at6native32elementwise_kernel_manual_unrollILi128ELi4EZNS0_15gpu_kernel_implINS0_13BinaryFunctorIN3c108BFloat16ES5_S5_ZNS0_12_GLOBAL__N_121threshold_kernel_implIS5_EEvRNS_18TensorIteratorBaseET_SA_EUlS5_S5_E_EEEEvS9_RKSA_EUlibE_EEviT1_.has_dyn_sized_stack, 0
	.set _ZN2at6native32elementwise_kernel_manual_unrollILi128ELi4EZNS0_15gpu_kernel_implINS0_13BinaryFunctorIN3c108BFloat16ES5_S5_ZNS0_12_GLOBAL__N_121threshold_kernel_implIS5_EEvRNS_18TensorIteratorBaseET_SA_EUlS5_S5_E_EEEEvS9_RKSA_EUlibE_EEviT1_.has_recursion, 0
	.set _ZN2at6native32elementwise_kernel_manual_unrollILi128ELi4EZNS0_15gpu_kernel_implINS0_13BinaryFunctorIN3c108BFloat16ES5_S5_ZNS0_12_GLOBAL__N_121threshold_kernel_implIS5_EEvRNS_18TensorIteratorBaseET_SA_EUlS5_S5_E_EEEEvS9_RKSA_EUlibE_EEviT1_.has_indirect_call, 0
	.section	.AMDGPU.csdata,"",@progbits
; Kernel info:
; codeLenInByte = 58412
; TotalNumSgprs: 63
; NumVgprs: 16
; ScratchSize: 0
; MemoryBound: 0
; FloatMode: 240
; IeeeMode: 1
; LDSByteSize: 0 bytes/workgroup (compile time only)
; SGPRBlocks: 7
; VGPRBlocks: 3
; NumSGPRsForWavesPerEU: 63
; NumVGPRsForWavesPerEU: 16
; Occupancy: 10
; WaveLimiterHint : 0
; COMPUTE_PGM_RSRC2:SCRATCH_EN: 0
; COMPUTE_PGM_RSRC2:USER_SGPR: 6
; COMPUTE_PGM_RSRC2:TRAP_HANDLER: 0
; COMPUTE_PGM_RSRC2:TGID_X_EN: 1
; COMPUTE_PGM_RSRC2:TGID_Y_EN: 0
; COMPUTE_PGM_RSRC2:TGID_Z_EN: 0
; COMPUTE_PGM_RSRC2:TIDIG_COMP_CNT: 0
	.section	.text._ZN2at6native32elementwise_kernel_manual_unrollILi128ELi4EZNS0_15gpu_kernel_implINS0_13BinaryFunctorIN3c108BFloat16ES5_S5_ZNS0_12_GLOBAL__N_121threshold_kernel_implIS5_EEvRNS_18TensorIteratorBaseET_SA_EUlS5_S5_E_EEEEvS9_RKSA_EUlibE0_EEviT1_,"axG",@progbits,_ZN2at6native32elementwise_kernel_manual_unrollILi128ELi4EZNS0_15gpu_kernel_implINS0_13BinaryFunctorIN3c108BFloat16ES5_S5_ZNS0_12_GLOBAL__N_121threshold_kernel_implIS5_EEvRNS_18TensorIteratorBaseET_SA_EUlS5_S5_E_EEEEvS9_RKSA_EUlibE0_EEviT1_,comdat
	.globl	_ZN2at6native32elementwise_kernel_manual_unrollILi128ELi4EZNS0_15gpu_kernel_implINS0_13BinaryFunctorIN3c108BFloat16ES5_S5_ZNS0_12_GLOBAL__N_121threshold_kernel_implIS5_EEvRNS_18TensorIteratorBaseET_SA_EUlS5_S5_E_EEEEvS9_RKSA_EUlibE0_EEviT1_ ; -- Begin function _ZN2at6native32elementwise_kernel_manual_unrollILi128ELi4EZNS0_15gpu_kernel_implINS0_13BinaryFunctorIN3c108BFloat16ES5_S5_ZNS0_12_GLOBAL__N_121threshold_kernel_implIS5_EEvRNS_18TensorIteratorBaseET_SA_EUlS5_S5_E_EEEEvS9_RKSA_EUlibE0_EEviT1_
	.p2align	8
	.type	_ZN2at6native32elementwise_kernel_manual_unrollILi128ELi4EZNS0_15gpu_kernel_implINS0_13BinaryFunctorIN3c108BFloat16ES5_S5_ZNS0_12_GLOBAL__N_121threshold_kernel_implIS5_EEvRNS_18TensorIteratorBaseET_SA_EUlS5_S5_E_EEEEvS9_RKSA_EUlibE0_EEviT1_,@function
_ZN2at6native32elementwise_kernel_manual_unrollILi128ELi4EZNS0_15gpu_kernel_implINS0_13BinaryFunctorIN3c108BFloat16ES5_S5_ZNS0_12_GLOBAL__N_121threshold_kernel_implIS5_EEvRNS_18TensorIteratorBaseET_SA_EUlS5_S5_E_EEEEvS9_RKSA_EUlibE0_EEviT1_: ; @_ZN2at6native32elementwise_kernel_manual_unrollILi128ELi4EZNS0_15gpu_kernel_implINS0_13BinaryFunctorIN3c108BFloat16ES5_S5_ZNS0_12_GLOBAL__N_121threshold_kernel_implIS5_EEvRNS_18TensorIteratorBaseET_SA_EUlS5_S5_E_EEEEvS9_RKSA_EUlibE0_EEviT1_
; %bb.0:
	s_load_dword s68, s[4:5], 0x0
	s_load_dword s33, s[4:5], 0x8
	s_add_u32 s2, s4, 8
	s_addc_u32 s3, s5, 0
	v_lshl_or_b32 v8, s6, 9, v0
	v_or_b32_e32 v23, 0x180, v8
	s_waitcnt lgkmcnt(0)
	s_add_i32 s70, s33, -1
	s_cmp_gt_u32 s70, 1
	v_cmp_le_i32_e32 vcc, s68, v23
	s_cselect_b64 s[24:25], -1, 0
	s_mov_b64 s[6:7], 0
	s_mov_b64 s[12:13], 0
	s_and_saveexec_b64 s[0:1], vcc
	s_xor_b64 s[26:27], exec, s[0:1]
	s_cbranch_execz .LBB240_1589
; %bb.1:
	s_cmp_lg_u32 s33, 0
	s_load_dwordx4 s[16:19], s[2:3], 0x4
	s_load_dwordx2 s[30:31], s[2:3], 0x14
	s_load_dwordx8 s[8:15], s[2:3], 0x188
	s_load_dwordx4 s[20:23], s[2:3], 0xc4
	s_load_dwordx2 s[28:29], s[2:3], 0xd4
	s_cselect_b64 s[36:37], -1, 0
	s_min_u32 s74, s70, 15
	s_cmp_gt_u32 s33, 1
	s_cselect_b64 s[34:35], -1, 0
	s_waitcnt lgkmcnt(0)
	s_lshr_b32 s71, s14, 16
	s_lshr_b32 s73, s15, 8
	;; [unrolled: 1-line block ×3, first 2 shown]
	s_lshl_b32 s14, s14, 16
	v_cmp_gt_i32_e32 vcc, s68, v8
	s_mov_b64 s[0:1], -1
	s_mov_b64 s[48:49], 0
	s_mov_b64 s[42:43], 0
	;; [unrolled: 1-line block ×4, first 2 shown]
	s_and_saveexec_b64 s[44:45], vcc
	s_cbranch_execz .LBB240_394
; %bb.2:
	s_andn2_b64 vcc, exec, s[24:25]
	s_cbranch_vccnz .LBB240_8
; %bb.3:
	s_andn2_b64 vcc, exec, s[36:37]
	s_cbranch_vccnz .LBB240_9
; %bb.4:
	s_add_i32 s0, s74, 1
	s_and_b32 s38, s0, 30
	s_add_u32 s0, s2, 0xffffffe8
	s_addc_u32 s1, s3, -1
	v_mov_b32_e32 v2, 0
	v_mov_b32_e32 v4, 0
	;; [unrolled: 1-line block ×4, first 2 shown]
.LBB240_5:                              ; =>This Inner Loop Header: Depth=1
	s_load_dwordx4 s[40:43], s[0:1], 0x1c
	s_load_dwordx2 s[46:47], s[0:1], 0x2c
	s_load_dwordx2 s[50:51], s[0:1], 0xec
	s_load_dwordx4 s[52:55], s[0:1], 0xdc
	s_add_u32 s0, s0, 24
	s_waitcnt lgkmcnt(0)
	v_mul_hi_u32 v3, s41, v1
	s_addc_u32 s1, s1, 0
	s_add_i32 s38, s38, -2
	s_cmp_lg_u32 s38, 0
	v_add_u32_e32 v3, v1, v3
	v_lshrrev_b32_e32 v3, s42, v3
	v_mul_lo_u32 v5, v3, s40
	v_mul_hi_u32 v6, s46, v3
	v_sub_u32_e32 v5, v1, v5
	v_add_u32_e32 v1, v3, v6
	v_lshrrev_b32_e32 v1, s47, v1
	v_mul_lo_u32 v9, v1, s43
	v_mul_lo_u32 v6, v5, s52
	;; [unrolled: 1-line block ×4, first 2 shown]
	v_sub_u32_e32 v3, v3, v9
	v_mul_lo_u32 v9, v3, s55
	v_mul_lo_u32 v10, v3, s50
	;; [unrolled: 1-line block ×3, first 2 shown]
	v_add3_u32 v0, v6, v0, v9
	v_add3_u32 v4, v7, v4, v10
	;; [unrolled: 1-line block ×3, first 2 shown]
	s_cbranch_scc1 .LBB240_5
; %bb.6:
	s_bitcmp1_b32 s74, 0
	s_cselect_b64 s[38:39], -1, 0
	s_and_b64 vcc, exec, s[38:39]
	s_cbranch_vccnz .LBB240_10
; %bb.7:
	s_load_dwordx2 s[38:39], s[0:1], 0x1c
	s_load_dword s42, s[0:1], 0x24
	s_load_dwordx2 s[40:41], s[0:1], 0xdc
	s_waitcnt lgkmcnt(0)
	v_mul_hi_u32 v3, s39, v1
	v_add_u32_e32 v3, v1, v3
	v_lshrrev_b32_e32 v3, s42, v3
	v_mul_lo_u32 v3, v3, s38
	s_load_dword s38, s[0:1], 0xe4
	v_sub_u32_e32 v3, v1, v3
	v_mad_u64_u32 v[0:1], s[0:1], v3, s40, v[0:1]
	v_mad_u64_u32 v[4:5], s[0:1], v3, s41, v[4:5]
	s_waitcnt lgkmcnt(0)
	v_mad_u64_u32 v[2:3], s[0:1], v3, s38, v[2:3]
	s_cbranch_execz .LBB240_11
	s_branch .LBB240_13
.LBB240_8:
                                        ; implicit-def: $vgpr0
                                        ; implicit-def: $vgpr4
                                        ; implicit-def: $vgpr2
	s_andn2_b64 vcc, exec, s[0:1]
	s_cbranch_vccz .LBB240_11
	s_branch .LBB240_13
.LBB240_9:
	v_mov_b32_e32 v0, 0
	v_mov_b32_e32 v4, 0
	;; [unrolled: 1-line block ×3, first 2 shown]
.LBB240_10:
	s_cbranch_execnz .LBB240_13
.LBB240_11:
	v_mul_hi_u32 v0, s17, v8
	s_andn2_b64 vcc, exec, s[34:35]
	v_add_u32_e32 v0, v8, v0
	v_lshrrev_b32_e32 v1, s18, v0
	v_mul_lo_u32 v0, v1, s16
	v_sub_u32_e32 v2, v8, v0
	v_mul_lo_u32 v0, v2, s20
	v_mul_lo_u32 v4, v2, s21
	;; [unrolled: 1-line block ×3, first 2 shown]
	s_cbranch_vccnz .LBB240_13
; %bb.12:
	v_mul_hi_u32 v3, s30, v1
	v_add_u32_e32 v3, v1, v3
	v_lshrrev_b32_e32 v3, s31, v3
	v_mul_lo_u32 v3, v3, s19
	v_sub_u32_e32 v3, v1, v3
	v_mad_u64_u32 v[0:1], s[0:1], v3, s23, v[0:1]
	v_mad_u64_u32 v[4:5], s[0:1], v3, s28, v[4:5]
	;; [unrolled: 1-line block ×3, first 2 shown]
.LBB240_13:
	v_mov_b32_e32 v1, s11
	s_and_b32 s46, s73, 0xff
	v_add_co_u32_e32 v3, vcc, s10, v4
	s_cmp_lt_i32 s46, 11
	v_addc_co_u32_e32 v4, vcc, 0, v1, vcc
	s_cbranch_scc1 .LBB240_20
; %bb.14:
	s_and_b32 s47, 0xffff, s46
	s_cmp_gt_i32 s47, 25
	s_cbranch_scc0 .LBB240_29
; %bb.15:
	s_cmp_gt_i32 s47, 28
	s_cbranch_scc0 .LBB240_39
; %bb.16:
	;; [unrolled: 3-line block ×4, first 2 shown]
	s_cmp_eq_u32 s47, 46
	s_mov_b64 s[38:39], 0
	s_cbranch_scc0 .LBB240_48
; %bb.19:
	global_load_dword v5, v[3:4], off
	s_mov_b64 s[0:1], -1
	s_mov_b64 s[42:43], 0
	s_branch .LBB240_50
.LBB240_20:
	s_mov_b64 s[42:43], 0
                                        ; implicit-def: $vgpr5
	s_mov_b64 s[0:1], 0
	s_cbranch_execnz .LBB240_116
.LBB240_21:
	s_andn2_b64 vcc, exec, s[0:1]
	s_cbranch_vccnz .LBB240_163
.LBB240_22:
	v_mov_b32_e32 v3, s13
	s_and_b32 s50, s72, 0xff
	v_add_co_u32_e32 v1, vcc, s12, v2
	s_cmp_lt_i32 s50, 11
	v_addc_co_u32_e32 v2, vcc, 0, v3, vcc
	s_cbranch_scc1 .LBB240_30
; %bb.23:
	s_and_b32 s51, 0xffff, s50
	s_cmp_gt_i32 s51, 25
	s_cbranch_scc0 .LBB240_40
; %bb.24:
	s_cmp_gt_i32 s51, 28
	s_cbranch_scc0 .LBB240_43
; %bb.25:
	;; [unrolled: 3-line block ×4, first 2 shown]
	s_cmp_eq_u32 s51, 46
	s_mov_b64 s[38:39], 0
	s_cbranch_scc0 .LBB240_164
; %bb.28:
	global_load_dword v3, v[1:2], off
	s_mov_b64 s[0:1], -1
	s_mov_b64 s[40:41], 0
	s_branch .LBB240_166
.LBB240_29:
	s_mov_b64 s[42:43], 0
	s_mov_b64 s[0:1], 0
                                        ; implicit-def: $vgpr5
	s_cbranch_execnz .LBB240_81
	s_branch .LBB240_115
.LBB240_30:
	s_mov_b64 s[40:41], 0
                                        ; implicit-def: $vgpr3
	s_mov_b64 s[0:1], 0
	s_cbranch_execnz .LBB240_343
.LBB240_31:
	s_andn2_b64 vcc, exec, s[0:1]
	s_cbranch_vccnz .LBB240_391
.LBB240_32:
	s_waitcnt vmcnt(0)
	v_lshlrev_b32_e32 v1, 16, v5
	v_mov_b32_e32 v2, s71
	v_cmp_ge_f32_e32 vcc, s14, v1
	v_cndmask_b32_e32 v2, v3, v2, vcc
	v_mov_b32_e32 v1, s9
	s_and_b32 s52, s15, 0xff
	v_add_co_u32_e32 v0, vcc, s8, v0
	s_cmp_lt_i32 s52, 11
	v_addc_co_u32_e32 v1, vcc, 0, v1, vcc
	s_cbranch_scc1 .LBB240_41
; %bb.33:
	s_and_b32 s53, 0xffff, s52
	s_cmp_gt_i32 s53, 25
	s_cbranch_scc0 .LBB240_44
; %bb.34:
	s_cmp_gt_i32 s53, 28
	s_cbranch_scc0 .LBB240_47
; %bb.35:
	;; [unrolled: 3-line block ×4, first 2 shown]
	s_mov_b64 s[46:47], 0
	s_mov_b64 s[0:1], -1
	s_cmp_eq_u32 s53, 46
	s_mov_b64 s[38:39], 0
	s_cbranch_scc0 .LBB240_170
; %bb.38:
	v_and_b32_e32 v3, 0xffff, v2
	global_store_dword v[0:1], v3, off
	s_mov_b64 s[38:39], -1
	s_mov_b64 s[0:1], 0
	s_branch .LBB240_170
.LBB240_39:
	s_mov_b64 s[38:39], -1
	s_mov_b64 s[42:43], 0
	s_mov_b64 s[0:1], 0
                                        ; implicit-def: $vgpr5
	s_branch .LBB240_62
.LBB240_40:
	s_mov_b64 s[38:39], -1
	s_mov_b64 s[40:41], 0
	s_mov_b64 s[0:1], 0
                                        ; implicit-def: $vgpr3
	s_branch .LBB240_307
.LBB240_41:
	s_mov_b64 s[46:47], -1
	s_mov_b64 s[0:1], 0
	s_mov_b64 s[38:39], 0
	s_branch .LBB240_239
.LBB240_42:
	s_mov_b64 s[38:39], -1
	s_mov_b64 s[42:43], 0
	s_mov_b64 s[0:1], 0
                                        ; implicit-def: $vgpr5
	s_branch .LBB240_57
.LBB240_43:
	s_mov_b64 s[38:39], -1
	s_mov_b64 s[40:41], 0
	s_mov_b64 s[0:1], 0
                                        ; implicit-def: $vgpr3
	s_branch .LBB240_288
.LBB240_44:
	s_mov_b64 s[46:47], -1
	s_mov_b64 s[0:1], 0
	s_mov_b64 s[38:39], 0
	s_branch .LBB240_197
.LBB240_45:
	s_mov_b64 s[38:39], -1
	s_mov_b64 s[42:43], 0
	s_branch .LBB240_49
.LBB240_46:
	s_mov_b64 s[38:39], -1
	s_mov_b64 s[40:41], 0
	s_mov_b64 s[0:1], 0
                                        ; implicit-def: $vgpr3
	s_branch .LBB240_283
.LBB240_47:
	s_mov_b64 s[46:47], -1
	s_mov_b64 s[0:1], 0
	s_mov_b64 s[38:39], 0
	s_branch .LBB240_180
.LBB240_48:
	s_mov_b64 s[42:43], -1
.LBB240_49:
	s_mov_b64 s[0:1], 0
                                        ; implicit-def: $vgpr5
.LBB240_50:
	s_and_b64 vcc, exec, s[38:39]
	s_cbranch_vccz .LBB240_56
; %bb.51:
	s_cmp_eq_u32 s47, 44
	s_cbranch_scc0 .LBB240_55
; %bb.52:
	global_load_ubyte v1, v[3:4], off
	s_movk_i32 s38, 0xff
	s_waitcnt vmcnt(1)
	v_mov_b32_e32 v5, 0x7f800001
	v_mov_b32_e32 v6, 0x400000
	;; [unrolled: 1-line block ×3, first 2 shown]
	s_mov_b64 s[0:1], -1
	s_mov_b64 s[42:43], 0
	s_waitcnt vmcnt(0)
	v_lshlrev_b32_e32 v9, 23, v1
	v_cmp_ne_u32_e32 vcc, s38, v1
	v_cndmask_b32_e32 v5, v5, v9, vcc
	v_cmp_ne_u32_e32 vcc, 0, v1
	v_cndmask_b32_e32 v1, v6, v5, vcc
	v_add_u32_e32 v5, 0x7fff, v1
	v_cmp_o_f32_e32 vcc, v1, v1
	v_cndmask_b32_sdwa v5, v7, v5, vcc dst_sel:DWORD dst_unused:UNUSED_PAD src0_sel:DWORD src1_sel:WORD_1
	s_branch .LBB240_56
.LBB240_53:
	s_mov_b64 s[38:39], -1
	s_mov_b64 s[40:41], 0
	s_branch .LBB240_165
.LBB240_54:
	s_mov_b64 s[46:47], -1
	s_mov_b64 s[0:1], 0
	s_mov_b64 s[38:39], 0
	s_branch .LBB240_176
.LBB240_55:
	s_mov_b64 s[42:43], -1
                                        ; implicit-def: $vgpr5
.LBB240_56:
	s_mov_b64 s[38:39], 0
.LBB240_57:
	s_and_b64 vcc, exec, s[38:39]
	s_cbranch_vccz .LBB240_61
; %bb.58:
	s_cmp_eq_u32 s47, 29
	s_cbranch_scc0 .LBB240_60
; %bb.59:
	global_load_dwordx2 v[5:6], v[3:4], off
	s_movk_i32 s38, 0x7fff
	s_mov_b64 s[0:1], -1
	s_mov_b64 s[42:43], 0
	s_waitcnt vmcnt(0)
	v_ffbh_u32_e32 v1, v6
	v_min_u32_e32 v1, 32, v1
	v_lshlrev_b64 v[5:6], v1, v[5:6]
	v_sub_u32_e32 v1, 32, v1
	v_min_u32_e32 v5, 1, v5
	v_or_b32_e32 v5, v6, v5
	v_cvt_f32_u32_e32 v5, v5
	v_ldexp_f32 v1, v5, v1
	v_bfe_u32 v5, v1, 16, 1
	v_add3_u32 v1, v1, v5, s38
	v_lshrrev_b32_e32 v5, 16, v1
	s_branch .LBB240_61
.LBB240_60:
	s_mov_b64 s[42:43], -1
                                        ; implicit-def: $vgpr5
.LBB240_61:
	s_mov_b64 s[38:39], 0
.LBB240_62:
	s_and_b64 vcc, exec, s[38:39]
	s_cbranch_vccz .LBB240_80
; %bb.63:
	s_cmp_lt_i32 s47, 27
	s_cbranch_scc1 .LBB240_66
; %bb.64:
	s_cmp_gt_i32 s47, 27
	s_cbranch_scc0 .LBB240_67
; %bb.65:
	global_load_dword v1, v[3:4], off
	s_movk_i32 s0, 0x7fff
	s_waitcnt vmcnt(0)
	v_cvt_f32_u32_e32 v1, v1
	v_bfe_u32 v5, v1, 16, 1
	v_add3_u32 v1, v1, v5, s0
	v_lshrrev_b32_e32 v5, 16, v1
	s_mov_b64 s[0:1], 0
	s_branch .LBB240_68
.LBB240_66:
	s_mov_b64 s[0:1], -1
                                        ; implicit-def: $vgpr5
	s_branch .LBB240_71
.LBB240_67:
	s_mov_b64 s[0:1], -1
                                        ; implicit-def: $vgpr5
.LBB240_68:
	s_andn2_b64 vcc, exec, s[0:1]
	s_cbranch_vccnz .LBB240_70
; %bb.69:
	global_load_ushort v1, v[3:4], off
	s_movk_i32 s0, 0x7fff
	s_waitcnt vmcnt(0)
	v_cvt_f32_u32_e32 v1, v1
	v_bfe_u32 v5, v1, 16, 1
	v_add3_u32 v1, v1, v5, s0
	v_lshrrev_b32_e32 v5, 16, v1
.LBB240_70:
	s_mov_b64 s[0:1], 0
.LBB240_71:
	s_andn2_b64 vcc, exec, s[0:1]
	s_cbranch_vccnz .LBB240_79
; %bb.72:
	global_load_ubyte v1, v[3:4], off
	s_movk_i32 s0, 0x7f
	s_waitcnt vmcnt(0)
	v_cmp_lt_i16_e32 vcc, s0, v1
	s_mov_b64 s[0:1], 0
	s_and_saveexec_b64 s[38:39], vcc
	s_xor_b64 s[38:39], exec, s[38:39]
	s_cbranch_execz .LBB240_92
; %bb.73:
	s_movk_i32 s0, 0x80
	v_cmp_eq_u16_e32 vcc, s0, v1
	s_mov_b64 s[0:1], -1
	s_and_saveexec_b64 s[40:41], vcc
; %bb.74:
	s_xor_b64 s[0:1], exec, -1
; %bb.75:
	s_or_b64 exec, exec, s[40:41]
	s_and_b64 s[0:1], s[0:1], exec
	s_or_saveexec_b64 s[38:39], s[38:39]
	v_mov_b32_e32 v5, 0x7f800001
	s_xor_b64 exec, exec, s[38:39]
	s_cbranch_execnz .LBB240_93
.LBB240_76:
	s_or_b64 exec, exec, s[38:39]
	s_and_saveexec_b64 s[38:39], s[0:1]
	s_cbranch_execz .LBB240_78
.LBB240_77:
	v_lshlrev_b32_e32 v5, 24, v1
	v_and_b32_e32 v1, 0xffff, v1
	v_and_b32_e32 v6, 7, v1
	v_ffbh_u32_e32 v9, v6
	v_min_u32_e32 v9, 32, v9
	v_subrev_u32_e32 v10, 28, v9
	v_bfe_u32 v7, v1, 3, 4
	v_lshlrev_b32_e32 v1, v10, v1
	v_sub_u32_e32 v9, 29, v9
	v_and_b32_e32 v1, 7, v1
	v_cmp_eq_u32_e32 vcc, 0, v7
	v_cndmask_b32_e32 v7, v7, v9, vcc
	v_cndmask_b32_e32 v1, v6, v1, vcc
	v_mov_b32_e32 v6, 0x3b800000
	v_lshlrev_b32_e32 v1, 20, v1
	v_and_b32_e32 v5, 0x80000000, v5
	v_lshl_add_u32 v6, v7, 23, v6
	v_or3_b32 v5, v5, v6, v1
.LBB240_78:
	s_or_b64 exec, exec, s[38:39]
	v_bfe_u32 v1, v5, 16, 1
	s_movk_i32 s0, 0x7fff
	v_add3_u32 v1, v5, v1, s0
	v_cmp_o_f32_e32 vcc, v5, v5
	v_mov_b32_e32 v5, 0x7fc0
	v_cndmask_b32_sdwa v5, v5, v1, vcc dst_sel:DWORD dst_unused:UNUSED_PAD src0_sel:DWORD src1_sel:WORD_1
.LBB240_79:
	s_mov_b64 s[0:1], -1
.LBB240_80:
	s_branch .LBB240_115
.LBB240_81:
	s_cmp_gt_i32 s47, 22
	s_cbranch_scc0 .LBB240_91
; %bb.82:
	s_cmp_lt_i32 s47, 24
	s_cbranch_scc1 .LBB240_94
; %bb.83:
	s_cmp_gt_i32 s47, 24
	s_cbranch_scc0 .LBB240_95
; %bb.84:
	global_load_ubyte v1, v[3:4], off
	s_movk_i32 s0, 0x7f
	s_waitcnt vmcnt(0)
	v_cmp_lt_i16_e32 vcc, s0, v1
	s_mov_b64 s[0:1], 0
	s_and_saveexec_b64 s[38:39], vcc
	s_xor_b64 s[38:39], exec, s[38:39]
	s_cbranch_execz .LBB240_107
; %bb.85:
	s_movk_i32 s0, 0x80
	v_cmp_eq_u16_e32 vcc, s0, v1
	s_mov_b64 s[0:1], -1
	s_and_saveexec_b64 s[40:41], vcc
; %bb.86:
	s_xor_b64 s[0:1], exec, -1
; %bb.87:
	s_or_b64 exec, exec, s[40:41]
	s_and_b64 s[0:1], s[0:1], exec
	s_or_saveexec_b64 s[38:39], s[38:39]
	v_mov_b32_e32 v5, 0x7f800001
	s_xor_b64 exec, exec, s[38:39]
	s_cbranch_execnz .LBB240_108
.LBB240_88:
	s_or_b64 exec, exec, s[38:39]
	s_and_saveexec_b64 s[38:39], s[0:1]
	s_cbranch_execz .LBB240_90
.LBB240_89:
	v_lshlrev_b32_e32 v5, 24, v1
	v_and_b32_e32 v1, 0xffff, v1
	v_and_b32_e32 v6, 3, v1
	v_ffbh_u32_e32 v9, v6
	v_min_u32_e32 v9, 32, v9
	v_subrev_u32_e32 v10, 29, v9
	v_bfe_u32 v7, v1, 2, 5
	v_lshlrev_b32_e32 v1, v10, v1
	v_sub_u32_e32 v9, 30, v9
	v_and_b32_e32 v1, 3, v1
	v_cmp_eq_u32_e32 vcc, 0, v7
	v_cndmask_b32_e32 v7, v7, v9, vcc
	v_cndmask_b32_e32 v1, v6, v1, vcc
	v_mov_b32_e32 v6, 0x37800000
	v_lshlrev_b32_e32 v1, 21, v1
	v_and_b32_e32 v5, 0x80000000, v5
	v_lshl_add_u32 v6, v7, 23, v6
	v_or3_b32 v5, v5, v6, v1
.LBB240_90:
	s_or_b64 exec, exec, s[38:39]
	v_bfe_u32 v1, v5, 16, 1
	s_movk_i32 s0, 0x7fff
	v_add3_u32 v1, v5, v1, s0
	v_cmp_o_f32_e32 vcc, v5, v5
	v_mov_b32_e32 v5, 0x7fc0
	v_cndmask_b32_sdwa v5, v5, v1, vcc dst_sel:DWORD dst_unused:UNUSED_PAD src0_sel:DWORD src1_sel:WORD_1
	s_mov_b64 s[0:1], 0
	s_branch .LBB240_96
.LBB240_91:
	s_mov_b64 s[38:39], -1
                                        ; implicit-def: $vgpr5
	s_branch .LBB240_102
.LBB240_92:
	s_or_saveexec_b64 s[38:39], s[38:39]
	v_mov_b32_e32 v5, 0x7f800001
	s_xor_b64 exec, exec, s[38:39]
	s_cbranch_execz .LBB240_76
.LBB240_93:
	v_cmp_ne_u16_e32 vcc, 0, v1
	s_andn2_b64 s[0:1], s[0:1], exec
	s_and_b64 s[40:41], vcc, exec
	v_mov_b32_e32 v5, 0
	s_or_b64 s[0:1], s[0:1], s[40:41]
	s_or_b64 exec, exec, s[38:39]
	s_and_saveexec_b64 s[38:39], s[0:1]
	s_cbranch_execnz .LBB240_77
	s_branch .LBB240_78
.LBB240_94:
	s_mov_b64 s[0:1], -1
                                        ; implicit-def: $vgpr5
	s_branch .LBB240_99
.LBB240_95:
	s_mov_b64 s[0:1], -1
                                        ; implicit-def: $vgpr5
.LBB240_96:
	s_and_b64 vcc, exec, s[0:1]
	s_cbranch_vccz .LBB240_98
; %bb.97:
	global_load_ubyte v1, v[3:4], off
	s_mov_b32 s0, 0x7f800000
	s_brev_b32 s1, 1
	s_movk_i32 s38, 0x7fff
	s_waitcnt vmcnt(0)
	v_lshlrev_b32_e32 v1, 24, v1
	v_and_b32_e32 v5, 0x7f000000, v1
	v_ffbh_u32_e32 v6, v5
	v_min_u32_e32 v6, 32, v6
	v_sub_u32_e64 v6, v6, 4 clamp
	v_lshlrev_b32_e32 v9, v6, v5
	v_lshlrev_b32_e32 v6, 23, v6
	v_lshrrev_b32_e32 v9, 4, v9
	v_add_u32_e32 v7, 0x1000000, v5
	v_sub_u32_e32 v6, v9, v6
	v_ashrrev_i32_e32 v7, 8, v7
	v_add_u32_e32 v6, 0x3c000000, v6
	v_and_or_b32 v6, v7, s0, v6
	v_cmp_ne_u32_e32 vcc, 0, v5
	v_cndmask_b32_e32 v5, 0, v6, vcc
	v_and_or_b32 v1, v1, s1, v5
	v_bfe_u32 v5, v5, 16, 1
	v_add3_u32 v5, v1, v5, s38
	v_cmp_o_f32_e32 vcc, v1, v1
	v_mov_b32_e32 v1, 0x7fc0
	v_cndmask_b32_sdwa v5, v1, v5, vcc dst_sel:DWORD dst_unused:UNUSED_PAD src0_sel:DWORD src1_sel:WORD_1
.LBB240_98:
	s_mov_b64 s[0:1], 0
.LBB240_99:
	s_andn2_b64 vcc, exec, s[0:1]
	s_cbranch_vccnz .LBB240_101
; %bb.100:
	global_load_ubyte v1, v[3:4], off
	s_movk_i32 s0, 0x7f00
	s_brev_b32 s1, 16
	s_brev_b32 s38, 1
	s_movk_i32 s39, 0x7fff
	s_waitcnt vmcnt(0)
	v_lshlrev_b16_e32 v5, 8, v1
	v_lshlrev_b32_e32 v1, 25, v1
	v_lshrrev_b32_e32 v6, 4, v1
	v_and_or_b32 v7, v5, s0, 0.5
	v_or_b32_e32 v6, 0x70000000, v6
	v_add_f32_e32 v7, -0.5, v7
	v_mul_f32_e32 v6, 0x7800000, v6
	v_cmp_gt_u32_e32 vcc, s1, v1
	v_bfe_i32 v5, v5, 0, 16
	v_cndmask_b32_e32 v1, v6, v7, vcc
	v_and_or_b32 v5, v5, s38, v1
	v_bfe_u32 v1, v1, 16, 1
	v_add3_u32 v1, v5, v1, s39
	v_cmp_o_f32_e32 vcc, v5, v5
	v_mov_b32_e32 v5, 0x7fc0
	v_cndmask_b32_sdwa v5, v5, v1, vcc dst_sel:DWORD dst_unused:UNUSED_PAD src0_sel:DWORD src1_sel:WORD_1
.LBB240_101:
	s_mov_b64 s[38:39], 0
	s_mov_b64 s[0:1], -1
.LBB240_102:
	s_andn2_b64 vcc, exec, s[38:39]
	s_cbranch_vccnz .LBB240_115
; %bb.103:
	s_cmp_gt_i32 s47, 14
	s_cbranch_scc0 .LBB240_106
; %bb.104:
	s_cmp_eq_u32 s47, 15
	s_cbranch_scc0 .LBB240_109
; %bb.105:
	global_load_ushort v5, v[3:4], off
	s_mov_b64 s[0:1], -1
	s_mov_b64 s[42:43], 0
	s_branch .LBB240_110
.LBB240_106:
	s_mov_b64 s[38:39], -1
                                        ; implicit-def: $vgpr5
	s_branch .LBB240_111
.LBB240_107:
	s_or_saveexec_b64 s[38:39], s[38:39]
	v_mov_b32_e32 v5, 0x7f800001
	s_xor_b64 exec, exec, s[38:39]
	s_cbranch_execz .LBB240_88
.LBB240_108:
	v_cmp_ne_u16_e32 vcc, 0, v1
	s_andn2_b64 s[0:1], s[0:1], exec
	s_and_b64 s[40:41], vcc, exec
	v_mov_b32_e32 v5, 0
	s_or_b64 s[0:1], s[0:1], s[40:41]
	s_or_b64 exec, exec, s[38:39]
	s_and_saveexec_b64 s[38:39], s[0:1]
	s_cbranch_execnz .LBB240_89
	s_branch .LBB240_90
.LBB240_109:
	s_mov_b64 s[42:43], -1
                                        ; implicit-def: $vgpr5
.LBB240_110:
	s_mov_b64 s[38:39], 0
.LBB240_111:
	s_and_b64 vcc, exec, s[38:39]
	s_cbranch_vccz .LBB240_115
; %bb.112:
	s_cmp_eq_u32 s47, 11
	s_cbranch_scc0 .LBB240_114
; %bb.113:
	global_load_ubyte v1, v[3:4], off
	s_mov_b64 s[0:1], -1
	s_mov_b64 s[42:43], 0
	s_waitcnt vmcnt(0)
	v_cmp_ne_u16_e32 vcc, 0, v1
	v_cndmask_b32_e64 v1, 0, 1.0, vcc
	v_lshrrev_b32_e32 v5, 16, v1
	s_branch .LBB240_115
.LBB240_114:
	s_mov_b64 s[42:43], -1
                                        ; implicit-def: $vgpr5
.LBB240_115:
	s_branch .LBB240_21
.LBB240_116:
	s_and_b32 s38, 0xffff, s46
	s_cmp_lt_i32 s38, 5
	s_cbranch_scc1 .LBB240_121
; %bb.117:
	s_cmp_lt_i32 s38, 8
	s_cbranch_scc1 .LBB240_122
; %bb.118:
	s_cmp_lt_i32 s38, 9
	s_cbranch_scc1 .LBB240_123
; %bb.119:
	s_cmp_gt_i32 s38, 9
	s_cbranch_scc0 .LBB240_124
; %bb.120:
	global_load_dwordx2 v[5:6], v[3:4], off
	s_movk_i32 s0, 0x7fff
	s_waitcnt vmcnt(0)
	v_cvt_f32_f64_e32 v1, v[5:6]
	v_mov_b32_e32 v5, 0x7fc0
	v_bfe_u32 v6, v1, 16, 1
	v_cmp_o_f32_e32 vcc, v1, v1
	v_add3_u32 v1, v1, v6, s0
	v_cndmask_b32_sdwa v5, v5, v1, vcc dst_sel:DWORD dst_unused:UNUSED_PAD src0_sel:DWORD src1_sel:WORD_1
	s_mov_b64 s[0:1], 0
	s_branch .LBB240_125
.LBB240_121:
                                        ; implicit-def: $vgpr5
	s_branch .LBB240_143
.LBB240_122:
	s_mov_b64 s[0:1], -1
                                        ; implicit-def: $vgpr5
	s_branch .LBB240_131
.LBB240_123:
	s_mov_b64 s[0:1], -1
                                        ; implicit-def: $vgpr5
	s_branch .LBB240_128
.LBB240_124:
	s_mov_b64 s[0:1], -1
                                        ; implicit-def: $vgpr5
.LBB240_125:
	s_andn2_b64 vcc, exec, s[0:1]
	s_cbranch_vccnz .LBB240_127
; %bb.126:
	global_load_dword v1, v[3:4], off
	s_movk_i32 s0, 0x7fff
	s_waitcnt vmcnt(1)
	v_mov_b32_e32 v5, 0x7fc0
	s_waitcnt vmcnt(0)
	v_bfe_u32 v6, v1, 16, 1
	v_cmp_o_f32_e32 vcc, v1, v1
	v_add3_u32 v1, v1, v6, s0
	v_cndmask_b32_sdwa v5, v5, v1, vcc dst_sel:DWORD dst_unused:UNUSED_PAD src0_sel:DWORD src1_sel:WORD_1
.LBB240_127:
	s_mov_b64 s[0:1], 0
.LBB240_128:
	s_andn2_b64 vcc, exec, s[0:1]
	s_cbranch_vccnz .LBB240_130
; %bb.129:
	global_load_dword v1, v[3:4], off
	s_movk_i32 s0, 0x7fff
	v_mov_b32_e32 v6, 0x7fc0
	s_waitcnt vmcnt(0)
	v_cvt_f32_f16_e32 v5, v1
	v_cmp_o_f16_e32 vcc, v1, v1
	v_bfe_u32 v1, v5, 16, 1
	v_add3_u32 v1, v5, v1, s0
	v_cndmask_b32_sdwa v5, v6, v1, vcc dst_sel:DWORD dst_unused:UNUSED_PAD src0_sel:DWORD src1_sel:WORD_1
.LBB240_130:
	s_mov_b64 s[0:1], 0
.LBB240_131:
	s_andn2_b64 vcc, exec, s[0:1]
	s_cbranch_vccnz .LBB240_142
; %bb.132:
	s_cmp_lt_i32 s38, 6
	s_cbranch_scc1 .LBB240_135
; %bb.133:
	s_cmp_gt_i32 s38, 6
	s_cbranch_scc0 .LBB240_136
; %bb.134:
	global_load_dwordx2 v[5:6], v[3:4], off
	s_movk_i32 s0, 0x7fff
	s_waitcnt vmcnt(0)
	v_cvt_f32_f64_e32 v1, v[5:6]
	v_mov_b32_e32 v5, 0x7fc0
	v_bfe_u32 v6, v1, 16, 1
	v_cmp_o_f32_e32 vcc, v1, v1
	v_add3_u32 v1, v1, v6, s0
	v_cndmask_b32_sdwa v5, v5, v1, vcc dst_sel:DWORD dst_unused:UNUSED_PAD src0_sel:DWORD src1_sel:WORD_1
	s_mov_b64 s[0:1], 0
	s_branch .LBB240_137
.LBB240_135:
	s_mov_b64 s[0:1], -1
                                        ; implicit-def: $vgpr5
	s_branch .LBB240_140
.LBB240_136:
	s_mov_b64 s[0:1], -1
                                        ; implicit-def: $vgpr5
.LBB240_137:
	s_andn2_b64 vcc, exec, s[0:1]
	s_cbranch_vccnz .LBB240_139
; %bb.138:
	global_load_dword v1, v[3:4], off
	s_movk_i32 s0, 0x7fff
	s_waitcnt vmcnt(1)
	v_mov_b32_e32 v5, 0x7fc0
	s_waitcnt vmcnt(0)
	v_bfe_u32 v6, v1, 16, 1
	v_cmp_o_f32_e32 vcc, v1, v1
	v_add3_u32 v1, v1, v6, s0
	v_cndmask_b32_sdwa v5, v5, v1, vcc dst_sel:DWORD dst_unused:UNUSED_PAD src0_sel:DWORD src1_sel:WORD_1
.LBB240_139:
	s_mov_b64 s[0:1], 0
.LBB240_140:
	s_andn2_b64 vcc, exec, s[0:1]
	s_cbranch_vccnz .LBB240_142
; %bb.141:
	global_load_ushort v1, v[3:4], off
	s_movk_i32 s0, 0x7fff
	v_mov_b32_e32 v6, 0x7fc0
	s_waitcnt vmcnt(0)
	v_cvt_f32_f16_e32 v5, v1
	v_cmp_o_f16_e32 vcc, v1, v1
	v_bfe_u32 v1, v5, 16, 1
	v_add3_u32 v1, v5, v1, s0
	v_cndmask_b32_sdwa v5, v6, v1, vcc dst_sel:DWORD dst_unused:UNUSED_PAD src0_sel:DWORD src1_sel:WORD_1
.LBB240_142:
	s_cbranch_execnz .LBB240_162
.LBB240_143:
	s_cmp_lt_i32 s38, 2
	s_cbranch_scc1 .LBB240_147
; %bb.144:
	s_cmp_lt_i32 s38, 3
	s_cbranch_scc1 .LBB240_148
; %bb.145:
	s_cmp_gt_i32 s38, 3
	s_cbranch_scc0 .LBB240_149
; %bb.146:
	global_load_dwordx2 v[5:6], v[3:4], off
	s_movk_i32 s0, 0x7fff
	s_waitcnt vmcnt(0)
	v_xor_b32_e32 v7, v5, v6
	v_ffbh_i32_e32 v1, v6
	v_ashrrev_i32_e32 v7, 31, v7
	v_add_u32_e32 v1, -1, v1
	v_add_u32_e32 v7, 32, v7
	v_min_u32_e32 v1, v1, v7
	v_lshlrev_b64 v[5:6], v1, v[5:6]
	v_sub_u32_e32 v1, 32, v1
	v_min_u32_e32 v5, 1, v5
	v_or_b32_e32 v5, v6, v5
	v_cvt_f32_i32_e32 v5, v5
	v_ldexp_f32 v1, v5, v1
	v_bfe_u32 v5, v1, 16, 1
	v_add3_u32 v1, v1, v5, s0
	v_lshrrev_b32_e32 v5, 16, v1
	s_mov_b64 s[0:1], 0
	s_branch .LBB240_150
.LBB240_147:
	s_mov_b64 s[0:1], -1
                                        ; implicit-def: $vgpr5
	s_branch .LBB240_156
.LBB240_148:
	s_mov_b64 s[0:1], -1
                                        ; implicit-def: $vgpr5
	s_branch .LBB240_153
.LBB240_149:
	s_mov_b64 s[0:1], -1
                                        ; implicit-def: $vgpr5
.LBB240_150:
	s_andn2_b64 vcc, exec, s[0:1]
	s_cbranch_vccnz .LBB240_152
; %bb.151:
	global_load_dword v1, v[3:4], off
	s_movk_i32 s0, 0x7fff
	s_waitcnt vmcnt(0)
	v_cvt_f32_i32_e32 v1, v1
	v_bfe_u32 v5, v1, 16, 1
	v_add3_u32 v1, v1, v5, s0
	v_lshrrev_b32_e32 v5, 16, v1
.LBB240_152:
	s_mov_b64 s[0:1], 0
.LBB240_153:
	s_andn2_b64 vcc, exec, s[0:1]
	s_cbranch_vccnz .LBB240_155
; %bb.154:
	global_load_sshort v1, v[3:4], off
	s_movk_i32 s0, 0x7fff
	s_waitcnt vmcnt(0)
	v_cvt_f32_i32_e32 v1, v1
	v_bfe_u32 v5, v1, 16, 1
	v_add3_u32 v1, v1, v5, s0
	v_lshrrev_b32_e32 v5, 16, v1
.LBB240_155:
	s_mov_b64 s[0:1], 0
.LBB240_156:
	s_andn2_b64 vcc, exec, s[0:1]
	s_cbranch_vccnz .LBB240_162
; %bb.157:
	s_cmp_gt_i32 s38, 0
	s_cbranch_scc0 .LBB240_159
; %bb.158:
	global_load_sbyte v1, v[3:4], off
	s_movk_i32 s0, 0x7fff
	s_waitcnt vmcnt(0)
	v_cvt_f32_i32_e32 v1, v1
	v_bfe_u32 v5, v1, 16, 1
	v_add3_u32 v1, v1, v5, s0
	v_lshrrev_b32_e32 v5, 16, v1
	s_mov_b64 s[0:1], 0
	s_branch .LBB240_160
.LBB240_159:
	s_mov_b64 s[0:1], -1
                                        ; implicit-def: $vgpr5
.LBB240_160:
	s_andn2_b64 vcc, exec, s[0:1]
	s_cbranch_vccnz .LBB240_162
; %bb.161:
	global_load_ubyte v1, v[3:4], off
	s_movk_i32 s0, 0x7fff
	s_waitcnt vmcnt(0)
	v_cvt_f32_ubyte0_e32 v1, v1
	v_bfe_u32 v3, v1, 16, 1
	v_add3_u32 v1, v1, v3, s0
	v_lshrrev_b32_e32 v5, 16, v1
.LBB240_162:
	s_branch .LBB240_22
.LBB240_163:
	s_mov_b64 s[0:1], 0
	s_mov_b64 s[40:41], 0
	s_branch .LBB240_392
.LBB240_164:
	s_mov_b64 s[40:41], -1
.LBB240_165:
	s_mov_b64 s[0:1], 0
                                        ; implicit-def: $vgpr3
.LBB240_166:
	s_and_b64 vcc, exec, s[38:39]
	s_cbranch_vccz .LBB240_282
; %bb.167:
	s_cmp_eq_u32 s51, 44
	s_cbranch_scc0 .LBB240_281
; %bb.168:
	global_load_ubyte v3, v[1:2], off
	s_movk_i32 s38, 0xff
	v_mov_b32_e32 v4, 0x7f800001
	v_mov_b32_e32 v6, 0x400000
	;; [unrolled: 1-line block ×3, first 2 shown]
	s_mov_b64 s[0:1], -1
	s_mov_b64 s[40:41], 0
	s_waitcnt vmcnt(0)
	v_lshlrev_b32_e32 v9, 23, v3
	v_cmp_ne_u32_e32 vcc, s38, v3
	v_cndmask_b32_e32 v4, v4, v9, vcc
	v_cmp_ne_u32_e32 vcc, 0, v3
	v_cndmask_b32_e32 v3, v6, v4, vcc
	v_add_u32_e32 v4, 0x7fff, v3
	v_cmp_o_f32_e32 vcc, v3, v3
	v_cndmask_b32_sdwa v3, v7, v4, vcc dst_sel:DWORD dst_unused:UNUSED_PAD src0_sel:DWORD src1_sel:WORD_1
	s_branch .LBB240_282
.LBB240_169:
	s_mov_b64 s[46:47], -1
	s_mov_b64 s[0:1], 0
	s_mov_b64 s[38:39], 0
.LBB240_170:
	s_and_b64 vcc, exec, s[46:47]
	s_cbranch_vccz .LBB240_175
; %bb.171:
	s_cmp_eq_u32 s53, 44
	s_mov_b64 s[0:1], -1
	s_cbranch_scc0 .LBB240_175
; %bb.172:
	v_and_b32_e32 v4, 0xffff, v2
	v_bfe_u32 v3, v4, 7, 8
	s_movk_i32 s0, 0xff
	v_cmp_ne_u32_e32 vcc, s0, v3
	v_mov_b32_e32 v5, 0xff
	s_and_saveexec_b64 s[38:39], vcc
	s_cbranch_execz .LBB240_174
; %bb.173:
	v_lshlrev_b32_e32 v6, 16, v4
	s_mov_b32 s0, 0x3f0000
	v_lshrrev_b32_e32 v5, 7, v4
	v_and_b32_e32 v4, 64, v4
	v_and_or_b32 v3, v6, s0, v3
	v_cmp_ne_u32_e32 vcc, 0, v4
	v_cmp_ne_u32_e64 s[0:1], 0, v3
	s_and_b64 s[0:1], vcc, s[0:1]
	v_cndmask_b32_e64 v3, 0, 1, s[0:1]
	v_add_u32_e32 v5, v5, v3
.LBB240_174:
	s_or_b64 exec, exec, s[38:39]
	s_mov_b64 s[38:39], -1
	s_mov_b64 s[0:1], 0
	global_store_byte v[0:1], v5, off
.LBB240_175:
	s_mov_b64 s[46:47], 0
.LBB240_176:
	s_and_b64 vcc, exec, s[46:47]
	s_cbranch_vccz .LBB240_179
; %bb.177:
	s_cmp_eq_u32 s53, 29
	s_mov_b64 s[0:1], -1
	s_cbranch_scc0 .LBB240_179
; %bb.178:
	v_lshlrev_b32_e32 v3, 16, v2
	v_trunc_f32_e32 v3, v3
	v_mul_f32_e32 v4, 0x2f800000, v3
	v_floor_f32_e32 v5, v4
	v_fmac_f32_e32 v3, 0xcf800000, v5
	v_cvt_u32_f32_e32 v4, v5
	v_cvt_u32_f32_e32 v3, v3
	s_mov_b64 s[38:39], -1
	s_mov_b64 s[0:1], 0
	s_mov_b64 s[46:47], 0
	global_store_dwordx2 v[0:1], v[3:4], off
	s_branch .LBB240_180
.LBB240_179:
	s_mov_b64 s[46:47], 0
.LBB240_180:
	s_and_b64 vcc, exec, s[46:47]
	s_cbranch_vccz .LBB240_196
; %bb.181:
	s_cmp_lt_i32 s53, 27
	s_mov_b64 s[38:39], -1
	s_cbranch_scc1 .LBB240_187
; %bb.182:
	s_cmp_gt_i32 s53, 27
	s_cbranch_scc0 .LBB240_184
; %bb.183:
	v_lshlrev_b32_e32 v3, 16, v2
	v_cvt_u32_f32_e32 v3, v3
	s_mov_b64 s[38:39], 0
	global_store_dword v[0:1], v3, off
.LBB240_184:
	s_andn2_b64 vcc, exec, s[38:39]
	s_cbranch_vccnz .LBB240_186
; %bb.185:
	v_lshlrev_b32_e32 v3, 16, v2
	v_cvt_u32_f32_e32 v3, v3
	global_store_short v[0:1], v3, off
.LBB240_186:
	s_mov_b64 s[38:39], 0
.LBB240_187:
	s_andn2_b64 vcc, exec, s[38:39]
	s_cbranch_vccnz .LBB240_195
; %bb.188:
	v_lshlrev_b32_e32 v5, 16, v2
	v_and_b32_e32 v4, 0x7fffffff, v5
	s_mov_b32 s38, 0x43800000
	v_cmp_gt_u32_e32 vcc, s38, v4
	v_mov_b32_e32 v6, 0x80
	s_and_saveexec_b64 s[38:39], vcc
	s_cbranch_execz .LBB240_194
; %bb.189:
	s_mov_b32 s46, 0x3bffffff
	v_and_b32_e32 v3, 0xffff, v2
	v_cmp_lt_u32_e32 vcc, s46, v4
	s_mov_b64 s[46:47], 0
                                        ; implicit-def: $vgpr4
	s_and_saveexec_b64 s[50:51], vcc
	s_xor_b64 s[50:51], exec, s[50:51]
	s_cbranch_execz .LBB240_434
; %bb.190:
	v_bfe_u32 v4, v3, 4, 1
	s_mov_b32 s54, 0x487ffff
	v_add3_u32 v4, v5, v4, s54
	s_mov_b64 s[46:47], exec
	v_lshrrev_b32_e32 v4, 20, v4
                                        ; implicit-def: $vgpr5
	s_andn2_saveexec_b64 s[50:51], s[50:51]
	s_cbranch_execnz .LBB240_435
.LBB240_191:
	s_or_b64 exec, exec, s[50:51]
	v_mov_b32_e32 v6, 0
	s_and_saveexec_b64 s[50:51], s[46:47]
.LBB240_192:
	v_lshrrev_b32_e32 v3, 8, v3
	s_movk_i32 s46, 0x80
	v_and_or_b32 v6, v3, s46, v4
.LBB240_193:
	s_or_b64 exec, exec, s[50:51]
.LBB240_194:
	s_or_b64 exec, exec, s[38:39]
	global_store_byte v[0:1], v6, off
.LBB240_195:
	s_mov_b64 s[38:39], -1
.LBB240_196:
	s_mov_b64 s[46:47], 0
.LBB240_197:
	s_and_b64 vcc, exec, s[46:47]
	s_cbranch_vccz .LBB240_238
; %bb.198:
	s_cmp_gt_i32 s53, 22
	s_mov_b64 s[46:47], -1
	s_cbranch_scc0 .LBB240_230
; %bb.199:
	s_cmp_lt_i32 s53, 24
	s_mov_b64 s[38:39], -1
	s_cbranch_scc1 .LBB240_219
; %bb.200:
	s_cmp_gt_i32 s53, 24
	s_cbranch_scc0 .LBB240_208
; %bb.201:
	v_lshlrev_b32_e32 v5, 16, v2
	v_and_b32_e32 v4, 0x7fffffff, v5
	s_mov_b32 s38, 0x47800000
	v_cmp_gt_u32_e32 vcc, s38, v4
	v_mov_b32_e32 v6, 0x80
	s_and_saveexec_b64 s[38:39], vcc
	s_cbranch_execz .LBB240_207
; %bb.202:
	s_mov_b32 s46, 0x37ffffff
	v_and_b32_e32 v3, 0xffff, v2
	v_cmp_lt_u32_e32 vcc, s46, v4
	s_mov_b64 s[46:47], 0
                                        ; implicit-def: $vgpr4
	s_and_saveexec_b64 s[50:51], vcc
	s_xor_b64 s[50:51], exec, s[50:51]
	s_cbranch_execz .LBB240_553
; %bb.203:
	v_bfe_u32 v4, v3, 5, 1
	s_mov_b32 s54, 0x88fffff
	v_add3_u32 v4, v5, v4, s54
	s_mov_b64 s[46:47], exec
	v_lshrrev_b32_e32 v4, 21, v4
                                        ; implicit-def: $vgpr5
	s_andn2_saveexec_b64 s[50:51], s[50:51]
	s_cbranch_execnz .LBB240_554
.LBB240_204:
	s_or_b64 exec, exec, s[50:51]
	v_mov_b32_e32 v6, 0
	s_and_saveexec_b64 s[50:51], s[46:47]
.LBB240_205:
	v_lshrrev_b32_e32 v3, 8, v3
	s_movk_i32 s46, 0x80
	v_and_or_b32 v6, v3, s46, v4
.LBB240_206:
	s_or_b64 exec, exec, s[50:51]
.LBB240_207:
	s_or_b64 exec, exec, s[38:39]
	s_mov_b64 s[38:39], 0
	global_store_byte v[0:1], v6, off
.LBB240_208:
	s_and_b64 vcc, exec, s[38:39]
	s_cbranch_vccz .LBB240_218
; %bb.209:
	v_lshlrev_b32_e32 v5, 16, v2
	v_and_b32_e32 v6, 0x7fffffff, v5
	s_mov_b32 s38, 0x43f00000
	v_and_b32_e32 v3, 0xffff, v2
	v_cmp_gt_u32_e32 vcc, s38, v6
                                        ; implicit-def: $vgpr4
	s_and_saveexec_b64 s[38:39], vcc
	s_xor_b64 s[38:39], exec, s[38:39]
	s_cbranch_execz .LBB240_215
; %bb.210:
	s_mov_b32 s46, 0x3c7fffff
	v_cmp_lt_u32_e32 vcc, s46, v6
                                        ; implicit-def: $vgpr4
	s_and_saveexec_b64 s[46:47], vcc
	s_xor_b64 s[46:47], exec, s[46:47]
; %bb.211:
	v_bfe_u32 v4, v3, 4, 1
	s_mov_b32 s50, 0x407ffff
	v_add3_u32 v4, v5, v4, s50
	v_lshrrev_b32_e32 v5, 20, v4
	v_and_b32_e32 v4, 0xff00000, v4
	s_mov_b32 s50, 0x7f00000
	v_mov_b32_e32 v6, 0x7e
	v_cmp_ne_u32_e32 vcc, s50, v4
	v_cndmask_b32_e32 v4, v6, v5, vcc
                                        ; implicit-def: $vgpr5
; %bb.212:
	s_andn2_saveexec_b64 s[46:47], s[46:47]
; %bb.213:
	s_mov_b32 s50, 0x46800000
	v_add_f32_e64 v4, |v5|, s50
; %bb.214:
	s_or_b64 exec, exec, s[46:47]
                                        ; implicit-def: $vgpr6
.LBB240_215:
	s_andn2_saveexec_b64 s[38:39], s[38:39]
; %bb.216:
	s_mov_b32 s46, 0x7f800000
	v_mov_b32_e32 v4, 0x7e
	v_mov_b32_e32 v5, 0x7f
	v_cmp_lt_u32_e32 vcc, s46, v6
	v_cndmask_b32_e32 v4, v4, v5, vcc
; %bb.217:
	s_or_b64 exec, exec, s[38:39]
	v_lshrrev_b32_e32 v3, 8, v3
	s_movk_i32 s38, 0x80
	v_and_or_b32 v3, v3, s38, v4
	global_store_byte v[0:1], v3, off
.LBB240_218:
	s_mov_b64 s[38:39], 0
.LBB240_219:
	s_andn2_b64 vcc, exec, s[38:39]
	s_cbranch_vccnz .LBB240_229
; %bb.220:
	v_lshlrev_b32_e32 v5, 16, v2
	v_and_b32_e32 v6, 0x7fffffff, v5
	s_mov_b32 s38, 0x47800000
	v_and_b32_e32 v3, 0xffff, v2
	v_cmp_gt_u32_e32 vcc, s38, v6
                                        ; implicit-def: $vgpr4
	s_and_saveexec_b64 s[38:39], vcc
	s_xor_b64 s[38:39], exec, s[38:39]
	s_cbranch_execz .LBB240_226
; %bb.221:
	s_mov_b32 s46, 0x387fffff
	v_cmp_lt_u32_e32 vcc, s46, v6
                                        ; implicit-def: $vgpr4
	s_and_saveexec_b64 s[46:47], vcc
	s_xor_b64 s[46:47], exec, s[46:47]
; %bb.222:
	v_bfe_u32 v4, v3, 5, 1
	s_mov_b32 s50, 0x80fffff
	v_add3_u32 v4, v5, v4, s50
	v_lshrrev_b32_e32 v4, 21, v4
                                        ; implicit-def: $vgpr5
; %bb.223:
	s_andn2_saveexec_b64 s[46:47], s[46:47]
; %bb.224:
	s_mov_b32 s50, 0x43000000
	v_add_f32_e64 v4, |v5|, s50
; %bb.225:
	s_or_b64 exec, exec, s[46:47]
                                        ; implicit-def: $vgpr6
.LBB240_226:
	s_andn2_saveexec_b64 s[38:39], s[38:39]
; %bb.227:
	s_mov_b32 s46, 0x7f800000
	v_mov_b32_e32 v4, 0x7c
	v_mov_b32_e32 v5, 0x7f
	v_cmp_lt_u32_e32 vcc, s46, v6
	v_cndmask_b32_e32 v4, v4, v5, vcc
; %bb.228:
	s_or_b64 exec, exec, s[38:39]
	v_lshrrev_b32_e32 v3, 8, v3
	s_movk_i32 s38, 0x80
	v_and_or_b32 v3, v3, s38, v4
	global_store_byte v[0:1], v3, off
.LBB240_229:
	s_mov_b64 s[46:47], 0
	s_mov_b64 s[38:39], -1
.LBB240_230:
	s_andn2_b64 vcc, exec, s[46:47]
	s_cbranch_vccnz .LBB240_238
; %bb.231:
	s_cmp_gt_i32 s53, 14
	s_mov_b64 s[46:47], -1
	s_cbranch_scc0 .LBB240_235
; %bb.232:
	s_cmp_eq_u32 s53, 15
	s_mov_b64 s[0:1], -1
	s_cbranch_scc0 .LBB240_234
; %bb.233:
	global_store_short v[0:1], v2, off
	s_mov_b64 s[38:39], -1
	s_mov_b64 s[0:1], 0
.LBB240_234:
	s_mov_b64 s[46:47], 0
.LBB240_235:
	s_and_b64 vcc, exec, s[46:47]
	s_cbranch_vccz .LBB240_238
; %bb.236:
	s_cmp_eq_u32 s53, 11
	s_mov_b64 s[0:1], -1
	s_cbranch_scc0 .LBB240_238
; %bb.237:
	v_and_b32_e32 v3, 0x7fff, v2
	v_cmp_ne_u16_e32 vcc, 0, v3
	v_cndmask_b32_e64 v3, 0, 1, vcc
	s_mov_b64 s[38:39], -1
	s_mov_b64 s[0:1], 0
	global_store_byte v[0:1], v3, off
.LBB240_238:
	s_mov_b64 s[46:47], 0
.LBB240_239:
	s_and_b64 vcc, exec, s[46:47]
	s_cbranch_vccz .LBB240_278
; %bb.240:
	s_and_b32 s46, 0xffff, s52
	s_cmp_lt_i32 s46, 5
	s_mov_b64 s[38:39], -1
	s_cbranch_scc1 .LBB240_261
; %bb.241:
	s_cmp_lt_i32 s46, 8
	s_cbranch_scc1 .LBB240_251
; %bb.242:
	s_cmp_lt_i32 s46, 9
	s_cbranch_scc1 .LBB240_248
; %bb.243:
	s_cmp_gt_i32 s46, 9
	s_cbranch_scc0 .LBB240_245
; %bb.244:
	v_lshlrev_b32_e32 v3, 16, v2
	v_cvt_f64_f32_e32 v[3:4], v3
	v_mov_b32_e32 v5, 0
	v_mov_b32_e32 v6, v5
	s_mov_b64 s[38:39], 0
	global_store_dwordx4 v[0:1], v[3:6], off
.LBB240_245:
	s_andn2_b64 vcc, exec, s[38:39]
	s_cbranch_vccnz .LBB240_247
; %bb.246:
	v_lshlrev_b32_e32 v3, 16, v2
	v_mov_b32_e32 v4, 0
	global_store_dwordx2 v[0:1], v[3:4], off
.LBB240_247:
	s_mov_b64 s[38:39], 0
.LBB240_248:
	s_andn2_b64 vcc, exec, s[38:39]
	s_cbranch_vccnz .LBB240_250
; %bb.249:
	v_lshlrev_b32_e32 v3, 16, v2
	v_cvt_f16_f32_e32 v3, v3
	global_store_dword v[0:1], v3, off
.LBB240_250:
	s_mov_b64 s[38:39], 0
.LBB240_251:
	s_andn2_b64 vcc, exec, s[38:39]
	s_cbranch_vccnz .LBB240_260
; %bb.252:
	s_cmp_lt_i32 s46, 6
	s_mov_b64 s[38:39], -1
	s_cbranch_scc1 .LBB240_258
; %bb.253:
	s_cmp_gt_i32 s46, 6
	s_cbranch_scc0 .LBB240_255
; %bb.254:
	v_lshlrev_b32_e32 v3, 16, v2
	v_cvt_f64_f32_e32 v[3:4], v3
	s_mov_b64 s[38:39], 0
	global_store_dwordx2 v[0:1], v[3:4], off
.LBB240_255:
	s_andn2_b64 vcc, exec, s[38:39]
	s_cbranch_vccnz .LBB240_257
; %bb.256:
	v_lshlrev_b32_e32 v3, 16, v2
	global_store_dword v[0:1], v3, off
.LBB240_257:
	s_mov_b64 s[38:39], 0
.LBB240_258:
	s_andn2_b64 vcc, exec, s[38:39]
	s_cbranch_vccnz .LBB240_260
; %bb.259:
	v_lshlrev_b32_e32 v3, 16, v2
	v_cvt_f16_f32_e32 v3, v3
	global_store_short v[0:1], v3, off
.LBB240_260:
	s_mov_b64 s[38:39], 0
.LBB240_261:
	s_andn2_b64 vcc, exec, s[38:39]
	s_cbranch_vccnz .LBB240_277
; %bb.262:
	s_cmp_lt_i32 s46, 2
	s_mov_b64 s[38:39], -1
	s_cbranch_scc1 .LBB240_272
; %bb.263:
	s_cmp_lt_i32 s46, 3
	s_cbranch_scc1 .LBB240_269
; %bb.264:
	s_cmp_gt_i32 s46, 3
	s_cbranch_scc0 .LBB240_266
; %bb.265:
	v_lshlrev_b32_e32 v3, 16, v2
	v_trunc_f32_e32 v3, v3
	s_mov_b32 s38, 0x2f800000
	v_mul_f32_e64 v4, |v3|, s38
	v_floor_f32_e32 v4, v4
	s_mov_b32 s38, 0xcf800000
	v_cvt_u32_f32_e32 v5, v4
	v_fma_f32 v4, v4, s38, |v3|
	v_cvt_u32_f32_e32 v4, v4
	v_ashrrev_i32_e32 v6, 31, v3
	v_xor_b32_e32 v5, v5, v6
	s_mov_b64 s[38:39], 0
	v_xor_b32_e32 v3, v4, v6
	v_sub_co_u32_e32 v3, vcc, v3, v6
	v_subb_co_u32_e32 v4, vcc, v5, v6, vcc
	global_store_dwordx2 v[0:1], v[3:4], off
.LBB240_266:
	s_andn2_b64 vcc, exec, s[38:39]
	s_cbranch_vccnz .LBB240_268
; %bb.267:
	v_lshlrev_b32_e32 v3, 16, v2
	v_cvt_i32_f32_e32 v3, v3
	global_store_dword v[0:1], v3, off
.LBB240_268:
	s_mov_b64 s[38:39], 0
.LBB240_269:
	s_andn2_b64 vcc, exec, s[38:39]
	s_cbranch_vccnz .LBB240_271
; %bb.270:
	v_lshlrev_b32_e32 v3, 16, v2
	v_cvt_i32_f32_e32 v3, v3
	global_store_short v[0:1], v3, off
.LBB240_271:
	s_mov_b64 s[38:39], 0
.LBB240_272:
	s_andn2_b64 vcc, exec, s[38:39]
	s_cbranch_vccnz .LBB240_277
; %bb.273:
	s_cmp_gt_i32 s46, 0
	s_mov_b64 s[38:39], -1
	s_cbranch_scc0 .LBB240_275
; %bb.274:
	v_lshlrev_b32_e32 v3, 16, v2
	v_cvt_i32_f32_e32 v3, v3
	s_mov_b64 s[38:39], 0
	global_store_byte v[0:1], v3, off
.LBB240_275:
	s_andn2_b64 vcc, exec, s[38:39]
	s_cbranch_vccnz .LBB240_277
; %bb.276:
	v_lshlrev_b32_e32 v2, 16, v2
	v_trunc_f32_e32 v2, v2
	s_mov_b32 s38, 0x2f800000
	v_mul_f32_e64 v3, |v2|, s38
	v_floor_f32_e32 v3, v3
	s_mov_b32 s38, 0xcf800000
	v_fma_f32 v3, v3, s38, |v2|
	v_cvt_u32_f32_e32 v3, v3
	v_ashrrev_i32_e32 v2, 31, v2
	v_xor_b32_e32 v3, v3, v2
	v_sub_u32_e32 v2, v3, v2
	global_store_byte v[0:1], v2, off
.LBB240_277:
	s_mov_b64 s[38:39], -1
.LBB240_278:
	s_andn2_b64 vcc, exec, s[38:39]
	s_cbranch_vccnz .LBB240_280
; %bb.279:
	v_add_u32_e32 v8, 0x80, v8
	s_mov_b64 s[46:47], -1
	s_branch .LBB240_393
.LBB240_280:
	s_mov_b64 s[46:47], 0
                                        ; implicit-def: $vgpr8
	s_branch .LBB240_393
.LBB240_281:
	s_mov_b64 s[40:41], -1
                                        ; implicit-def: $vgpr3
.LBB240_282:
	s_mov_b64 s[38:39], 0
.LBB240_283:
	s_and_b64 vcc, exec, s[38:39]
	s_cbranch_vccz .LBB240_287
; %bb.284:
	s_cmp_eq_u32 s51, 29
	s_cbranch_scc0 .LBB240_286
; %bb.285:
	global_load_dwordx2 v[3:4], v[1:2], off
	s_movk_i32 s38, 0x7fff
	s_mov_b64 s[0:1], -1
	s_mov_b64 s[40:41], 0
	s_waitcnt vmcnt(0)
	v_ffbh_u32_e32 v6, v4
	v_min_u32_e32 v6, 32, v6
	v_lshlrev_b64 v[3:4], v6, v[3:4]
	v_min_u32_e32 v3, 1, v3
	v_or_b32_e32 v3, v4, v3
	v_cvt_f32_u32_e32 v3, v3
	v_sub_u32_e32 v4, 32, v6
	v_ldexp_f32 v3, v3, v4
	v_bfe_u32 v4, v3, 16, 1
	v_add3_u32 v3, v3, v4, s38
	v_lshrrev_b32_e32 v3, 16, v3
	s_branch .LBB240_287
.LBB240_286:
	s_mov_b64 s[40:41], -1
                                        ; implicit-def: $vgpr3
.LBB240_287:
	s_mov_b64 s[38:39], 0
.LBB240_288:
	s_and_b64 vcc, exec, s[38:39]
	s_cbranch_vccz .LBB240_306
; %bb.289:
	s_cmp_lt_i32 s51, 27
	s_cbranch_scc1 .LBB240_292
; %bb.290:
	s_cmp_gt_i32 s51, 27
	s_cbranch_scc0 .LBB240_293
; %bb.291:
	global_load_dword v3, v[1:2], off
	s_movk_i32 s0, 0x7fff
	s_waitcnt vmcnt(0)
	v_cvt_f32_u32_e32 v3, v3
	v_bfe_u32 v4, v3, 16, 1
	v_add3_u32 v3, v3, v4, s0
	v_lshrrev_b32_e32 v3, 16, v3
	s_mov_b64 s[0:1], 0
	s_branch .LBB240_294
.LBB240_292:
	s_mov_b64 s[0:1], -1
                                        ; implicit-def: $vgpr3
	s_branch .LBB240_297
.LBB240_293:
	s_mov_b64 s[0:1], -1
                                        ; implicit-def: $vgpr3
.LBB240_294:
	s_andn2_b64 vcc, exec, s[0:1]
	s_cbranch_vccnz .LBB240_296
; %bb.295:
	global_load_ushort v3, v[1:2], off
	s_movk_i32 s0, 0x7fff
	s_waitcnt vmcnt(0)
	v_cvt_f32_u32_e32 v3, v3
	v_bfe_u32 v4, v3, 16, 1
	v_add3_u32 v3, v3, v4, s0
	v_lshrrev_b32_e32 v3, 16, v3
.LBB240_296:
	s_mov_b64 s[0:1], 0
.LBB240_297:
	s_andn2_b64 vcc, exec, s[0:1]
	s_cbranch_vccnz .LBB240_305
; %bb.298:
	global_load_ubyte v3, v[1:2], off
	s_movk_i32 s0, 0x7f
	s_waitcnt vmcnt(0)
	v_cmp_lt_i16_e32 vcc, s0, v3
	s_mov_b64 s[0:1], 0
	s_and_saveexec_b64 s[38:39], vcc
	s_xor_b64 s[38:39], exec, s[38:39]
	s_cbranch_execz .LBB240_319
; %bb.299:
	s_movk_i32 s0, 0x80
	v_cmp_eq_u16_e32 vcc, s0, v3
	s_mov_b64 s[0:1], -1
	s_and_saveexec_b64 s[46:47], vcc
; %bb.300:
	s_xor_b64 s[0:1], exec, -1
; %bb.301:
	s_or_b64 exec, exec, s[46:47]
	s_and_b64 s[0:1], s[0:1], exec
	s_or_saveexec_b64 s[38:39], s[38:39]
	v_mov_b32_e32 v4, 0x7f800001
	s_xor_b64 exec, exec, s[38:39]
	s_cbranch_execnz .LBB240_320
.LBB240_302:
	s_or_b64 exec, exec, s[38:39]
	s_and_saveexec_b64 s[38:39], s[0:1]
	s_cbranch_execz .LBB240_304
.LBB240_303:
	v_lshlrev_b32_e32 v4, 24, v3
	v_and_b32_e32 v3, 0xffff, v3
	v_and_b32_e32 v6, 7, v3
	v_ffbh_u32_e32 v9, v6
	v_min_u32_e32 v9, 32, v9
	v_subrev_u32_e32 v10, 28, v9
	v_bfe_u32 v7, v3, 3, 4
	v_lshlrev_b32_e32 v3, v10, v3
	v_sub_u32_e32 v9, 29, v9
	v_and_b32_e32 v3, 7, v3
	v_cmp_eq_u32_e32 vcc, 0, v7
	v_cndmask_b32_e32 v7, v7, v9, vcc
	v_cndmask_b32_e32 v3, v6, v3, vcc
	v_mov_b32_e32 v6, 0x3b800000
	v_lshlrev_b32_e32 v3, 20, v3
	v_and_b32_e32 v4, 0x80000000, v4
	v_lshl_add_u32 v6, v7, 23, v6
	v_or3_b32 v4, v4, v6, v3
.LBB240_304:
	s_or_b64 exec, exec, s[38:39]
	v_bfe_u32 v3, v4, 16, 1
	s_movk_i32 s0, 0x7fff
	v_add3_u32 v3, v4, v3, s0
	v_cmp_o_f32_e32 vcc, v4, v4
	v_mov_b32_e32 v4, 0x7fc0
	v_cndmask_b32_sdwa v3, v4, v3, vcc dst_sel:DWORD dst_unused:UNUSED_PAD src0_sel:DWORD src1_sel:WORD_1
.LBB240_305:
	s_mov_b64 s[0:1], -1
.LBB240_306:
	s_mov_b64 s[38:39], 0
.LBB240_307:
	s_and_b64 vcc, exec, s[38:39]
	s_cbranch_vccz .LBB240_342
; %bb.308:
	s_cmp_gt_i32 s51, 22
	s_cbranch_scc0 .LBB240_318
; %bb.309:
	s_cmp_lt_i32 s51, 24
	s_cbranch_scc1 .LBB240_321
; %bb.310:
	s_cmp_gt_i32 s51, 24
	s_cbranch_scc0 .LBB240_322
; %bb.311:
	global_load_ubyte v3, v[1:2], off
	s_movk_i32 s0, 0x7f
	s_waitcnt vmcnt(0)
	v_cmp_lt_i16_e32 vcc, s0, v3
	s_mov_b64 s[0:1], 0
	s_and_saveexec_b64 s[38:39], vcc
	s_xor_b64 s[38:39], exec, s[38:39]
	s_cbranch_execz .LBB240_334
; %bb.312:
	s_movk_i32 s0, 0x80
	v_cmp_eq_u16_e32 vcc, s0, v3
	s_mov_b64 s[0:1], -1
	s_and_saveexec_b64 s[46:47], vcc
; %bb.313:
	s_xor_b64 s[0:1], exec, -1
; %bb.314:
	s_or_b64 exec, exec, s[46:47]
	s_and_b64 s[0:1], s[0:1], exec
	s_or_saveexec_b64 s[38:39], s[38:39]
	v_mov_b32_e32 v4, 0x7f800001
	s_xor_b64 exec, exec, s[38:39]
	s_cbranch_execnz .LBB240_335
.LBB240_315:
	s_or_b64 exec, exec, s[38:39]
	s_and_saveexec_b64 s[38:39], s[0:1]
	s_cbranch_execz .LBB240_317
.LBB240_316:
	v_lshlrev_b32_e32 v4, 24, v3
	v_and_b32_e32 v3, 0xffff, v3
	v_and_b32_e32 v6, 3, v3
	v_ffbh_u32_e32 v9, v6
	v_min_u32_e32 v9, 32, v9
	v_subrev_u32_e32 v10, 29, v9
	v_bfe_u32 v7, v3, 2, 5
	v_lshlrev_b32_e32 v3, v10, v3
	v_sub_u32_e32 v9, 30, v9
	v_and_b32_e32 v3, 3, v3
	v_cmp_eq_u32_e32 vcc, 0, v7
	v_cndmask_b32_e32 v7, v7, v9, vcc
	v_cndmask_b32_e32 v3, v6, v3, vcc
	v_mov_b32_e32 v6, 0x37800000
	v_lshlrev_b32_e32 v3, 21, v3
	v_and_b32_e32 v4, 0x80000000, v4
	v_lshl_add_u32 v6, v7, 23, v6
	v_or3_b32 v4, v4, v6, v3
.LBB240_317:
	s_or_b64 exec, exec, s[38:39]
	v_bfe_u32 v3, v4, 16, 1
	s_movk_i32 s0, 0x7fff
	v_add3_u32 v3, v4, v3, s0
	v_cmp_o_f32_e32 vcc, v4, v4
	v_mov_b32_e32 v4, 0x7fc0
	v_cndmask_b32_sdwa v3, v4, v3, vcc dst_sel:DWORD dst_unused:UNUSED_PAD src0_sel:DWORD src1_sel:WORD_1
	s_mov_b64 s[0:1], 0
	s_branch .LBB240_323
.LBB240_318:
	s_mov_b64 s[38:39], -1
                                        ; implicit-def: $vgpr3
	s_branch .LBB240_329
.LBB240_319:
	s_or_saveexec_b64 s[38:39], s[38:39]
	v_mov_b32_e32 v4, 0x7f800001
	s_xor_b64 exec, exec, s[38:39]
	s_cbranch_execz .LBB240_302
.LBB240_320:
	v_cmp_ne_u16_e32 vcc, 0, v3
	s_andn2_b64 s[0:1], s[0:1], exec
	s_and_b64 s[46:47], vcc, exec
	v_mov_b32_e32 v4, 0
	s_or_b64 s[0:1], s[0:1], s[46:47]
	s_or_b64 exec, exec, s[38:39]
	s_and_saveexec_b64 s[38:39], s[0:1]
	s_cbranch_execnz .LBB240_303
	s_branch .LBB240_304
.LBB240_321:
	s_mov_b64 s[0:1], -1
                                        ; implicit-def: $vgpr3
	s_branch .LBB240_326
.LBB240_322:
	s_mov_b64 s[0:1], -1
                                        ; implicit-def: $vgpr3
.LBB240_323:
	s_and_b64 vcc, exec, s[0:1]
	s_cbranch_vccz .LBB240_325
; %bb.324:
	global_load_ubyte v3, v[1:2], off
	s_mov_b32 s0, 0x7f800000
	s_brev_b32 s1, 1
	s_movk_i32 s38, 0x7fff
	s_waitcnt vmcnt(0)
	v_lshlrev_b32_e32 v3, 24, v3
	v_and_b32_e32 v4, 0x7f000000, v3
	v_ffbh_u32_e32 v6, v4
	v_min_u32_e32 v6, 32, v6
	v_sub_u32_e64 v6, v6, 4 clamp
	v_lshlrev_b32_e32 v9, v6, v4
	v_lshlrev_b32_e32 v6, 23, v6
	v_lshrrev_b32_e32 v9, 4, v9
	v_add_u32_e32 v7, 0x1000000, v4
	v_sub_u32_e32 v6, v9, v6
	v_ashrrev_i32_e32 v7, 8, v7
	v_add_u32_e32 v6, 0x3c000000, v6
	v_and_or_b32 v6, v7, s0, v6
	v_cmp_ne_u32_e32 vcc, 0, v4
	v_cndmask_b32_e32 v4, 0, v6, vcc
	v_and_or_b32 v3, v3, s1, v4
	v_bfe_u32 v4, v4, 16, 1
	v_add3_u32 v4, v3, v4, s38
	v_cmp_o_f32_e32 vcc, v3, v3
	v_mov_b32_e32 v3, 0x7fc0
	v_cndmask_b32_sdwa v3, v3, v4, vcc dst_sel:DWORD dst_unused:UNUSED_PAD src0_sel:DWORD src1_sel:WORD_1
.LBB240_325:
	s_mov_b64 s[0:1], 0
.LBB240_326:
	s_andn2_b64 vcc, exec, s[0:1]
	s_cbranch_vccnz .LBB240_328
; %bb.327:
	global_load_ubyte v3, v[1:2], off
	s_movk_i32 s0, 0x7f00
	s_brev_b32 s1, 16
	s_brev_b32 s38, 1
	s_movk_i32 s39, 0x7fff
	s_waitcnt vmcnt(0)
	v_lshlrev_b16_e32 v4, 8, v3
	v_lshlrev_b32_e32 v3, 25, v3
	v_lshrrev_b32_e32 v6, 4, v3
	v_and_or_b32 v7, v4, s0, 0.5
	v_or_b32_e32 v6, 0x70000000, v6
	v_add_f32_e32 v7, -0.5, v7
	v_mul_f32_e32 v6, 0x7800000, v6
	v_cmp_gt_u32_e32 vcc, s1, v3
	v_bfe_i32 v4, v4, 0, 16
	v_cndmask_b32_e32 v3, v6, v7, vcc
	v_and_or_b32 v4, v4, s38, v3
	v_bfe_u32 v3, v3, 16, 1
	v_add3_u32 v3, v4, v3, s39
	v_cmp_o_f32_e32 vcc, v4, v4
	v_mov_b32_e32 v4, 0x7fc0
	v_cndmask_b32_sdwa v3, v4, v3, vcc dst_sel:DWORD dst_unused:UNUSED_PAD src0_sel:DWORD src1_sel:WORD_1
.LBB240_328:
	s_mov_b64 s[38:39], 0
	s_mov_b64 s[0:1], -1
.LBB240_329:
	s_andn2_b64 vcc, exec, s[38:39]
	s_cbranch_vccnz .LBB240_342
; %bb.330:
	s_cmp_gt_i32 s51, 14
	s_cbranch_scc0 .LBB240_333
; %bb.331:
	s_cmp_eq_u32 s51, 15
	s_cbranch_scc0 .LBB240_336
; %bb.332:
	global_load_ushort v3, v[1:2], off
	s_mov_b64 s[0:1], -1
	s_mov_b64 s[40:41], 0
	s_branch .LBB240_337
.LBB240_333:
	s_mov_b64 s[38:39], -1
                                        ; implicit-def: $vgpr3
	s_branch .LBB240_338
.LBB240_334:
	s_or_saveexec_b64 s[38:39], s[38:39]
	v_mov_b32_e32 v4, 0x7f800001
	s_xor_b64 exec, exec, s[38:39]
	s_cbranch_execz .LBB240_315
.LBB240_335:
	v_cmp_ne_u16_e32 vcc, 0, v3
	s_andn2_b64 s[0:1], s[0:1], exec
	s_and_b64 s[46:47], vcc, exec
	v_mov_b32_e32 v4, 0
	s_or_b64 s[0:1], s[0:1], s[46:47]
	s_or_b64 exec, exec, s[38:39]
	s_and_saveexec_b64 s[38:39], s[0:1]
	s_cbranch_execnz .LBB240_316
	s_branch .LBB240_317
.LBB240_336:
	s_mov_b64 s[40:41], -1
                                        ; implicit-def: $vgpr3
.LBB240_337:
	s_mov_b64 s[38:39], 0
.LBB240_338:
	s_and_b64 vcc, exec, s[38:39]
	s_cbranch_vccz .LBB240_342
; %bb.339:
	s_cmp_eq_u32 s51, 11
	s_cbranch_scc0 .LBB240_341
; %bb.340:
	global_load_ubyte v3, v[1:2], off
	s_mov_b64 s[0:1], -1
	s_mov_b64 s[40:41], 0
	s_waitcnt vmcnt(0)
	v_cmp_ne_u16_e32 vcc, 0, v3
	v_cndmask_b32_e64 v3, 0, 1.0, vcc
	v_lshrrev_b32_e32 v3, 16, v3
	s_branch .LBB240_342
.LBB240_341:
	s_mov_b64 s[40:41], -1
                                        ; implicit-def: $vgpr3
.LBB240_342:
	s_branch .LBB240_31
.LBB240_343:
	s_and_b32 s38, 0xffff, s50
	s_cmp_lt_i32 s38, 5
	s_cbranch_scc1 .LBB240_348
; %bb.344:
	s_cmp_lt_i32 s38, 8
	s_cbranch_scc1 .LBB240_349
; %bb.345:
	;; [unrolled: 3-line block ×3, first 2 shown]
	s_cmp_gt_i32 s38, 9
	s_cbranch_scc0 .LBB240_351
; %bb.347:
	global_load_dwordx2 v[3:4], v[1:2], off
	s_movk_i32 s0, 0x7fff
	s_waitcnt vmcnt(0)
	v_cvt_f32_f64_e32 v3, v[3:4]
	v_mov_b32_e32 v4, 0x7fc0
	v_bfe_u32 v6, v3, 16, 1
	v_cmp_o_f32_e32 vcc, v3, v3
	v_add3_u32 v3, v3, v6, s0
	v_cndmask_b32_sdwa v3, v4, v3, vcc dst_sel:DWORD dst_unused:UNUSED_PAD src0_sel:DWORD src1_sel:WORD_1
	s_mov_b64 s[0:1], 0
	s_branch .LBB240_352
.LBB240_348:
	s_mov_b64 s[0:1], -1
                                        ; implicit-def: $vgpr3
	s_branch .LBB240_370
.LBB240_349:
	s_mov_b64 s[0:1], -1
                                        ; implicit-def: $vgpr3
	s_branch .LBB240_358
.LBB240_350:
	s_mov_b64 s[0:1], -1
                                        ; implicit-def: $vgpr3
	s_branch .LBB240_355
.LBB240_351:
	s_mov_b64 s[0:1], -1
                                        ; implicit-def: $vgpr3
.LBB240_352:
	s_andn2_b64 vcc, exec, s[0:1]
	s_cbranch_vccnz .LBB240_354
; %bb.353:
	global_load_dword v3, v[1:2], off
	s_movk_i32 s0, 0x7fff
	v_mov_b32_e32 v4, 0x7fc0
	s_waitcnt vmcnt(0)
	v_bfe_u32 v6, v3, 16, 1
	v_cmp_o_f32_e32 vcc, v3, v3
	v_add3_u32 v3, v3, v6, s0
	v_cndmask_b32_sdwa v3, v4, v3, vcc dst_sel:DWORD dst_unused:UNUSED_PAD src0_sel:DWORD src1_sel:WORD_1
.LBB240_354:
	s_mov_b64 s[0:1], 0
.LBB240_355:
	s_andn2_b64 vcc, exec, s[0:1]
	s_cbranch_vccnz .LBB240_357
; %bb.356:
	global_load_dword v3, v[1:2], off
	s_movk_i32 s0, 0x7fff
	v_mov_b32_e32 v6, 0x7fc0
	s_waitcnt vmcnt(0)
	v_cvt_f32_f16_e32 v4, v3
	v_cmp_o_f16_e32 vcc, v3, v3
	v_bfe_u32 v3, v4, 16, 1
	v_add3_u32 v3, v4, v3, s0
	v_cndmask_b32_sdwa v3, v6, v3, vcc dst_sel:DWORD dst_unused:UNUSED_PAD src0_sel:DWORD src1_sel:WORD_1
.LBB240_357:
	s_mov_b64 s[0:1], 0
.LBB240_358:
	s_andn2_b64 vcc, exec, s[0:1]
	s_cbranch_vccnz .LBB240_369
; %bb.359:
	s_cmp_lt_i32 s38, 6
	s_cbranch_scc1 .LBB240_362
; %bb.360:
	s_cmp_gt_i32 s38, 6
	s_cbranch_scc0 .LBB240_363
; %bb.361:
	global_load_dwordx2 v[3:4], v[1:2], off
	s_movk_i32 s0, 0x7fff
	s_waitcnt vmcnt(0)
	v_cvt_f32_f64_e32 v3, v[3:4]
	v_mov_b32_e32 v4, 0x7fc0
	v_bfe_u32 v6, v3, 16, 1
	v_cmp_o_f32_e32 vcc, v3, v3
	v_add3_u32 v3, v3, v6, s0
	v_cndmask_b32_sdwa v3, v4, v3, vcc dst_sel:DWORD dst_unused:UNUSED_PAD src0_sel:DWORD src1_sel:WORD_1
	s_mov_b64 s[0:1], 0
	s_branch .LBB240_364
.LBB240_362:
	s_mov_b64 s[0:1], -1
                                        ; implicit-def: $vgpr3
	s_branch .LBB240_367
.LBB240_363:
	s_mov_b64 s[0:1], -1
                                        ; implicit-def: $vgpr3
.LBB240_364:
	s_andn2_b64 vcc, exec, s[0:1]
	s_cbranch_vccnz .LBB240_366
; %bb.365:
	global_load_dword v3, v[1:2], off
	s_movk_i32 s0, 0x7fff
	v_mov_b32_e32 v4, 0x7fc0
	s_waitcnt vmcnt(0)
	v_bfe_u32 v6, v3, 16, 1
	v_cmp_o_f32_e32 vcc, v3, v3
	v_add3_u32 v3, v3, v6, s0
	v_cndmask_b32_sdwa v3, v4, v3, vcc dst_sel:DWORD dst_unused:UNUSED_PAD src0_sel:DWORD src1_sel:WORD_1
.LBB240_366:
	s_mov_b64 s[0:1], 0
.LBB240_367:
	s_andn2_b64 vcc, exec, s[0:1]
	s_cbranch_vccnz .LBB240_369
; %bb.368:
	global_load_ushort v3, v[1:2], off
	s_movk_i32 s0, 0x7fff
	v_mov_b32_e32 v6, 0x7fc0
	s_waitcnt vmcnt(0)
	v_cvt_f32_f16_e32 v4, v3
	v_cmp_o_f16_e32 vcc, v3, v3
	v_bfe_u32 v3, v4, 16, 1
	v_add3_u32 v3, v4, v3, s0
	v_cndmask_b32_sdwa v3, v6, v3, vcc dst_sel:DWORD dst_unused:UNUSED_PAD src0_sel:DWORD src1_sel:WORD_1
.LBB240_369:
	s_mov_b64 s[0:1], 0
.LBB240_370:
	s_andn2_b64 vcc, exec, s[0:1]
	s_cbranch_vccnz .LBB240_390
; %bb.371:
	s_cmp_lt_i32 s38, 2
	s_cbranch_scc1 .LBB240_375
; %bb.372:
	s_cmp_lt_i32 s38, 3
	s_cbranch_scc1 .LBB240_376
; %bb.373:
	s_cmp_gt_i32 s38, 3
	s_cbranch_scc0 .LBB240_377
; %bb.374:
	global_load_dwordx2 v[3:4], v[1:2], off
	s_movk_i32 s0, 0x7fff
	s_waitcnt vmcnt(0)
	v_xor_b32_e32 v7, v3, v4
	v_ffbh_i32_e32 v6, v4
	v_ashrrev_i32_e32 v7, 31, v7
	v_add_u32_e32 v6, -1, v6
	v_add_u32_e32 v7, 32, v7
	v_min_u32_e32 v6, v6, v7
	v_lshlrev_b64 v[3:4], v6, v[3:4]
	v_min_u32_e32 v3, 1, v3
	v_or_b32_e32 v3, v4, v3
	v_cvt_f32_i32_e32 v3, v3
	v_sub_u32_e32 v4, 32, v6
	v_ldexp_f32 v3, v3, v4
	v_bfe_u32 v4, v3, 16, 1
	v_add3_u32 v3, v3, v4, s0
	v_lshrrev_b32_e32 v3, 16, v3
	s_mov_b64 s[0:1], 0
	s_branch .LBB240_378
.LBB240_375:
	s_mov_b64 s[0:1], -1
                                        ; implicit-def: $vgpr3
	s_branch .LBB240_384
.LBB240_376:
	s_mov_b64 s[0:1], -1
                                        ; implicit-def: $vgpr3
	s_branch .LBB240_381
.LBB240_377:
	s_mov_b64 s[0:1], -1
                                        ; implicit-def: $vgpr3
.LBB240_378:
	s_andn2_b64 vcc, exec, s[0:1]
	s_cbranch_vccnz .LBB240_380
; %bb.379:
	global_load_dword v3, v[1:2], off
	s_movk_i32 s0, 0x7fff
	s_waitcnt vmcnt(0)
	v_cvt_f32_i32_e32 v3, v3
	v_bfe_u32 v4, v3, 16, 1
	v_add3_u32 v3, v3, v4, s0
	v_lshrrev_b32_e32 v3, 16, v3
.LBB240_380:
	s_mov_b64 s[0:1], 0
.LBB240_381:
	s_andn2_b64 vcc, exec, s[0:1]
	s_cbranch_vccnz .LBB240_383
; %bb.382:
	global_load_sshort v3, v[1:2], off
	s_movk_i32 s0, 0x7fff
	s_waitcnt vmcnt(0)
	v_cvt_f32_i32_e32 v3, v3
	v_bfe_u32 v4, v3, 16, 1
	v_add3_u32 v3, v3, v4, s0
	v_lshrrev_b32_e32 v3, 16, v3
.LBB240_383:
	s_mov_b64 s[0:1], 0
.LBB240_384:
	s_andn2_b64 vcc, exec, s[0:1]
	s_cbranch_vccnz .LBB240_390
; %bb.385:
	s_cmp_gt_i32 s38, 0
	s_cbranch_scc0 .LBB240_387
; %bb.386:
	global_load_sbyte v3, v[1:2], off
	s_movk_i32 s0, 0x7fff
	s_waitcnt vmcnt(0)
	v_cvt_f32_i32_e32 v3, v3
	v_bfe_u32 v4, v3, 16, 1
	v_add3_u32 v3, v3, v4, s0
	v_lshrrev_b32_e32 v3, 16, v3
	s_mov_b64 s[0:1], 0
	s_branch .LBB240_388
.LBB240_387:
	s_mov_b64 s[0:1], -1
                                        ; implicit-def: $vgpr3
.LBB240_388:
	s_andn2_b64 vcc, exec, s[0:1]
	s_cbranch_vccnz .LBB240_390
; %bb.389:
	global_load_ubyte v1, v[1:2], off
	s_movk_i32 s0, 0x7fff
	s_waitcnt vmcnt(0)
	v_cvt_f32_ubyte0_e32 v1, v1
	v_bfe_u32 v2, v1, 16, 1
	v_add3_u32 v1, v1, v2, s0
	v_lshrrev_b32_e32 v3, 16, v1
.LBB240_390:
	s_branch .LBB240_32
.LBB240_391:
	s_mov_b64 s[0:1], 0
.LBB240_392:
                                        ; implicit-def: $vgpr8
	s_mov_b64 s[46:47], 0
.LBB240_393:
	s_and_b64 s[38:39], s[0:1], exec
	s_and_b64 s[40:41], s[40:41], exec
	;; [unrolled: 1-line block ×3, first 2 shown]
	s_orn2_b64 s[0:1], s[46:47], exec
.LBB240_394:
	s_or_b64 exec, exec, s[44:45]
	s_mov_b64 s[52:53], 0
	s_mov_b64 s[50:51], 0
                                        ; implicit-def: $sgpr75
                                        ; implicit-def: $vgpr3_vgpr4
                                        ; implicit-def: $vgpr0
                                        ; implicit-def: $vgpr2
                                        ; implicit-def: $vgpr5
	s_and_saveexec_b64 s[44:45], s[0:1]
	s_cbranch_execz .LBB240_402
; %bb.395:
	v_cmp_gt_i32_e32 vcc, s68, v8
	s_mov_b64 s[0:1], -1
	s_mov_b64 s[46:47], s[42:43]
	s_mov_b64 s[48:49], s[40:41]
	;; [unrolled: 1-line block ×3, first 2 shown]
	s_and_saveexec_b64 s[52:53], vcc
	s_cbranch_execz .LBB240_795
; %bb.396:
	s_andn2_b64 vcc, exec, s[24:25]
	s_cbranch_vccnz .LBB240_405
; %bb.397:
	s_andn2_b64 vcc, exec, s[36:37]
	s_cbranch_vccnz .LBB240_406
; %bb.398:
	s_add_i32 s0, s74, 1
	s_and_b32 s46, s0, 30
	s_add_u32 s0, s2, 0xffffffe8
	s_addc_u32 s1, s3, -1
	v_mov_b32_e32 v2, 0
	v_mov_b32_e32 v4, 0
	;; [unrolled: 1-line block ×4, first 2 shown]
.LBB240_399:                            ; =>This Inner Loop Header: Depth=1
	s_load_dwordx4 s[48:51], s[0:1], 0x1c
	s_load_dwordx2 s[54:55], s[0:1], 0x2c
	s_load_dwordx2 s[60:61], s[0:1], 0xec
	s_load_dwordx4 s[56:59], s[0:1], 0xdc
	s_add_u32 s0, s0, 24
	s_waitcnt vmcnt(0) lgkmcnt(0)
	v_mul_hi_u32 v3, s49, v1
	s_addc_u32 s1, s1, 0
	s_add_i32 s46, s46, -2
	s_cmp_eq_u32 s46, 0
	v_add_u32_e32 v3, v1, v3
	v_lshrrev_b32_e32 v3, s50, v3
	v_mul_lo_u32 v5, v3, s48
	v_mul_hi_u32 v6, s54, v3
	v_sub_u32_e32 v5, v1, v5
	v_add_u32_e32 v1, v3, v6
	v_lshrrev_b32_e32 v1, s55, v1
	v_mul_lo_u32 v9, v1, s51
	v_mul_lo_u32 v6, v5, s56
	v_mul_lo_u32 v7, v5, s57
	v_mul_lo_u32 v5, v5, s58
	v_sub_u32_e32 v3, v3, v9
	v_mul_lo_u32 v9, v3, s59
	v_mul_lo_u32 v10, v3, s60
	;; [unrolled: 1-line block ×3, first 2 shown]
	v_add3_u32 v0, v6, v0, v9
	v_add3_u32 v4, v7, v4, v10
	;; [unrolled: 1-line block ×3, first 2 shown]
	s_cbranch_scc0 .LBB240_399
; %bb.400:
	s_bitcmp1_b32 s74, 0
	s_cselect_b64 s[46:47], -1, 0
	s_and_b64 vcc, exec, s[46:47]
	s_cbranch_vccnz .LBB240_407
; %bb.401:
	s_load_dwordx2 s[46:47], s[0:1], 0x1c
	s_load_dword s50, s[0:1], 0x24
	s_load_dwordx2 s[48:49], s[0:1], 0xdc
	s_waitcnt lgkmcnt(0)
	v_mul_hi_u32 v3, s47, v1
	v_add_u32_e32 v3, v1, v3
	v_lshrrev_b32_e32 v3, s50, v3
	v_mul_lo_u32 v3, v3, s46
	s_load_dword s46, s[0:1], 0xe4
	v_sub_u32_e32 v3, v1, v3
	v_mad_u64_u32 v[0:1], s[0:1], v3, s48, v[0:1]
	v_mad_u64_u32 v[4:5], s[0:1], v3, s49, v[4:5]
	s_waitcnt lgkmcnt(0)
	v_mad_u64_u32 v[2:3], s[0:1], v3, s46, v[2:3]
	s_branch .LBB240_407
.LBB240_402:
	s_or_b64 exec, exec, s[44:45]
	s_mov_b64 s[10:11], 0
	s_and_saveexec_b64 s[0:1], s[42:43]
	s_cbranch_execnz .LBB240_1293
.LBB240_403:
	s_or_b64 exec, exec, s[0:1]
	s_and_saveexec_b64 s[0:1], s[48:49]
	s_xor_b64 s[0:1], exec, s[0:1]
	s_cbranch_execz .LBB240_1294
.LBB240_404:
	s_waitcnt vmcnt(0)
	global_load_ubyte v1, v[3:4], off
	s_or_b64 s[50:51], s[50:51], exec
	s_waitcnt vmcnt(0)
	v_cmp_ne_u16_e32 vcc, 0, v1
	v_cndmask_b32_e64 v1, 0, 1.0, vcc
	v_lshrrev_b32_e32 v5, 16, v1
	s_or_b64 exec, exec, s[0:1]
	s_and_saveexec_b64 s[0:1], s[52:53]
	s_cbranch_execz .LBB240_1340
	s_branch .LBB240_1295
.LBB240_405:
                                        ; implicit-def: $vgpr0
                                        ; implicit-def: $vgpr4
                                        ; implicit-def: $vgpr2
	s_andn2_b64 vcc, exec, s[0:1]
	s_cbranch_vccz .LBB240_408
	s_branch .LBB240_410
.LBB240_406:
	v_mov_b32_e32 v0, 0
	v_mov_b32_e32 v4, 0
	;; [unrolled: 1-line block ×3, first 2 shown]
.LBB240_407:
	s_cbranch_execnz .LBB240_410
.LBB240_408:
	v_mul_hi_u32 v0, s17, v8
	s_andn2_b64 vcc, exec, s[34:35]
	v_add_u32_e32 v0, v8, v0
	v_lshrrev_b32_e32 v1, s18, v0
	v_mul_lo_u32 v0, v1, s16
	v_sub_u32_e32 v2, v8, v0
	v_mul_lo_u32 v0, v2, s20
	v_mul_lo_u32 v4, v2, s21
	;; [unrolled: 1-line block ×3, first 2 shown]
	s_cbranch_vccnz .LBB240_410
; %bb.409:
	s_waitcnt vmcnt(0)
	v_mul_hi_u32 v3, s30, v1
	v_add_u32_e32 v3, v1, v3
	v_lshrrev_b32_e32 v3, s31, v3
	v_mul_lo_u32 v3, v3, s19
	v_sub_u32_e32 v3, v1, v3
	v_mad_u64_u32 v[0:1], s[0:1], v3, s23, v[0:1]
	v_mad_u64_u32 v[4:5], s[0:1], v3, s28, v[4:5]
	;; [unrolled: 1-line block ×3, first 2 shown]
.LBB240_410:
	v_mov_b32_e32 v1, s11
	s_and_b32 s54, s73, 0xff
	s_waitcnt vmcnt(0)
	v_add_co_u32_e32 v3, vcc, s10, v4
	s_cmp_lt_i32 s54, 11
	v_addc_co_u32_e32 v4, vcc, 0, v1, vcc
	s_cbranch_scc1 .LBB240_417
; %bb.411:
	s_and_b32 s55, 0xffff, s54
	s_cmp_gt_i32 s55, 25
	s_cbranch_scc0 .LBB240_426
; %bb.412:
	s_cmp_gt_i32 s55, 28
	s_cbranch_scc0 .LBB240_428
; %bb.413:
	;; [unrolled: 3-line block ×4, first 2 shown]
	s_cmp_eq_u32 s55, 46
	s_mov_b64 s[48:49], 0
	s_cbranch_scc0 .LBB240_436
; %bb.416:
	global_load_dword v5, v[3:4], off
	s_mov_b64 s[0:1], -1
	s_mov_b64 s[46:47], 0
	s_branch .LBB240_437
.LBB240_417:
	s_mov_b64 s[0:1], 0
                                        ; implicit-def: $vgpr5
	s_mov_b64 s[46:47], s[42:43]
	s_cbranch_execnz .LBB240_503
.LBB240_418:
	s_andn2_b64 vcc, exec, s[0:1]
	s_cbranch_vccnz .LBB240_551
.LBB240_419:
	v_mov_b32_e32 v3, s13
	s_and_b32 s56, s72, 0xff
	v_add_co_u32_e32 v1, vcc, s12, v2
	s_cmp_lt_i32 s56, 11
	v_addc_co_u32_e32 v2, vcc, 0, v3, vcc
	s_cbranch_scc1 .LBB240_427
; %bb.420:
	s_and_b32 s57, 0xffff, s56
	s_cmp_gt_i32 s57, 25
	s_cbranch_scc0 .LBB240_429
; %bb.421:
	s_cmp_gt_i32 s57, 28
	s_cbranch_scc0 .LBB240_431
; %bb.422:
	;; [unrolled: 3-line block ×4, first 2 shown]
	s_cmp_eq_u32 s57, 46
	s_mov_b64 s[50:51], 0
	s_cbranch_scc0 .LBB240_555
; %bb.425:
	global_load_dword v3, v[1:2], off
	s_mov_b64 s[0:1], -1
	s_mov_b64 s[48:49], 0
	s_branch .LBB240_556
.LBB240_426:
	s_mov_b64 s[48:49], -1
	s_mov_b64 s[0:1], 0
	s_mov_b64 s[46:47], s[42:43]
                                        ; implicit-def: $vgpr5
	s_branch .LBB240_467
.LBB240_427:
	s_mov_b64 s[50:51], -1
	s_mov_b64 s[0:1], 0
                                        ; implicit-def: $vgpr3
	s_mov_b64 s[48:49], s[40:41]
	s_branch .LBB240_621
.LBB240_428:
	s_mov_b64 s[48:49], -1
	s_mov_b64 s[0:1], 0
	s_mov_b64 s[46:47], s[42:43]
                                        ; implicit-def: $vgpr5
	s_branch .LBB240_448
.LBB240_429:
	s_mov_b64 s[50:51], -1
	s_mov_b64 s[0:1], 0
	s_mov_b64 s[48:49], s[40:41]
                                        ; implicit-def: $vgpr3
	s_branch .LBB240_585
.LBB240_430:
	s_mov_b64 s[48:49], -1
	s_mov_b64 s[0:1], 0
	s_mov_b64 s[46:47], s[42:43]
                                        ; implicit-def: $vgpr5
	s_branch .LBB240_443
.LBB240_431:
	s_mov_b64 s[50:51], -1
	s_mov_b64 s[0:1], 0
	s_mov_b64 s[48:49], s[40:41]
                                        ; implicit-def: $vgpr3
	s_branch .LBB240_566
.LBB240_432:
	s_mov_b64 s[48:49], -1
	s_mov_b64 s[0:1], 0
	s_mov_b64 s[46:47], s[42:43]
                                        ; implicit-def: $vgpr5
	s_branch .LBB240_437
.LBB240_433:
	s_mov_b64 s[50:51], -1
	s_mov_b64 s[0:1], 0
	s_mov_b64 s[48:49], s[40:41]
                                        ; implicit-def: $vgpr3
	s_branch .LBB240_561
.LBB240_434:
	s_andn2_saveexec_b64 s[50:51], s[50:51]
	s_cbranch_execz .LBB240_191
.LBB240_435:
	s_mov_b32 s54, 0x46000000
	v_add_f32_e64 v4, |v5|, s54
	v_and_b32_e32 v4, 0xff, v4
	v_cmp_ne_u32_e32 vcc, 0, v4
	s_andn2_b64 s[46:47], s[46:47], exec
	s_and_b64 s[54:55], vcc, exec
	s_or_b64 s[46:47], s[46:47], s[54:55]
	s_or_b64 exec, exec, s[50:51]
	v_mov_b32_e32 v6, 0
	s_and_saveexec_b64 s[50:51], s[46:47]
	s_cbranch_execnz .LBB240_192
	s_branch .LBB240_193
.LBB240_436:
	s_mov_b64 s[46:47], -1
                                        ; implicit-def: $vgpr5
	s_mov_b64 s[0:1], 0
.LBB240_437:
	s_and_b64 vcc, exec, s[48:49]
	s_cbranch_vccz .LBB240_442
; %bb.438:
	s_cmp_eq_u32 s55, 44
	s_cbranch_scc0 .LBB240_441
; %bb.439:
	global_load_ubyte v1, v[3:4], off
	s_movk_i32 s46, 0xff
	s_waitcnt vmcnt(1)
	v_mov_b32_e32 v5, 0x7f800001
	v_mov_b32_e32 v6, 0x400000
	;; [unrolled: 1-line block ×3, first 2 shown]
	s_mov_b64 s[0:1], -1
	s_waitcnt vmcnt(0)
	v_lshlrev_b32_e32 v9, 23, v1
	v_cmp_ne_u32_e32 vcc, s46, v1
	v_cndmask_b32_e32 v5, v5, v9, vcc
	v_cmp_ne_u32_e32 vcc, 0, v1
	v_cndmask_b32_e32 v1, v6, v5, vcc
	v_add_u32_e32 v5, 0x7fff, v1
	v_cmp_o_f32_e32 vcc, v1, v1
	v_cndmask_b32_sdwa v5, v7, v5, vcc dst_sel:DWORD dst_unused:UNUSED_PAD src0_sel:DWORD src1_sel:WORD_1
	s_mov_b64 s[46:47], 0
	s_branch .LBB240_442
.LBB240_440:
	s_mov_b64 s[50:51], -1
	s_mov_b64 s[0:1], 0
	s_mov_b64 s[48:49], s[40:41]
                                        ; implicit-def: $vgpr3
	s_branch .LBB240_556
.LBB240_441:
	s_mov_b64 s[46:47], -1
                                        ; implicit-def: $vgpr5
.LBB240_442:
	s_mov_b64 s[48:49], 0
.LBB240_443:
	s_and_b64 vcc, exec, s[48:49]
	s_cbranch_vccz .LBB240_447
; %bb.444:
	s_cmp_eq_u32 s55, 29
	s_cbranch_scc0 .LBB240_446
; %bb.445:
	global_load_dwordx2 v[5:6], v[3:4], off
	s_movk_i32 s46, 0x7fff
	s_mov_b64 s[0:1], -1
	s_mov_b64 s[48:49], 0
	s_waitcnt vmcnt(0)
	v_ffbh_u32_e32 v1, v6
	v_min_u32_e32 v1, 32, v1
	v_lshlrev_b64 v[5:6], v1, v[5:6]
	v_sub_u32_e32 v1, 32, v1
	v_min_u32_e32 v5, 1, v5
	v_or_b32_e32 v5, v6, v5
	v_cvt_f32_u32_e32 v5, v5
	v_ldexp_f32 v1, v5, v1
	v_bfe_u32 v5, v1, 16, 1
	v_add3_u32 v1, v1, v5, s46
	v_lshrrev_b32_e32 v5, 16, v1
	s_mov_b64 s[46:47], 0
	s_branch .LBB240_448
.LBB240_446:
	s_mov_b64 s[46:47], -1
                                        ; implicit-def: $vgpr5
.LBB240_447:
	s_mov_b64 s[48:49], 0
.LBB240_448:
	s_and_b64 vcc, exec, s[48:49]
	s_cbranch_vccz .LBB240_466
; %bb.449:
	s_cmp_lt_i32 s55, 27
	s_cbranch_scc1 .LBB240_452
; %bb.450:
	s_cmp_gt_i32 s55, 27
	s_cbranch_scc0 .LBB240_453
; %bb.451:
	global_load_dword v1, v[3:4], off
	s_movk_i32 s0, 0x7fff
	s_waitcnt vmcnt(0)
	v_cvt_f32_u32_e32 v1, v1
	v_bfe_u32 v5, v1, 16, 1
	v_add3_u32 v1, v1, v5, s0
	v_lshrrev_b32_e32 v5, 16, v1
	s_mov_b64 s[0:1], 0
	s_branch .LBB240_454
.LBB240_452:
	s_mov_b64 s[0:1], -1
                                        ; implicit-def: $vgpr5
	s_branch .LBB240_457
.LBB240_453:
	s_mov_b64 s[0:1], -1
                                        ; implicit-def: $vgpr5
.LBB240_454:
	s_andn2_b64 vcc, exec, s[0:1]
	s_cbranch_vccnz .LBB240_456
; %bb.455:
	global_load_ushort v1, v[3:4], off
	s_movk_i32 s0, 0x7fff
	s_waitcnt vmcnt(0)
	v_cvt_f32_u32_e32 v1, v1
	v_bfe_u32 v5, v1, 16, 1
	v_add3_u32 v1, v1, v5, s0
	v_lshrrev_b32_e32 v5, 16, v1
.LBB240_456:
	s_mov_b64 s[0:1], 0
.LBB240_457:
	s_andn2_b64 vcc, exec, s[0:1]
	s_cbranch_vccnz .LBB240_465
; %bb.458:
	global_load_ubyte v1, v[3:4], off
	s_movk_i32 s0, 0x7f
	s_waitcnt vmcnt(0)
	v_cmp_lt_i16_e32 vcc, s0, v1
	s_mov_b64 s[0:1], 0
	s_and_saveexec_b64 s[48:49], vcc
	s_xor_b64 s[48:49], exec, s[48:49]
	s_cbranch_execz .LBB240_479
; %bb.459:
	s_movk_i32 s0, 0x80
	v_cmp_eq_u16_e32 vcc, s0, v1
	s_mov_b64 s[0:1], -1
	s_and_saveexec_b64 s[50:51], vcc
; %bb.460:
	s_xor_b64 s[0:1], exec, -1
; %bb.461:
	s_or_b64 exec, exec, s[50:51]
	s_and_b64 s[0:1], s[0:1], exec
	s_or_saveexec_b64 s[48:49], s[48:49]
	v_mov_b32_e32 v5, 0x7f800001
	s_xor_b64 exec, exec, s[48:49]
	s_cbranch_execnz .LBB240_480
.LBB240_462:
	s_or_b64 exec, exec, s[48:49]
	s_and_saveexec_b64 s[48:49], s[0:1]
	s_cbranch_execz .LBB240_464
.LBB240_463:
	v_lshlrev_b32_e32 v5, 24, v1
	v_and_b32_e32 v1, 0xffff, v1
	v_and_b32_e32 v6, 7, v1
	v_ffbh_u32_e32 v9, v6
	v_min_u32_e32 v9, 32, v9
	v_subrev_u32_e32 v10, 28, v9
	v_bfe_u32 v7, v1, 3, 4
	v_lshlrev_b32_e32 v1, v10, v1
	v_sub_u32_e32 v9, 29, v9
	v_and_b32_e32 v1, 7, v1
	v_cmp_eq_u32_e32 vcc, 0, v7
	v_cndmask_b32_e32 v7, v7, v9, vcc
	v_cndmask_b32_e32 v1, v6, v1, vcc
	v_mov_b32_e32 v6, 0x3b800000
	v_lshlrev_b32_e32 v1, 20, v1
	v_and_b32_e32 v5, 0x80000000, v5
	v_lshl_add_u32 v6, v7, 23, v6
	v_or3_b32 v5, v5, v6, v1
.LBB240_464:
	s_or_b64 exec, exec, s[48:49]
	v_bfe_u32 v1, v5, 16, 1
	s_movk_i32 s0, 0x7fff
	v_add3_u32 v1, v5, v1, s0
	v_cmp_o_f32_e32 vcc, v5, v5
	v_mov_b32_e32 v5, 0x7fc0
	v_cndmask_b32_sdwa v5, v5, v1, vcc dst_sel:DWORD dst_unused:UNUSED_PAD src0_sel:DWORD src1_sel:WORD_1
.LBB240_465:
	s_mov_b64 s[0:1], -1
.LBB240_466:
	s_mov_b64 s[48:49], 0
.LBB240_467:
	s_and_b64 vcc, exec, s[48:49]
	s_cbranch_vccz .LBB240_502
; %bb.468:
	s_cmp_gt_i32 s55, 22
	s_cbranch_scc0 .LBB240_478
; %bb.469:
	s_cmp_lt_i32 s55, 24
	s_cbranch_scc1 .LBB240_481
; %bb.470:
	s_cmp_gt_i32 s55, 24
	s_cbranch_scc0 .LBB240_482
; %bb.471:
	global_load_ubyte v1, v[3:4], off
	s_movk_i32 s0, 0x7f
	s_waitcnt vmcnt(0)
	v_cmp_lt_i16_e32 vcc, s0, v1
	s_mov_b64 s[0:1], 0
	s_and_saveexec_b64 s[48:49], vcc
	s_xor_b64 s[48:49], exec, s[48:49]
	s_cbranch_execz .LBB240_494
; %bb.472:
	s_movk_i32 s0, 0x80
	v_cmp_eq_u16_e32 vcc, s0, v1
	s_mov_b64 s[0:1], -1
	s_and_saveexec_b64 s[50:51], vcc
; %bb.473:
	s_xor_b64 s[0:1], exec, -1
; %bb.474:
	s_or_b64 exec, exec, s[50:51]
	s_and_b64 s[0:1], s[0:1], exec
	s_or_saveexec_b64 s[48:49], s[48:49]
	v_mov_b32_e32 v5, 0x7f800001
	s_xor_b64 exec, exec, s[48:49]
	s_cbranch_execnz .LBB240_495
.LBB240_475:
	s_or_b64 exec, exec, s[48:49]
	s_and_saveexec_b64 s[48:49], s[0:1]
	s_cbranch_execz .LBB240_477
.LBB240_476:
	v_lshlrev_b32_e32 v5, 24, v1
	v_and_b32_e32 v1, 0xffff, v1
	v_and_b32_e32 v6, 3, v1
	v_ffbh_u32_e32 v9, v6
	v_min_u32_e32 v9, 32, v9
	v_subrev_u32_e32 v10, 29, v9
	v_bfe_u32 v7, v1, 2, 5
	v_lshlrev_b32_e32 v1, v10, v1
	v_sub_u32_e32 v9, 30, v9
	v_and_b32_e32 v1, 3, v1
	v_cmp_eq_u32_e32 vcc, 0, v7
	v_cndmask_b32_e32 v7, v7, v9, vcc
	v_cndmask_b32_e32 v1, v6, v1, vcc
	v_mov_b32_e32 v6, 0x37800000
	v_lshlrev_b32_e32 v1, 21, v1
	v_and_b32_e32 v5, 0x80000000, v5
	v_lshl_add_u32 v6, v7, 23, v6
	v_or3_b32 v5, v5, v6, v1
.LBB240_477:
	s_or_b64 exec, exec, s[48:49]
	v_bfe_u32 v1, v5, 16, 1
	s_movk_i32 s0, 0x7fff
	v_add3_u32 v1, v5, v1, s0
	v_cmp_o_f32_e32 vcc, v5, v5
	v_mov_b32_e32 v5, 0x7fc0
	v_cndmask_b32_sdwa v5, v5, v1, vcc dst_sel:DWORD dst_unused:UNUSED_PAD src0_sel:DWORD src1_sel:WORD_1
	s_mov_b64 s[0:1], 0
	s_branch .LBB240_483
.LBB240_478:
	s_mov_b64 s[48:49], -1
                                        ; implicit-def: $vgpr5
	s_branch .LBB240_489
.LBB240_479:
	s_or_saveexec_b64 s[48:49], s[48:49]
	v_mov_b32_e32 v5, 0x7f800001
	s_xor_b64 exec, exec, s[48:49]
	s_cbranch_execz .LBB240_462
.LBB240_480:
	v_cmp_ne_u16_e32 vcc, 0, v1
	s_andn2_b64 s[0:1], s[0:1], exec
	s_and_b64 s[50:51], vcc, exec
	v_mov_b32_e32 v5, 0
	s_or_b64 s[0:1], s[0:1], s[50:51]
	s_or_b64 exec, exec, s[48:49]
	s_and_saveexec_b64 s[48:49], s[0:1]
	s_cbranch_execnz .LBB240_463
	s_branch .LBB240_464
.LBB240_481:
	s_mov_b64 s[0:1], -1
                                        ; implicit-def: $vgpr5
	s_branch .LBB240_486
.LBB240_482:
	s_mov_b64 s[0:1], -1
                                        ; implicit-def: $vgpr5
.LBB240_483:
	s_and_b64 vcc, exec, s[0:1]
	s_cbranch_vccz .LBB240_485
; %bb.484:
	global_load_ubyte v1, v[3:4], off
	s_mov_b32 s0, 0x7f800000
	s_brev_b32 s1, 1
	s_movk_i32 s48, 0x7fff
	s_waitcnt vmcnt(0)
	v_lshlrev_b32_e32 v1, 24, v1
	v_and_b32_e32 v5, 0x7f000000, v1
	v_ffbh_u32_e32 v6, v5
	v_min_u32_e32 v6, 32, v6
	v_sub_u32_e64 v6, v6, 4 clamp
	v_lshlrev_b32_e32 v9, v6, v5
	v_lshlrev_b32_e32 v6, 23, v6
	v_lshrrev_b32_e32 v9, 4, v9
	v_add_u32_e32 v7, 0x1000000, v5
	v_sub_u32_e32 v6, v9, v6
	v_ashrrev_i32_e32 v7, 8, v7
	v_add_u32_e32 v6, 0x3c000000, v6
	v_and_or_b32 v6, v7, s0, v6
	v_cmp_ne_u32_e32 vcc, 0, v5
	v_cndmask_b32_e32 v5, 0, v6, vcc
	v_and_or_b32 v1, v1, s1, v5
	v_bfe_u32 v5, v5, 16, 1
	v_add3_u32 v5, v1, v5, s48
	v_cmp_o_f32_e32 vcc, v1, v1
	v_mov_b32_e32 v1, 0x7fc0
	v_cndmask_b32_sdwa v5, v1, v5, vcc dst_sel:DWORD dst_unused:UNUSED_PAD src0_sel:DWORD src1_sel:WORD_1
.LBB240_485:
	s_mov_b64 s[0:1], 0
.LBB240_486:
	s_andn2_b64 vcc, exec, s[0:1]
	s_cbranch_vccnz .LBB240_488
; %bb.487:
	global_load_ubyte v1, v[3:4], off
	s_movk_i32 s0, 0x7f00
	s_brev_b32 s1, 16
	s_brev_b32 s48, 1
	s_movk_i32 s49, 0x7fff
	s_waitcnt vmcnt(0)
	v_lshlrev_b16_e32 v5, 8, v1
	v_lshlrev_b32_e32 v1, 25, v1
	v_lshrrev_b32_e32 v6, 4, v1
	v_and_or_b32 v7, v5, s0, 0.5
	v_or_b32_e32 v6, 0x70000000, v6
	v_add_f32_e32 v7, -0.5, v7
	v_mul_f32_e32 v6, 0x7800000, v6
	v_cmp_gt_u32_e32 vcc, s1, v1
	v_bfe_i32 v5, v5, 0, 16
	v_cndmask_b32_e32 v1, v6, v7, vcc
	v_and_or_b32 v5, v5, s48, v1
	v_bfe_u32 v1, v1, 16, 1
	v_add3_u32 v1, v5, v1, s49
	v_cmp_o_f32_e32 vcc, v5, v5
	v_mov_b32_e32 v5, 0x7fc0
	v_cndmask_b32_sdwa v5, v5, v1, vcc dst_sel:DWORD dst_unused:UNUSED_PAD src0_sel:DWORD src1_sel:WORD_1
.LBB240_488:
	s_mov_b64 s[48:49], 0
	s_mov_b64 s[0:1], -1
.LBB240_489:
	s_andn2_b64 vcc, exec, s[48:49]
	s_cbranch_vccnz .LBB240_502
; %bb.490:
	s_cmp_gt_i32 s55, 14
	s_cbranch_scc0 .LBB240_493
; %bb.491:
	s_cmp_eq_u32 s55, 15
	s_cbranch_scc0 .LBB240_496
; %bb.492:
	global_load_ushort v5, v[3:4], off
	s_mov_b64 s[0:1], -1
	s_mov_b64 s[46:47], 0
	s_branch .LBB240_497
.LBB240_493:
	s_mov_b64 s[48:49], -1
                                        ; implicit-def: $vgpr5
	s_branch .LBB240_498
.LBB240_494:
	s_or_saveexec_b64 s[48:49], s[48:49]
	v_mov_b32_e32 v5, 0x7f800001
	s_xor_b64 exec, exec, s[48:49]
	s_cbranch_execz .LBB240_475
.LBB240_495:
	v_cmp_ne_u16_e32 vcc, 0, v1
	s_andn2_b64 s[0:1], s[0:1], exec
	s_and_b64 s[50:51], vcc, exec
	v_mov_b32_e32 v5, 0
	s_or_b64 s[0:1], s[0:1], s[50:51]
	s_or_b64 exec, exec, s[48:49]
	s_and_saveexec_b64 s[48:49], s[0:1]
	s_cbranch_execnz .LBB240_476
	s_branch .LBB240_477
.LBB240_496:
	s_mov_b64 s[46:47], -1
                                        ; implicit-def: $vgpr5
.LBB240_497:
	s_mov_b64 s[48:49], 0
.LBB240_498:
	s_and_b64 vcc, exec, s[48:49]
	s_cbranch_vccz .LBB240_502
; %bb.499:
	s_cmp_eq_u32 s55, 11
	s_cbranch_scc0 .LBB240_501
; %bb.500:
	global_load_ubyte v1, v[3:4], off
	s_mov_b64 s[0:1], -1
	s_mov_b64 s[46:47], 0
	s_waitcnt vmcnt(0)
	v_cmp_ne_u16_e32 vcc, 0, v1
	v_cndmask_b32_e64 v1, 0, 1.0, vcc
	v_lshrrev_b32_e32 v5, 16, v1
	s_branch .LBB240_502
.LBB240_501:
	s_mov_b64 s[46:47], -1
                                        ; implicit-def: $vgpr5
.LBB240_502:
	s_branch .LBB240_418
.LBB240_503:
	s_and_b32 s48, 0xffff, s54
	s_cmp_lt_i32 s48, 5
	s_cbranch_scc1 .LBB240_508
; %bb.504:
	s_cmp_lt_i32 s48, 8
	s_cbranch_scc1 .LBB240_509
; %bb.505:
	;; [unrolled: 3-line block ×3, first 2 shown]
	s_cmp_gt_i32 s48, 9
	s_cbranch_scc0 .LBB240_511
; %bb.507:
	global_load_dwordx2 v[5:6], v[3:4], off
	s_movk_i32 s0, 0x7fff
	s_waitcnt vmcnt(0)
	v_cvt_f32_f64_e32 v1, v[5:6]
	v_mov_b32_e32 v5, 0x7fc0
	v_bfe_u32 v6, v1, 16, 1
	v_cmp_o_f32_e32 vcc, v1, v1
	v_add3_u32 v1, v1, v6, s0
	v_cndmask_b32_sdwa v5, v5, v1, vcc dst_sel:DWORD dst_unused:UNUSED_PAD src0_sel:DWORD src1_sel:WORD_1
	s_mov_b64 s[0:1], 0
	s_branch .LBB240_512
.LBB240_508:
	s_mov_b64 s[0:1], -1
                                        ; implicit-def: $vgpr5
	s_branch .LBB240_530
.LBB240_509:
	s_mov_b64 s[0:1], -1
                                        ; implicit-def: $vgpr5
	s_branch .LBB240_518
.LBB240_510:
	s_mov_b64 s[0:1], -1
                                        ; implicit-def: $vgpr5
	s_branch .LBB240_515
.LBB240_511:
	s_mov_b64 s[0:1], -1
                                        ; implicit-def: $vgpr5
.LBB240_512:
	s_andn2_b64 vcc, exec, s[0:1]
	s_cbranch_vccnz .LBB240_514
; %bb.513:
	global_load_dword v1, v[3:4], off
	s_movk_i32 s0, 0x7fff
	s_waitcnt vmcnt(1)
	v_mov_b32_e32 v5, 0x7fc0
	s_waitcnt vmcnt(0)
	v_bfe_u32 v6, v1, 16, 1
	v_cmp_o_f32_e32 vcc, v1, v1
	v_add3_u32 v1, v1, v6, s0
	v_cndmask_b32_sdwa v5, v5, v1, vcc dst_sel:DWORD dst_unused:UNUSED_PAD src0_sel:DWORD src1_sel:WORD_1
.LBB240_514:
	s_mov_b64 s[0:1], 0
.LBB240_515:
	s_andn2_b64 vcc, exec, s[0:1]
	s_cbranch_vccnz .LBB240_517
; %bb.516:
	global_load_dword v1, v[3:4], off
	s_movk_i32 s0, 0x7fff
	v_mov_b32_e32 v6, 0x7fc0
	s_waitcnt vmcnt(0)
	v_cvt_f32_f16_e32 v5, v1
	v_cmp_o_f16_e32 vcc, v1, v1
	v_bfe_u32 v1, v5, 16, 1
	v_add3_u32 v1, v5, v1, s0
	v_cndmask_b32_sdwa v5, v6, v1, vcc dst_sel:DWORD dst_unused:UNUSED_PAD src0_sel:DWORD src1_sel:WORD_1
.LBB240_517:
	s_mov_b64 s[0:1], 0
.LBB240_518:
	s_andn2_b64 vcc, exec, s[0:1]
	s_cbranch_vccnz .LBB240_529
; %bb.519:
	s_cmp_lt_i32 s48, 6
	s_cbranch_scc1 .LBB240_522
; %bb.520:
	s_cmp_gt_i32 s48, 6
	s_cbranch_scc0 .LBB240_523
; %bb.521:
	global_load_dwordx2 v[5:6], v[3:4], off
	s_movk_i32 s0, 0x7fff
	s_waitcnt vmcnt(0)
	v_cvt_f32_f64_e32 v1, v[5:6]
	v_mov_b32_e32 v5, 0x7fc0
	v_bfe_u32 v6, v1, 16, 1
	v_cmp_o_f32_e32 vcc, v1, v1
	v_add3_u32 v1, v1, v6, s0
	v_cndmask_b32_sdwa v5, v5, v1, vcc dst_sel:DWORD dst_unused:UNUSED_PAD src0_sel:DWORD src1_sel:WORD_1
	s_mov_b64 s[0:1], 0
	s_branch .LBB240_524
.LBB240_522:
	s_mov_b64 s[0:1], -1
                                        ; implicit-def: $vgpr5
	s_branch .LBB240_527
.LBB240_523:
	s_mov_b64 s[0:1], -1
                                        ; implicit-def: $vgpr5
.LBB240_524:
	s_andn2_b64 vcc, exec, s[0:1]
	s_cbranch_vccnz .LBB240_526
; %bb.525:
	global_load_dword v1, v[3:4], off
	s_movk_i32 s0, 0x7fff
	s_waitcnt vmcnt(1)
	v_mov_b32_e32 v5, 0x7fc0
	s_waitcnt vmcnt(0)
	v_bfe_u32 v6, v1, 16, 1
	v_cmp_o_f32_e32 vcc, v1, v1
	v_add3_u32 v1, v1, v6, s0
	v_cndmask_b32_sdwa v5, v5, v1, vcc dst_sel:DWORD dst_unused:UNUSED_PAD src0_sel:DWORD src1_sel:WORD_1
.LBB240_526:
	s_mov_b64 s[0:1], 0
.LBB240_527:
	s_andn2_b64 vcc, exec, s[0:1]
	s_cbranch_vccnz .LBB240_529
; %bb.528:
	global_load_ushort v1, v[3:4], off
	s_movk_i32 s0, 0x7fff
	v_mov_b32_e32 v6, 0x7fc0
	s_waitcnt vmcnt(0)
	v_cvt_f32_f16_e32 v5, v1
	v_cmp_o_f16_e32 vcc, v1, v1
	v_bfe_u32 v1, v5, 16, 1
	v_add3_u32 v1, v5, v1, s0
	v_cndmask_b32_sdwa v5, v6, v1, vcc dst_sel:DWORD dst_unused:UNUSED_PAD src0_sel:DWORD src1_sel:WORD_1
.LBB240_529:
	s_mov_b64 s[0:1], 0
.LBB240_530:
	s_andn2_b64 vcc, exec, s[0:1]
	s_cbranch_vccnz .LBB240_550
; %bb.531:
	s_cmp_lt_i32 s48, 2
	s_cbranch_scc1 .LBB240_535
; %bb.532:
	s_cmp_lt_i32 s48, 3
	s_cbranch_scc1 .LBB240_536
; %bb.533:
	s_cmp_gt_i32 s48, 3
	s_cbranch_scc0 .LBB240_537
; %bb.534:
	global_load_dwordx2 v[5:6], v[3:4], off
	s_movk_i32 s0, 0x7fff
	s_waitcnt vmcnt(0)
	v_xor_b32_e32 v7, v5, v6
	v_ffbh_i32_e32 v1, v6
	v_ashrrev_i32_e32 v7, 31, v7
	v_add_u32_e32 v1, -1, v1
	v_add_u32_e32 v7, 32, v7
	v_min_u32_e32 v1, v1, v7
	v_lshlrev_b64 v[5:6], v1, v[5:6]
	v_sub_u32_e32 v1, 32, v1
	v_min_u32_e32 v5, 1, v5
	v_or_b32_e32 v5, v6, v5
	v_cvt_f32_i32_e32 v5, v5
	v_ldexp_f32 v1, v5, v1
	v_bfe_u32 v5, v1, 16, 1
	v_add3_u32 v1, v1, v5, s0
	v_lshrrev_b32_e32 v5, 16, v1
	s_mov_b64 s[0:1], 0
	s_branch .LBB240_538
.LBB240_535:
	s_mov_b64 s[0:1], -1
                                        ; implicit-def: $vgpr5
	s_branch .LBB240_544
.LBB240_536:
	s_mov_b64 s[0:1], -1
                                        ; implicit-def: $vgpr5
	s_branch .LBB240_541
.LBB240_537:
	s_mov_b64 s[0:1], -1
                                        ; implicit-def: $vgpr5
.LBB240_538:
	s_andn2_b64 vcc, exec, s[0:1]
	s_cbranch_vccnz .LBB240_540
; %bb.539:
	global_load_dword v1, v[3:4], off
	s_movk_i32 s0, 0x7fff
	s_waitcnt vmcnt(0)
	v_cvt_f32_i32_e32 v1, v1
	v_bfe_u32 v5, v1, 16, 1
	v_add3_u32 v1, v1, v5, s0
	v_lshrrev_b32_e32 v5, 16, v1
.LBB240_540:
	s_mov_b64 s[0:1], 0
.LBB240_541:
	s_andn2_b64 vcc, exec, s[0:1]
	s_cbranch_vccnz .LBB240_543
; %bb.542:
	global_load_sshort v1, v[3:4], off
	s_movk_i32 s0, 0x7fff
	s_waitcnt vmcnt(0)
	v_cvt_f32_i32_e32 v1, v1
	v_bfe_u32 v5, v1, 16, 1
	v_add3_u32 v1, v1, v5, s0
	v_lshrrev_b32_e32 v5, 16, v1
.LBB240_543:
	s_mov_b64 s[0:1], 0
.LBB240_544:
	s_andn2_b64 vcc, exec, s[0:1]
	s_cbranch_vccnz .LBB240_550
; %bb.545:
	s_cmp_gt_i32 s48, 0
	s_cbranch_scc0 .LBB240_547
; %bb.546:
	global_load_sbyte v1, v[3:4], off
	s_movk_i32 s0, 0x7fff
	s_waitcnt vmcnt(0)
	v_cvt_f32_i32_e32 v1, v1
	v_bfe_u32 v5, v1, 16, 1
	v_add3_u32 v1, v1, v5, s0
	v_lshrrev_b32_e32 v5, 16, v1
	s_mov_b64 s[0:1], 0
	s_branch .LBB240_548
.LBB240_547:
	s_mov_b64 s[0:1], -1
                                        ; implicit-def: $vgpr5
.LBB240_548:
	s_andn2_b64 vcc, exec, s[0:1]
	s_cbranch_vccnz .LBB240_550
; %bb.549:
	global_load_ubyte v1, v[3:4], off
	s_movk_i32 s0, 0x7fff
	s_waitcnt vmcnt(0)
	v_cvt_f32_ubyte0_e32 v1, v1
	v_bfe_u32 v3, v1, 16, 1
	v_add3_u32 v1, v1, v3, s0
	v_lshrrev_b32_e32 v5, 16, v1
.LBB240_550:
	s_branch .LBB240_419
.LBB240_551:
	s_mov_b64 s[54:55], 0
	s_mov_b64 s[0:1], s[38:39]
	s_mov_b64 s[48:49], s[40:41]
.LBB240_552:
                                        ; implicit-def: $vgpr8
	s_branch .LBB240_794
.LBB240_553:
	s_andn2_saveexec_b64 s[50:51], s[50:51]
	s_cbranch_execz .LBB240_204
.LBB240_554:
	s_mov_b32 s54, 0x42800000
	v_add_f32_e64 v4, |v5|, s54
	v_and_b32_e32 v4, 0xff, v4
	v_cmp_ne_u32_e32 vcc, 0, v4
	s_andn2_b64 s[46:47], s[46:47], exec
	s_and_b64 s[54:55], vcc, exec
	s_or_b64 s[46:47], s[46:47], s[54:55]
	s_or_b64 exec, exec, s[50:51]
	v_mov_b32_e32 v6, 0
	s_and_saveexec_b64 s[50:51], s[46:47]
	s_cbranch_execnz .LBB240_205
	s_branch .LBB240_206
.LBB240_555:
	s_mov_b64 s[48:49], -1
                                        ; implicit-def: $vgpr3
	s_mov_b64 s[0:1], 0
.LBB240_556:
	s_and_b64 vcc, exec, s[50:51]
	s_cbranch_vccz .LBB240_560
; %bb.557:
	s_cmp_eq_u32 s57, 44
	s_cbranch_scc0 .LBB240_559
; %bb.558:
	global_load_ubyte v3, v[1:2], off
	s_movk_i32 s48, 0xff
	v_mov_b32_e32 v4, 0x7f800001
	v_mov_b32_e32 v6, 0x400000
	;; [unrolled: 1-line block ×3, first 2 shown]
	s_mov_b64 s[0:1], -1
	s_waitcnt vmcnt(0)
	v_lshlrev_b32_e32 v9, 23, v3
	v_cmp_ne_u32_e32 vcc, s48, v3
	v_cndmask_b32_e32 v4, v4, v9, vcc
	v_cmp_ne_u32_e32 vcc, 0, v3
	v_cndmask_b32_e32 v3, v6, v4, vcc
	v_add_u32_e32 v4, 0x7fff, v3
	v_cmp_o_f32_e32 vcc, v3, v3
	v_cndmask_b32_sdwa v3, v7, v4, vcc dst_sel:DWORD dst_unused:UNUSED_PAD src0_sel:DWORD src1_sel:WORD_1
	s_mov_b64 s[48:49], 0
	s_branch .LBB240_560
.LBB240_559:
	s_mov_b64 s[48:49], -1
                                        ; implicit-def: $vgpr3
.LBB240_560:
	s_mov_b64 s[50:51], 0
.LBB240_561:
	s_and_b64 vcc, exec, s[50:51]
	s_cbranch_vccz .LBB240_565
; %bb.562:
	s_cmp_eq_u32 s57, 29
	s_cbranch_scc0 .LBB240_564
; %bb.563:
	global_load_dwordx2 v[3:4], v[1:2], off
	s_movk_i32 s48, 0x7fff
	s_mov_b64 s[0:1], -1
	s_mov_b64 s[50:51], 0
	s_waitcnt vmcnt(0)
	v_ffbh_u32_e32 v6, v4
	v_min_u32_e32 v6, 32, v6
	v_lshlrev_b64 v[3:4], v6, v[3:4]
	v_min_u32_e32 v3, 1, v3
	v_or_b32_e32 v3, v4, v3
	v_cvt_f32_u32_e32 v3, v3
	v_sub_u32_e32 v4, 32, v6
	v_ldexp_f32 v3, v3, v4
	v_bfe_u32 v4, v3, 16, 1
	v_add3_u32 v3, v3, v4, s48
	v_lshrrev_b32_e32 v3, 16, v3
	s_mov_b64 s[48:49], 0
	s_branch .LBB240_566
.LBB240_564:
	s_mov_b64 s[48:49], -1
                                        ; implicit-def: $vgpr3
.LBB240_565:
	s_mov_b64 s[50:51], 0
.LBB240_566:
	s_and_b64 vcc, exec, s[50:51]
	s_cbranch_vccz .LBB240_584
; %bb.567:
	s_cmp_lt_i32 s57, 27
	s_cbranch_scc1 .LBB240_570
; %bb.568:
	s_cmp_gt_i32 s57, 27
	s_cbranch_scc0 .LBB240_571
; %bb.569:
	global_load_dword v3, v[1:2], off
	s_movk_i32 s0, 0x7fff
	s_waitcnt vmcnt(0)
	v_cvt_f32_u32_e32 v3, v3
	v_bfe_u32 v4, v3, 16, 1
	v_add3_u32 v3, v3, v4, s0
	v_lshrrev_b32_e32 v3, 16, v3
	s_mov_b64 s[0:1], 0
	s_branch .LBB240_572
.LBB240_570:
	s_mov_b64 s[0:1], -1
                                        ; implicit-def: $vgpr3
	s_branch .LBB240_575
.LBB240_571:
	s_mov_b64 s[0:1], -1
                                        ; implicit-def: $vgpr3
.LBB240_572:
	s_andn2_b64 vcc, exec, s[0:1]
	s_cbranch_vccnz .LBB240_574
; %bb.573:
	global_load_ushort v3, v[1:2], off
	s_movk_i32 s0, 0x7fff
	s_waitcnt vmcnt(0)
	v_cvt_f32_u32_e32 v3, v3
	v_bfe_u32 v4, v3, 16, 1
	v_add3_u32 v3, v3, v4, s0
	v_lshrrev_b32_e32 v3, 16, v3
.LBB240_574:
	s_mov_b64 s[0:1], 0
.LBB240_575:
	s_andn2_b64 vcc, exec, s[0:1]
	s_cbranch_vccnz .LBB240_583
; %bb.576:
	global_load_ubyte v3, v[1:2], off
	s_movk_i32 s0, 0x7f
	s_waitcnt vmcnt(0)
	v_cmp_lt_i16_e32 vcc, s0, v3
	s_mov_b64 s[0:1], 0
	s_and_saveexec_b64 s[50:51], vcc
	s_xor_b64 s[50:51], exec, s[50:51]
	s_cbranch_execz .LBB240_597
; %bb.577:
	s_movk_i32 s0, 0x80
	v_cmp_eq_u16_e32 vcc, s0, v3
	s_mov_b64 s[0:1], -1
	s_and_saveexec_b64 s[54:55], vcc
; %bb.578:
	s_xor_b64 s[0:1], exec, -1
; %bb.579:
	s_or_b64 exec, exec, s[54:55]
	s_and_b64 s[0:1], s[0:1], exec
	s_or_saveexec_b64 s[50:51], s[50:51]
	v_mov_b32_e32 v4, 0x7f800001
	s_xor_b64 exec, exec, s[50:51]
	s_cbranch_execnz .LBB240_598
.LBB240_580:
	s_or_b64 exec, exec, s[50:51]
	s_and_saveexec_b64 s[50:51], s[0:1]
	s_cbranch_execz .LBB240_582
.LBB240_581:
	v_lshlrev_b32_e32 v4, 24, v3
	v_and_b32_e32 v3, 0xffff, v3
	v_and_b32_e32 v6, 7, v3
	v_ffbh_u32_e32 v9, v6
	v_min_u32_e32 v9, 32, v9
	v_subrev_u32_e32 v10, 28, v9
	v_bfe_u32 v7, v3, 3, 4
	v_lshlrev_b32_e32 v3, v10, v3
	v_sub_u32_e32 v9, 29, v9
	v_and_b32_e32 v3, 7, v3
	v_cmp_eq_u32_e32 vcc, 0, v7
	v_cndmask_b32_e32 v7, v7, v9, vcc
	v_cndmask_b32_e32 v3, v6, v3, vcc
	v_mov_b32_e32 v6, 0x3b800000
	v_lshlrev_b32_e32 v3, 20, v3
	v_and_b32_e32 v4, 0x80000000, v4
	v_lshl_add_u32 v6, v7, 23, v6
	v_or3_b32 v4, v4, v6, v3
.LBB240_582:
	s_or_b64 exec, exec, s[50:51]
	v_bfe_u32 v3, v4, 16, 1
	s_movk_i32 s0, 0x7fff
	v_add3_u32 v3, v4, v3, s0
	v_cmp_o_f32_e32 vcc, v4, v4
	v_mov_b32_e32 v4, 0x7fc0
	v_cndmask_b32_sdwa v3, v4, v3, vcc dst_sel:DWORD dst_unused:UNUSED_PAD src0_sel:DWORD src1_sel:WORD_1
.LBB240_583:
	s_mov_b64 s[0:1], -1
.LBB240_584:
	s_mov_b64 s[50:51], 0
.LBB240_585:
	s_and_b64 vcc, exec, s[50:51]
	s_cbranch_vccz .LBB240_620
; %bb.586:
	s_cmp_gt_i32 s57, 22
	s_cbranch_scc0 .LBB240_596
; %bb.587:
	s_cmp_lt_i32 s57, 24
	s_cbranch_scc1 .LBB240_599
; %bb.588:
	s_cmp_gt_i32 s57, 24
	s_cbranch_scc0 .LBB240_600
; %bb.589:
	global_load_ubyte v3, v[1:2], off
	s_movk_i32 s0, 0x7f
	s_waitcnt vmcnt(0)
	v_cmp_lt_i16_e32 vcc, s0, v3
	s_mov_b64 s[0:1], 0
	s_and_saveexec_b64 s[50:51], vcc
	s_xor_b64 s[50:51], exec, s[50:51]
	s_cbranch_execz .LBB240_612
; %bb.590:
	s_movk_i32 s0, 0x80
	v_cmp_eq_u16_e32 vcc, s0, v3
	s_mov_b64 s[0:1], -1
	s_and_saveexec_b64 s[54:55], vcc
; %bb.591:
	s_xor_b64 s[0:1], exec, -1
; %bb.592:
	s_or_b64 exec, exec, s[54:55]
	s_and_b64 s[0:1], s[0:1], exec
	s_or_saveexec_b64 s[50:51], s[50:51]
	v_mov_b32_e32 v4, 0x7f800001
	s_xor_b64 exec, exec, s[50:51]
	s_cbranch_execnz .LBB240_613
.LBB240_593:
	s_or_b64 exec, exec, s[50:51]
	s_and_saveexec_b64 s[50:51], s[0:1]
	s_cbranch_execz .LBB240_595
.LBB240_594:
	v_lshlrev_b32_e32 v4, 24, v3
	v_and_b32_e32 v3, 0xffff, v3
	v_and_b32_e32 v6, 3, v3
	v_ffbh_u32_e32 v9, v6
	v_min_u32_e32 v9, 32, v9
	v_subrev_u32_e32 v10, 29, v9
	v_bfe_u32 v7, v3, 2, 5
	v_lshlrev_b32_e32 v3, v10, v3
	v_sub_u32_e32 v9, 30, v9
	v_and_b32_e32 v3, 3, v3
	v_cmp_eq_u32_e32 vcc, 0, v7
	v_cndmask_b32_e32 v7, v7, v9, vcc
	v_cndmask_b32_e32 v3, v6, v3, vcc
	v_mov_b32_e32 v6, 0x37800000
	v_lshlrev_b32_e32 v3, 21, v3
	v_and_b32_e32 v4, 0x80000000, v4
	v_lshl_add_u32 v6, v7, 23, v6
	v_or3_b32 v4, v4, v6, v3
.LBB240_595:
	s_or_b64 exec, exec, s[50:51]
	v_bfe_u32 v3, v4, 16, 1
	s_movk_i32 s0, 0x7fff
	v_add3_u32 v3, v4, v3, s0
	v_cmp_o_f32_e32 vcc, v4, v4
	v_mov_b32_e32 v4, 0x7fc0
	v_cndmask_b32_sdwa v3, v4, v3, vcc dst_sel:DWORD dst_unused:UNUSED_PAD src0_sel:DWORD src1_sel:WORD_1
	s_mov_b64 s[0:1], 0
	s_branch .LBB240_601
.LBB240_596:
	s_mov_b64 s[50:51], -1
                                        ; implicit-def: $vgpr3
	s_branch .LBB240_607
.LBB240_597:
	s_or_saveexec_b64 s[50:51], s[50:51]
	v_mov_b32_e32 v4, 0x7f800001
	s_xor_b64 exec, exec, s[50:51]
	s_cbranch_execz .LBB240_580
.LBB240_598:
	v_cmp_ne_u16_e32 vcc, 0, v3
	s_andn2_b64 s[0:1], s[0:1], exec
	s_and_b64 s[54:55], vcc, exec
	v_mov_b32_e32 v4, 0
	s_or_b64 s[0:1], s[0:1], s[54:55]
	s_or_b64 exec, exec, s[50:51]
	s_and_saveexec_b64 s[50:51], s[0:1]
	s_cbranch_execnz .LBB240_581
	s_branch .LBB240_582
.LBB240_599:
	s_mov_b64 s[0:1], -1
                                        ; implicit-def: $vgpr3
	s_branch .LBB240_604
.LBB240_600:
	s_mov_b64 s[0:1], -1
                                        ; implicit-def: $vgpr3
.LBB240_601:
	s_and_b64 vcc, exec, s[0:1]
	s_cbranch_vccz .LBB240_603
; %bb.602:
	global_load_ubyte v3, v[1:2], off
	s_mov_b32 s0, 0x7f800000
	s_brev_b32 s1, 1
	s_movk_i32 s50, 0x7fff
	s_waitcnt vmcnt(0)
	v_lshlrev_b32_e32 v3, 24, v3
	v_and_b32_e32 v4, 0x7f000000, v3
	v_ffbh_u32_e32 v6, v4
	v_min_u32_e32 v6, 32, v6
	v_sub_u32_e64 v6, v6, 4 clamp
	v_lshlrev_b32_e32 v9, v6, v4
	v_lshlrev_b32_e32 v6, 23, v6
	v_lshrrev_b32_e32 v9, 4, v9
	v_add_u32_e32 v7, 0x1000000, v4
	v_sub_u32_e32 v6, v9, v6
	v_ashrrev_i32_e32 v7, 8, v7
	v_add_u32_e32 v6, 0x3c000000, v6
	v_and_or_b32 v6, v7, s0, v6
	v_cmp_ne_u32_e32 vcc, 0, v4
	v_cndmask_b32_e32 v4, 0, v6, vcc
	v_and_or_b32 v3, v3, s1, v4
	v_bfe_u32 v4, v4, 16, 1
	v_add3_u32 v4, v3, v4, s50
	v_cmp_o_f32_e32 vcc, v3, v3
	v_mov_b32_e32 v3, 0x7fc0
	v_cndmask_b32_sdwa v3, v3, v4, vcc dst_sel:DWORD dst_unused:UNUSED_PAD src0_sel:DWORD src1_sel:WORD_1
.LBB240_603:
	s_mov_b64 s[0:1], 0
.LBB240_604:
	s_andn2_b64 vcc, exec, s[0:1]
	s_cbranch_vccnz .LBB240_606
; %bb.605:
	global_load_ubyte v3, v[1:2], off
	s_movk_i32 s0, 0x7f00
	s_brev_b32 s1, 16
	s_brev_b32 s50, 1
	s_movk_i32 s51, 0x7fff
	s_waitcnt vmcnt(0)
	v_lshlrev_b16_e32 v4, 8, v3
	v_lshlrev_b32_e32 v3, 25, v3
	v_lshrrev_b32_e32 v6, 4, v3
	v_and_or_b32 v7, v4, s0, 0.5
	v_or_b32_e32 v6, 0x70000000, v6
	v_add_f32_e32 v7, -0.5, v7
	v_mul_f32_e32 v6, 0x7800000, v6
	v_cmp_gt_u32_e32 vcc, s1, v3
	v_bfe_i32 v4, v4, 0, 16
	v_cndmask_b32_e32 v3, v6, v7, vcc
	v_and_or_b32 v4, v4, s50, v3
	v_bfe_u32 v3, v3, 16, 1
	v_add3_u32 v3, v4, v3, s51
	v_cmp_o_f32_e32 vcc, v4, v4
	v_mov_b32_e32 v4, 0x7fc0
	v_cndmask_b32_sdwa v3, v4, v3, vcc dst_sel:DWORD dst_unused:UNUSED_PAD src0_sel:DWORD src1_sel:WORD_1
.LBB240_606:
	s_mov_b64 s[50:51], 0
	s_mov_b64 s[0:1], -1
.LBB240_607:
	s_andn2_b64 vcc, exec, s[50:51]
	s_cbranch_vccnz .LBB240_620
; %bb.608:
	s_cmp_gt_i32 s57, 14
	s_cbranch_scc0 .LBB240_611
; %bb.609:
	s_cmp_eq_u32 s57, 15
	s_cbranch_scc0 .LBB240_614
; %bb.610:
	global_load_ushort v3, v[1:2], off
	s_mov_b64 s[0:1], -1
	s_mov_b64 s[48:49], 0
	s_branch .LBB240_615
.LBB240_611:
	s_mov_b64 s[50:51], -1
                                        ; implicit-def: $vgpr3
	s_branch .LBB240_616
.LBB240_612:
	s_or_saveexec_b64 s[50:51], s[50:51]
	v_mov_b32_e32 v4, 0x7f800001
	s_xor_b64 exec, exec, s[50:51]
	s_cbranch_execz .LBB240_593
.LBB240_613:
	v_cmp_ne_u16_e32 vcc, 0, v3
	s_andn2_b64 s[0:1], s[0:1], exec
	s_and_b64 s[54:55], vcc, exec
	v_mov_b32_e32 v4, 0
	s_or_b64 s[0:1], s[0:1], s[54:55]
	s_or_b64 exec, exec, s[50:51]
	s_and_saveexec_b64 s[50:51], s[0:1]
	s_cbranch_execnz .LBB240_594
	s_branch .LBB240_595
.LBB240_614:
	s_mov_b64 s[48:49], -1
                                        ; implicit-def: $vgpr3
.LBB240_615:
	s_mov_b64 s[50:51], 0
.LBB240_616:
	s_and_b64 vcc, exec, s[50:51]
	s_cbranch_vccz .LBB240_620
; %bb.617:
	s_cmp_eq_u32 s57, 11
	s_cbranch_scc0 .LBB240_619
; %bb.618:
	global_load_ubyte v3, v[1:2], off
	s_mov_b64 s[0:1], -1
	s_mov_b64 s[48:49], 0
	s_waitcnt vmcnt(0)
	v_cmp_ne_u16_e32 vcc, 0, v3
	v_cndmask_b32_e64 v3, 0, 1.0, vcc
	v_lshrrev_b32_e32 v3, 16, v3
	s_branch .LBB240_620
.LBB240_619:
	s_mov_b64 s[48:49], -1
                                        ; implicit-def: $vgpr3
.LBB240_620:
	s_mov_b64 s[50:51], 0
.LBB240_621:
	s_and_b64 vcc, exec, s[50:51]
	s_cbranch_vccz .LBB240_670
; %bb.622:
	s_and_b32 s50, 0xffff, s56
	s_cmp_lt_i32 s50, 5
	s_cbranch_scc1 .LBB240_627
; %bb.623:
	s_cmp_lt_i32 s50, 8
	s_cbranch_scc1 .LBB240_628
; %bb.624:
	;; [unrolled: 3-line block ×3, first 2 shown]
	s_cmp_gt_i32 s50, 9
	s_cbranch_scc0 .LBB240_630
; %bb.626:
	global_load_dwordx2 v[3:4], v[1:2], off
	s_movk_i32 s0, 0x7fff
	s_waitcnt vmcnt(0)
	v_cvt_f32_f64_e32 v3, v[3:4]
	v_mov_b32_e32 v4, 0x7fc0
	v_bfe_u32 v6, v3, 16, 1
	v_cmp_o_f32_e32 vcc, v3, v3
	v_add3_u32 v3, v3, v6, s0
	v_cndmask_b32_sdwa v3, v4, v3, vcc dst_sel:DWORD dst_unused:UNUSED_PAD src0_sel:DWORD src1_sel:WORD_1
	s_mov_b64 s[0:1], 0
	s_branch .LBB240_631
.LBB240_627:
	s_mov_b64 s[0:1], -1
                                        ; implicit-def: $vgpr3
	s_branch .LBB240_649
.LBB240_628:
	s_mov_b64 s[0:1], -1
                                        ; implicit-def: $vgpr3
	s_branch .LBB240_637
.LBB240_629:
	s_mov_b64 s[0:1], -1
                                        ; implicit-def: $vgpr3
	s_branch .LBB240_634
.LBB240_630:
	s_mov_b64 s[0:1], -1
                                        ; implicit-def: $vgpr3
.LBB240_631:
	s_andn2_b64 vcc, exec, s[0:1]
	s_cbranch_vccnz .LBB240_633
; %bb.632:
	global_load_dword v3, v[1:2], off
	s_movk_i32 s0, 0x7fff
	v_mov_b32_e32 v4, 0x7fc0
	s_waitcnt vmcnt(0)
	v_bfe_u32 v6, v3, 16, 1
	v_cmp_o_f32_e32 vcc, v3, v3
	v_add3_u32 v3, v3, v6, s0
	v_cndmask_b32_sdwa v3, v4, v3, vcc dst_sel:DWORD dst_unused:UNUSED_PAD src0_sel:DWORD src1_sel:WORD_1
.LBB240_633:
	s_mov_b64 s[0:1], 0
.LBB240_634:
	s_andn2_b64 vcc, exec, s[0:1]
	s_cbranch_vccnz .LBB240_636
; %bb.635:
	global_load_dword v3, v[1:2], off
	s_movk_i32 s0, 0x7fff
	v_mov_b32_e32 v6, 0x7fc0
	s_waitcnt vmcnt(0)
	v_cvt_f32_f16_e32 v4, v3
	v_cmp_o_f16_e32 vcc, v3, v3
	v_bfe_u32 v3, v4, 16, 1
	v_add3_u32 v3, v4, v3, s0
	v_cndmask_b32_sdwa v3, v6, v3, vcc dst_sel:DWORD dst_unused:UNUSED_PAD src0_sel:DWORD src1_sel:WORD_1
.LBB240_636:
	s_mov_b64 s[0:1], 0
.LBB240_637:
	s_andn2_b64 vcc, exec, s[0:1]
	s_cbranch_vccnz .LBB240_648
; %bb.638:
	s_cmp_lt_i32 s50, 6
	s_cbranch_scc1 .LBB240_641
; %bb.639:
	s_cmp_gt_i32 s50, 6
	s_cbranch_scc0 .LBB240_642
; %bb.640:
	global_load_dwordx2 v[3:4], v[1:2], off
	s_movk_i32 s0, 0x7fff
	s_waitcnt vmcnt(0)
	v_cvt_f32_f64_e32 v3, v[3:4]
	v_mov_b32_e32 v4, 0x7fc0
	v_bfe_u32 v6, v3, 16, 1
	v_cmp_o_f32_e32 vcc, v3, v3
	v_add3_u32 v3, v3, v6, s0
	v_cndmask_b32_sdwa v3, v4, v3, vcc dst_sel:DWORD dst_unused:UNUSED_PAD src0_sel:DWORD src1_sel:WORD_1
	s_mov_b64 s[0:1], 0
	s_branch .LBB240_643
.LBB240_641:
	s_mov_b64 s[0:1], -1
                                        ; implicit-def: $vgpr3
	s_branch .LBB240_646
.LBB240_642:
	s_mov_b64 s[0:1], -1
                                        ; implicit-def: $vgpr3
.LBB240_643:
	s_andn2_b64 vcc, exec, s[0:1]
	s_cbranch_vccnz .LBB240_645
; %bb.644:
	global_load_dword v3, v[1:2], off
	s_movk_i32 s0, 0x7fff
	v_mov_b32_e32 v4, 0x7fc0
	s_waitcnt vmcnt(0)
	v_bfe_u32 v6, v3, 16, 1
	v_cmp_o_f32_e32 vcc, v3, v3
	v_add3_u32 v3, v3, v6, s0
	v_cndmask_b32_sdwa v3, v4, v3, vcc dst_sel:DWORD dst_unused:UNUSED_PAD src0_sel:DWORD src1_sel:WORD_1
.LBB240_645:
	s_mov_b64 s[0:1], 0
.LBB240_646:
	s_andn2_b64 vcc, exec, s[0:1]
	s_cbranch_vccnz .LBB240_648
; %bb.647:
	global_load_ushort v3, v[1:2], off
	s_movk_i32 s0, 0x7fff
	v_mov_b32_e32 v6, 0x7fc0
	s_waitcnt vmcnt(0)
	v_cvt_f32_f16_e32 v4, v3
	v_cmp_o_f16_e32 vcc, v3, v3
	v_bfe_u32 v3, v4, 16, 1
	v_add3_u32 v3, v4, v3, s0
	v_cndmask_b32_sdwa v3, v6, v3, vcc dst_sel:DWORD dst_unused:UNUSED_PAD src0_sel:DWORD src1_sel:WORD_1
.LBB240_648:
	s_mov_b64 s[0:1], 0
.LBB240_649:
	s_andn2_b64 vcc, exec, s[0:1]
	s_cbranch_vccnz .LBB240_669
; %bb.650:
	s_cmp_lt_i32 s50, 2
	s_cbranch_scc1 .LBB240_654
; %bb.651:
	s_cmp_lt_i32 s50, 3
	s_cbranch_scc1 .LBB240_655
; %bb.652:
	s_cmp_gt_i32 s50, 3
	s_cbranch_scc0 .LBB240_656
; %bb.653:
	global_load_dwordx2 v[3:4], v[1:2], off
	s_movk_i32 s0, 0x7fff
	s_waitcnt vmcnt(0)
	v_xor_b32_e32 v7, v3, v4
	v_ffbh_i32_e32 v6, v4
	v_ashrrev_i32_e32 v7, 31, v7
	v_add_u32_e32 v6, -1, v6
	v_add_u32_e32 v7, 32, v7
	v_min_u32_e32 v6, v6, v7
	v_lshlrev_b64 v[3:4], v6, v[3:4]
	v_min_u32_e32 v3, 1, v3
	v_or_b32_e32 v3, v4, v3
	v_cvt_f32_i32_e32 v3, v3
	v_sub_u32_e32 v4, 32, v6
	v_ldexp_f32 v3, v3, v4
	v_bfe_u32 v4, v3, 16, 1
	v_add3_u32 v3, v3, v4, s0
	v_lshrrev_b32_e32 v3, 16, v3
	s_mov_b64 s[0:1], 0
	s_branch .LBB240_657
.LBB240_654:
	s_mov_b64 s[0:1], -1
                                        ; implicit-def: $vgpr3
	s_branch .LBB240_663
.LBB240_655:
	s_mov_b64 s[0:1], -1
                                        ; implicit-def: $vgpr3
	s_branch .LBB240_660
.LBB240_656:
	s_mov_b64 s[0:1], -1
                                        ; implicit-def: $vgpr3
.LBB240_657:
	s_andn2_b64 vcc, exec, s[0:1]
	s_cbranch_vccnz .LBB240_659
; %bb.658:
	global_load_dword v3, v[1:2], off
	s_movk_i32 s0, 0x7fff
	s_waitcnt vmcnt(0)
	v_cvt_f32_i32_e32 v3, v3
	v_bfe_u32 v4, v3, 16, 1
	v_add3_u32 v3, v3, v4, s0
	v_lshrrev_b32_e32 v3, 16, v3
.LBB240_659:
	s_mov_b64 s[0:1], 0
.LBB240_660:
	s_andn2_b64 vcc, exec, s[0:1]
	s_cbranch_vccnz .LBB240_662
; %bb.661:
	global_load_sshort v3, v[1:2], off
	s_movk_i32 s0, 0x7fff
	s_waitcnt vmcnt(0)
	v_cvt_f32_i32_e32 v3, v3
	v_bfe_u32 v4, v3, 16, 1
	v_add3_u32 v3, v3, v4, s0
	v_lshrrev_b32_e32 v3, 16, v3
.LBB240_662:
	s_mov_b64 s[0:1], 0
.LBB240_663:
	s_andn2_b64 vcc, exec, s[0:1]
	s_cbranch_vccnz .LBB240_669
; %bb.664:
	s_cmp_gt_i32 s50, 0
	s_cbranch_scc0 .LBB240_666
; %bb.665:
	global_load_sbyte v3, v[1:2], off
	s_movk_i32 s0, 0x7fff
	s_waitcnt vmcnt(0)
	v_cvt_f32_i32_e32 v3, v3
	v_bfe_u32 v4, v3, 16, 1
	v_add3_u32 v3, v3, v4, s0
	v_lshrrev_b32_e32 v3, 16, v3
	s_mov_b64 s[0:1], 0
	s_branch .LBB240_667
.LBB240_666:
	s_mov_b64 s[0:1], -1
                                        ; implicit-def: $vgpr3
.LBB240_667:
	s_andn2_b64 vcc, exec, s[0:1]
	s_cbranch_vccnz .LBB240_669
; %bb.668:
	global_load_ubyte v1, v[1:2], off
	s_movk_i32 s0, 0x7fff
	s_waitcnt vmcnt(0)
	v_cvt_f32_ubyte0_e32 v1, v1
	v_bfe_u32 v2, v1, 16, 1
	v_add3_u32 v1, v1, v2, s0
	v_lshrrev_b32_e32 v3, 16, v1
.LBB240_669:
	s_mov_b64 s[0:1], -1
.LBB240_670:
	s_andn2_b64 vcc, exec, s[0:1]
	s_cbranch_vccnz .LBB240_678
; %bb.671:
	s_waitcnt vmcnt(0)
	v_lshlrev_b32_e32 v1, 16, v5
	v_mov_b32_e32 v2, s71
	v_cmp_ge_f32_e32 vcc, s14, v1
	v_cndmask_b32_e32 v2, v3, v2, vcc
	v_mov_b32_e32 v1, s9
	s_and_b32 s58, s15, 0xff
	v_add_co_u32_e32 v0, vcc, s8, v0
	s_cmp_lt_i32 s58, 11
	v_addc_co_u32_e32 v1, vcc, 0, v1, vcc
	s_cbranch_scc1 .LBB240_679
; %bb.672:
	s_and_b32 s59, 0xffff, s58
	s_cmp_gt_i32 s59, 25
	s_cbranch_scc0 .LBB240_680
; %bb.673:
	s_cmp_gt_i32 s59, 28
	s_cbranch_scc0 .LBB240_681
; %bb.674:
	;; [unrolled: 3-line block ×4, first 2 shown]
	s_mov_b64 s[54:55], 0
	s_mov_b64 s[0:1], -1
	s_cmp_eq_u32 s59, 46
	s_mov_b64 s[50:51], 0
	s_cbranch_scc0 .LBB240_684
; %bb.677:
	v_and_b32_e32 v3, 0xffff, v2
	global_store_dword v[0:1], v3, off
	s_mov_b64 s[50:51], -1
	s_mov_b64 s[0:1], 0
	s_branch .LBB240_684
.LBB240_678:
	s_mov_b64 s[54:55], 0
                                        ; implicit-def: $vgpr8
	s_mov_b64 s[0:1], s[38:39]
	s_branch .LBB240_794
.LBB240_679:
	s_mov_b64 s[54:55], -1
	s_mov_b64 s[50:51], 0
	s_mov_b64 s[0:1], s[38:39]
	s_branch .LBB240_753
.LBB240_680:
	s_mov_b64 s[54:55], -1
	s_mov_b64 s[50:51], 0
	s_mov_b64 s[0:1], s[38:39]
	s_branch .LBB240_711
.LBB240_681:
	s_mov_b64 s[54:55], -1
	s_mov_b64 s[50:51], 0
	s_mov_b64 s[0:1], s[38:39]
	s_branch .LBB240_694
.LBB240_682:
	s_mov_b64 s[54:55], -1
	s_mov_b64 s[50:51], 0
	s_mov_b64 s[0:1], s[38:39]
	s_branch .LBB240_690
.LBB240_683:
	s_mov_b64 s[54:55], -1
	s_mov_b64 s[50:51], 0
	s_mov_b64 s[0:1], s[38:39]
.LBB240_684:
	s_and_b64 vcc, exec, s[54:55]
	s_cbranch_vccz .LBB240_689
; %bb.685:
	s_cmp_eq_u32 s59, 44
	s_mov_b64 s[0:1], -1
	s_cbranch_scc0 .LBB240_689
; %bb.686:
	v_and_b32_e32 v4, 0xffff, v2
	v_bfe_u32 v3, v4, 7, 8
	s_movk_i32 s0, 0xff
	v_cmp_ne_u32_e32 vcc, s0, v3
	v_mov_b32_e32 v5, 0xff
	s_and_saveexec_b64 s[50:51], vcc
	s_cbranch_execz .LBB240_688
; %bb.687:
	v_lshlrev_b32_e32 v6, 16, v4
	s_mov_b32 s0, 0x3f0000
	v_lshrrev_b32_e32 v5, 7, v4
	v_and_b32_e32 v4, 64, v4
	v_and_or_b32 v3, v6, s0, v3
	v_cmp_ne_u32_e32 vcc, 0, v4
	v_cmp_ne_u32_e64 s[0:1], 0, v3
	s_and_b64 s[0:1], vcc, s[0:1]
	v_cndmask_b32_e64 v3, 0, 1, s[0:1]
	v_add_u32_e32 v5, v5, v3
.LBB240_688:
	s_or_b64 exec, exec, s[50:51]
	s_mov_b64 s[50:51], -1
	s_mov_b64 s[0:1], 0
	global_store_byte v[0:1], v5, off
.LBB240_689:
	s_mov_b64 s[54:55], 0
.LBB240_690:
	s_and_b64 vcc, exec, s[54:55]
	s_cbranch_vccz .LBB240_693
; %bb.691:
	s_cmp_eq_u32 s59, 29
	s_mov_b64 s[0:1], -1
	s_cbranch_scc0 .LBB240_693
; %bb.692:
	v_lshlrev_b32_e32 v3, 16, v2
	v_trunc_f32_e32 v3, v3
	v_mul_f32_e32 v4, 0x2f800000, v3
	v_floor_f32_e32 v5, v4
	v_fmac_f32_e32 v3, 0xcf800000, v5
	v_cvt_u32_f32_e32 v4, v5
	v_cvt_u32_f32_e32 v3, v3
	s_mov_b64 s[50:51], -1
	s_mov_b64 s[0:1], 0
	s_mov_b64 s[54:55], 0
	global_store_dwordx2 v[0:1], v[3:4], off
	s_branch .LBB240_694
.LBB240_693:
	s_mov_b64 s[54:55], 0
.LBB240_694:
	s_and_b64 vcc, exec, s[54:55]
	s_cbranch_vccz .LBB240_710
; %bb.695:
	s_cmp_lt_i32 s59, 27
	s_mov_b64 s[50:51], -1
	s_cbranch_scc1 .LBB240_701
; %bb.696:
	s_cmp_gt_i32 s59, 27
	s_cbranch_scc0 .LBB240_698
; %bb.697:
	v_lshlrev_b32_e32 v3, 16, v2
	v_cvt_u32_f32_e32 v3, v3
	s_mov_b64 s[50:51], 0
	global_store_dword v[0:1], v3, off
.LBB240_698:
	s_andn2_b64 vcc, exec, s[50:51]
	s_cbranch_vccnz .LBB240_700
; %bb.699:
	v_lshlrev_b32_e32 v3, 16, v2
	v_cvt_u32_f32_e32 v3, v3
	global_store_short v[0:1], v3, off
.LBB240_700:
	s_mov_b64 s[50:51], 0
.LBB240_701:
	s_andn2_b64 vcc, exec, s[50:51]
	s_cbranch_vccnz .LBB240_709
; %bb.702:
	v_lshlrev_b32_e32 v5, 16, v2
	v_and_b32_e32 v4, 0x7fffffff, v5
	s_mov_b32 s50, 0x43800000
	v_cmp_gt_u32_e32 vcc, s50, v4
	v_mov_b32_e32 v6, 0x80
	s_and_saveexec_b64 s[50:51], vcc
	s_cbranch_execz .LBB240_708
; %bb.703:
	s_mov_b32 s54, 0x3bffffff
	v_and_b32_e32 v3, 0xffff, v2
	v_cmp_lt_u32_e32 vcc, s54, v4
	s_mov_b64 s[54:55], 0
                                        ; implicit-def: $vgpr4
	s_and_saveexec_b64 s[56:57], vcc
	s_xor_b64 s[56:57], exec, s[56:57]
	s_cbranch_execz .LBB240_822
; %bb.704:
	v_bfe_u32 v4, v3, 4, 1
	s_mov_b32 s60, 0x487ffff
	v_add3_u32 v4, v5, v4, s60
	s_mov_b64 s[54:55], exec
	v_lshrrev_b32_e32 v4, 20, v4
                                        ; implicit-def: $vgpr5
	s_andn2_saveexec_b64 s[56:57], s[56:57]
	s_cbranch_execnz .LBB240_823
.LBB240_705:
	s_or_b64 exec, exec, s[56:57]
	v_mov_b32_e32 v6, 0
	s_and_saveexec_b64 s[56:57], s[54:55]
.LBB240_706:
	v_lshrrev_b32_e32 v3, 8, v3
	s_movk_i32 s54, 0x80
	v_and_or_b32 v6, v3, s54, v4
.LBB240_707:
	s_or_b64 exec, exec, s[56:57]
.LBB240_708:
	s_or_b64 exec, exec, s[50:51]
	global_store_byte v[0:1], v6, off
.LBB240_709:
	s_mov_b64 s[50:51], -1
.LBB240_710:
	s_mov_b64 s[54:55], 0
.LBB240_711:
	s_and_b64 vcc, exec, s[54:55]
	s_cbranch_vccz .LBB240_752
; %bb.712:
	s_cmp_gt_i32 s59, 22
	s_mov_b64 s[54:55], -1
	s_cbranch_scc0 .LBB240_744
; %bb.713:
	s_cmp_lt_i32 s59, 24
	s_mov_b64 s[50:51], -1
	s_cbranch_scc1 .LBB240_733
; %bb.714:
	s_cmp_gt_i32 s59, 24
	s_cbranch_scc0 .LBB240_722
; %bb.715:
	v_lshlrev_b32_e32 v5, 16, v2
	v_and_b32_e32 v4, 0x7fffffff, v5
	s_mov_b32 s50, 0x47800000
	v_cmp_gt_u32_e32 vcc, s50, v4
	v_mov_b32_e32 v6, 0x80
	s_and_saveexec_b64 s[50:51], vcc
	s_cbranch_execz .LBB240_721
; %bb.716:
	s_mov_b32 s54, 0x37ffffff
	v_and_b32_e32 v3, 0xffff, v2
	v_cmp_lt_u32_e32 vcc, s54, v4
	s_mov_b64 s[54:55], 0
                                        ; implicit-def: $vgpr4
	s_and_saveexec_b64 s[56:57], vcc
	s_xor_b64 s[56:57], exec, s[56:57]
	s_cbranch_execz .LBB240_954
; %bb.717:
	v_bfe_u32 v4, v3, 5, 1
	s_mov_b32 s60, 0x88fffff
	v_add3_u32 v4, v5, v4, s60
	s_mov_b64 s[54:55], exec
	v_lshrrev_b32_e32 v4, 21, v4
                                        ; implicit-def: $vgpr5
	s_andn2_saveexec_b64 s[56:57], s[56:57]
	s_cbranch_execnz .LBB240_955
.LBB240_718:
	s_or_b64 exec, exec, s[56:57]
	v_mov_b32_e32 v6, 0
	s_and_saveexec_b64 s[56:57], s[54:55]
.LBB240_719:
	v_lshrrev_b32_e32 v3, 8, v3
	s_movk_i32 s54, 0x80
	v_and_or_b32 v6, v3, s54, v4
.LBB240_720:
	s_or_b64 exec, exec, s[56:57]
.LBB240_721:
	s_or_b64 exec, exec, s[50:51]
	s_mov_b64 s[50:51], 0
	global_store_byte v[0:1], v6, off
.LBB240_722:
	s_and_b64 vcc, exec, s[50:51]
	s_cbranch_vccz .LBB240_732
; %bb.723:
	v_lshlrev_b32_e32 v5, 16, v2
	v_and_b32_e32 v6, 0x7fffffff, v5
	s_mov_b32 s50, 0x43f00000
	v_and_b32_e32 v3, 0xffff, v2
	v_cmp_gt_u32_e32 vcc, s50, v6
                                        ; implicit-def: $vgpr4
	s_and_saveexec_b64 s[50:51], vcc
	s_xor_b64 s[50:51], exec, s[50:51]
	s_cbranch_execz .LBB240_729
; %bb.724:
	s_mov_b32 s54, 0x3c7fffff
	v_cmp_lt_u32_e32 vcc, s54, v6
                                        ; implicit-def: $vgpr4
	s_and_saveexec_b64 s[54:55], vcc
	s_xor_b64 s[54:55], exec, s[54:55]
; %bb.725:
	v_bfe_u32 v4, v3, 4, 1
	s_mov_b32 s56, 0x407ffff
	v_add3_u32 v4, v5, v4, s56
	v_lshrrev_b32_e32 v5, 20, v4
	v_and_b32_e32 v4, 0xff00000, v4
	s_mov_b32 s56, 0x7f00000
	v_mov_b32_e32 v6, 0x7e
	v_cmp_ne_u32_e32 vcc, s56, v4
	v_cndmask_b32_e32 v4, v6, v5, vcc
                                        ; implicit-def: $vgpr5
; %bb.726:
	s_andn2_saveexec_b64 s[54:55], s[54:55]
; %bb.727:
	s_mov_b32 s56, 0x46800000
	v_add_f32_e64 v4, |v5|, s56
; %bb.728:
	s_or_b64 exec, exec, s[54:55]
                                        ; implicit-def: $vgpr6
.LBB240_729:
	s_andn2_saveexec_b64 s[50:51], s[50:51]
; %bb.730:
	s_mov_b32 s54, 0x7f800000
	v_mov_b32_e32 v4, 0x7e
	v_mov_b32_e32 v5, 0x7f
	v_cmp_lt_u32_e32 vcc, s54, v6
	v_cndmask_b32_e32 v4, v4, v5, vcc
; %bb.731:
	s_or_b64 exec, exec, s[50:51]
	v_lshrrev_b32_e32 v3, 8, v3
	s_movk_i32 s50, 0x80
	v_and_or_b32 v3, v3, s50, v4
	global_store_byte v[0:1], v3, off
.LBB240_732:
	s_mov_b64 s[50:51], 0
.LBB240_733:
	s_andn2_b64 vcc, exec, s[50:51]
	s_cbranch_vccnz .LBB240_743
; %bb.734:
	v_lshlrev_b32_e32 v5, 16, v2
	v_and_b32_e32 v6, 0x7fffffff, v5
	s_mov_b32 s50, 0x47800000
	v_and_b32_e32 v3, 0xffff, v2
	v_cmp_gt_u32_e32 vcc, s50, v6
                                        ; implicit-def: $vgpr4
	s_and_saveexec_b64 s[50:51], vcc
	s_xor_b64 s[50:51], exec, s[50:51]
	s_cbranch_execz .LBB240_740
; %bb.735:
	s_mov_b32 s54, 0x387fffff
	v_cmp_lt_u32_e32 vcc, s54, v6
                                        ; implicit-def: $vgpr4
	s_and_saveexec_b64 s[54:55], vcc
	s_xor_b64 s[54:55], exec, s[54:55]
; %bb.736:
	v_bfe_u32 v4, v3, 5, 1
	s_mov_b32 s56, 0x80fffff
	v_add3_u32 v4, v5, v4, s56
	v_lshrrev_b32_e32 v4, 21, v4
                                        ; implicit-def: $vgpr5
; %bb.737:
	s_andn2_saveexec_b64 s[54:55], s[54:55]
; %bb.738:
	s_mov_b32 s56, 0x43000000
	v_add_f32_e64 v4, |v5|, s56
; %bb.739:
	s_or_b64 exec, exec, s[54:55]
                                        ; implicit-def: $vgpr6
.LBB240_740:
	s_andn2_saveexec_b64 s[50:51], s[50:51]
; %bb.741:
	s_mov_b32 s54, 0x7f800000
	v_mov_b32_e32 v4, 0x7c
	v_mov_b32_e32 v5, 0x7f
	v_cmp_lt_u32_e32 vcc, s54, v6
	v_cndmask_b32_e32 v4, v4, v5, vcc
; %bb.742:
	s_or_b64 exec, exec, s[50:51]
	v_lshrrev_b32_e32 v3, 8, v3
	s_movk_i32 s50, 0x80
	v_and_or_b32 v3, v3, s50, v4
	global_store_byte v[0:1], v3, off
.LBB240_743:
	s_mov_b64 s[54:55], 0
	s_mov_b64 s[50:51], -1
.LBB240_744:
	s_andn2_b64 vcc, exec, s[54:55]
	s_cbranch_vccnz .LBB240_752
; %bb.745:
	s_cmp_gt_i32 s59, 14
	s_mov_b64 s[54:55], -1
	s_cbranch_scc0 .LBB240_749
; %bb.746:
	s_cmp_eq_u32 s59, 15
	s_mov_b64 s[0:1], -1
	s_cbranch_scc0 .LBB240_748
; %bb.747:
	global_store_short v[0:1], v2, off
	s_mov_b64 s[50:51], -1
	s_mov_b64 s[0:1], 0
.LBB240_748:
	s_mov_b64 s[54:55], 0
.LBB240_749:
	s_and_b64 vcc, exec, s[54:55]
	s_cbranch_vccz .LBB240_752
; %bb.750:
	s_cmp_eq_u32 s59, 11
	s_mov_b64 s[0:1], -1
	s_cbranch_scc0 .LBB240_752
; %bb.751:
	v_and_b32_e32 v3, 0x7fff, v2
	v_cmp_ne_u16_e32 vcc, 0, v3
	v_cndmask_b32_e64 v3, 0, 1, vcc
	s_mov_b64 s[50:51], -1
	s_mov_b64 s[0:1], 0
	global_store_byte v[0:1], v3, off
.LBB240_752:
	s_mov_b64 s[54:55], 0
.LBB240_753:
	s_and_b64 vcc, exec, s[54:55]
	s_cbranch_vccz .LBB240_792
; %bb.754:
	s_and_b32 s54, 0xffff, s58
	s_cmp_lt_i32 s54, 5
	s_mov_b64 s[50:51], -1
	s_cbranch_scc1 .LBB240_775
; %bb.755:
	s_cmp_lt_i32 s54, 8
	s_cbranch_scc1 .LBB240_765
; %bb.756:
	s_cmp_lt_i32 s54, 9
	s_cbranch_scc1 .LBB240_762
; %bb.757:
	s_cmp_gt_i32 s54, 9
	s_cbranch_scc0 .LBB240_759
; %bb.758:
	v_lshlrev_b32_e32 v3, 16, v2
	v_cvt_f64_f32_e32 v[3:4], v3
	v_mov_b32_e32 v5, 0
	v_mov_b32_e32 v6, v5
	s_mov_b64 s[50:51], 0
	global_store_dwordx4 v[0:1], v[3:6], off
.LBB240_759:
	s_andn2_b64 vcc, exec, s[50:51]
	s_cbranch_vccnz .LBB240_761
; %bb.760:
	v_lshlrev_b32_e32 v3, 16, v2
	v_mov_b32_e32 v4, 0
	global_store_dwordx2 v[0:1], v[3:4], off
.LBB240_761:
	s_mov_b64 s[50:51], 0
.LBB240_762:
	s_andn2_b64 vcc, exec, s[50:51]
	s_cbranch_vccnz .LBB240_764
; %bb.763:
	v_lshlrev_b32_e32 v3, 16, v2
	v_cvt_f16_f32_e32 v3, v3
	global_store_dword v[0:1], v3, off
.LBB240_764:
	s_mov_b64 s[50:51], 0
.LBB240_765:
	s_andn2_b64 vcc, exec, s[50:51]
	s_cbranch_vccnz .LBB240_774
; %bb.766:
	s_cmp_lt_i32 s54, 6
	s_mov_b64 s[50:51], -1
	s_cbranch_scc1 .LBB240_772
; %bb.767:
	s_cmp_gt_i32 s54, 6
	s_cbranch_scc0 .LBB240_769
; %bb.768:
	v_lshlrev_b32_e32 v3, 16, v2
	v_cvt_f64_f32_e32 v[3:4], v3
	s_mov_b64 s[50:51], 0
	global_store_dwordx2 v[0:1], v[3:4], off
.LBB240_769:
	s_andn2_b64 vcc, exec, s[50:51]
	s_cbranch_vccnz .LBB240_771
; %bb.770:
	v_lshlrev_b32_e32 v3, 16, v2
	global_store_dword v[0:1], v3, off
.LBB240_771:
	s_mov_b64 s[50:51], 0
.LBB240_772:
	s_andn2_b64 vcc, exec, s[50:51]
	s_cbranch_vccnz .LBB240_774
; %bb.773:
	v_lshlrev_b32_e32 v3, 16, v2
	v_cvt_f16_f32_e32 v3, v3
	global_store_short v[0:1], v3, off
.LBB240_774:
	s_mov_b64 s[50:51], 0
.LBB240_775:
	s_andn2_b64 vcc, exec, s[50:51]
	s_cbranch_vccnz .LBB240_791
; %bb.776:
	s_cmp_lt_i32 s54, 2
	s_mov_b64 s[50:51], -1
	s_cbranch_scc1 .LBB240_786
; %bb.777:
	s_cmp_lt_i32 s54, 3
	s_cbranch_scc1 .LBB240_783
; %bb.778:
	s_cmp_gt_i32 s54, 3
	s_cbranch_scc0 .LBB240_780
; %bb.779:
	v_lshlrev_b32_e32 v3, 16, v2
	v_trunc_f32_e32 v3, v3
	s_mov_b32 s50, 0x2f800000
	v_mul_f32_e64 v4, |v3|, s50
	v_floor_f32_e32 v4, v4
	s_mov_b32 s50, 0xcf800000
	v_cvt_u32_f32_e32 v5, v4
	v_fma_f32 v4, v4, s50, |v3|
	v_cvt_u32_f32_e32 v4, v4
	v_ashrrev_i32_e32 v6, 31, v3
	v_xor_b32_e32 v5, v5, v6
	s_mov_b64 s[50:51], 0
	v_xor_b32_e32 v3, v4, v6
	v_sub_co_u32_e32 v3, vcc, v3, v6
	v_subb_co_u32_e32 v4, vcc, v5, v6, vcc
	global_store_dwordx2 v[0:1], v[3:4], off
.LBB240_780:
	s_andn2_b64 vcc, exec, s[50:51]
	s_cbranch_vccnz .LBB240_782
; %bb.781:
	v_lshlrev_b32_e32 v3, 16, v2
	v_cvt_i32_f32_e32 v3, v3
	global_store_dword v[0:1], v3, off
.LBB240_782:
	s_mov_b64 s[50:51], 0
.LBB240_783:
	s_andn2_b64 vcc, exec, s[50:51]
	s_cbranch_vccnz .LBB240_785
; %bb.784:
	v_lshlrev_b32_e32 v3, 16, v2
	v_cvt_i32_f32_e32 v3, v3
	global_store_short v[0:1], v3, off
.LBB240_785:
	s_mov_b64 s[50:51], 0
.LBB240_786:
	s_andn2_b64 vcc, exec, s[50:51]
	s_cbranch_vccnz .LBB240_791
; %bb.787:
	s_mov_b64 s[50:51], -1
	s_cmp_gt_i32 s54, 0
	v_lshlrev_b32_e32 v2, 16, v2
	s_cbranch_scc0 .LBB240_789
; %bb.788:
	v_cvt_i32_f32_e32 v3, v2
	s_mov_b64 s[50:51], 0
	global_store_byte v[0:1], v3, off
.LBB240_789:
	s_andn2_b64 vcc, exec, s[50:51]
	s_cbranch_vccnz .LBB240_791
; %bb.790:
	v_trunc_f32_e32 v2, v2
	s_mov_b32 s50, 0x2f800000
	v_mul_f32_e64 v3, |v2|, s50
	v_floor_f32_e32 v3, v3
	s_mov_b32 s50, 0xcf800000
	v_fma_f32 v3, v3, s50, |v2|
	v_cvt_u32_f32_e32 v3, v3
	v_ashrrev_i32_e32 v2, 31, v2
	v_xor_b32_e32 v3, v3, v2
	v_sub_u32_e32 v2, v3, v2
	global_store_byte v[0:1], v2, off
.LBB240_791:
	s_mov_b64 s[50:51], -1
.LBB240_792:
	s_andn2_b64 vcc, exec, s[50:51]
	s_cbranch_vccnz .LBB240_804
; %bb.793:
	v_add_u32_e32 v8, 0x80, v8
	s_mov_b64 s[54:55], -1
.LBB240_794:
	s_andn2_b64 s[50:51], s[38:39], exec
	s_and_b64 s[0:1], s[0:1], exec
	s_or_b64 s[50:51], s[50:51], s[0:1]
	s_andn2_b64 s[0:1], s[40:41], exec
	s_and_b64 s[48:49], s[48:49], exec
	s_or_b64 s[48:49], s[0:1], s[48:49]
	;; [unrolled: 3-line block ×3, first 2 shown]
	s_orn2_b64 s[0:1], s[54:55], exec
.LBB240_795:
	s_or_b64 exec, exec, s[52:53]
	s_mov_b64 s[54:55], 0
	s_mov_b64 s[56:57], 0
	;; [unrolled: 1-line block ×3, first 2 shown]
                                        ; implicit-def: $sgpr75
                                        ; implicit-def: $vgpr3_vgpr4
                                        ; implicit-def: $vgpr0
                                        ; implicit-def: $vgpr2
                                        ; implicit-def: $vgpr5
	s_and_saveexec_b64 s[52:53], s[0:1]
	s_cbranch_execz .LBB240_1292
; %bb.796:
	v_cmp_gt_i32_e32 vcc, s68, v8
	s_mov_b64 s[66:67], -1
	s_mov_b64 s[0:1], s[46:47]
	s_mov_b64 s[58:59], s[48:49]
	;; [unrolled: 1-line block ×3, first 2 shown]
	s_and_saveexec_b64 s[54:55], vcc
	s_cbranch_execz .LBB240_1196
; %bb.797:
	s_andn2_b64 vcc, exec, s[24:25]
	s_cbranch_vccnz .LBB240_803
; %bb.798:
	s_andn2_b64 vcc, exec, s[36:37]
	s_cbranch_vccnz .LBB240_805
; %bb.799:
	s_add_i32 s0, s74, 1
	s_and_b32 s56, s0, 30
	s_add_u32 s0, s2, 0xffffffe8
	s_addc_u32 s1, s3, -1
	v_mov_b32_e32 v2, 0
	v_mov_b32_e32 v4, 0
	;; [unrolled: 1-line block ×4, first 2 shown]
.LBB240_800:                            ; =>This Inner Loop Header: Depth=1
	s_load_dwordx4 s[60:63], s[0:1], 0x1c
	s_load_dwordx2 s[58:59], s[0:1], 0x2c
	s_load_dwordx2 s[76:77], s[0:1], 0xec
	s_load_dwordx4 s[64:67], s[0:1], 0xdc
	s_add_u32 s0, s0, 24
	s_waitcnt vmcnt(0) lgkmcnt(0)
	v_mul_hi_u32 v3, s61, v1
	s_addc_u32 s1, s1, 0
	s_add_i32 s56, s56, -2
	s_cmp_eq_u32 s56, 0
	v_add_u32_e32 v3, v1, v3
	v_lshrrev_b32_e32 v3, s62, v3
	v_mul_lo_u32 v5, v3, s60
	v_mul_hi_u32 v6, s58, v3
	v_sub_u32_e32 v5, v1, v5
	v_add_u32_e32 v1, v3, v6
	v_lshrrev_b32_e32 v1, s59, v1
	v_mul_lo_u32 v9, v1, s63
	v_mul_lo_u32 v6, v5, s64
	;; [unrolled: 1-line block ×4, first 2 shown]
	v_sub_u32_e32 v3, v3, v9
	v_mul_lo_u32 v9, v3, s67
	v_mul_lo_u32 v10, v3, s76
	;; [unrolled: 1-line block ×3, first 2 shown]
	v_add3_u32 v0, v6, v0, v9
	v_add3_u32 v4, v7, v4, v10
	;; [unrolled: 1-line block ×3, first 2 shown]
	s_cbranch_scc0 .LBB240_800
; %bb.801:
	s_bitcmp1_b32 s74, 0
	s_cselect_b64 s[56:57], -1, 0
	s_and_b64 vcc, exec, s[56:57]
	s_cbranch_vccnz .LBB240_806
; %bb.802:
	s_load_dwordx2 s[56:57], s[0:1], 0x1c
	s_load_dword s60, s[0:1], 0x24
	s_load_dwordx2 s[58:59], s[0:1], 0xdc
	s_waitcnt lgkmcnt(0)
	v_mul_hi_u32 v3, s57, v1
	v_add_u32_e32 v3, v1, v3
	v_lshrrev_b32_e32 v3, s60, v3
	v_mul_lo_u32 v3, v3, s56
	s_load_dword s56, s[0:1], 0xe4
	v_sub_u32_e32 v3, v1, v3
	v_mad_u64_u32 v[0:1], s[0:1], v3, s58, v[0:1]
	v_mad_u64_u32 v[4:5], s[0:1], v3, s59, v[4:5]
	s_waitcnt lgkmcnt(0)
	v_mad_u64_u32 v[2:3], s[0:1], v3, s56, v[2:3]
	s_branch .LBB240_806
.LBB240_803:
	s_mov_b64 s[0:1], -1
                                        ; implicit-def: $vgpr0
                                        ; implicit-def: $vgpr4
                                        ; implicit-def: $vgpr2
	s_branch .LBB240_807
.LBB240_804:
	s_mov_b64 s[54:55], 0
	s_branch .LBB240_552
.LBB240_805:
	v_mov_b32_e32 v0, 0
	v_mov_b32_e32 v4, 0
	;; [unrolled: 1-line block ×3, first 2 shown]
.LBB240_806:
	s_mov_b64 s[0:1], 0
.LBB240_807:
	s_andn2_b64 vcc, exec, s[0:1]
	s_cbranch_vccnz .LBB240_810
; %bb.808:
	v_mul_hi_u32 v0, s17, v8
	s_andn2_b64 vcc, exec, s[34:35]
	v_add_u32_e32 v0, v8, v0
	v_lshrrev_b32_e32 v1, s18, v0
	v_mul_lo_u32 v0, v1, s16
	v_sub_u32_e32 v2, v8, v0
	v_mul_lo_u32 v0, v2, s20
	v_mul_lo_u32 v4, v2, s21
	;; [unrolled: 1-line block ×3, first 2 shown]
	s_cbranch_vccnz .LBB240_810
; %bb.809:
	s_waitcnt vmcnt(0)
	v_mul_hi_u32 v3, s30, v1
	v_add_u32_e32 v3, v1, v3
	v_lshrrev_b32_e32 v3, s31, v3
	v_mul_lo_u32 v3, v3, s19
	v_sub_u32_e32 v3, v1, v3
	v_mad_u64_u32 v[0:1], s[0:1], v3, s23, v[0:1]
	v_mad_u64_u32 v[4:5], s[0:1], v3, s28, v[4:5]
	;; [unrolled: 1-line block ×3, first 2 shown]
.LBB240_810:
	v_mov_b32_e32 v1, s11
	s_and_b32 s62, s73, 0xff
	s_waitcnt vmcnt(0)
	v_add_co_u32_e32 v3, vcc, s10, v4
	s_cmp_lt_i32 s62, 11
	v_addc_co_u32_e32 v4, vcc, 0, v1, vcc
	s_cbranch_scc1 .LBB240_817
; %bb.811:
	s_and_b32 s63, 0xffff, s62
	s_cmp_gt_i32 s63, 25
	s_cbranch_scc0 .LBB240_818
; %bb.812:
	s_cmp_gt_i32 s63, 28
	s_cbranch_scc0 .LBB240_819
; %bb.813:
	;; [unrolled: 3-line block ×4, first 2 shown]
	s_cmp_eq_u32 s63, 46
	s_mov_b64 s[58:59], 0
	s_cbranch_scc0 .LBB240_824
; %bb.816:
	global_load_dword v5, v[3:4], off
	s_mov_b64 s[0:1], -1
	s_mov_b64 s[56:57], 0
	s_branch .LBB240_825
.LBB240_817:
	s_mov_b64 s[58:59], -1
	s_mov_b64 s[0:1], 0
                                        ; implicit-def: $vgpr5
	s_mov_b64 s[56:57], s[46:47]
	s_branch .LBB240_890
.LBB240_818:
	s_mov_b64 s[58:59], -1
	s_mov_b64 s[0:1], 0
	s_mov_b64 s[56:57], s[46:47]
                                        ; implicit-def: $vgpr5
	s_branch .LBB240_854
.LBB240_819:
	s_mov_b64 s[58:59], -1
	s_mov_b64 s[0:1], 0
	s_mov_b64 s[56:57], s[46:47]
                                        ; implicit-def: $vgpr5
	s_branch .LBB240_835
.LBB240_820:
	s_mov_b64 s[58:59], -1
	s_mov_b64 s[0:1], 0
	s_mov_b64 s[56:57], s[46:47]
                                        ; implicit-def: $vgpr5
	s_branch .LBB240_830
.LBB240_821:
	s_mov_b64 s[58:59], -1
	s_mov_b64 s[0:1], 0
	s_mov_b64 s[56:57], s[46:47]
                                        ; implicit-def: $vgpr5
	s_branch .LBB240_825
.LBB240_822:
	s_andn2_saveexec_b64 s[56:57], s[56:57]
	s_cbranch_execz .LBB240_705
.LBB240_823:
	s_mov_b32 s60, 0x46000000
	v_add_f32_e64 v4, |v5|, s60
	v_and_b32_e32 v4, 0xff, v4
	v_cmp_ne_u32_e32 vcc, 0, v4
	s_andn2_b64 s[54:55], s[54:55], exec
	s_and_b64 s[60:61], vcc, exec
	s_or_b64 s[54:55], s[54:55], s[60:61]
	s_or_b64 exec, exec, s[56:57]
	v_mov_b32_e32 v6, 0
	s_and_saveexec_b64 s[56:57], s[54:55]
	s_cbranch_execnz .LBB240_706
	s_branch .LBB240_707
.LBB240_824:
	s_mov_b64 s[56:57], -1
                                        ; implicit-def: $vgpr5
	s_mov_b64 s[0:1], 0
.LBB240_825:
	s_and_b64 vcc, exec, s[58:59]
	s_cbranch_vccz .LBB240_829
; %bb.826:
	s_cmp_eq_u32 s63, 44
	s_cbranch_scc0 .LBB240_828
; %bb.827:
	global_load_ubyte v1, v[3:4], off
	s_movk_i32 s56, 0xff
	s_waitcnt vmcnt(1)
	v_mov_b32_e32 v5, 0x7f800001
	v_mov_b32_e32 v6, 0x400000
	;; [unrolled: 1-line block ×3, first 2 shown]
	s_mov_b64 s[0:1], -1
	s_waitcnt vmcnt(0)
	v_lshlrev_b32_e32 v9, 23, v1
	v_cmp_ne_u32_e32 vcc, s56, v1
	v_cndmask_b32_e32 v5, v5, v9, vcc
	v_cmp_ne_u32_e32 vcc, 0, v1
	v_cndmask_b32_e32 v1, v6, v5, vcc
	v_add_u32_e32 v5, 0x7fff, v1
	v_cmp_o_f32_e32 vcc, v1, v1
	v_cndmask_b32_sdwa v5, v7, v5, vcc dst_sel:DWORD dst_unused:UNUSED_PAD src0_sel:DWORD src1_sel:WORD_1
	s_mov_b64 s[56:57], 0
	s_branch .LBB240_829
.LBB240_828:
	s_mov_b64 s[56:57], -1
                                        ; implicit-def: $vgpr5
.LBB240_829:
	s_mov_b64 s[58:59], 0
.LBB240_830:
	s_and_b64 vcc, exec, s[58:59]
	s_cbranch_vccz .LBB240_834
; %bb.831:
	s_cmp_eq_u32 s63, 29
	s_cbranch_scc0 .LBB240_833
; %bb.832:
	global_load_dwordx2 v[5:6], v[3:4], off
	s_movk_i32 s56, 0x7fff
	s_mov_b64 s[0:1], -1
	s_mov_b64 s[58:59], 0
	s_waitcnt vmcnt(0)
	v_ffbh_u32_e32 v1, v6
	v_min_u32_e32 v1, 32, v1
	v_lshlrev_b64 v[5:6], v1, v[5:6]
	v_sub_u32_e32 v1, 32, v1
	v_min_u32_e32 v5, 1, v5
	v_or_b32_e32 v5, v6, v5
	v_cvt_f32_u32_e32 v5, v5
	v_ldexp_f32 v1, v5, v1
	v_bfe_u32 v5, v1, 16, 1
	v_add3_u32 v1, v1, v5, s56
	v_lshrrev_b32_e32 v5, 16, v1
	s_mov_b64 s[56:57], 0
	s_branch .LBB240_835
.LBB240_833:
	s_mov_b64 s[56:57], -1
                                        ; implicit-def: $vgpr5
.LBB240_834:
	s_mov_b64 s[58:59], 0
.LBB240_835:
	s_and_b64 vcc, exec, s[58:59]
	s_cbranch_vccz .LBB240_853
; %bb.836:
	s_cmp_lt_i32 s63, 27
	s_cbranch_scc1 .LBB240_839
; %bb.837:
	s_cmp_gt_i32 s63, 27
	s_cbranch_scc0 .LBB240_840
; %bb.838:
	global_load_dword v1, v[3:4], off
	s_movk_i32 s0, 0x7fff
	s_waitcnt vmcnt(0)
	v_cvt_f32_u32_e32 v1, v1
	v_bfe_u32 v5, v1, 16, 1
	v_add3_u32 v1, v1, v5, s0
	v_lshrrev_b32_e32 v5, 16, v1
	s_mov_b64 s[0:1], 0
	s_branch .LBB240_841
.LBB240_839:
	s_mov_b64 s[0:1], -1
                                        ; implicit-def: $vgpr5
	s_branch .LBB240_844
.LBB240_840:
	s_mov_b64 s[0:1], -1
                                        ; implicit-def: $vgpr5
.LBB240_841:
	s_andn2_b64 vcc, exec, s[0:1]
	s_cbranch_vccnz .LBB240_843
; %bb.842:
	global_load_ushort v1, v[3:4], off
	s_movk_i32 s0, 0x7fff
	s_waitcnt vmcnt(0)
	v_cvt_f32_u32_e32 v1, v1
	v_bfe_u32 v5, v1, 16, 1
	v_add3_u32 v1, v1, v5, s0
	v_lshrrev_b32_e32 v5, 16, v1
.LBB240_843:
	s_mov_b64 s[0:1], 0
.LBB240_844:
	s_andn2_b64 vcc, exec, s[0:1]
	s_cbranch_vccnz .LBB240_852
; %bb.845:
	global_load_ubyte v1, v[3:4], off
	s_movk_i32 s0, 0x7f
	s_waitcnt vmcnt(0)
	v_cmp_lt_i16_e32 vcc, s0, v1
	s_mov_b64 s[0:1], 0
	s_and_saveexec_b64 s[58:59], vcc
	s_xor_b64 s[58:59], exec, s[58:59]
	s_cbranch_execz .LBB240_866
; %bb.846:
	s_movk_i32 s0, 0x80
	v_cmp_eq_u16_e32 vcc, s0, v1
	s_mov_b64 s[0:1], -1
	s_and_saveexec_b64 s[60:61], vcc
; %bb.847:
	s_xor_b64 s[0:1], exec, -1
; %bb.848:
	s_or_b64 exec, exec, s[60:61]
	s_and_b64 s[0:1], s[0:1], exec
	s_or_saveexec_b64 s[58:59], s[58:59]
	v_mov_b32_e32 v5, 0x7f800001
	s_xor_b64 exec, exec, s[58:59]
	s_cbranch_execnz .LBB240_867
.LBB240_849:
	s_or_b64 exec, exec, s[58:59]
	s_and_saveexec_b64 s[58:59], s[0:1]
	s_cbranch_execz .LBB240_851
.LBB240_850:
	v_lshlrev_b32_e32 v5, 24, v1
	v_and_b32_e32 v1, 0xffff, v1
	v_and_b32_e32 v6, 7, v1
	v_ffbh_u32_e32 v9, v6
	v_min_u32_e32 v9, 32, v9
	v_subrev_u32_e32 v10, 28, v9
	v_bfe_u32 v7, v1, 3, 4
	v_lshlrev_b32_e32 v1, v10, v1
	v_sub_u32_e32 v9, 29, v9
	v_and_b32_e32 v1, 7, v1
	v_cmp_eq_u32_e32 vcc, 0, v7
	v_cndmask_b32_e32 v7, v7, v9, vcc
	v_cndmask_b32_e32 v1, v6, v1, vcc
	v_mov_b32_e32 v6, 0x3b800000
	v_lshlrev_b32_e32 v1, 20, v1
	v_and_b32_e32 v5, 0x80000000, v5
	v_lshl_add_u32 v6, v7, 23, v6
	v_or3_b32 v5, v5, v6, v1
.LBB240_851:
	s_or_b64 exec, exec, s[58:59]
	v_bfe_u32 v1, v5, 16, 1
	s_movk_i32 s0, 0x7fff
	v_add3_u32 v1, v5, v1, s0
	v_cmp_o_f32_e32 vcc, v5, v5
	v_mov_b32_e32 v5, 0x7fc0
	v_cndmask_b32_sdwa v5, v5, v1, vcc dst_sel:DWORD dst_unused:UNUSED_PAD src0_sel:DWORD src1_sel:WORD_1
.LBB240_852:
	s_mov_b64 s[0:1], -1
.LBB240_853:
	s_mov_b64 s[58:59], 0
.LBB240_854:
	s_and_b64 vcc, exec, s[58:59]
	s_cbranch_vccz .LBB240_889
; %bb.855:
	s_cmp_gt_i32 s63, 22
	s_cbranch_scc0 .LBB240_865
; %bb.856:
	s_cmp_lt_i32 s63, 24
	s_cbranch_scc1 .LBB240_868
; %bb.857:
	s_cmp_gt_i32 s63, 24
	s_cbranch_scc0 .LBB240_869
; %bb.858:
	global_load_ubyte v1, v[3:4], off
	s_movk_i32 s0, 0x7f
	s_waitcnt vmcnt(0)
	v_cmp_lt_i16_e32 vcc, s0, v1
	s_mov_b64 s[0:1], 0
	s_and_saveexec_b64 s[58:59], vcc
	s_xor_b64 s[58:59], exec, s[58:59]
	s_cbranch_execz .LBB240_881
; %bb.859:
	s_movk_i32 s0, 0x80
	v_cmp_eq_u16_e32 vcc, s0, v1
	s_mov_b64 s[0:1], -1
	s_and_saveexec_b64 s[60:61], vcc
; %bb.860:
	s_xor_b64 s[0:1], exec, -1
; %bb.861:
	s_or_b64 exec, exec, s[60:61]
	s_and_b64 s[0:1], s[0:1], exec
	s_or_saveexec_b64 s[58:59], s[58:59]
	v_mov_b32_e32 v5, 0x7f800001
	s_xor_b64 exec, exec, s[58:59]
	s_cbranch_execnz .LBB240_882
.LBB240_862:
	s_or_b64 exec, exec, s[58:59]
	s_and_saveexec_b64 s[58:59], s[0:1]
	s_cbranch_execz .LBB240_864
.LBB240_863:
	v_lshlrev_b32_e32 v5, 24, v1
	v_and_b32_e32 v1, 0xffff, v1
	v_and_b32_e32 v6, 3, v1
	v_ffbh_u32_e32 v9, v6
	v_min_u32_e32 v9, 32, v9
	v_subrev_u32_e32 v10, 29, v9
	v_bfe_u32 v7, v1, 2, 5
	v_lshlrev_b32_e32 v1, v10, v1
	v_sub_u32_e32 v9, 30, v9
	v_and_b32_e32 v1, 3, v1
	v_cmp_eq_u32_e32 vcc, 0, v7
	v_cndmask_b32_e32 v7, v7, v9, vcc
	v_cndmask_b32_e32 v1, v6, v1, vcc
	v_mov_b32_e32 v6, 0x37800000
	v_lshlrev_b32_e32 v1, 21, v1
	v_and_b32_e32 v5, 0x80000000, v5
	v_lshl_add_u32 v6, v7, 23, v6
	v_or3_b32 v5, v5, v6, v1
.LBB240_864:
	s_or_b64 exec, exec, s[58:59]
	v_bfe_u32 v1, v5, 16, 1
	s_movk_i32 s0, 0x7fff
	v_add3_u32 v1, v5, v1, s0
	v_cmp_o_f32_e32 vcc, v5, v5
	v_mov_b32_e32 v5, 0x7fc0
	v_cndmask_b32_sdwa v5, v5, v1, vcc dst_sel:DWORD dst_unused:UNUSED_PAD src0_sel:DWORD src1_sel:WORD_1
	s_mov_b64 s[0:1], 0
	s_branch .LBB240_870
.LBB240_865:
	s_mov_b64 s[58:59], -1
                                        ; implicit-def: $vgpr5
	s_branch .LBB240_876
.LBB240_866:
	s_or_saveexec_b64 s[58:59], s[58:59]
	v_mov_b32_e32 v5, 0x7f800001
	s_xor_b64 exec, exec, s[58:59]
	s_cbranch_execz .LBB240_849
.LBB240_867:
	v_cmp_ne_u16_e32 vcc, 0, v1
	s_andn2_b64 s[0:1], s[0:1], exec
	s_and_b64 s[60:61], vcc, exec
	v_mov_b32_e32 v5, 0
	s_or_b64 s[0:1], s[0:1], s[60:61]
	s_or_b64 exec, exec, s[58:59]
	s_and_saveexec_b64 s[58:59], s[0:1]
	s_cbranch_execnz .LBB240_850
	s_branch .LBB240_851
.LBB240_868:
	s_mov_b64 s[0:1], -1
                                        ; implicit-def: $vgpr5
	s_branch .LBB240_873
.LBB240_869:
	s_mov_b64 s[0:1], -1
                                        ; implicit-def: $vgpr5
.LBB240_870:
	s_and_b64 vcc, exec, s[0:1]
	s_cbranch_vccz .LBB240_872
; %bb.871:
	global_load_ubyte v1, v[3:4], off
	s_mov_b32 s0, 0x7f800000
	s_brev_b32 s1, 1
	s_movk_i32 s58, 0x7fff
	s_waitcnt vmcnt(0)
	v_lshlrev_b32_e32 v1, 24, v1
	v_and_b32_e32 v5, 0x7f000000, v1
	v_ffbh_u32_e32 v6, v5
	v_min_u32_e32 v6, 32, v6
	v_sub_u32_e64 v6, v6, 4 clamp
	v_lshlrev_b32_e32 v9, v6, v5
	v_lshlrev_b32_e32 v6, 23, v6
	v_lshrrev_b32_e32 v9, 4, v9
	v_add_u32_e32 v7, 0x1000000, v5
	v_sub_u32_e32 v6, v9, v6
	v_ashrrev_i32_e32 v7, 8, v7
	v_add_u32_e32 v6, 0x3c000000, v6
	v_and_or_b32 v6, v7, s0, v6
	v_cmp_ne_u32_e32 vcc, 0, v5
	v_cndmask_b32_e32 v5, 0, v6, vcc
	v_and_or_b32 v1, v1, s1, v5
	v_bfe_u32 v5, v5, 16, 1
	v_add3_u32 v5, v1, v5, s58
	v_cmp_o_f32_e32 vcc, v1, v1
	v_mov_b32_e32 v1, 0x7fc0
	v_cndmask_b32_sdwa v5, v1, v5, vcc dst_sel:DWORD dst_unused:UNUSED_PAD src0_sel:DWORD src1_sel:WORD_1
.LBB240_872:
	s_mov_b64 s[0:1], 0
.LBB240_873:
	s_andn2_b64 vcc, exec, s[0:1]
	s_cbranch_vccnz .LBB240_875
; %bb.874:
	global_load_ubyte v1, v[3:4], off
	s_movk_i32 s0, 0x7f00
	s_brev_b32 s1, 16
	s_brev_b32 s58, 1
	s_movk_i32 s59, 0x7fff
	s_waitcnt vmcnt(0)
	v_lshlrev_b16_e32 v5, 8, v1
	v_lshlrev_b32_e32 v1, 25, v1
	v_lshrrev_b32_e32 v6, 4, v1
	v_and_or_b32 v7, v5, s0, 0.5
	v_or_b32_e32 v6, 0x70000000, v6
	v_add_f32_e32 v7, -0.5, v7
	v_mul_f32_e32 v6, 0x7800000, v6
	v_cmp_gt_u32_e32 vcc, s1, v1
	v_bfe_i32 v5, v5, 0, 16
	v_cndmask_b32_e32 v1, v6, v7, vcc
	v_and_or_b32 v5, v5, s58, v1
	v_bfe_u32 v1, v1, 16, 1
	v_add3_u32 v1, v5, v1, s59
	v_cmp_o_f32_e32 vcc, v5, v5
	v_mov_b32_e32 v5, 0x7fc0
	v_cndmask_b32_sdwa v5, v5, v1, vcc dst_sel:DWORD dst_unused:UNUSED_PAD src0_sel:DWORD src1_sel:WORD_1
.LBB240_875:
	s_mov_b64 s[58:59], 0
	s_mov_b64 s[0:1], -1
.LBB240_876:
	s_andn2_b64 vcc, exec, s[58:59]
	s_cbranch_vccnz .LBB240_889
; %bb.877:
	s_cmp_gt_i32 s63, 14
	s_cbranch_scc0 .LBB240_880
; %bb.878:
	s_cmp_eq_u32 s63, 15
	s_cbranch_scc0 .LBB240_883
; %bb.879:
	global_load_ushort v5, v[3:4], off
	s_mov_b64 s[0:1], -1
	s_mov_b64 s[56:57], 0
	s_branch .LBB240_884
.LBB240_880:
	s_mov_b64 s[58:59], -1
                                        ; implicit-def: $vgpr5
	s_branch .LBB240_885
.LBB240_881:
	s_or_saveexec_b64 s[58:59], s[58:59]
	v_mov_b32_e32 v5, 0x7f800001
	s_xor_b64 exec, exec, s[58:59]
	s_cbranch_execz .LBB240_862
.LBB240_882:
	v_cmp_ne_u16_e32 vcc, 0, v1
	s_andn2_b64 s[0:1], s[0:1], exec
	s_and_b64 s[60:61], vcc, exec
	v_mov_b32_e32 v5, 0
	s_or_b64 s[0:1], s[0:1], s[60:61]
	s_or_b64 exec, exec, s[58:59]
	s_and_saveexec_b64 s[58:59], s[0:1]
	s_cbranch_execnz .LBB240_863
	s_branch .LBB240_864
.LBB240_883:
	s_mov_b64 s[56:57], -1
                                        ; implicit-def: $vgpr5
.LBB240_884:
	s_mov_b64 s[58:59], 0
.LBB240_885:
	s_and_b64 vcc, exec, s[58:59]
	s_cbranch_vccz .LBB240_889
; %bb.886:
	s_cmp_eq_u32 s63, 11
	s_cbranch_scc0 .LBB240_888
; %bb.887:
	global_load_ubyte v1, v[3:4], off
	s_mov_b64 s[0:1], -1
	s_mov_b64 s[56:57], 0
	s_waitcnt vmcnt(0)
	v_cmp_ne_u16_e32 vcc, 0, v1
	v_cndmask_b32_e64 v1, 0, 1.0, vcc
	v_lshrrev_b32_e32 v5, 16, v1
	s_branch .LBB240_889
.LBB240_888:
	s_mov_b64 s[56:57], -1
                                        ; implicit-def: $vgpr5
.LBB240_889:
	s_mov_b64 s[58:59], 0
.LBB240_890:
	s_and_b64 vcc, exec, s[58:59]
	s_cbranch_vccz .LBB240_939
; %bb.891:
	s_and_b32 s58, 0xffff, s62
	s_cmp_lt_i32 s58, 5
	s_cbranch_scc1 .LBB240_896
; %bb.892:
	s_cmp_lt_i32 s58, 8
	s_cbranch_scc1 .LBB240_897
; %bb.893:
	;; [unrolled: 3-line block ×3, first 2 shown]
	s_cmp_gt_i32 s58, 9
	s_cbranch_scc0 .LBB240_899
; %bb.895:
	global_load_dwordx2 v[5:6], v[3:4], off
	s_movk_i32 s0, 0x7fff
	s_waitcnt vmcnt(0)
	v_cvt_f32_f64_e32 v1, v[5:6]
	v_mov_b32_e32 v5, 0x7fc0
	v_bfe_u32 v6, v1, 16, 1
	v_cmp_o_f32_e32 vcc, v1, v1
	v_add3_u32 v1, v1, v6, s0
	v_cndmask_b32_sdwa v5, v5, v1, vcc dst_sel:DWORD dst_unused:UNUSED_PAD src0_sel:DWORD src1_sel:WORD_1
	s_mov_b64 s[0:1], 0
	s_branch .LBB240_900
.LBB240_896:
	s_mov_b64 s[0:1], -1
                                        ; implicit-def: $vgpr5
	s_branch .LBB240_918
.LBB240_897:
	s_mov_b64 s[0:1], -1
                                        ; implicit-def: $vgpr5
	s_branch .LBB240_906
.LBB240_898:
	s_mov_b64 s[0:1], -1
                                        ; implicit-def: $vgpr5
	s_branch .LBB240_903
.LBB240_899:
	s_mov_b64 s[0:1], -1
                                        ; implicit-def: $vgpr5
.LBB240_900:
	s_andn2_b64 vcc, exec, s[0:1]
	s_cbranch_vccnz .LBB240_902
; %bb.901:
	global_load_dword v1, v[3:4], off
	s_movk_i32 s0, 0x7fff
	s_waitcnt vmcnt(1)
	v_mov_b32_e32 v5, 0x7fc0
	s_waitcnt vmcnt(0)
	v_bfe_u32 v6, v1, 16, 1
	v_cmp_o_f32_e32 vcc, v1, v1
	v_add3_u32 v1, v1, v6, s0
	v_cndmask_b32_sdwa v5, v5, v1, vcc dst_sel:DWORD dst_unused:UNUSED_PAD src0_sel:DWORD src1_sel:WORD_1
.LBB240_902:
	s_mov_b64 s[0:1], 0
.LBB240_903:
	s_andn2_b64 vcc, exec, s[0:1]
	s_cbranch_vccnz .LBB240_905
; %bb.904:
	global_load_dword v1, v[3:4], off
	s_movk_i32 s0, 0x7fff
	v_mov_b32_e32 v6, 0x7fc0
	s_waitcnt vmcnt(0)
	v_cvt_f32_f16_e32 v5, v1
	v_cmp_o_f16_e32 vcc, v1, v1
	v_bfe_u32 v1, v5, 16, 1
	v_add3_u32 v1, v5, v1, s0
	v_cndmask_b32_sdwa v5, v6, v1, vcc dst_sel:DWORD dst_unused:UNUSED_PAD src0_sel:DWORD src1_sel:WORD_1
.LBB240_905:
	s_mov_b64 s[0:1], 0
.LBB240_906:
	s_andn2_b64 vcc, exec, s[0:1]
	s_cbranch_vccnz .LBB240_917
; %bb.907:
	s_cmp_lt_i32 s58, 6
	s_cbranch_scc1 .LBB240_910
; %bb.908:
	s_cmp_gt_i32 s58, 6
	s_cbranch_scc0 .LBB240_911
; %bb.909:
	global_load_dwordx2 v[5:6], v[3:4], off
	s_movk_i32 s0, 0x7fff
	s_waitcnt vmcnt(0)
	v_cvt_f32_f64_e32 v1, v[5:6]
	v_mov_b32_e32 v5, 0x7fc0
	v_bfe_u32 v6, v1, 16, 1
	v_cmp_o_f32_e32 vcc, v1, v1
	v_add3_u32 v1, v1, v6, s0
	v_cndmask_b32_sdwa v5, v5, v1, vcc dst_sel:DWORD dst_unused:UNUSED_PAD src0_sel:DWORD src1_sel:WORD_1
	s_mov_b64 s[0:1], 0
	s_branch .LBB240_912
.LBB240_910:
	s_mov_b64 s[0:1], -1
                                        ; implicit-def: $vgpr5
	s_branch .LBB240_915
.LBB240_911:
	s_mov_b64 s[0:1], -1
                                        ; implicit-def: $vgpr5
.LBB240_912:
	s_andn2_b64 vcc, exec, s[0:1]
	s_cbranch_vccnz .LBB240_914
; %bb.913:
	global_load_dword v1, v[3:4], off
	s_movk_i32 s0, 0x7fff
	s_waitcnt vmcnt(1)
	v_mov_b32_e32 v5, 0x7fc0
	s_waitcnt vmcnt(0)
	v_bfe_u32 v6, v1, 16, 1
	v_cmp_o_f32_e32 vcc, v1, v1
	v_add3_u32 v1, v1, v6, s0
	v_cndmask_b32_sdwa v5, v5, v1, vcc dst_sel:DWORD dst_unused:UNUSED_PAD src0_sel:DWORD src1_sel:WORD_1
.LBB240_914:
	s_mov_b64 s[0:1], 0
.LBB240_915:
	s_andn2_b64 vcc, exec, s[0:1]
	s_cbranch_vccnz .LBB240_917
; %bb.916:
	global_load_ushort v1, v[3:4], off
	s_movk_i32 s0, 0x7fff
	v_mov_b32_e32 v6, 0x7fc0
	s_waitcnt vmcnt(0)
	v_cvt_f32_f16_e32 v5, v1
	v_cmp_o_f16_e32 vcc, v1, v1
	v_bfe_u32 v1, v5, 16, 1
	v_add3_u32 v1, v5, v1, s0
	v_cndmask_b32_sdwa v5, v6, v1, vcc dst_sel:DWORD dst_unused:UNUSED_PAD src0_sel:DWORD src1_sel:WORD_1
.LBB240_917:
	s_mov_b64 s[0:1], 0
.LBB240_918:
	s_andn2_b64 vcc, exec, s[0:1]
	s_cbranch_vccnz .LBB240_938
; %bb.919:
	s_cmp_lt_i32 s58, 2
	s_cbranch_scc1 .LBB240_923
; %bb.920:
	s_cmp_lt_i32 s58, 3
	s_cbranch_scc1 .LBB240_924
; %bb.921:
	s_cmp_gt_i32 s58, 3
	s_cbranch_scc0 .LBB240_925
; %bb.922:
	global_load_dwordx2 v[5:6], v[3:4], off
	s_movk_i32 s0, 0x7fff
	s_waitcnt vmcnt(0)
	v_xor_b32_e32 v7, v5, v6
	v_ffbh_i32_e32 v1, v6
	v_ashrrev_i32_e32 v7, 31, v7
	v_add_u32_e32 v1, -1, v1
	v_add_u32_e32 v7, 32, v7
	v_min_u32_e32 v1, v1, v7
	v_lshlrev_b64 v[5:6], v1, v[5:6]
	v_sub_u32_e32 v1, 32, v1
	v_min_u32_e32 v5, 1, v5
	v_or_b32_e32 v5, v6, v5
	v_cvt_f32_i32_e32 v5, v5
	v_ldexp_f32 v1, v5, v1
	v_bfe_u32 v5, v1, 16, 1
	v_add3_u32 v1, v1, v5, s0
	v_lshrrev_b32_e32 v5, 16, v1
	s_mov_b64 s[0:1], 0
	s_branch .LBB240_926
.LBB240_923:
	s_mov_b64 s[0:1], -1
                                        ; implicit-def: $vgpr5
	s_branch .LBB240_932
.LBB240_924:
	s_mov_b64 s[0:1], -1
                                        ; implicit-def: $vgpr5
	s_branch .LBB240_929
.LBB240_925:
	s_mov_b64 s[0:1], -1
                                        ; implicit-def: $vgpr5
.LBB240_926:
	s_andn2_b64 vcc, exec, s[0:1]
	s_cbranch_vccnz .LBB240_928
; %bb.927:
	global_load_dword v1, v[3:4], off
	s_movk_i32 s0, 0x7fff
	s_waitcnt vmcnt(0)
	v_cvt_f32_i32_e32 v1, v1
	v_bfe_u32 v5, v1, 16, 1
	v_add3_u32 v1, v1, v5, s0
	v_lshrrev_b32_e32 v5, 16, v1
.LBB240_928:
	s_mov_b64 s[0:1], 0
.LBB240_929:
	s_andn2_b64 vcc, exec, s[0:1]
	s_cbranch_vccnz .LBB240_931
; %bb.930:
	global_load_sshort v1, v[3:4], off
	s_movk_i32 s0, 0x7fff
	s_waitcnt vmcnt(0)
	v_cvt_f32_i32_e32 v1, v1
	v_bfe_u32 v5, v1, 16, 1
	v_add3_u32 v1, v1, v5, s0
	v_lshrrev_b32_e32 v5, 16, v1
.LBB240_931:
	s_mov_b64 s[0:1], 0
.LBB240_932:
	s_andn2_b64 vcc, exec, s[0:1]
	s_cbranch_vccnz .LBB240_938
; %bb.933:
	s_cmp_gt_i32 s58, 0
	s_cbranch_scc0 .LBB240_935
; %bb.934:
	global_load_sbyte v1, v[3:4], off
	s_movk_i32 s0, 0x7fff
	s_waitcnt vmcnt(0)
	v_cvt_f32_i32_e32 v1, v1
	v_bfe_u32 v5, v1, 16, 1
	v_add3_u32 v1, v1, v5, s0
	v_lshrrev_b32_e32 v5, 16, v1
	s_mov_b64 s[0:1], 0
	s_branch .LBB240_936
.LBB240_935:
	s_mov_b64 s[0:1], -1
                                        ; implicit-def: $vgpr5
.LBB240_936:
	s_andn2_b64 vcc, exec, s[0:1]
	s_cbranch_vccnz .LBB240_938
; %bb.937:
	global_load_ubyte v1, v[3:4], off
	s_movk_i32 s0, 0x7fff
	s_waitcnt vmcnt(0)
	v_cvt_f32_ubyte0_e32 v1, v1
	v_bfe_u32 v3, v1, 16, 1
	v_add3_u32 v1, v1, v3, s0
	v_lshrrev_b32_e32 v5, 16, v1
.LBB240_938:
	s_mov_b64 s[0:1], -1
.LBB240_939:
	s_andn2_b64 vcc, exec, s[0:1]
	s_cbranch_vccnz .LBB240_947
; %bb.940:
	v_mov_b32_e32 v3, s13
	s_and_b32 s64, s72, 0xff
	v_add_co_u32_e32 v1, vcc, s12, v2
	s_cmp_lt_i32 s64, 11
	v_addc_co_u32_e32 v2, vcc, 0, v3, vcc
	s_cbranch_scc1 .LBB240_949
; %bb.941:
	s_and_b32 s65, 0xffff, s64
	s_cmp_gt_i32 s65, 25
	s_cbranch_scc0 .LBB240_950
; %bb.942:
	s_cmp_gt_i32 s65, 28
	s_cbranch_scc0 .LBB240_951
; %bb.943:
	;; [unrolled: 3-line block ×4, first 2 shown]
	s_cmp_eq_u32 s65, 46
	s_mov_b64 s[60:61], 0
	s_cbranch_scc0 .LBB240_956
; %bb.946:
	global_load_dword v3, v[1:2], off
	s_mov_b64 s[0:1], -1
	s_mov_b64 s[58:59], 0
	s_branch .LBB240_957
.LBB240_947:
	s_mov_b64 s[62:63], 0
	s_mov_b64 s[0:1], s[50:51]
	;; [unrolled: 1-line block ×3, first 2 shown]
.LBB240_948:
                                        ; implicit-def: $vgpr8
	s_branch .LBB240_1195
.LBB240_949:
	s_mov_b64 s[60:61], -1
	s_mov_b64 s[0:1], 0
                                        ; implicit-def: $vgpr3
	s_mov_b64 s[58:59], s[48:49]
	s_branch .LBB240_1022
.LBB240_950:
	s_mov_b64 s[60:61], -1
	s_mov_b64 s[0:1], 0
	s_mov_b64 s[58:59], s[48:49]
                                        ; implicit-def: $vgpr3
	s_branch .LBB240_986
.LBB240_951:
	s_mov_b64 s[60:61], -1
	s_mov_b64 s[0:1], 0
	s_mov_b64 s[58:59], s[48:49]
                                        ; implicit-def: $vgpr3
	s_branch .LBB240_967
.LBB240_952:
	s_mov_b64 s[60:61], -1
	s_mov_b64 s[0:1], 0
	s_mov_b64 s[58:59], s[48:49]
                                        ; implicit-def: $vgpr3
	s_branch .LBB240_962
.LBB240_953:
	s_mov_b64 s[60:61], -1
	s_mov_b64 s[0:1], 0
	s_mov_b64 s[58:59], s[48:49]
                                        ; implicit-def: $vgpr3
	s_branch .LBB240_957
.LBB240_954:
	s_andn2_saveexec_b64 s[56:57], s[56:57]
	s_cbranch_execz .LBB240_718
.LBB240_955:
	s_mov_b32 s60, 0x42800000
	v_add_f32_e64 v4, |v5|, s60
	v_and_b32_e32 v4, 0xff, v4
	v_cmp_ne_u32_e32 vcc, 0, v4
	s_andn2_b64 s[54:55], s[54:55], exec
	s_and_b64 s[60:61], vcc, exec
	s_or_b64 s[54:55], s[54:55], s[60:61]
	s_or_b64 exec, exec, s[56:57]
	v_mov_b32_e32 v6, 0
	s_and_saveexec_b64 s[56:57], s[54:55]
	s_cbranch_execnz .LBB240_719
	s_branch .LBB240_720
.LBB240_956:
	s_mov_b64 s[58:59], -1
                                        ; implicit-def: $vgpr3
	s_mov_b64 s[0:1], 0
.LBB240_957:
	s_and_b64 vcc, exec, s[60:61]
	s_cbranch_vccz .LBB240_961
; %bb.958:
	s_cmp_eq_u32 s65, 44
	s_cbranch_scc0 .LBB240_960
; %bb.959:
	global_load_ubyte v3, v[1:2], off
	s_movk_i32 s58, 0xff
	v_mov_b32_e32 v4, 0x7f800001
	v_mov_b32_e32 v6, 0x400000
	;; [unrolled: 1-line block ×3, first 2 shown]
	s_mov_b64 s[0:1], -1
	s_waitcnt vmcnt(0)
	v_lshlrev_b32_e32 v9, 23, v3
	v_cmp_ne_u32_e32 vcc, s58, v3
	v_cndmask_b32_e32 v4, v4, v9, vcc
	v_cmp_ne_u32_e32 vcc, 0, v3
	v_cndmask_b32_e32 v3, v6, v4, vcc
	v_add_u32_e32 v4, 0x7fff, v3
	v_cmp_o_f32_e32 vcc, v3, v3
	v_cndmask_b32_sdwa v3, v7, v4, vcc dst_sel:DWORD dst_unused:UNUSED_PAD src0_sel:DWORD src1_sel:WORD_1
	s_mov_b64 s[58:59], 0
	s_branch .LBB240_961
.LBB240_960:
	s_mov_b64 s[58:59], -1
                                        ; implicit-def: $vgpr3
.LBB240_961:
	s_mov_b64 s[60:61], 0
.LBB240_962:
	s_and_b64 vcc, exec, s[60:61]
	s_cbranch_vccz .LBB240_966
; %bb.963:
	s_cmp_eq_u32 s65, 29
	s_cbranch_scc0 .LBB240_965
; %bb.964:
	global_load_dwordx2 v[3:4], v[1:2], off
	s_movk_i32 s58, 0x7fff
	s_mov_b64 s[0:1], -1
	s_mov_b64 s[60:61], 0
	s_waitcnt vmcnt(0)
	v_ffbh_u32_e32 v6, v4
	v_min_u32_e32 v6, 32, v6
	v_lshlrev_b64 v[3:4], v6, v[3:4]
	v_min_u32_e32 v3, 1, v3
	v_or_b32_e32 v3, v4, v3
	v_cvt_f32_u32_e32 v3, v3
	v_sub_u32_e32 v4, 32, v6
	v_ldexp_f32 v3, v3, v4
	v_bfe_u32 v4, v3, 16, 1
	v_add3_u32 v3, v3, v4, s58
	v_lshrrev_b32_e32 v3, 16, v3
	s_mov_b64 s[58:59], 0
	s_branch .LBB240_967
.LBB240_965:
	s_mov_b64 s[58:59], -1
                                        ; implicit-def: $vgpr3
.LBB240_966:
	s_mov_b64 s[60:61], 0
.LBB240_967:
	s_and_b64 vcc, exec, s[60:61]
	s_cbranch_vccz .LBB240_985
; %bb.968:
	s_cmp_lt_i32 s65, 27
	s_cbranch_scc1 .LBB240_971
; %bb.969:
	s_cmp_gt_i32 s65, 27
	s_cbranch_scc0 .LBB240_972
; %bb.970:
	global_load_dword v3, v[1:2], off
	s_movk_i32 s0, 0x7fff
	s_waitcnt vmcnt(0)
	v_cvt_f32_u32_e32 v3, v3
	v_bfe_u32 v4, v3, 16, 1
	v_add3_u32 v3, v3, v4, s0
	v_lshrrev_b32_e32 v3, 16, v3
	s_mov_b64 s[0:1], 0
	s_branch .LBB240_973
.LBB240_971:
	s_mov_b64 s[0:1], -1
                                        ; implicit-def: $vgpr3
	s_branch .LBB240_976
.LBB240_972:
	s_mov_b64 s[0:1], -1
                                        ; implicit-def: $vgpr3
.LBB240_973:
	s_andn2_b64 vcc, exec, s[0:1]
	s_cbranch_vccnz .LBB240_975
; %bb.974:
	global_load_ushort v3, v[1:2], off
	s_movk_i32 s0, 0x7fff
	s_waitcnt vmcnt(0)
	v_cvt_f32_u32_e32 v3, v3
	v_bfe_u32 v4, v3, 16, 1
	v_add3_u32 v3, v3, v4, s0
	v_lshrrev_b32_e32 v3, 16, v3
.LBB240_975:
	s_mov_b64 s[0:1], 0
.LBB240_976:
	s_andn2_b64 vcc, exec, s[0:1]
	s_cbranch_vccnz .LBB240_984
; %bb.977:
	global_load_ubyte v3, v[1:2], off
	s_movk_i32 s0, 0x7f
	s_waitcnt vmcnt(0)
	v_cmp_lt_i16_e32 vcc, s0, v3
	s_mov_b64 s[0:1], 0
	s_and_saveexec_b64 s[60:61], vcc
	s_xor_b64 s[60:61], exec, s[60:61]
	s_cbranch_execz .LBB240_998
; %bb.978:
	s_movk_i32 s0, 0x80
	v_cmp_eq_u16_e32 vcc, s0, v3
	s_mov_b64 s[0:1], -1
	s_and_saveexec_b64 s[62:63], vcc
; %bb.979:
	s_xor_b64 s[0:1], exec, -1
; %bb.980:
	s_or_b64 exec, exec, s[62:63]
	s_and_b64 s[0:1], s[0:1], exec
	s_or_saveexec_b64 s[60:61], s[60:61]
	v_mov_b32_e32 v4, 0x7f800001
	s_xor_b64 exec, exec, s[60:61]
	s_cbranch_execnz .LBB240_999
.LBB240_981:
	s_or_b64 exec, exec, s[60:61]
	s_and_saveexec_b64 s[60:61], s[0:1]
	s_cbranch_execz .LBB240_983
.LBB240_982:
	v_lshlrev_b32_e32 v4, 24, v3
	v_and_b32_e32 v3, 0xffff, v3
	v_and_b32_e32 v6, 7, v3
	v_ffbh_u32_e32 v9, v6
	v_min_u32_e32 v9, 32, v9
	v_subrev_u32_e32 v10, 28, v9
	v_bfe_u32 v7, v3, 3, 4
	v_lshlrev_b32_e32 v3, v10, v3
	v_sub_u32_e32 v9, 29, v9
	v_and_b32_e32 v3, 7, v3
	v_cmp_eq_u32_e32 vcc, 0, v7
	v_cndmask_b32_e32 v7, v7, v9, vcc
	v_cndmask_b32_e32 v3, v6, v3, vcc
	v_mov_b32_e32 v6, 0x3b800000
	v_lshlrev_b32_e32 v3, 20, v3
	v_and_b32_e32 v4, 0x80000000, v4
	v_lshl_add_u32 v6, v7, 23, v6
	v_or3_b32 v4, v4, v6, v3
.LBB240_983:
	s_or_b64 exec, exec, s[60:61]
	v_bfe_u32 v3, v4, 16, 1
	s_movk_i32 s0, 0x7fff
	v_add3_u32 v3, v4, v3, s0
	v_cmp_o_f32_e32 vcc, v4, v4
	v_mov_b32_e32 v4, 0x7fc0
	v_cndmask_b32_sdwa v3, v4, v3, vcc dst_sel:DWORD dst_unused:UNUSED_PAD src0_sel:DWORD src1_sel:WORD_1
.LBB240_984:
	s_mov_b64 s[0:1], -1
.LBB240_985:
	s_mov_b64 s[60:61], 0
.LBB240_986:
	s_and_b64 vcc, exec, s[60:61]
	s_cbranch_vccz .LBB240_1021
; %bb.987:
	s_cmp_gt_i32 s65, 22
	s_cbranch_scc0 .LBB240_997
; %bb.988:
	s_cmp_lt_i32 s65, 24
	s_cbranch_scc1 .LBB240_1000
; %bb.989:
	s_cmp_gt_i32 s65, 24
	s_cbranch_scc0 .LBB240_1001
; %bb.990:
	global_load_ubyte v3, v[1:2], off
	s_movk_i32 s0, 0x7f
	s_waitcnt vmcnt(0)
	v_cmp_lt_i16_e32 vcc, s0, v3
	s_mov_b64 s[0:1], 0
	s_and_saveexec_b64 s[60:61], vcc
	s_xor_b64 s[60:61], exec, s[60:61]
	s_cbranch_execz .LBB240_1013
; %bb.991:
	s_movk_i32 s0, 0x80
	v_cmp_eq_u16_e32 vcc, s0, v3
	s_mov_b64 s[0:1], -1
	s_and_saveexec_b64 s[62:63], vcc
; %bb.992:
	s_xor_b64 s[0:1], exec, -1
; %bb.993:
	s_or_b64 exec, exec, s[62:63]
	s_and_b64 s[0:1], s[0:1], exec
	s_or_saveexec_b64 s[60:61], s[60:61]
	v_mov_b32_e32 v4, 0x7f800001
	s_xor_b64 exec, exec, s[60:61]
	s_cbranch_execnz .LBB240_1014
.LBB240_994:
	s_or_b64 exec, exec, s[60:61]
	s_and_saveexec_b64 s[60:61], s[0:1]
	s_cbranch_execz .LBB240_996
.LBB240_995:
	v_lshlrev_b32_e32 v4, 24, v3
	v_and_b32_e32 v3, 0xffff, v3
	v_and_b32_e32 v6, 3, v3
	v_ffbh_u32_e32 v9, v6
	v_min_u32_e32 v9, 32, v9
	v_subrev_u32_e32 v10, 29, v9
	v_bfe_u32 v7, v3, 2, 5
	v_lshlrev_b32_e32 v3, v10, v3
	v_sub_u32_e32 v9, 30, v9
	v_and_b32_e32 v3, 3, v3
	v_cmp_eq_u32_e32 vcc, 0, v7
	v_cndmask_b32_e32 v7, v7, v9, vcc
	v_cndmask_b32_e32 v3, v6, v3, vcc
	v_mov_b32_e32 v6, 0x37800000
	v_lshlrev_b32_e32 v3, 21, v3
	v_and_b32_e32 v4, 0x80000000, v4
	v_lshl_add_u32 v6, v7, 23, v6
	v_or3_b32 v4, v4, v6, v3
.LBB240_996:
	s_or_b64 exec, exec, s[60:61]
	v_bfe_u32 v3, v4, 16, 1
	s_movk_i32 s0, 0x7fff
	v_add3_u32 v3, v4, v3, s0
	v_cmp_o_f32_e32 vcc, v4, v4
	v_mov_b32_e32 v4, 0x7fc0
	v_cndmask_b32_sdwa v3, v4, v3, vcc dst_sel:DWORD dst_unused:UNUSED_PAD src0_sel:DWORD src1_sel:WORD_1
	s_mov_b64 s[0:1], 0
	s_branch .LBB240_1002
.LBB240_997:
	s_mov_b64 s[60:61], -1
                                        ; implicit-def: $vgpr3
	s_branch .LBB240_1008
.LBB240_998:
	s_or_saveexec_b64 s[60:61], s[60:61]
	v_mov_b32_e32 v4, 0x7f800001
	s_xor_b64 exec, exec, s[60:61]
	s_cbranch_execz .LBB240_981
.LBB240_999:
	v_cmp_ne_u16_e32 vcc, 0, v3
	s_andn2_b64 s[0:1], s[0:1], exec
	s_and_b64 s[62:63], vcc, exec
	v_mov_b32_e32 v4, 0
	s_or_b64 s[0:1], s[0:1], s[62:63]
	s_or_b64 exec, exec, s[60:61]
	s_and_saveexec_b64 s[60:61], s[0:1]
	s_cbranch_execnz .LBB240_982
	s_branch .LBB240_983
.LBB240_1000:
	s_mov_b64 s[0:1], -1
                                        ; implicit-def: $vgpr3
	s_branch .LBB240_1005
.LBB240_1001:
	s_mov_b64 s[0:1], -1
                                        ; implicit-def: $vgpr3
.LBB240_1002:
	s_and_b64 vcc, exec, s[0:1]
	s_cbranch_vccz .LBB240_1004
; %bb.1003:
	global_load_ubyte v3, v[1:2], off
	s_mov_b32 s0, 0x7f800000
	s_brev_b32 s1, 1
	s_movk_i32 s60, 0x7fff
	s_waitcnt vmcnt(0)
	v_lshlrev_b32_e32 v3, 24, v3
	v_and_b32_e32 v4, 0x7f000000, v3
	v_ffbh_u32_e32 v6, v4
	v_min_u32_e32 v6, 32, v6
	v_sub_u32_e64 v6, v6, 4 clamp
	v_lshlrev_b32_e32 v9, v6, v4
	v_lshlrev_b32_e32 v6, 23, v6
	v_lshrrev_b32_e32 v9, 4, v9
	v_add_u32_e32 v7, 0x1000000, v4
	v_sub_u32_e32 v6, v9, v6
	v_ashrrev_i32_e32 v7, 8, v7
	v_add_u32_e32 v6, 0x3c000000, v6
	v_and_or_b32 v6, v7, s0, v6
	v_cmp_ne_u32_e32 vcc, 0, v4
	v_cndmask_b32_e32 v4, 0, v6, vcc
	v_and_or_b32 v3, v3, s1, v4
	v_bfe_u32 v4, v4, 16, 1
	v_add3_u32 v4, v3, v4, s60
	v_cmp_o_f32_e32 vcc, v3, v3
	v_mov_b32_e32 v3, 0x7fc0
	v_cndmask_b32_sdwa v3, v3, v4, vcc dst_sel:DWORD dst_unused:UNUSED_PAD src0_sel:DWORD src1_sel:WORD_1
.LBB240_1004:
	s_mov_b64 s[0:1], 0
.LBB240_1005:
	s_andn2_b64 vcc, exec, s[0:1]
	s_cbranch_vccnz .LBB240_1007
; %bb.1006:
	global_load_ubyte v3, v[1:2], off
	s_movk_i32 s0, 0x7f00
	s_brev_b32 s1, 16
	s_brev_b32 s60, 1
	s_movk_i32 s61, 0x7fff
	s_waitcnt vmcnt(0)
	v_lshlrev_b16_e32 v4, 8, v3
	v_lshlrev_b32_e32 v3, 25, v3
	v_lshrrev_b32_e32 v6, 4, v3
	v_and_or_b32 v7, v4, s0, 0.5
	v_or_b32_e32 v6, 0x70000000, v6
	v_add_f32_e32 v7, -0.5, v7
	v_mul_f32_e32 v6, 0x7800000, v6
	v_cmp_gt_u32_e32 vcc, s1, v3
	v_bfe_i32 v4, v4, 0, 16
	v_cndmask_b32_e32 v3, v6, v7, vcc
	v_and_or_b32 v4, v4, s60, v3
	v_bfe_u32 v3, v3, 16, 1
	v_add3_u32 v3, v4, v3, s61
	v_cmp_o_f32_e32 vcc, v4, v4
	v_mov_b32_e32 v4, 0x7fc0
	v_cndmask_b32_sdwa v3, v4, v3, vcc dst_sel:DWORD dst_unused:UNUSED_PAD src0_sel:DWORD src1_sel:WORD_1
.LBB240_1007:
	s_mov_b64 s[60:61], 0
	s_mov_b64 s[0:1], -1
.LBB240_1008:
	s_andn2_b64 vcc, exec, s[60:61]
	s_cbranch_vccnz .LBB240_1021
; %bb.1009:
	s_cmp_gt_i32 s65, 14
	s_cbranch_scc0 .LBB240_1012
; %bb.1010:
	s_cmp_eq_u32 s65, 15
	s_cbranch_scc0 .LBB240_1015
; %bb.1011:
	global_load_ushort v3, v[1:2], off
	s_mov_b64 s[0:1], -1
	s_mov_b64 s[58:59], 0
	s_branch .LBB240_1016
.LBB240_1012:
	s_mov_b64 s[60:61], -1
                                        ; implicit-def: $vgpr3
	s_branch .LBB240_1017
.LBB240_1013:
	s_or_saveexec_b64 s[60:61], s[60:61]
	v_mov_b32_e32 v4, 0x7f800001
	s_xor_b64 exec, exec, s[60:61]
	s_cbranch_execz .LBB240_994
.LBB240_1014:
	v_cmp_ne_u16_e32 vcc, 0, v3
	s_andn2_b64 s[0:1], s[0:1], exec
	s_and_b64 s[62:63], vcc, exec
	v_mov_b32_e32 v4, 0
	s_or_b64 s[0:1], s[0:1], s[62:63]
	s_or_b64 exec, exec, s[60:61]
	s_and_saveexec_b64 s[60:61], s[0:1]
	s_cbranch_execnz .LBB240_995
	s_branch .LBB240_996
.LBB240_1015:
	s_mov_b64 s[58:59], -1
                                        ; implicit-def: $vgpr3
.LBB240_1016:
	s_mov_b64 s[60:61], 0
.LBB240_1017:
	s_and_b64 vcc, exec, s[60:61]
	s_cbranch_vccz .LBB240_1021
; %bb.1018:
	s_cmp_eq_u32 s65, 11
	s_cbranch_scc0 .LBB240_1020
; %bb.1019:
	global_load_ubyte v3, v[1:2], off
	s_mov_b64 s[0:1], -1
	s_mov_b64 s[58:59], 0
	s_waitcnt vmcnt(0)
	v_cmp_ne_u16_e32 vcc, 0, v3
	v_cndmask_b32_e64 v3, 0, 1.0, vcc
	v_lshrrev_b32_e32 v3, 16, v3
	s_branch .LBB240_1021
.LBB240_1020:
	s_mov_b64 s[58:59], -1
                                        ; implicit-def: $vgpr3
.LBB240_1021:
	s_mov_b64 s[60:61], 0
.LBB240_1022:
	s_and_b64 vcc, exec, s[60:61]
	s_cbranch_vccz .LBB240_1071
; %bb.1023:
	s_and_b32 s60, 0xffff, s64
	s_cmp_lt_i32 s60, 5
	s_cbranch_scc1 .LBB240_1028
; %bb.1024:
	s_cmp_lt_i32 s60, 8
	s_cbranch_scc1 .LBB240_1029
; %bb.1025:
	;; [unrolled: 3-line block ×3, first 2 shown]
	s_cmp_gt_i32 s60, 9
	s_cbranch_scc0 .LBB240_1031
; %bb.1027:
	global_load_dwordx2 v[3:4], v[1:2], off
	s_movk_i32 s0, 0x7fff
	s_waitcnt vmcnt(0)
	v_cvt_f32_f64_e32 v3, v[3:4]
	v_mov_b32_e32 v4, 0x7fc0
	v_bfe_u32 v6, v3, 16, 1
	v_cmp_o_f32_e32 vcc, v3, v3
	v_add3_u32 v3, v3, v6, s0
	v_cndmask_b32_sdwa v3, v4, v3, vcc dst_sel:DWORD dst_unused:UNUSED_PAD src0_sel:DWORD src1_sel:WORD_1
	s_mov_b64 s[0:1], 0
	s_branch .LBB240_1032
.LBB240_1028:
	s_mov_b64 s[0:1], -1
                                        ; implicit-def: $vgpr3
	s_branch .LBB240_1050
.LBB240_1029:
	s_mov_b64 s[0:1], -1
                                        ; implicit-def: $vgpr3
	s_branch .LBB240_1038
.LBB240_1030:
	s_mov_b64 s[0:1], -1
                                        ; implicit-def: $vgpr3
	s_branch .LBB240_1035
.LBB240_1031:
	s_mov_b64 s[0:1], -1
                                        ; implicit-def: $vgpr3
.LBB240_1032:
	s_andn2_b64 vcc, exec, s[0:1]
	s_cbranch_vccnz .LBB240_1034
; %bb.1033:
	global_load_dword v3, v[1:2], off
	s_movk_i32 s0, 0x7fff
	v_mov_b32_e32 v4, 0x7fc0
	s_waitcnt vmcnt(0)
	v_bfe_u32 v6, v3, 16, 1
	v_cmp_o_f32_e32 vcc, v3, v3
	v_add3_u32 v3, v3, v6, s0
	v_cndmask_b32_sdwa v3, v4, v3, vcc dst_sel:DWORD dst_unused:UNUSED_PAD src0_sel:DWORD src1_sel:WORD_1
.LBB240_1034:
	s_mov_b64 s[0:1], 0
.LBB240_1035:
	s_andn2_b64 vcc, exec, s[0:1]
	s_cbranch_vccnz .LBB240_1037
; %bb.1036:
	global_load_dword v3, v[1:2], off
	s_movk_i32 s0, 0x7fff
	v_mov_b32_e32 v6, 0x7fc0
	s_waitcnt vmcnt(0)
	v_cvt_f32_f16_e32 v4, v3
	v_cmp_o_f16_e32 vcc, v3, v3
	v_bfe_u32 v3, v4, 16, 1
	v_add3_u32 v3, v4, v3, s0
	v_cndmask_b32_sdwa v3, v6, v3, vcc dst_sel:DWORD dst_unused:UNUSED_PAD src0_sel:DWORD src1_sel:WORD_1
.LBB240_1037:
	s_mov_b64 s[0:1], 0
.LBB240_1038:
	s_andn2_b64 vcc, exec, s[0:1]
	s_cbranch_vccnz .LBB240_1049
; %bb.1039:
	s_cmp_lt_i32 s60, 6
	s_cbranch_scc1 .LBB240_1042
; %bb.1040:
	s_cmp_gt_i32 s60, 6
	s_cbranch_scc0 .LBB240_1043
; %bb.1041:
	global_load_dwordx2 v[3:4], v[1:2], off
	s_movk_i32 s0, 0x7fff
	s_waitcnt vmcnt(0)
	v_cvt_f32_f64_e32 v3, v[3:4]
	v_mov_b32_e32 v4, 0x7fc0
	v_bfe_u32 v6, v3, 16, 1
	v_cmp_o_f32_e32 vcc, v3, v3
	v_add3_u32 v3, v3, v6, s0
	v_cndmask_b32_sdwa v3, v4, v3, vcc dst_sel:DWORD dst_unused:UNUSED_PAD src0_sel:DWORD src1_sel:WORD_1
	s_mov_b64 s[0:1], 0
	s_branch .LBB240_1044
.LBB240_1042:
	s_mov_b64 s[0:1], -1
                                        ; implicit-def: $vgpr3
	s_branch .LBB240_1047
.LBB240_1043:
	s_mov_b64 s[0:1], -1
                                        ; implicit-def: $vgpr3
.LBB240_1044:
	s_andn2_b64 vcc, exec, s[0:1]
	s_cbranch_vccnz .LBB240_1046
; %bb.1045:
	global_load_dword v3, v[1:2], off
	s_movk_i32 s0, 0x7fff
	v_mov_b32_e32 v4, 0x7fc0
	s_waitcnt vmcnt(0)
	v_bfe_u32 v6, v3, 16, 1
	v_cmp_o_f32_e32 vcc, v3, v3
	v_add3_u32 v3, v3, v6, s0
	v_cndmask_b32_sdwa v3, v4, v3, vcc dst_sel:DWORD dst_unused:UNUSED_PAD src0_sel:DWORD src1_sel:WORD_1
.LBB240_1046:
	s_mov_b64 s[0:1], 0
.LBB240_1047:
	s_andn2_b64 vcc, exec, s[0:1]
	s_cbranch_vccnz .LBB240_1049
; %bb.1048:
	global_load_ushort v3, v[1:2], off
	s_movk_i32 s0, 0x7fff
	v_mov_b32_e32 v6, 0x7fc0
	s_waitcnt vmcnt(0)
	v_cvt_f32_f16_e32 v4, v3
	v_cmp_o_f16_e32 vcc, v3, v3
	v_bfe_u32 v3, v4, 16, 1
	v_add3_u32 v3, v4, v3, s0
	v_cndmask_b32_sdwa v3, v6, v3, vcc dst_sel:DWORD dst_unused:UNUSED_PAD src0_sel:DWORD src1_sel:WORD_1
.LBB240_1049:
	s_mov_b64 s[0:1], 0
.LBB240_1050:
	s_andn2_b64 vcc, exec, s[0:1]
	s_cbranch_vccnz .LBB240_1070
; %bb.1051:
	s_cmp_lt_i32 s60, 2
	s_cbranch_scc1 .LBB240_1055
; %bb.1052:
	s_cmp_lt_i32 s60, 3
	s_cbranch_scc1 .LBB240_1056
; %bb.1053:
	s_cmp_gt_i32 s60, 3
	s_cbranch_scc0 .LBB240_1057
; %bb.1054:
	global_load_dwordx2 v[3:4], v[1:2], off
	s_movk_i32 s0, 0x7fff
	s_waitcnt vmcnt(0)
	v_xor_b32_e32 v7, v3, v4
	v_ffbh_i32_e32 v6, v4
	v_ashrrev_i32_e32 v7, 31, v7
	v_add_u32_e32 v6, -1, v6
	v_add_u32_e32 v7, 32, v7
	v_min_u32_e32 v6, v6, v7
	v_lshlrev_b64 v[3:4], v6, v[3:4]
	v_min_u32_e32 v3, 1, v3
	v_or_b32_e32 v3, v4, v3
	v_cvt_f32_i32_e32 v3, v3
	v_sub_u32_e32 v4, 32, v6
	v_ldexp_f32 v3, v3, v4
	v_bfe_u32 v4, v3, 16, 1
	v_add3_u32 v3, v3, v4, s0
	v_lshrrev_b32_e32 v3, 16, v3
	s_mov_b64 s[0:1], 0
	s_branch .LBB240_1058
.LBB240_1055:
	s_mov_b64 s[0:1], -1
                                        ; implicit-def: $vgpr3
	s_branch .LBB240_1064
.LBB240_1056:
	s_mov_b64 s[0:1], -1
                                        ; implicit-def: $vgpr3
	s_branch .LBB240_1061
.LBB240_1057:
	s_mov_b64 s[0:1], -1
                                        ; implicit-def: $vgpr3
.LBB240_1058:
	s_andn2_b64 vcc, exec, s[0:1]
	s_cbranch_vccnz .LBB240_1060
; %bb.1059:
	global_load_dword v3, v[1:2], off
	s_movk_i32 s0, 0x7fff
	s_waitcnt vmcnt(0)
	v_cvt_f32_i32_e32 v3, v3
	v_bfe_u32 v4, v3, 16, 1
	v_add3_u32 v3, v3, v4, s0
	v_lshrrev_b32_e32 v3, 16, v3
.LBB240_1060:
	s_mov_b64 s[0:1], 0
.LBB240_1061:
	s_andn2_b64 vcc, exec, s[0:1]
	s_cbranch_vccnz .LBB240_1063
; %bb.1062:
	global_load_sshort v3, v[1:2], off
	s_movk_i32 s0, 0x7fff
	s_waitcnt vmcnt(0)
	v_cvt_f32_i32_e32 v3, v3
	v_bfe_u32 v4, v3, 16, 1
	v_add3_u32 v3, v3, v4, s0
	v_lshrrev_b32_e32 v3, 16, v3
.LBB240_1063:
	s_mov_b64 s[0:1], 0
.LBB240_1064:
	s_andn2_b64 vcc, exec, s[0:1]
	s_cbranch_vccnz .LBB240_1070
; %bb.1065:
	s_cmp_gt_i32 s60, 0
	s_cbranch_scc0 .LBB240_1067
; %bb.1066:
	global_load_sbyte v3, v[1:2], off
	s_movk_i32 s0, 0x7fff
	s_waitcnt vmcnt(0)
	v_cvt_f32_i32_e32 v3, v3
	v_bfe_u32 v4, v3, 16, 1
	v_add3_u32 v3, v3, v4, s0
	v_lshrrev_b32_e32 v3, 16, v3
	s_mov_b64 s[0:1], 0
	s_branch .LBB240_1068
.LBB240_1067:
	s_mov_b64 s[0:1], -1
                                        ; implicit-def: $vgpr3
.LBB240_1068:
	s_andn2_b64 vcc, exec, s[0:1]
	s_cbranch_vccnz .LBB240_1070
; %bb.1069:
	global_load_ubyte v1, v[1:2], off
	s_movk_i32 s0, 0x7fff
	s_waitcnt vmcnt(0)
	v_cvt_f32_ubyte0_e32 v1, v1
	v_bfe_u32 v2, v1, 16, 1
	v_add3_u32 v1, v1, v2, s0
	v_lshrrev_b32_e32 v3, 16, v1
.LBB240_1070:
	s_mov_b64 s[0:1], -1
.LBB240_1071:
	s_andn2_b64 vcc, exec, s[0:1]
	s_cbranch_vccnz .LBB240_1079
; %bb.1072:
	s_waitcnt vmcnt(0)
	v_lshlrev_b32_e32 v1, 16, v5
	v_mov_b32_e32 v2, s71
	v_cmp_ge_f32_e32 vcc, s14, v1
	v_cndmask_b32_e32 v2, v3, v2, vcc
	v_mov_b32_e32 v1, s9
	s_and_b32 s66, s15, 0xff
	v_add_co_u32_e32 v0, vcc, s8, v0
	s_cmp_lt_i32 s66, 11
	v_addc_co_u32_e32 v1, vcc, 0, v1, vcc
	s_cbranch_scc1 .LBB240_1080
; %bb.1073:
	s_and_b32 s67, 0xffff, s66
	s_cmp_gt_i32 s67, 25
	s_cbranch_scc0 .LBB240_1081
; %bb.1074:
	s_cmp_gt_i32 s67, 28
	s_cbranch_scc0 .LBB240_1082
; %bb.1075:
	;; [unrolled: 3-line block ×4, first 2 shown]
	s_mov_b64 s[62:63], 0
	s_mov_b64 s[0:1], -1
	s_cmp_eq_u32 s67, 46
	s_mov_b64 s[60:61], 0
	s_cbranch_scc0 .LBB240_1085
; %bb.1078:
	v_and_b32_e32 v3, 0xffff, v2
	global_store_dword v[0:1], v3, off
	s_mov_b64 s[60:61], -1
	s_mov_b64 s[0:1], 0
	s_branch .LBB240_1085
.LBB240_1079:
	s_mov_b64 s[62:63], 0
                                        ; implicit-def: $vgpr8
	s_mov_b64 s[0:1], s[50:51]
	s_branch .LBB240_1195
.LBB240_1080:
	s_mov_b64 s[62:63], -1
	s_mov_b64 s[60:61], 0
	s_mov_b64 s[0:1], s[50:51]
	s_branch .LBB240_1154
.LBB240_1081:
	s_mov_b64 s[62:63], -1
	s_mov_b64 s[60:61], 0
	s_mov_b64 s[0:1], s[50:51]
	s_branch .LBB240_1112
.LBB240_1082:
	s_mov_b64 s[62:63], -1
	s_mov_b64 s[60:61], 0
	s_mov_b64 s[0:1], s[50:51]
	s_branch .LBB240_1095
.LBB240_1083:
	s_mov_b64 s[62:63], -1
	s_mov_b64 s[60:61], 0
	s_mov_b64 s[0:1], s[50:51]
	s_branch .LBB240_1091
.LBB240_1084:
	s_mov_b64 s[62:63], -1
	s_mov_b64 s[60:61], 0
	s_mov_b64 s[0:1], s[50:51]
.LBB240_1085:
	s_and_b64 vcc, exec, s[62:63]
	s_cbranch_vccz .LBB240_1090
; %bb.1086:
	s_cmp_eq_u32 s67, 44
	s_mov_b64 s[0:1], -1
	s_cbranch_scc0 .LBB240_1090
; %bb.1087:
	v_and_b32_e32 v4, 0xffff, v2
	v_bfe_u32 v3, v4, 7, 8
	s_movk_i32 s0, 0xff
	v_cmp_ne_u32_e32 vcc, s0, v3
	v_mov_b32_e32 v5, 0xff
	s_and_saveexec_b64 s[60:61], vcc
	s_cbranch_execz .LBB240_1089
; %bb.1088:
	v_lshlrev_b32_e32 v6, 16, v4
	s_mov_b32 s0, 0x3f0000
	v_lshrrev_b32_e32 v5, 7, v4
	v_and_b32_e32 v4, 64, v4
	v_and_or_b32 v3, v6, s0, v3
	v_cmp_ne_u32_e32 vcc, 0, v4
	v_cmp_ne_u32_e64 s[0:1], 0, v3
	s_and_b64 s[0:1], vcc, s[0:1]
	v_cndmask_b32_e64 v3, 0, 1, s[0:1]
	v_add_u32_e32 v5, v5, v3
.LBB240_1089:
	s_or_b64 exec, exec, s[60:61]
	s_mov_b64 s[60:61], -1
	s_mov_b64 s[0:1], 0
	global_store_byte v[0:1], v5, off
.LBB240_1090:
	s_mov_b64 s[62:63], 0
.LBB240_1091:
	s_and_b64 vcc, exec, s[62:63]
	s_cbranch_vccz .LBB240_1094
; %bb.1092:
	s_cmp_eq_u32 s67, 29
	s_mov_b64 s[0:1], -1
	s_cbranch_scc0 .LBB240_1094
; %bb.1093:
	v_lshlrev_b32_e32 v3, 16, v2
	v_trunc_f32_e32 v3, v3
	v_mul_f32_e32 v4, 0x2f800000, v3
	v_floor_f32_e32 v5, v4
	v_fmac_f32_e32 v3, 0xcf800000, v5
	v_cvt_u32_f32_e32 v4, v5
	v_cvt_u32_f32_e32 v3, v3
	s_mov_b64 s[60:61], -1
	s_mov_b64 s[0:1], 0
	s_mov_b64 s[62:63], 0
	global_store_dwordx2 v[0:1], v[3:4], off
	s_branch .LBB240_1095
.LBB240_1094:
	s_mov_b64 s[62:63], 0
.LBB240_1095:
	s_and_b64 vcc, exec, s[62:63]
	s_cbranch_vccz .LBB240_1111
; %bb.1096:
	s_cmp_lt_i32 s67, 27
	s_mov_b64 s[60:61], -1
	s_cbranch_scc1 .LBB240_1102
; %bb.1097:
	s_cmp_gt_i32 s67, 27
	s_cbranch_scc0 .LBB240_1099
; %bb.1098:
	v_lshlrev_b32_e32 v3, 16, v2
	v_cvt_u32_f32_e32 v3, v3
	s_mov_b64 s[60:61], 0
	global_store_dword v[0:1], v3, off
.LBB240_1099:
	s_andn2_b64 vcc, exec, s[60:61]
	s_cbranch_vccnz .LBB240_1101
; %bb.1100:
	v_lshlrev_b32_e32 v3, 16, v2
	v_cvt_u32_f32_e32 v3, v3
	global_store_short v[0:1], v3, off
.LBB240_1101:
	s_mov_b64 s[60:61], 0
.LBB240_1102:
	s_andn2_b64 vcc, exec, s[60:61]
	s_cbranch_vccnz .LBB240_1110
; %bb.1103:
	v_lshlrev_b32_e32 v5, 16, v2
	v_and_b32_e32 v4, 0x7fffffff, v5
	s_mov_b32 s60, 0x43800000
	v_cmp_gt_u32_e32 vcc, s60, v4
	v_mov_b32_e32 v6, 0x80
	s_and_saveexec_b64 s[60:61], vcc
	s_cbranch_execz .LBB240_1109
; %bb.1104:
	s_mov_b32 s62, 0x3bffffff
	v_and_b32_e32 v3, 0xffff, v2
	v_cmp_lt_u32_e32 vcc, s62, v4
	s_mov_b64 s[62:63], 0
                                        ; implicit-def: $vgpr4
	s_and_saveexec_b64 s[64:65], vcc
	s_xor_b64 s[64:65], exec, s[64:65]
	s_cbranch_execz .LBB240_1223
; %bb.1105:
	v_bfe_u32 v4, v3, 4, 1
	s_mov_b32 s69, 0x487ffff
	v_add3_u32 v4, v5, v4, s69
	s_mov_b64 s[62:63], exec
	v_lshrrev_b32_e32 v4, 20, v4
                                        ; implicit-def: $vgpr5
	s_andn2_saveexec_b64 s[64:65], s[64:65]
	s_cbranch_execnz .LBB240_1224
.LBB240_1106:
	s_or_b64 exec, exec, s[64:65]
	v_mov_b32_e32 v6, 0
	s_and_saveexec_b64 s[64:65], s[62:63]
.LBB240_1107:
	v_lshrrev_b32_e32 v3, 8, v3
	s_movk_i32 s62, 0x80
	v_and_or_b32 v6, v3, s62, v4
.LBB240_1108:
	s_or_b64 exec, exec, s[64:65]
.LBB240_1109:
	s_or_b64 exec, exec, s[60:61]
	global_store_byte v[0:1], v6, off
.LBB240_1110:
	s_mov_b64 s[60:61], -1
.LBB240_1111:
	s_mov_b64 s[62:63], 0
.LBB240_1112:
	s_and_b64 vcc, exec, s[62:63]
	s_cbranch_vccz .LBB240_1153
; %bb.1113:
	s_cmp_gt_i32 s67, 22
	s_mov_b64 s[62:63], -1
	s_cbranch_scc0 .LBB240_1145
; %bb.1114:
	s_cmp_lt_i32 s67, 24
	s_mov_b64 s[60:61], -1
	s_cbranch_scc1 .LBB240_1134
; %bb.1115:
	s_cmp_gt_i32 s67, 24
	s_cbranch_scc0 .LBB240_1123
; %bb.1116:
	v_lshlrev_b32_e32 v5, 16, v2
	v_and_b32_e32 v4, 0x7fffffff, v5
	s_mov_b32 s60, 0x47800000
	v_cmp_gt_u32_e32 vcc, s60, v4
	v_mov_b32_e32 v6, 0x80
	s_and_saveexec_b64 s[60:61], vcc
	s_cbranch_execz .LBB240_1122
; %bb.1117:
	s_mov_b32 s62, 0x37ffffff
	v_and_b32_e32 v3, 0xffff, v2
	v_cmp_lt_u32_e32 vcc, s62, v4
	s_mov_b64 s[62:63], 0
                                        ; implicit-def: $vgpr4
	s_and_saveexec_b64 s[64:65], vcc
	s_xor_b64 s[64:65], exec, s[64:65]
	s_cbranch_execz .LBB240_2288
; %bb.1118:
	v_bfe_u32 v4, v3, 5, 1
	s_mov_b32 s69, 0x88fffff
	v_add3_u32 v4, v5, v4, s69
	s_mov_b64 s[62:63], exec
	v_lshrrev_b32_e32 v4, 21, v4
                                        ; implicit-def: $vgpr5
	s_andn2_saveexec_b64 s[64:65], s[64:65]
	s_cbranch_execnz .LBB240_2289
.LBB240_1119:
	s_or_b64 exec, exec, s[64:65]
	v_mov_b32_e32 v6, 0
	s_and_saveexec_b64 s[64:65], s[62:63]
.LBB240_1120:
	v_lshrrev_b32_e32 v3, 8, v3
	s_movk_i32 s62, 0x80
	v_and_or_b32 v6, v3, s62, v4
.LBB240_1121:
	s_or_b64 exec, exec, s[64:65]
.LBB240_1122:
	s_or_b64 exec, exec, s[60:61]
	s_mov_b64 s[60:61], 0
	global_store_byte v[0:1], v6, off
.LBB240_1123:
	s_and_b64 vcc, exec, s[60:61]
	s_cbranch_vccz .LBB240_1133
; %bb.1124:
	v_lshlrev_b32_e32 v5, 16, v2
	v_and_b32_e32 v6, 0x7fffffff, v5
	s_mov_b32 s60, 0x43f00000
	v_and_b32_e32 v3, 0xffff, v2
	v_cmp_gt_u32_e32 vcc, s60, v6
                                        ; implicit-def: $vgpr4
	s_and_saveexec_b64 s[60:61], vcc
	s_xor_b64 s[60:61], exec, s[60:61]
	s_cbranch_execz .LBB240_1130
; %bb.1125:
	s_mov_b32 s62, 0x3c7fffff
	v_cmp_lt_u32_e32 vcc, s62, v6
                                        ; implicit-def: $vgpr4
	s_and_saveexec_b64 s[62:63], vcc
	s_xor_b64 s[62:63], exec, s[62:63]
; %bb.1126:
	v_bfe_u32 v4, v3, 4, 1
	s_mov_b32 s64, 0x407ffff
	v_add3_u32 v4, v5, v4, s64
	v_lshrrev_b32_e32 v5, 20, v4
	v_and_b32_e32 v4, 0xff00000, v4
	s_mov_b32 s64, 0x7f00000
	v_mov_b32_e32 v6, 0x7e
	v_cmp_ne_u32_e32 vcc, s64, v4
	v_cndmask_b32_e32 v4, v6, v5, vcc
                                        ; implicit-def: $vgpr5
; %bb.1127:
	s_andn2_saveexec_b64 s[62:63], s[62:63]
; %bb.1128:
	s_mov_b32 s64, 0x46800000
	v_add_f32_e64 v4, |v5|, s64
; %bb.1129:
	s_or_b64 exec, exec, s[62:63]
                                        ; implicit-def: $vgpr6
.LBB240_1130:
	s_andn2_saveexec_b64 s[60:61], s[60:61]
; %bb.1131:
	s_mov_b32 s62, 0x7f800000
	v_mov_b32_e32 v4, 0x7e
	v_mov_b32_e32 v5, 0x7f
	v_cmp_lt_u32_e32 vcc, s62, v6
	v_cndmask_b32_e32 v4, v4, v5, vcc
; %bb.1132:
	s_or_b64 exec, exec, s[60:61]
	v_lshrrev_b32_e32 v3, 8, v3
	s_movk_i32 s60, 0x80
	v_and_or_b32 v3, v3, s60, v4
	global_store_byte v[0:1], v3, off
.LBB240_1133:
	s_mov_b64 s[60:61], 0
.LBB240_1134:
	s_andn2_b64 vcc, exec, s[60:61]
	s_cbranch_vccnz .LBB240_1144
; %bb.1135:
	v_lshlrev_b32_e32 v5, 16, v2
	v_and_b32_e32 v6, 0x7fffffff, v5
	s_mov_b32 s60, 0x47800000
	v_and_b32_e32 v3, 0xffff, v2
	v_cmp_gt_u32_e32 vcc, s60, v6
                                        ; implicit-def: $vgpr4
	s_and_saveexec_b64 s[60:61], vcc
	s_xor_b64 s[60:61], exec, s[60:61]
	s_cbranch_execz .LBB240_1141
; %bb.1136:
	s_mov_b32 s62, 0x387fffff
	v_cmp_lt_u32_e32 vcc, s62, v6
                                        ; implicit-def: $vgpr4
	s_and_saveexec_b64 s[62:63], vcc
	s_xor_b64 s[62:63], exec, s[62:63]
; %bb.1137:
	v_bfe_u32 v4, v3, 5, 1
	s_mov_b32 s64, 0x80fffff
	v_add3_u32 v4, v5, v4, s64
	v_lshrrev_b32_e32 v4, 21, v4
                                        ; implicit-def: $vgpr5
; %bb.1138:
	s_andn2_saveexec_b64 s[62:63], s[62:63]
; %bb.1139:
	s_mov_b32 s64, 0x43000000
	v_add_f32_e64 v4, |v5|, s64
; %bb.1140:
	s_or_b64 exec, exec, s[62:63]
                                        ; implicit-def: $vgpr6
.LBB240_1141:
	s_andn2_saveexec_b64 s[60:61], s[60:61]
; %bb.1142:
	s_mov_b32 s62, 0x7f800000
	v_mov_b32_e32 v4, 0x7c
	v_mov_b32_e32 v5, 0x7f
	v_cmp_lt_u32_e32 vcc, s62, v6
	v_cndmask_b32_e32 v4, v4, v5, vcc
; %bb.1143:
	s_or_b64 exec, exec, s[60:61]
	v_lshrrev_b32_e32 v3, 8, v3
	s_movk_i32 s60, 0x80
	v_and_or_b32 v3, v3, s60, v4
	global_store_byte v[0:1], v3, off
.LBB240_1144:
	s_mov_b64 s[62:63], 0
	s_mov_b64 s[60:61], -1
.LBB240_1145:
	s_andn2_b64 vcc, exec, s[62:63]
	s_cbranch_vccnz .LBB240_1153
; %bb.1146:
	s_cmp_gt_i32 s67, 14
	s_mov_b64 s[62:63], -1
	s_cbranch_scc0 .LBB240_1150
; %bb.1147:
	s_cmp_eq_u32 s67, 15
	s_mov_b64 s[0:1], -1
	s_cbranch_scc0 .LBB240_1149
; %bb.1148:
	global_store_short v[0:1], v2, off
	s_mov_b64 s[60:61], -1
	s_mov_b64 s[0:1], 0
.LBB240_1149:
	s_mov_b64 s[62:63], 0
.LBB240_1150:
	s_and_b64 vcc, exec, s[62:63]
	s_cbranch_vccz .LBB240_1153
; %bb.1151:
	s_cmp_eq_u32 s67, 11
	s_mov_b64 s[0:1], -1
	s_cbranch_scc0 .LBB240_1153
; %bb.1152:
	v_and_b32_e32 v3, 0x7fff, v2
	v_cmp_ne_u16_e32 vcc, 0, v3
	v_cndmask_b32_e64 v3, 0, 1, vcc
	s_mov_b64 s[60:61], -1
	s_mov_b64 s[0:1], 0
	global_store_byte v[0:1], v3, off
.LBB240_1153:
	s_mov_b64 s[62:63], 0
.LBB240_1154:
	s_and_b64 vcc, exec, s[62:63]
	s_cbranch_vccz .LBB240_1193
; %bb.1155:
	s_and_b32 s62, 0xffff, s66
	s_cmp_lt_i32 s62, 5
	s_mov_b64 s[60:61], -1
	s_cbranch_scc1 .LBB240_1176
; %bb.1156:
	s_cmp_lt_i32 s62, 8
	s_cbranch_scc1 .LBB240_1166
; %bb.1157:
	s_cmp_lt_i32 s62, 9
	s_cbranch_scc1 .LBB240_1163
; %bb.1158:
	s_cmp_gt_i32 s62, 9
	s_cbranch_scc0 .LBB240_1160
; %bb.1159:
	v_lshlrev_b32_e32 v3, 16, v2
	v_cvt_f64_f32_e32 v[3:4], v3
	v_mov_b32_e32 v5, 0
	v_mov_b32_e32 v6, v5
	s_mov_b64 s[60:61], 0
	global_store_dwordx4 v[0:1], v[3:6], off
.LBB240_1160:
	s_andn2_b64 vcc, exec, s[60:61]
	s_cbranch_vccnz .LBB240_1162
; %bb.1161:
	v_lshlrev_b32_e32 v3, 16, v2
	v_mov_b32_e32 v4, 0
	global_store_dwordx2 v[0:1], v[3:4], off
.LBB240_1162:
	s_mov_b64 s[60:61], 0
.LBB240_1163:
	s_andn2_b64 vcc, exec, s[60:61]
	s_cbranch_vccnz .LBB240_1165
; %bb.1164:
	v_lshlrev_b32_e32 v3, 16, v2
	v_cvt_f16_f32_e32 v3, v3
	global_store_dword v[0:1], v3, off
.LBB240_1165:
	s_mov_b64 s[60:61], 0
.LBB240_1166:
	s_andn2_b64 vcc, exec, s[60:61]
	s_cbranch_vccnz .LBB240_1175
; %bb.1167:
	s_cmp_lt_i32 s62, 6
	s_mov_b64 s[60:61], -1
	s_cbranch_scc1 .LBB240_1173
; %bb.1168:
	s_cmp_gt_i32 s62, 6
	s_cbranch_scc0 .LBB240_1170
; %bb.1169:
	v_lshlrev_b32_e32 v3, 16, v2
	v_cvt_f64_f32_e32 v[3:4], v3
	s_mov_b64 s[60:61], 0
	global_store_dwordx2 v[0:1], v[3:4], off
.LBB240_1170:
	s_andn2_b64 vcc, exec, s[60:61]
	s_cbranch_vccnz .LBB240_1172
; %bb.1171:
	v_lshlrev_b32_e32 v3, 16, v2
	global_store_dword v[0:1], v3, off
.LBB240_1172:
	s_mov_b64 s[60:61], 0
.LBB240_1173:
	s_andn2_b64 vcc, exec, s[60:61]
	s_cbranch_vccnz .LBB240_1175
; %bb.1174:
	v_lshlrev_b32_e32 v3, 16, v2
	v_cvt_f16_f32_e32 v3, v3
	global_store_short v[0:1], v3, off
.LBB240_1175:
	s_mov_b64 s[60:61], 0
.LBB240_1176:
	s_andn2_b64 vcc, exec, s[60:61]
	s_cbranch_vccnz .LBB240_1192
; %bb.1177:
	s_cmp_lt_i32 s62, 2
	s_mov_b64 s[60:61], -1
	s_cbranch_scc1 .LBB240_1187
; %bb.1178:
	s_cmp_lt_i32 s62, 3
	s_cbranch_scc1 .LBB240_1184
; %bb.1179:
	s_cmp_gt_i32 s62, 3
	s_cbranch_scc0 .LBB240_1181
; %bb.1180:
	v_lshlrev_b32_e32 v3, 16, v2
	v_trunc_f32_e32 v3, v3
	s_mov_b32 s60, 0x2f800000
	v_mul_f32_e64 v4, |v3|, s60
	v_floor_f32_e32 v4, v4
	s_mov_b32 s60, 0xcf800000
	v_cvt_u32_f32_e32 v5, v4
	v_fma_f32 v4, v4, s60, |v3|
	v_cvt_u32_f32_e32 v4, v4
	v_ashrrev_i32_e32 v6, 31, v3
	v_xor_b32_e32 v5, v5, v6
	s_mov_b64 s[60:61], 0
	v_xor_b32_e32 v3, v4, v6
	v_sub_co_u32_e32 v3, vcc, v3, v6
	v_subb_co_u32_e32 v4, vcc, v5, v6, vcc
	global_store_dwordx2 v[0:1], v[3:4], off
.LBB240_1181:
	s_andn2_b64 vcc, exec, s[60:61]
	s_cbranch_vccnz .LBB240_1183
; %bb.1182:
	v_lshlrev_b32_e32 v3, 16, v2
	v_cvt_i32_f32_e32 v3, v3
	global_store_dword v[0:1], v3, off
.LBB240_1183:
	s_mov_b64 s[60:61], 0
.LBB240_1184:
	s_andn2_b64 vcc, exec, s[60:61]
	s_cbranch_vccnz .LBB240_1186
; %bb.1185:
	v_lshlrev_b32_e32 v3, 16, v2
	v_cvt_i32_f32_e32 v3, v3
	global_store_short v[0:1], v3, off
.LBB240_1186:
	s_mov_b64 s[60:61], 0
.LBB240_1187:
	s_andn2_b64 vcc, exec, s[60:61]
	s_cbranch_vccnz .LBB240_1192
; %bb.1188:
	s_mov_b64 s[60:61], -1
	s_cmp_gt_i32 s62, 0
	v_lshlrev_b32_e32 v2, 16, v2
	s_cbranch_scc0 .LBB240_1190
; %bb.1189:
	v_cvt_i32_f32_e32 v3, v2
	s_mov_b64 s[60:61], 0
	global_store_byte v[0:1], v3, off
.LBB240_1190:
	s_andn2_b64 vcc, exec, s[60:61]
	s_cbranch_vccnz .LBB240_1192
; %bb.1191:
	v_trunc_f32_e32 v2, v2
	s_mov_b32 s60, 0x2f800000
	v_mul_f32_e64 v3, |v2|, s60
	v_floor_f32_e32 v3, v3
	s_mov_b32 s60, 0xcf800000
	v_fma_f32 v3, v3, s60, |v2|
	v_cvt_u32_f32_e32 v3, v3
	v_ashrrev_i32_e32 v2, 31, v2
	v_xor_b32_e32 v3, v3, v2
	v_sub_u32_e32 v2, v3, v2
	global_store_byte v[0:1], v2, off
.LBB240_1192:
	s_mov_b64 s[60:61], -1
.LBB240_1193:
	s_andn2_b64 vcc, exec, s[60:61]
	s_cbranch_vccnz .LBB240_1205
; %bb.1194:
	v_add_u32_e32 v8, 0x80, v8
	s_mov_b64 s[62:63], -1
.LBB240_1195:
	s_andn2_b64 s[60:61], s[50:51], exec
	s_and_b64 s[0:1], s[0:1], exec
	s_or_b64 s[60:61], s[60:61], s[0:1]
	s_andn2_b64 s[0:1], s[48:49], exec
	s_and_b64 s[58:59], s[58:59], exec
	s_or_b64 s[58:59], s[0:1], s[58:59]
	;; [unrolled: 3-line block ×3, first 2 shown]
	s_orn2_b64 s[66:67], s[62:63], exec
.LBB240_1196:
	s_or_b64 exec, exec, s[54:55]
	s_mov_b64 s[62:63], 0
	s_mov_b64 s[56:57], 0
	;; [unrolled: 1-line block ×3, first 2 shown]
                                        ; implicit-def: $sgpr75
                                        ; implicit-def: $vgpr3_vgpr4
                                        ; implicit-def: $vgpr0
                                        ; implicit-def: $vgpr2
                                        ; implicit-def: $vgpr5
	s_and_saveexec_b64 s[54:55], s[66:67]
	s_cbranch_execz .LBB240_1291
; %bb.1197:
	v_cmp_gt_i32_e32 vcc, s68, v8
	s_mov_b64 s[66:67], s[0:1]
	s_mov_b64 s[68:69], 0
                                        ; implicit-def: $sgpr75
                                        ; implicit-def: $vgpr3_vgpr4
                                        ; implicit-def: $vgpr0
                                        ; implicit-def: $vgpr2
                                        ; implicit-def: $vgpr5
	s_and_saveexec_b64 s[56:57], vcc
	s_cbranch_execz .LBB240_1290
; %bb.1198:
	s_andn2_b64 vcc, exec, s[24:25]
	s_cbranch_vccnz .LBB240_1204
; %bb.1199:
	s_andn2_b64 vcc, exec, s[36:37]
	s_cbranch_vccnz .LBB240_1206
; %bb.1200:
	s_add_i32 s36, s74, 1
	s_and_b32 s62, s36, 30
	s_add_u32 s36, s2, 0xffffffe8
	s_addc_u32 s37, s3, -1
	v_mov_b32_e32 v2, 0
	v_mov_b32_e32 v4, 0
	;; [unrolled: 1-line block ×4, first 2 shown]
.LBB240_1201:                           ; =>This Inner Loop Header: Depth=1
	s_load_dwordx4 s[64:67], s[36:37], 0x1c
	s_load_dwordx2 s[68:69], s[36:37], 0x2c
	s_load_dwordx2 s[80:81], s[36:37], 0xec
	s_load_dwordx4 s[76:79], s[36:37], 0xdc
	s_add_u32 s36, s36, 24
	s_waitcnt vmcnt(0) lgkmcnt(0)
	v_mul_hi_u32 v3, s65, v1
	s_addc_u32 s37, s37, 0
	s_add_i32 s62, s62, -2
	s_cmp_eq_u32 s62, 0
	v_add_u32_e32 v3, v1, v3
	v_lshrrev_b32_e32 v3, s66, v3
	v_mul_lo_u32 v5, v3, s64
	v_mul_hi_u32 v6, s68, v3
	v_sub_u32_e32 v5, v1, v5
	v_add_u32_e32 v1, v3, v6
	v_lshrrev_b32_e32 v1, s69, v1
	v_mul_lo_u32 v9, v1, s67
	v_mul_lo_u32 v6, v5, s76
	;; [unrolled: 1-line block ×4, first 2 shown]
	v_sub_u32_e32 v3, v3, v9
	v_mul_lo_u32 v9, v3, s79
	v_mul_lo_u32 v10, v3, s80
	;; [unrolled: 1-line block ×3, first 2 shown]
	v_add3_u32 v0, v6, v0, v9
	v_add3_u32 v4, v7, v4, v10
	v_add3_u32 v2, v5, v2, v3
	s_cbranch_scc0 .LBB240_1201
; %bb.1202:
	s_bitcmp1_b32 s74, 0
	s_cselect_b64 s[62:63], -1, 0
	s_and_b64 vcc, exec, s[62:63]
	s_cbranch_vccnz .LBB240_1207
; %bb.1203:
	s_load_dwordx2 s[62:63], s[36:37], 0x1c
	s_load_dword s66, s[36:37], 0x24
	s_load_dwordx2 s[64:65], s[36:37], 0xdc
	s_waitcnt lgkmcnt(0)
	v_mul_hi_u32 v3, s63, v1
	v_add_u32_e32 v3, v1, v3
	v_lshrrev_b32_e32 v3, s66, v3
	v_mul_lo_u32 v3, v3, s62
	s_load_dword s62, s[36:37], 0xe4
	v_sub_u32_e32 v3, v1, v3
	v_mad_u64_u32 v[0:1], s[36:37], v3, s64, v[0:1]
	v_mad_u64_u32 v[4:5], s[36:37], v3, s65, v[4:5]
	s_waitcnt lgkmcnt(0)
	v_mad_u64_u32 v[2:3], s[36:37], v3, s62, v[2:3]
	s_branch .LBB240_1207
.LBB240_1204:
	s_mov_b64 s[36:37], -1
                                        ; implicit-def: $vgpr0
                                        ; implicit-def: $vgpr4
                                        ; implicit-def: $vgpr2
	s_branch .LBB240_1208
.LBB240_1205:
	s_mov_b64 s[62:63], 0
	s_branch .LBB240_948
.LBB240_1206:
	v_mov_b32_e32 v0, 0
	v_mov_b32_e32 v4, 0
	;; [unrolled: 1-line block ×3, first 2 shown]
.LBB240_1207:
	s_mov_b64 s[36:37], 0
.LBB240_1208:
	s_andn2_b64 vcc, exec, s[36:37]
	s_cbranch_vccnz .LBB240_1211
; %bb.1209:
	v_mul_hi_u32 v0, s17, v8
	s_andn2_b64 vcc, exec, s[34:35]
	v_add_u32_e32 v0, v8, v0
	v_lshrrev_b32_e32 v1, s18, v0
	v_mul_lo_u32 v0, v1, s16
	v_sub_u32_e32 v2, v8, v0
	v_mul_lo_u32 v0, v2, s20
	v_mul_lo_u32 v4, v2, s21
	;; [unrolled: 1-line block ×3, first 2 shown]
	s_cbranch_vccnz .LBB240_1211
; %bb.1210:
	s_waitcnt vmcnt(0)
	v_mul_hi_u32 v3, s30, v1
	v_add_u32_e32 v3, v1, v3
	v_lshrrev_b32_e32 v3, s31, v3
	v_mul_lo_u32 v3, v3, s19
	v_sub_u32_e32 v3, v1, v3
	v_mad_u64_u32 v[0:1], s[16:17], v3, s23, v[0:1]
	v_mad_u64_u32 v[4:5], s[16:17], v3, s28, v[4:5]
	;; [unrolled: 1-line block ×3, first 2 shown]
.LBB240_1211:
	v_mov_b32_e32 v1, s11
	s_and_b32 s75, s73, 0xff
	s_waitcnt vmcnt(0)
	v_add_co_u32_e32 v3, vcc, s10, v4
	s_cmp_lt_i32 s75, 11
	v_addc_co_u32_e32 v4, vcc, 0, v1, vcc
	s_cbranch_scc1 .LBB240_1218
; %bb.1212:
	s_and_b32 s28, 0xffff, s75
	s_cmp_gt_i32 s28, 25
	s_mov_b64 s[16:17], 0
	s_cbranch_scc0 .LBB240_1219
; %bb.1213:
	s_cmp_gt_i32 s28, 28
	s_cbranch_scc0 .LBB240_1220
; %bb.1214:
	s_cmp_gt_i32 s28, 43
	;; [unrolled: 3-line block ×3, first 2 shown]
	s_cbranch_scc0 .LBB240_1222
; %bb.1216:
	s_cmp_eq_u32 s28, 46
	s_mov_b64 s[20:21], 0
	s_cbranch_scc0 .LBB240_1225
; %bb.1217:
	global_load_dword v5, v[3:4], off
	s_mov_b64 s[10:11], 0
	s_mov_b64 s[18:19], -1
	s_branch .LBB240_1226
.LBB240_1218:
	s_mov_b64 s[20:21], -1
	s_mov_b64 s[18:19], 0
	s_mov_b64 s[16:17], 0
	;; [unrolled: 1-line block ×3, first 2 shown]
                                        ; implicit-def: $vgpr5
	s_branch .LBB240_1289
.LBB240_1219:
	s_mov_b64 s[20:21], -1
	s_mov_b64 s[18:19], 0
	s_mov_b64 s[10:11], s[0:1]
                                        ; implicit-def: $vgpr5
	s_branch .LBB240_1255
.LBB240_1220:
	s_mov_b64 s[20:21], -1
	s_mov_b64 s[18:19], 0
	s_mov_b64 s[10:11], s[0:1]
                                        ; implicit-def: $vgpr5
	s_branch .LBB240_1236
.LBB240_1221:
	s_mov_b64 s[20:21], -1
	s_mov_b64 s[18:19], 0
	s_mov_b64 s[10:11], s[0:1]
                                        ; implicit-def: $vgpr5
	s_branch .LBB240_1231
.LBB240_1222:
	s_mov_b64 s[20:21], -1
	s_mov_b64 s[18:19], 0
	s_mov_b64 s[10:11], s[0:1]
                                        ; implicit-def: $vgpr5
	s_branch .LBB240_1226
.LBB240_1223:
	s_andn2_saveexec_b64 s[64:65], s[64:65]
	s_cbranch_execz .LBB240_1106
.LBB240_1224:
	s_mov_b32 s69, 0x46000000
	v_add_f32_e64 v4, |v5|, s69
	v_and_b32_e32 v4, 0xff, v4
	v_cmp_ne_u32_e32 vcc, 0, v4
	s_andn2_b64 s[62:63], s[62:63], exec
	s_and_b64 s[76:77], vcc, exec
	s_or_b64 s[62:63], s[62:63], s[76:77]
	s_or_b64 exec, exec, s[64:65]
	v_mov_b32_e32 v6, 0
	s_and_saveexec_b64 s[64:65], s[62:63]
	s_cbranch_execnz .LBB240_1107
	s_branch .LBB240_1108
.LBB240_1225:
	s_mov_b64 s[10:11], -1
                                        ; implicit-def: $vgpr5
	s_mov_b64 s[18:19], 0
.LBB240_1226:
	s_and_b64 vcc, exec, s[20:21]
	s_cbranch_vccz .LBB240_1230
; %bb.1227:
	s_cmp_eq_u32 s28, 44
	s_cbranch_scc0 .LBB240_1229
; %bb.1228:
	global_load_ubyte v1, v[3:4], off
	s_movk_i32 s18, 0xff
	s_waitcnt vmcnt(1)
	v_mov_b32_e32 v5, 0x7f800001
	v_mov_b32_e32 v6, 0x400000
	;; [unrolled: 1-line block ×3, first 2 shown]
	s_mov_b64 s[10:11], 0
	s_waitcnt vmcnt(0)
	v_lshlrev_b32_e32 v8, 23, v1
	v_cmp_ne_u32_e32 vcc, s18, v1
	v_cndmask_b32_e32 v5, v5, v8, vcc
	v_cmp_ne_u32_e32 vcc, 0, v1
	v_cndmask_b32_e32 v1, v6, v5, vcc
	v_add_u32_e32 v5, 0x7fff, v1
	v_cmp_o_f32_e32 vcc, v1, v1
	v_cndmask_b32_sdwa v5, v7, v5, vcc dst_sel:DWORD dst_unused:UNUSED_PAD src0_sel:DWORD src1_sel:WORD_1
	s_mov_b64 s[18:19], -1
	s_branch .LBB240_1230
.LBB240_1229:
	s_mov_b64 s[10:11], -1
                                        ; implicit-def: $vgpr5
.LBB240_1230:
	s_mov_b64 s[20:21], 0
.LBB240_1231:
	s_and_b64 vcc, exec, s[20:21]
	s_cbranch_vccz .LBB240_1235
; %bb.1232:
	s_cmp_eq_u32 s28, 29
	s_cbranch_scc0 .LBB240_1234
; %bb.1233:
	global_load_dwordx2 v[5:6], v[3:4], off
	s_movk_i32 s18, 0x7fff
	s_mov_b64 s[10:11], 0
	s_mov_b64 s[20:21], 0
	s_waitcnt vmcnt(0)
	v_ffbh_u32_e32 v1, v6
	v_min_u32_e32 v1, 32, v1
	v_lshlrev_b64 v[5:6], v1, v[5:6]
	v_sub_u32_e32 v1, 32, v1
	v_min_u32_e32 v5, 1, v5
	v_or_b32_e32 v5, v6, v5
	v_cvt_f32_u32_e32 v5, v5
	v_ldexp_f32 v1, v5, v1
	v_bfe_u32 v5, v1, 16, 1
	v_add3_u32 v1, v1, v5, s18
	v_lshrrev_b32_e32 v5, 16, v1
	s_mov_b64 s[18:19], -1
	s_branch .LBB240_1236
.LBB240_1234:
	s_mov_b64 s[10:11], -1
                                        ; implicit-def: $vgpr5
.LBB240_1235:
	s_mov_b64 s[20:21], 0
.LBB240_1236:
	s_and_b64 vcc, exec, s[20:21]
	s_cbranch_vccz .LBB240_1254
; %bb.1237:
	s_cmp_lt_i32 s28, 27
	s_cbranch_scc1 .LBB240_1240
; %bb.1238:
	s_cmp_gt_i32 s28, 27
	s_cbranch_scc0 .LBB240_1241
; %bb.1239:
	global_load_dword v1, v[3:4], off
	s_movk_i32 s18, 0x7fff
	s_waitcnt vmcnt(0)
	v_cvt_f32_u32_e32 v1, v1
	v_bfe_u32 v5, v1, 16, 1
	v_add3_u32 v1, v1, v5, s18
	v_lshrrev_b32_e32 v5, 16, v1
	s_mov_b64 s[18:19], 0
	s_branch .LBB240_1242
.LBB240_1240:
	s_mov_b64 s[18:19], -1
                                        ; implicit-def: $vgpr5
	s_branch .LBB240_1245
.LBB240_1241:
	s_mov_b64 s[18:19], -1
                                        ; implicit-def: $vgpr5
.LBB240_1242:
	s_andn2_b64 vcc, exec, s[18:19]
	s_cbranch_vccnz .LBB240_1244
; %bb.1243:
	global_load_ushort v1, v[3:4], off
	s_movk_i32 s18, 0x7fff
	s_waitcnt vmcnt(0)
	v_cvt_f32_u32_e32 v1, v1
	v_bfe_u32 v5, v1, 16, 1
	v_add3_u32 v1, v1, v5, s18
	v_lshrrev_b32_e32 v5, 16, v1
.LBB240_1244:
	s_mov_b64 s[18:19], 0
.LBB240_1245:
	s_andn2_b64 vcc, exec, s[18:19]
	s_cbranch_vccnz .LBB240_1253
; %bb.1246:
	global_load_ubyte v1, v[3:4], off
	s_movk_i32 s18, 0x7f
	s_waitcnt vmcnt(0)
	v_cmp_lt_i16_e32 vcc, s18, v1
	s_mov_b64 s[18:19], 0
	s_and_saveexec_b64 s[20:21], vcc
	s_xor_b64 s[20:21], exec, s[20:21]
	s_cbranch_execz .LBB240_1267
; %bb.1247:
	s_movk_i32 s18, 0x80
	v_cmp_eq_u16_e32 vcc, s18, v1
	s_mov_b64 s[18:19], -1
	s_and_saveexec_b64 s[22:23], vcc
; %bb.1248:
	s_xor_b64 s[18:19], exec, -1
; %bb.1249:
	s_or_b64 exec, exec, s[22:23]
	s_and_b64 s[18:19], s[18:19], exec
	s_or_saveexec_b64 s[20:21], s[20:21]
	v_mov_b32_e32 v5, 0x7f800001
	s_xor_b64 exec, exec, s[20:21]
	s_cbranch_execnz .LBB240_1268
.LBB240_1250:
	s_or_b64 exec, exec, s[20:21]
	s_and_saveexec_b64 s[20:21], s[18:19]
	s_cbranch_execz .LBB240_1252
.LBB240_1251:
	v_lshlrev_b32_e32 v5, 24, v1
	v_and_b32_e32 v1, 0xffff, v1
	v_and_b32_e32 v6, 7, v1
	v_ffbh_u32_e32 v8, v6
	v_min_u32_e32 v8, 32, v8
	v_subrev_u32_e32 v9, 28, v8
	v_bfe_u32 v7, v1, 3, 4
	v_lshlrev_b32_e32 v1, v9, v1
	v_sub_u32_e32 v8, 29, v8
	v_and_b32_e32 v1, 7, v1
	v_cmp_eq_u32_e32 vcc, 0, v7
	v_cndmask_b32_e32 v7, v7, v8, vcc
	v_cndmask_b32_e32 v1, v6, v1, vcc
	v_mov_b32_e32 v6, 0x3b800000
	v_lshlrev_b32_e32 v1, 20, v1
	v_and_b32_e32 v5, 0x80000000, v5
	v_lshl_add_u32 v6, v7, 23, v6
	v_or3_b32 v5, v5, v6, v1
.LBB240_1252:
	s_or_b64 exec, exec, s[20:21]
	v_bfe_u32 v1, v5, 16, 1
	s_movk_i32 s18, 0x7fff
	v_add3_u32 v1, v5, v1, s18
	v_cmp_o_f32_e32 vcc, v5, v5
	v_mov_b32_e32 v5, 0x7fc0
	v_cndmask_b32_sdwa v5, v5, v1, vcc dst_sel:DWORD dst_unused:UNUSED_PAD src0_sel:DWORD src1_sel:WORD_1
.LBB240_1253:
	s_mov_b64 s[18:19], -1
.LBB240_1254:
	s_mov_b64 s[20:21], 0
.LBB240_1255:
	s_and_b64 vcc, exec, s[20:21]
	s_cbranch_vccz .LBB240_1288
; %bb.1256:
	s_cmp_gt_i32 s28, 22
	s_cbranch_scc0 .LBB240_1266
; %bb.1257:
	s_cmp_lt_i32 s28, 24
	s_cbranch_scc1 .LBB240_1269
; %bb.1258:
	s_cmp_gt_i32 s28, 24
	s_cbranch_scc0 .LBB240_1270
; %bb.1259:
	global_load_ubyte v1, v[3:4], off
	s_movk_i32 s16, 0x7f
	s_waitcnt vmcnt(0)
	v_cmp_lt_i16_e32 vcc, s16, v1
	s_mov_b64 s[16:17], 0
	s_and_saveexec_b64 s[18:19], vcc
	s_xor_b64 s[18:19], exec, s[18:19]
	s_cbranch_execz .LBB240_1282
; %bb.1260:
	s_movk_i32 s16, 0x80
	v_cmp_eq_u16_e32 vcc, s16, v1
	s_mov_b64 s[16:17], -1
	s_and_saveexec_b64 s[20:21], vcc
; %bb.1261:
	s_xor_b64 s[16:17], exec, -1
; %bb.1262:
	s_or_b64 exec, exec, s[20:21]
	s_and_b64 s[16:17], s[16:17], exec
	s_or_saveexec_b64 s[18:19], s[18:19]
	v_mov_b32_e32 v5, 0x7f800001
	s_xor_b64 exec, exec, s[18:19]
	s_cbranch_execnz .LBB240_1283
.LBB240_1263:
	s_or_b64 exec, exec, s[18:19]
	s_and_saveexec_b64 s[18:19], s[16:17]
	s_cbranch_execz .LBB240_1265
.LBB240_1264:
	v_lshlrev_b32_e32 v5, 24, v1
	v_and_b32_e32 v1, 0xffff, v1
	v_and_b32_e32 v6, 3, v1
	v_ffbh_u32_e32 v8, v6
	v_min_u32_e32 v8, 32, v8
	v_subrev_u32_e32 v9, 29, v8
	v_bfe_u32 v7, v1, 2, 5
	v_lshlrev_b32_e32 v1, v9, v1
	v_sub_u32_e32 v8, 30, v8
	v_and_b32_e32 v1, 3, v1
	v_cmp_eq_u32_e32 vcc, 0, v7
	v_cndmask_b32_e32 v7, v7, v8, vcc
	v_cndmask_b32_e32 v1, v6, v1, vcc
	v_mov_b32_e32 v6, 0x37800000
	v_lshlrev_b32_e32 v1, 21, v1
	v_and_b32_e32 v5, 0x80000000, v5
	v_lshl_add_u32 v6, v7, 23, v6
	v_or3_b32 v5, v5, v6, v1
.LBB240_1265:
	s_or_b64 exec, exec, s[18:19]
	v_bfe_u32 v1, v5, 16, 1
	s_movk_i32 s16, 0x7fff
	v_add3_u32 v1, v5, v1, s16
	v_cmp_o_f32_e32 vcc, v5, v5
	v_mov_b32_e32 v5, 0x7fc0
	v_cndmask_b32_sdwa v5, v5, v1, vcc dst_sel:DWORD dst_unused:UNUSED_PAD src0_sel:DWORD src1_sel:WORD_1
	s_mov_b64 s[16:17], 0
	s_branch .LBB240_1271
.LBB240_1266:
	s_mov_b64 s[16:17], -1
                                        ; implicit-def: $vgpr5
	s_branch .LBB240_1277
.LBB240_1267:
	s_or_saveexec_b64 s[20:21], s[20:21]
	v_mov_b32_e32 v5, 0x7f800001
	s_xor_b64 exec, exec, s[20:21]
	s_cbranch_execz .LBB240_1250
.LBB240_1268:
	v_cmp_ne_u16_e32 vcc, 0, v1
	s_andn2_b64 s[18:19], s[18:19], exec
	s_and_b64 s[22:23], vcc, exec
	v_mov_b32_e32 v5, 0
	s_or_b64 s[18:19], s[18:19], s[22:23]
	s_or_b64 exec, exec, s[20:21]
	s_and_saveexec_b64 s[20:21], s[18:19]
	s_cbranch_execnz .LBB240_1251
	s_branch .LBB240_1252
.LBB240_1269:
	s_mov_b64 s[16:17], -1
                                        ; implicit-def: $vgpr5
	s_branch .LBB240_1274
.LBB240_1270:
	s_mov_b64 s[16:17], -1
                                        ; implicit-def: $vgpr5
.LBB240_1271:
	s_and_b64 vcc, exec, s[16:17]
	s_cbranch_vccz .LBB240_1273
; %bb.1272:
	global_load_ubyte v1, v[3:4], off
	s_mov_b32 s16, 0x7f800000
	s_brev_b32 s17, 1
	s_movk_i32 s18, 0x7fff
	s_waitcnt vmcnt(0)
	v_lshlrev_b32_e32 v1, 24, v1
	v_and_b32_e32 v5, 0x7f000000, v1
	v_ffbh_u32_e32 v6, v5
	v_min_u32_e32 v6, 32, v6
	v_sub_u32_e64 v6, v6, 4 clamp
	v_lshlrev_b32_e32 v8, v6, v5
	v_lshlrev_b32_e32 v6, 23, v6
	v_lshrrev_b32_e32 v8, 4, v8
	v_add_u32_e32 v7, 0x1000000, v5
	v_sub_u32_e32 v6, v8, v6
	v_ashrrev_i32_e32 v7, 8, v7
	v_add_u32_e32 v6, 0x3c000000, v6
	v_and_or_b32 v6, v7, s16, v6
	v_cmp_ne_u32_e32 vcc, 0, v5
	v_cndmask_b32_e32 v5, 0, v6, vcc
	v_and_or_b32 v1, v1, s17, v5
	v_bfe_u32 v5, v5, 16, 1
	v_add3_u32 v5, v1, v5, s18
	v_cmp_o_f32_e32 vcc, v1, v1
	v_mov_b32_e32 v1, 0x7fc0
	v_cndmask_b32_sdwa v5, v1, v5, vcc dst_sel:DWORD dst_unused:UNUSED_PAD src0_sel:DWORD src1_sel:WORD_1
.LBB240_1273:
	s_mov_b64 s[16:17], 0
.LBB240_1274:
	s_andn2_b64 vcc, exec, s[16:17]
	s_cbranch_vccnz .LBB240_1276
; %bb.1275:
	global_load_ubyte v1, v[3:4], off
	s_movk_i32 s16, 0x7f00
	s_brev_b32 s17, 16
	s_brev_b32 s18, 1
	s_movk_i32 s19, 0x7fff
	s_waitcnt vmcnt(0)
	v_lshlrev_b16_e32 v5, 8, v1
	v_lshlrev_b32_e32 v1, 25, v1
	v_lshrrev_b32_e32 v6, 4, v1
	v_and_or_b32 v7, v5, s16, 0.5
	v_or_b32_e32 v6, 0x70000000, v6
	v_add_f32_e32 v7, -0.5, v7
	v_mul_f32_e32 v6, 0x7800000, v6
	v_cmp_gt_u32_e32 vcc, s17, v1
	v_bfe_i32 v5, v5, 0, 16
	v_cndmask_b32_e32 v1, v6, v7, vcc
	v_and_or_b32 v5, v5, s18, v1
	v_bfe_u32 v1, v1, 16, 1
	v_add3_u32 v1, v5, v1, s19
	v_cmp_o_f32_e32 vcc, v5, v5
	v_mov_b32_e32 v5, 0x7fc0
	v_cndmask_b32_sdwa v5, v5, v1, vcc dst_sel:DWORD dst_unused:UNUSED_PAD src0_sel:DWORD src1_sel:WORD_1
.LBB240_1276:
	s_mov_b64 s[16:17], 0
	s_mov_b64 s[18:19], -1
.LBB240_1277:
	s_andn2_b64 vcc, exec, s[16:17]
	s_mov_b64 s[16:17], 0
	s_cbranch_vccnz .LBB240_1288
; %bb.1278:
	s_cmp_gt_i32 s28, 14
	s_cbranch_scc0 .LBB240_1281
; %bb.1279:
	s_cmp_eq_u32 s28, 15
	s_cbranch_scc0 .LBB240_1284
; %bb.1280:
	global_load_ushort v5, v[3:4], off
	s_mov_b64 s[10:11], 0
	s_mov_b64 s[18:19], -1
	s_branch .LBB240_1285
.LBB240_1281:
	s_mov_b64 s[20:21], -1
                                        ; implicit-def: $vgpr5
	s_branch .LBB240_1286
.LBB240_1282:
	s_or_saveexec_b64 s[18:19], s[18:19]
	v_mov_b32_e32 v5, 0x7f800001
	s_xor_b64 exec, exec, s[18:19]
	s_cbranch_execz .LBB240_1263
.LBB240_1283:
	v_cmp_ne_u16_e32 vcc, 0, v1
	s_andn2_b64 s[16:17], s[16:17], exec
	s_and_b64 s[20:21], vcc, exec
	v_mov_b32_e32 v5, 0
	s_or_b64 s[16:17], s[16:17], s[20:21]
	s_or_b64 exec, exec, s[18:19]
	s_and_saveexec_b64 s[18:19], s[16:17]
	s_cbranch_execnz .LBB240_1264
	s_branch .LBB240_1265
.LBB240_1284:
	s_mov_b64 s[10:11], -1
                                        ; implicit-def: $vgpr5
.LBB240_1285:
	s_mov_b64 s[20:21], 0
.LBB240_1286:
	s_and_b64 vcc, exec, s[20:21]
	s_cbranch_vccz .LBB240_1288
; %bb.1287:
	s_cmp_lg_u32 s28, 11
	s_cselect_b64 s[20:21], -1, 0
	s_andn2_b64 s[10:11], s[10:11], exec
	s_and_b64 s[20:21], s[20:21], exec
	s_mov_b64 s[16:17], -1
	s_or_b64 s[10:11], s[10:11], s[20:21]
.LBB240_1288:
	s_mov_b64 s[20:21], 0
.LBB240_1289:
	s_and_b64 s[62:63], s[16:17], exec
	s_andn2_b64 s[16:17], s[0:1], exec
	s_and_b64 s[10:11], s[10:11], exec
	s_and_b64 s[64:65], s[18:19], exec
	;; [unrolled: 1-line block ×3, first 2 shown]
	s_or_b64 s[66:67], s[16:17], s[10:11]
.LBB240_1290:
	s_or_b64 exec, exec, s[56:57]
	s_andn2_b64 s[0:1], s[0:1], exec
	s_and_b64 s[10:11], s[66:67], exec
	s_and_b64 s[64:65], s[64:65], exec
	;; [unrolled: 1-line block ×4, first 2 shown]
	s_or_b64 s[0:1], s[0:1], s[10:11]
.LBB240_1291:
	s_or_b64 exec, exec, s[54:55]
	s_andn2_b64 s[10:11], s[50:51], exec
	s_and_b64 s[16:17], s[60:61], exec
	s_or_b64 s[50:51], s[10:11], s[16:17]
	s_andn2_b64 s[10:11], s[48:49], exec
	s_and_b64 s[16:17], s[58:59], exec
	s_or_b64 s[48:49], s[10:11], s[16:17]
	s_andn2_b64 s[10:11], s[46:47], exec
	s_and_b64 s[0:1], s[0:1], exec
	s_and_b64 s[58:59], s[64:65], exec
	;; [unrolled: 1-line block ×4, first 2 shown]
	s_or_b64 s[46:47], s[10:11], s[0:1]
.LBB240_1292:
	s_or_b64 exec, exec, s[52:53]
	s_andn2_b64 s[0:1], s[38:39], exec
	s_and_b64 s[10:11], s[50:51], exec
	s_or_b64 s[38:39], s[0:1], s[10:11]
	s_andn2_b64 s[0:1], s[40:41], exec
	s_and_b64 s[10:11], s[48:49], exec
	s_or_b64 s[40:41], s[0:1], s[10:11]
	s_andn2_b64 s[0:1], s[42:43], exec
	s_and_b64 s[10:11], s[46:47], exec
	s_and_b64 s[50:51], s[58:59], exec
	;; [unrolled: 1-line block ×4, first 2 shown]
	s_or_b64 s[42:43], s[0:1], s[10:11]
	s_or_b64 exec, exec, s[44:45]
	s_mov_b64 s[10:11], 0
	s_and_saveexec_b64 s[0:1], s[42:43]
	s_cbranch_execz .LBB240_403
.LBB240_1293:
	s_mov_b64 s[10:11], exec
	s_andn2_b64 s[48:49], s[48:49], exec
	s_trap 2
	s_or_b64 exec, exec, s[0:1]
	s_and_saveexec_b64 s[0:1], s[48:49]
	s_xor_b64 s[0:1], exec, s[0:1]
	s_cbranch_execnz .LBB240_404
.LBB240_1294:
	s_or_b64 exec, exec, s[0:1]
	s_and_saveexec_b64 s[0:1], s[52:53]
	s_cbranch_execz .LBB240_1340
.LBB240_1295:
	s_sext_i32_i16 s16, s75
	s_cmp_lt_i32 s16, 5
	s_cbranch_scc1 .LBB240_1300
; %bb.1296:
	s_cmp_lt_i32 s16, 8
	s_cbranch_scc1 .LBB240_1301
; %bb.1297:
	;; [unrolled: 3-line block ×3, first 2 shown]
	s_cmp_gt_i32 s16, 9
	s_cbranch_scc0 .LBB240_1303
; %bb.1299:
	s_waitcnt vmcnt(0)
	global_load_dwordx2 v[5:6], v[3:4], off
	s_movk_i32 s16, 0x7fff
	s_waitcnt vmcnt(0)
	v_cvt_f32_f64_e32 v1, v[5:6]
	v_mov_b32_e32 v5, 0x7fc0
	v_bfe_u32 v6, v1, 16, 1
	v_cmp_o_f32_e32 vcc, v1, v1
	v_add3_u32 v1, v1, v6, s16
	v_cndmask_b32_sdwa v5, v5, v1, vcc dst_sel:DWORD dst_unused:UNUSED_PAD src0_sel:DWORD src1_sel:WORD_1
	s_mov_b64 s[16:17], 0
	s_branch .LBB240_1304
.LBB240_1300:
                                        ; implicit-def: $vgpr5
	s_branch .LBB240_1321
.LBB240_1301:
                                        ; implicit-def: $vgpr5
	s_branch .LBB240_1310
.LBB240_1302:
	s_mov_b64 s[16:17], -1
                                        ; implicit-def: $vgpr5
	s_branch .LBB240_1307
.LBB240_1303:
	s_mov_b64 s[16:17], -1
                                        ; implicit-def: $vgpr5
.LBB240_1304:
	s_andn2_b64 vcc, exec, s[16:17]
	s_cbranch_vccnz .LBB240_1306
; %bb.1305:
	s_waitcnt vmcnt(0)
	global_load_dword v1, v[3:4], off
	s_movk_i32 s16, 0x7fff
	v_mov_b32_e32 v5, 0x7fc0
	s_waitcnt vmcnt(0)
	v_bfe_u32 v6, v1, 16, 1
	v_cmp_o_f32_e32 vcc, v1, v1
	v_add3_u32 v1, v1, v6, s16
	v_cndmask_b32_sdwa v5, v5, v1, vcc dst_sel:DWORD dst_unused:UNUSED_PAD src0_sel:DWORD src1_sel:WORD_1
.LBB240_1306:
	s_mov_b64 s[16:17], 0
.LBB240_1307:
	s_andn2_b64 vcc, exec, s[16:17]
	s_cbranch_vccnz .LBB240_1309
; %bb.1308:
	s_waitcnt vmcnt(0)
	global_load_dword v1, v[3:4], off
	s_movk_i32 s16, 0x7fff
	v_mov_b32_e32 v6, 0x7fc0
	s_waitcnt vmcnt(0)
	v_cvt_f32_f16_e32 v5, v1
	v_cmp_o_f16_e32 vcc, v1, v1
	v_bfe_u32 v1, v5, 16, 1
	v_add3_u32 v1, v5, v1, s16
	v_cndmask_b32_sdwa v5, v6, v1, vcc dst_sel:DWORD dst_unused:UNUSED_PAD src0_sel:DWORD src1_sel:WORD_1
.LBB240_1309:
	s_cbranch_execnz .LBB240_1320
.LBB240_1310:
	s_sext_i32_i16 s16, s75
	s_cmp_lt_i32 s16, 6
	s_cbranch_scc1 .LBB240_1313
; %bb.1311:
	s_cmp_gt_i32 s16, 6
	s_cbranch_scc0 .LBB240_1314
; %bb.1312:
	s_waitcnt vmcnt(0)
	global_load_dwordx2 v[5:6], v[3:4], off
	s_movk_i32 s16, 0x7fff
	s_waitcnt vmcnt(0)
	v_cvt_f32_f64_e32 v1, v[5:6]
	v_mov_b32_e32 v5, 0x7fc0
	v_bfe_u32 v6, v1, 16, 1
	v_cmp_o_f32_e32 vcc, v1, v1
	v_add3_u32 v1, v1, v6, s16
	v_cndmask_b32_sdwa v5, v5, v1, vcc dst_sel:DWORD dst_unused:UNUSED_PAD src0_sel:DWORD src1_sel:WORD_1
	s_mov_b64 s[16:17], 0
	s_branch .LBB240_1315
.LBB240_1313:
	s_mov_b64 s[16:17], -1
                                        ; implicit-def: $vgpr5
	s_branch .LBB240_1318
.LBB240_1314:
	s_mov_b64 s[16:17], -1
                                        ; implicit-def: $vgpr5
.LBB240_1315:
	s_andn2_b64 vcc, exec, s[16:17]
	s_cbranch_vccnz .LBB240_1317
; %bb.1316:
	s_waitcnt vmcnt(0)
	global_load_dword v1, v[3:4], off
	s_movk_i32 s16, 0x7fff
	v_mov_b32_e32 v5, 0x7fc0
	s_waitcnt vmcnt(0)
	v_bfe_u32 v6, v1, 16, 1
	v_cmp_o_f32_e32 vcc, v1, v1
	v_add3_u32 v1, v1, v6, s16
	v_cndmask_b32_sdwa v5, v5, v1, vcc dst_sel:DWORD dst_unused:UNUSED_PAD src0_sel:DWORD src1_sel:WORD_1
.LBB240_1317:
	s_mov_b64 s[16:17], 0
.LBB240_1318:
	s_andn2_b64 vcc, exec, s[16:17]
	s_cbranch_vccnz .LBB240_1320
; %bb.1319:
	s_waitcnt vmcnt(0)
	global_load_ushort v1, v[3:4], off
	s_movk_i32 s16, 0x7fff
	v_mov_b32_e32 v6, 0x7fc0
	s_waitcnt vmcnt(0)
	v_cvt_f32_f16_e32 v5, v1
	v_cmp_o_f16_e32 vcc, v1, v1
	v_bfe_u32 v1, v5, 16, 1
	v_add3_u32 v1, v5, v1, s16
	v_cndmask_b32_sdwa v5, v6, v1, vcc dst_sel:DWORD dst_unused:UNUSED_PAD src0_sel:DWORD src1_sel:WORD_1
.LBB240_1320:
	s_cbranch_execnz .LBB240_1339
.LBB240_1321:
	s_sext_i32_i16 s16, s75
	s_cmp_lt_i32 s16, 2
	s_cbranch_scc1 .LBB240_1325
; %bb.1322:
	s_cmp_lt_i32 s16, 3
	s_cbranch_scc1 .LBB240_1326
; %bb.1323:
	s_cmp_gt_i32 s16, 3
	s_cbranch_scc0 .LBB240_1327
; %bb.1324:
	s_waitcnt vmcnt(0)
	global_load_dwordx2 v[5:6], v[3:4], off
	s_movk_i32 s16, 0x7fff
	s_waitcnt vmcnt(0)
	v_xor_b32_e32 v7, v5, v6
	v_ffbh_i32_e32 v1, v6
	v_ashrrev_i32_e32 v7, 31, v7
	v_add_u32_e32 v1, -1, v1
	v_add_u32_e32 v7, 32, v7
	v_min_u32_e32 v1, v1, v7
	v_lshlrev_b64 v[5:6], v1, v[5:6]
	v_sub_u32_e32 v1, 32, v1
	v_min_u32_e32 v5, 1, v5
	v_or_b32_e32 v5, v6, v5
	v_cvt_f32_i32_e32 v5, v5
	v_ldexp_f32 v1, v5, v1
	v_bfe_u32 v5, v1, 16, 1
	v_add3_u32 v1, v1, v5, s16
	v_lshrrev_b32_e32 v5, 16, v1
	s_mov_b64 s[16:17], 0
	s_branch .LBB240_1328
.LBB240_1325:
                                        ; implicit-def: $vgpr5
	s_branch .LBB240_1334
.LBB240_1326:
	s_mov_b64 s[16:17], -1
                                        ; implicit-def: $vgpr5
	s_branch .LBB240_1331
.LBB240_1327:
	s_mov_b64 s[16:17], -1
                                        ; implicit-def: $vgpr5
.LBB240_1328:
	s_andn2_b64 vcc, exec, s[16:17]
	s_cbranch_vccnz .LBB240_1330
; %bb.1329:
	s_waitcnt vmcnt(0)
	global_load_dword v1, v[3:4], off
	s_movk_i32 s16, 0x7fff
	s_waitcnt vmcnt(0)
	v_cvt_f32_i32_e32 v1, v1
	v_bfe_u32 v5, v1, 16, 1
	v_add3_u32 v1, v1, v5, s16
	v_lshrrev_b32_e32 v5, 16, v1
.LBB240_1330:
	s_mov_b64 s[16:17], 0
.LBB240_1331:
	s_andn2_b64 vcc, exec, s[16:17]
	s_cbranch_vccnz .LBB240_1333
; %bb.1332:
	s_waitcnt vmcnt(0)
	global_load_sshort v1, v[3:4], off
	s_movk_i32 s16, 0x7fff
	s_waitcnt vmcnt(0)
	v_cvt_f32_i32_e32 v1, v1
	v_bfe_u32 v5, v1, 16, 1
	v_add3_u32 v1, v1, v5, s16
	v_lshrrev_b32_e32 v5, 16, v1
.LBB240_1333:
	s_cbranch_execnz .LBB240_1339
.LBB240_1334:
	s_sext_i32_i16 s16, s75
	s_cmp_gt_i32 s16, 0
	s_cbranch_scc0 .LBB240_1336
; %bb.1335:
	s_waitcnt vmcnt(0)
	global_load_sbyte v1, v[3:4], off
	s_movk_i32 s16, 0x7fff
	s_waitcnt vmcnt(0)
	v_cvt_f32_i32_e32 v1, v1
	v_bfe_u32 v5, v1, 16, 1
	v_add3_u32 v1, v1, v5, s16
	v_lshrrev_b32_e32 v5, 16, v1
	s_mov_b64 s[16:17], 0
	s_branch .LBB240_1337
.LBB240_1336:
	s_mov_b64 s[16:17], -1
                                        ; implicit-def: $vgpr5
.LBB240_1337:
	s_andn2_b64 vcc, exec, s[16:17]
	s_cbranch_vccnz .LBB240_1339
; %bb.1338:
	s_waitcnt vmcnt(0)
	global_load_ubyte v1, v[3:4], off
	s_movk_i32 s16, 0x7fff
	s_waitcnt vmcnt(0)
	v_cvt_f32_ubyte0_e32 v1, v1
	v_bfe_u32 v3, v1, 16, 1
	v_add3_u32 v1, v1, v3, s16
	v_lshrrev_b32_e32 v5, 16, v1
.LBB240_1339:
	s_or_b64 s[50:51], s[50:51], exec
.LBB240_1340:
	s_or_b64 exec, exec, s[0:1]
	s_mov_b64 s[18:19], 0
	s_mov_b64 s[20:21], 0
	s_mov_b64 s[16:17], 0
                                        ; implicit-def: $sgpr28
                                        ; implicit-def: $vgpr3_vgpr4
                                        ; implicit-def: $vgpr6
	s_and_saveexec_b64 s[0:1], s[50:51]
	s_cbranch_execz .LBB240_1348
; %bb.1341:
	v_mov_b32_e32 v1, s13
	s_and_b32 s28, s72, 0xff
	s_waitcnt vmcnt(0)
	v_add_co_u32_e32 v3, vcc, s12, v2
	s_cmp_lt_i32 s28, 11
	v_addc_co_u32_e32 v4, vcc, 0, v1, vcc
	s_cbranch_scc1 .LBB240_1351
; %bb.1342:
	s_and_b32 s29, 0xffff, s28
	s_cmp_gt_i32 s29, 25
	s_cbranch_scc0 .LBB240_1352
; %bb.1343:
	s_cmp_gt_i32 s29, 28
	s_cbranch_scc0 .LBB240_1353
; %bb.1344:
	s_cmp_gt_i32 s29, 43
	s_cbranch_scc0 .LBB240_1354
; %bb.1345:
	s_cmp_gt_i32 s29, 45
	s_cbranch_scc0 .LBB240_1355
; %bb.1346:
	s_cmp_eq_u32 s29, 46
	s_cbranch_scc0 .LBB240_1356
; %bb.1347:
	global_load_dword v6, v[3:4], off
	s_mov_b64 s[12:13], 0
	s_mov_b64 s[16:17], -1
	s_branch .LBB240_1358
.LBB240_1348:
	s_or_b64 exec, exec, s[0:1]
	s_and_saveexec_b64 s[0:1], s[40:41]
	s_cbranch_execnz .LBB240_1421
.LBB240_1349:
	s_or_b64 exec, exec, s[0:1]
	s_and_saveexec_b64 s[0:1], s[18:19]
	s_xor_b64 s[0:1], exec, s[0:1]
	s_cbranch_execz .LBB240_1422
.LBB240_1350:
	s_waitcnt vmcnt(0)
	global_load_ubyte v1, v[3:4], off
	s_or_b64 s[16:17], s[16:17], exec
	s_waitcnt vmcnt(0)
	v_cmp_ne_u16_e32 vcc, 0, v1
	v_cndmask_b32_e64 v1, 0, 1.0, vcc
	v_lshrrev_b32_e32 v6, 16, v1
	s_or_b64 exec, exec, s[0:1]
	s_and_saveexec_b64 s[0:1], s[20:21]
	s_cbranch_execz .LBB240_1468
	s_branch .LBB240_1423
.LBB240_1351:
	s_mov_b64 s[20:21], -1
                                        ; implicit-def: $vgpr6
	s_mov_b64 s[12:13], s[40:41]
	s_branch .LBB240_1420
.LBB240_1352:
	s_mov_b64 s[12:13], s[40:41]
                                        ; implicit-def: $vgpr6
	s_cbranch_execnz .LBB240_1387
	s_branch .LBB240_1419
.LBB240_1353:
	s_mov_b64 s[20:21], -1
	s_mov_b64 s[12:13], s[40:41]
                                        ; implicit-def: $vgpr6
	s_branch .LBB240_1368
.LBB240_1354:
	s_mov_b64 s[20:21], -1
	s_mov_b64 s[12:13], s[40:41]
                                        ; implicit-def: $vgpr6
	s_branch .LBB240_1363
.LBB240_1355:
	s_mov_b64 s[20:21], -1
	s_mov_b64 s[12:13], s[40:41]
	s_branch .LBB240_1357
.LBB240_1356:
	s_mov_b64 s[12:13], -1
.LBB240_1357:
                                        ; implicit-def: $vgpr6
.LBB240_1358:
	s_and_b64 vcc, exec, s[20:21]
	s_cbranch_vccz .LBB240_1362
; %bb.1359:
	s_cmp_eq_u32 s29, 44
	s_cbranch_scc0 .LBB240_1361
; %bb.1360:
	global_load_ubyte v1, v[3:4], off
	s_movk_i32 s16, 0xff
	v_mov_b32_e32 v2, 0x7f800001
	s_waitcnt vmcnt(1)
	v_mov_b32_e32 v6, 0x400000
	v_mov_b32_e32 v7, 0x7fc0
	s_mov_b64 s[12:13], 0
	s_waitcnt vmcnt(0)
	v_lshlrev_b32_e32 v8, 23, v1
	v_cmp_ne_u32_e32 vcc, s16, v1
	v_cndmask_b32_e32 v2, v2, v8, vcc
	v_cmp_ne_u32_e32 vcc, 0, v1
	v_cndmask_b32_e32 v1, v6, v2, vcc
	v_add_u32_e32 v2, 0x7fff, v1
	v_cmp_o_f32_e32 vcc, v1, v1
	v_cndmask_b32_sdwa v6, v7, v2, vcc dst_sel:DWORD dst_unused:UNUSED_PAD src0_sel:DWORD src1_sel:WORD_1
	s_mov_b64 s[16:17], -1
	s_branch .LBB240_1362
.LBB240_1361:
	s_mov_b64 s[12:13], -1
                                        ; implicit-def: $vgpr6
.LBB240_1362:
	s_mov_b64 s[20:21], 0
.LBB240_1363:
	s_and_b64 vcc, exec, s[20:21]
	s_cbranch_vccz .LBB240_1367
; %bb.1364:
	s_cmp_eq_u32 s29, 29
	s_cbranch_scc0 .LBB240_1366
; %bb.1365:
	global_load_dwordx2 v[1:2], v[3:4], off
	s_movk_i32 s16, 0x7fff
	s_mov_b64 s[12:13], 0
	s_mov_b64 s[20:21], 0
	s_waitcnt vmcnt(0)
	v_ffbh_u32_e32 v6, v2
	v_min_u32_e32 v6, 32, v6
	v_lshlrev_b64 v[1:2], v6, v[1:2]
	v_min_u32_e32 v1, 1, v1
	v_or_b32_e32 v1, v2, v1
	v_cvt_f32_u32_e32 v1, v1
	v_sub_u32_e32 v2, 32, v6
	v_ldexp_f32 v1, v1, v2
	v_bfe_u32 v2, v1, 16, 1
	v_add3_u32 v1, v1, v2, s16
	v_lshrrev_b32_e32 v6, 16, v1
	s_mov_b64 s[16:17], -1
	s_branch .LBB240_1368
.LBB240_1366:
	s_mov_b64 s[12:13], -1
                                        ; implicit-def: $vgpr6
.LBB240_1367:
	s_mov_b64 s[20:21], 0
.LBB240_1368:
	s_and_b64 vcc, exec, s[20:21]
	s_cbranch_vccz .LBB240_1386
; %bb.1369:
	s_cmp_lt_i32 s29, 27
	s_cbranch_scc1 .LBB240_1372
; %bb.1370:
	s_cmp_gt_i32 s29, 27
	s_cbranch_scc0 .LBB240_1373
; %bb.1371:
	global_load_dword v1, v[3:4], off
	s_movk_i32 s16, 0x7fff
	s_waitcnt vmcnt(0)
	v_cvt_f32_u32_e32 v1, v1
	v_bfe_u32 v2, v1, 16, 1
	v_add3_u32 v1, v1, v2, s16
	v_lshrrev_b32_e32 v6, 16, v1
	s_mov_b64 s[16:17], 0
	s_branch .LBB240_1374
.LBB240_1372:
	s_mov_b64 s[16:17], -1
                                        ; implicit-def: $vgpr6
	s_branch .LBB240_1377
.LBB240_1373:
	s_mov_b64 s[16:17], -1
                                        ; implicit-def: $vgpr6
.LBB240_1374:
	s_andn2_b64 vcc, exec, s[16:17]
	s_cbranch_vccnz .LBB240_1376
; %bb.1375:
	global_load_ushort v1, v[3:4], off
	s_movk_i32 s16, 0x7fff
	s_waitcnt vmcnt(0)
	v_cvt_f32_u32_e32 v1, v1
	v_bfe_u32 v2, v1, 16, 1
	v_add3_u32 v1, v1, v2, s16
	v_lshrrev_b32_e32 v6, 16, v1
.LBB240_1376:
	s_mov_b64 s[16:17], 0
.LBB240_1377:
	s_andn2_b64 vcc, exec, s[16:17]
	s_cbranch_vccnz .LBB240_1385
; %bb.1378:
	global_load_ubyte v1, v[3:4], off
	s_movk_i32 s16, 0x7f
	s_waitcnt vmcnt(0)
	v_cmp_lt_i16_e32 vcc, s16, v1
	s_mov_b64 s[16:17], 0
	s_and_saveexec_b64 s[20:21], vcc
	s_xor_b64 s[20:21], exec, s[20:21]
	s_cbranch_execz .LBB240_1398
; %bb.1379:
	s_movk_i32 s16, 0x80
	v_cmp_eq_u16_e32 vcc, s16, v1
	s_mov_b64 s[16:17], -1
	s_and_saveexec_b64 s[22:23], vcc
; %bb.1380:
	s_xor_b64 s[16:17], exec, -1
; %bb.1381:
	s_or_b64 exec, exec, s[22:23]
	s_and_b64 s[16:17], s[16:17], exec
	s_or_saveexec_b64 s[20:21], s[20:21]
	v_mov_b32_e32 v2, 0x7f800001
	s_xor_b64 exec, exec, s[20:21]
	s_cbranch_execnz .LBB240_1399
.LBB240_1382:
	s_or_b64 exec, exec, s[20:21]
	s_and_saveexec_b64 s[20:21], s[16:17]
	s_cbranch_execz .LBB240_1384
.LBB240_1383:
	v_lshlrev_b32_e32 v2, 24, v1
	v_and_b32_e32 v1, 0xffff, v1
	v_and_b32_e32 v6, 7, v1
	v_ffbh_u32_e32 v8, v6
	v_min_u32_e32 v8, 32, v8
	v_subrev_u32_e32 v9, 28, v8
	v_bfe_u32 v7, v1, 3, 4
	v_lshlrev_b32_e32 v1, v9, v1
	v_sub_u32_e32 v8, 29, v8
	v_and_b32_e32 v1, 7, v1
	v_cmp_eq_u32_e32 vcc, 0, v7
	v_cndmask_b32_e32 v7, v7, v8, vcc
	v_cndmask_b32_e32 v1, v6, v1, vcc
	v_mov_b32_e32 v6, 0x3b800000
	v_lshlrev_b32_e32 v1, 20, v1
	v_and_b32_e32 v2, 0x80000000, v2
	v_lshl_add_u32 v6, v7, 23, v6
	v_or3_b32 v2, v2, v6, v1
.LBB240_1384:
	s_or_b64 exec, exec, s[20:21]
	v_bfe_u32 v1, v2, 16, 1
	s_movk_i32 s16, 0x7fff
	v_add3_u32 v1, v2, v1, s16
	v_cmp_o_f32_e32 vcc, v2, v2
	v_mov_b32_e32 v2, 0x7fc0
	v_cndmask_b32_sdwa v6, v2, v1, vcc dst_sel:DWORD dst_unused:UNUSED_PAD src0_sel:DWORD src1_sel:WORD_1
.LBB240_1385:
	s_mov_b64 s[16:17], -1
.LBB240_1386:
	s_branch .LBB240_1419
.LBB240_1387:
	s_cmp_gt_i32 s29, 22
	s_cbranch_scc0 .LBB240_1397
; %bb.1388:
	s_cmp_lt_i32 s29, 24
	s_cbranch_scc1 .LBB240_1400
; %bb.1389:
	s_cmp_gt_i32 s29, 24
	s_cbranch_scc0 .LBB240_1401
; %bb.1390:
	global_load_ubyte v1, v[3:4], off
	s_movk_i32 s16, 0x7f
	s_waitcnt vmcnt(0)
	v_cmp_lt_i16_e32 vcc, s16, v1
	s_mov_b64 s[16:17], 0
	s_and_saveexec_b64 s[18:19], vcc
	s_xor_b64 s[18:19], exec, s[18:19]
	s_cbranch_execz .LBB240_1413
; %bb.1391:
	s_movk_i32 s16, 0x80
	v_cmp_eq_u16_e32 vcc, s16, v1
	s_mov_b64 s[16:17], -1
	s_and_saveexec_b64 s[20:21], vcc
; %bb.1392:
	s_xor_b64 s[16:17], exec, -1
; %bb.1393:
	s_or_b64 exec, exec, s[20:21]
	s_and_b64 s[16:17], s[16:17], exec
	s_or_saveexec_b64 s[18:19], s[18:19]
	v_mov_b32_e32 v2, 0x7f800001
	s_xor_b64 exec, exec, s[18:19]
	s_cbranch_execnz .LBB240_1414
.LBB240_1394:
	s_or_b64 exec, exec, s[18:19]
	s_and_saveexec_b64 s[18:19], s[16:17]
	s_cbranch_execz .LBB240_1396
.LBB240_1395:
	v_lshlrev_b32_e32 v2, 24, v1
	v_and_b32_e32 v1, 0xffff, v1
	v_and_b32_e32 v6, 3, v1
	v_ffbh_u32_e32 v8, v6
	v_min_u32_e32 v8, 32, v8
	v_subrev_u32_e32 v9, 29, v8
	v_bfe_u32 v7, v1, 2, 5
	v_lshlrev_b32_e32 v1, v9, v1
	v_sub_u32_e32 v8, 30, v8
	v_and_b32_e32 v1, 3, v1
	v_cmp_eq_u32_e32 vcc, 0, v7
	v_cndmask_b32_e32 v7, v7, v8, vcc
	v_cndmask_b32_e32 v1, v6, v1, vcc
	v_mov_b32_e32 v6, 0x37800000
	v_lshlrev_b32_e32 v1, 21, v1
	v_and_b32_e32 v2, 0x80000000, v2
	v_lshl_add_u32 v6, v7, 23, v6
	v_or3_b32 v2, v2, v6, v1
.LBB240_1396:
	s_or_b64 exec, exec, s[18:19]
	v_bfe_u32 v1, v2, 16, 1
	s_movk_i32 s16, 0x7fff
	v_add3_u32 v1, v2, v1, s16
	v_cmp_o_f32_e32 vcc, v2, v2
	v_mov_b32_e32 v2, 0x7fc0
	v_cndmask_b32_sdwa v6, v2, v1, vcc dst_sel:DWORD dst_unused:UNUSED_PAD src0_sel:DWORD src1_sel:WORD_1
	s_mov_b64 s[16:17], 0
	s_branch .LBB240_1402
.LBB240_1397:
	s_mov_b64 s[18:19], -1
                                        ; implicit-def: $vgpr6
	s_branch .LBB240_1408
.LBB240_1398:
	s_or_saveexec_b64 s[20:21], s[20:21]
	v_mov_b32_e32 v2, 0x7f800001
	s_xor_b64 exec, exec, s[20:21]
	s_cbranch_execz .LBB240_1382
.LBB240_1399:
	v_cmp_ne_u16_e32 vcc, 0, v1
	s_andn2_b64 s[16:17], s[16:17], exec
	s_and_b64 s[22:23], vcc, exec
	v_mov_b32_e32 v2, 0
	s_or_b64 s[16:17], s[16:17], s[22:23]
	s_or_b64 exec, exec, s[20:21]
	s_and_saveexec_b64 s[20:21], s[16:17]
	s_cbranch_execnz .LBB240_1383
	s_branch .LBB240_1384
.LBB240_1400:
	s_mov_b64 s[16:17], -1
                                        ; implicit-def: $vgpr6
	s_branch .LBB240_1405
.LBB240_1401:
	s_mov_b64 s[16:17], -1
                                        ; implicit-def: $vgpr6
.LBB240_1402:
	s_and_b64 vcc, exec, s[16:17]
	s_cbranch_vccz .LBB240_1404
; %bb.1403:
	global_load_ubyte v1, v[3:4], off
	s_mov_b32 s16, 0x7f800000
	s_brev_b32 s17, 1
	s_movk_i32 s18, 0x7fff
	s_waitcnt vmcnt(0)
	v_lshlrev_b32_e32 v1, 24, v1
	v_and_b32_e32 v2, 0x7f000000, v1
	v_ffbh_u32_e32 v6, v2
	v_min_u32_e32 v6, 32, v6
	v_sub_u32_e64 v6, v6, 4 clamp
	v_lshlrev_b32_e32 v8, v6, v2
	v_lshlrev_b32_e32 v6, 23, v6
	v_lshrrev_b32_e32 v8, 4, v8
	v_add_u32_e32 v7, 0x1000000, v2
	v_sub_u32_e32 v6, v8, v6
	v_ashrrev_i32_e32 v7, 8, v7
	v_add_u32_e32 v6, 0x3c000000, v6
	v_and_or_b32 v6, v7, s16, v6
	v_cmp_ne_u32_e32 vcc, 0, v2
	v_cndmask_b32_e32 v2, 0, v6, vcc
	v_and_or_b32 v1, v1, s17, v2
	v_bfe_u32 v2, v2, 16, 1
	v_add3_u32 v2, v1, v2, s18
	v_cmp_o_f32_e32 vcc, v1, v1
	v_mov_b32_e32 v1, 0x7fc0
	v_cndmask_b32_sdwa v6, v1, v2, vcc dst_sel:DWORD dst_unused:UNUSED_PAD src0_sel:DWORD src1_sel:WORD_1
.LBB240_1404:
	s_mov_b64 s[16:17], 0
.LBB240_1405:
	s_andn2_b64 vcc, exec, s[16:17]
	s_cbranch_vccnz .LBB240_1407
; %bb.1406:
	global_load_ubyte v1, v[3:4], off
	s_movk_i32 s16, 0x7f00
	s_brev_b32 s17, 16
	s_brev_b32 s18, 1
	s_movk_i32 s19, 0x7fff
	s_waitcnt vmcnt(0)
	v_lshlrev_b16_e32 v2, 8, v1
	v_lshlrev_b32_e32 v1, 25, v1
	v_lshrrev_b32_e32 v6, 4, v1
	v_and_or_b32 v7, v2, s16, 0.5
	v_or_b32_e32 v6, 0x70000000, v6
	v_add_f32_e32 v7, -0.5, v7
	v_mul_f32_e32 v6, 0x7800000, v6
	v_cmp_gt_u32_e32 vcc, s17, v1
	v_bfe_i32 v2, v2, 0, 16
	v_cndmask_b32_e32 v1, v6, v7, vcc
	v_and_or_b32 v2, v2, s18, v1
	v_bfe_u32 v1, v1, 16, 1
	v_add3_u32 v1, v2, v1, s19
	v_cmp_o_f32_e32 vcc, v2, v2
	v_mov_b32_e32 v2, 0x7fc0
	v_cndmask_b32_sdwa v6, v2, v1, vcc dst_sel:DWORD dst_unused:UNUSED_PAD src0_sel:DWORD src1_sel:WORD_1
.LBB240_1407:
	s_mov_b64 s[18:19], 0
	s_mov_b64 s[16:17], -1
.LBB240_1408:
	s_andn2_b64 vcc, exec, s[18:19]
	s_mov_b64 s[18:19], 0
	s_cbranch_vccnz .LBB240_1419
; %bb.1409:
	s_cmp_gt_i32 s29, 14
	s_cbranch_scc0 .LBB240_1412
; %bb.1410:
	s_cmp_eq_u32 s29, 15
	s_cbranch_scc0 .LBB240_1415
; %bb.1411:
	global_load_ushort v6, v[3:4], off
	s_mov_b64 s[12:13], 0
	s_mov_b64 s[16:17], -1
	s_branch .LBB240_1416
.LBB240_1412:
	s_mov_b64 s[20:21], -1
                                        ; implicit-def: $vgpr6
	s_branch .LBB240_1417
.LBB240_1413:
	s_or_saveexec_b64 s[18:19], s[18:19]
	v_mov_b32_e32 v2, 0x7f800001
	s_xor_b64 exec, exec, s[18:19]
	s_cbranch_execz .LBB240_1394
.LBB240_1414:
	v_cmp_ne_u16_e32 vcc, 0, v1
	s_andn2_b64 s[16:17], s[16:17], exec
	s_and_b64 s[20:21], vcc, exec
	v_mov_b32_e32 v2, 0
	s_or_b64 s[16:17], s[16:17], s[20:21]
	s_or_b64 exec, exec, s[18:19]
	s_and_saveexec_b64 s[18:19], s[16:17]
	s_cbranch_execnz .LBB240_1395
	s_branch .LBB240_1396
.LBB240_1415:
	s_mov_b64 s[12:13], -1
                                        ; implicit-def: $vgpr6
.LBB240_1416:
	s_mov_b64 s[20:21], 0
.LBB240_1417:
	s_and_b64 vcc, exec, s[20:21]
	s_cbranch_vccz .LBB240_1419
; %bb.1418:
	s_cmp_lg_u32 s29, 11
	s_cselect_b64 s[20:21], -1, 0
	s_andn2_b64 s[12:13], s[12:13], exec
	s_and_b64 s[20:21], s[20:21], exec
	s_mov_b64 s[18:19], -1
	s_or_b64 s[12:13], s[12:13], s[20:21]
.LBB240_1419:
	s_mov_b64 s[20:21], 0
.LBB240_1420:
	s_andn2_b64 s[22:23], s[40:41], exec
	s_and_b64 s[12:13], s[12:13], exec
	s_and_b64 s[16:17], s[16:17], exec
	;; [unrolled: 1-line block ×4, first 2 shown]
	s_or_b64 s[40:41], s[22:23], s[12:13]
	s_or_b64 exec, exec, s[0:1]
	s_and_saveexec_b64 s[0:1], s[40:41]
	s_cbranch_execz .LBB240_1349
.LBB240_1421:
	s_or_b64 s[10:11], s[10:11], exec
	s_andn2_b64 s[18:19], s[18:19], exec
	s_trap 2
	s_or_b64 exec, exec, s[0:1]
	s_and_saveexec_b64 s[0:1], s[18:19]
	s_xor_b64 s[0:1], exec, s[0:1]
	s_cbranch_execnz .LBB240_1350
.LBB240_1422:
	s_or_b64 exec, exec, s[0:1]
	s_and_saveexec_b64 s[0:1], s[20:21]
	s_cbranch_execz .LBB240_1468
.LBB240_1423:
	s_sext_i32_i16 s12, s28
	s_cmp_lt_i32 s12, 5
	s_cbranch_scc1 .LBB240_1428
; %bb.1424:
	s_cmp_lt_i32 s12, 8
	s_cbranch_scc1 .LBB240_1429
; %bb.1425:
	;; [unrolled: 3-line block ×3, first 2 shown]
	s_cmp_gt_i32 s12, 9
	s_cbranch_scc0 .LBB240_1431
; %bb.1427:
	s_waitcnt vmcnt(0)
	global_load_dwordx2 v[1:2], v[3:4], off
	s_movk_i32 s12, 0x7fff
	s_waitcnt vmcnt(0)
	v_cvt_f32_f64_e32 v1, v[1:2]
	v_mov_b32_e32 v2, 0x7fc0
	v_bfe_u32 v6, v1, 16, 1
	v_cmp_o_f32_e32 vcc, v1, v1
	v_add3_u32 v1, v1, v6, s12
	v_cndmask_b32_sdwa v6, v2, v1, vcc dst_sel:DWORD dst_unused:UNUSED_PAD src0_sel:DWORD src1_sel:WORD_1
	s_mov_b64 s[12:13], 0
	s_branch .LBB240_1432
.LBB240_1428:
                                        ; implicit-def: $vgpr6
	s_branch .LBB240_1449
.LBB240_1429:
                                        ; implicit-def: $vgpr6
	s_branch .LBB240_1438
.LBB240_1430:
	s_mov_b64 s[12:13], -1
                                        ; implicit-def: $vgpr6
	s_branch .LBB240_1435
.LBB240_1431:
	s_mov_b64 s[12:13], -1
                                        ; implicit-def: $vgpr6
.LBB240_1432:
	s_andn2_b64 vcc, exec, s[12:13]
	s_cbranch_vccnz .LBB240_1434
; %bb.1433:
	s_waitcnt vmcnt(0)
	global_load_dword v1, v[3:4], off
	s_movk_i32 s12, 0x7fff
	v_mov_b32_e32 v2, 0x7fc0
	s_waitcnt vmcnt(0)
	v_bfe_u32 v6, v1, 16, 1
	v_cmp_o_f32_e32 vcc, v1, v1
	v_add3_u32 v1, v1, v6, s12
	v_cndmask_b32_sdwa v6, v2, v1, vcc dst_sel:DWORD dst_unused:UNUSED_PAD src0_sel:DWORD src1_sel:WORD_1
.LBB240_1434:
	s_mov_b64 s[12:13], 0
.LBB240_1435:
	s_andn2_b64 vcc, exec, s[12:13]
	s_cbranch_vccnz .LBB240_1437
; %bb.1436:
	s_waitcnt vmcnt(0)
	global_load_dword v1, v[3:4], off
	s_movk_i32 s12, 0x7fff
	v_mov_b32_e32 v6, 0x7fc0
	s_waitcnt vmcnt(0)
	v_cvt_f32_f16_e32 v2, v1
	v_cmp_o_f16_e32 vcc, v1, v1
	v_bfe_u32 v1, v2, 16, 1
	v_add3_u32 v1, v2, v1, s12
	v_cndmask_b32_sdwa v6, v6, v1, vcc dst_sel:DWORD dst_unused:UNUSED_PAD src0_sel:DWORD src1_sel:WORD_1
.LBB240_1437:
	s_cbranch_execnz .LBB240_1448
.LBB240_1438:
	s_sext_i32_i16 s12, s28
	s_cmp_lt_i32 s12, 6
	s_cbranch_scc1 .LBB240_1441
; %bb.1439:
	s_cmp_gt_i32 s12, 6
	s_cbranch_scc0 .LBB240_1442
; %bb.1440:
	s_waitcnt vmcnt(0)
	global_load_dwordx2 v[1:2], v[3:4], off
	s_movk_i32 s12, 0x7fff
	s_waitcnt vmcnt(0)
	v_cvt_f32_f64_e32 v1, v[1:2]
	v_mov_b32_e32 v2, 0x7fc0
	v_bfe_u32 v6, v1, 16, 1
	v_cmp_o_f32_e32 vcc, v1, v1
	v_add3_u32 v1, v1, v6, s12
	v_cndmask_b32_sdwa v6, v2, v1, vcc dst_sel:DWORD dst_unused:UNUSED_PAD src0_sel:DWORD src1_sel:WORD_1
	s_mov_b64 s[12:13], 0
	s_branch .LBB240_1443
.LBB240_1441:
	s_mov_b64 s[12:13], -1
                                        ; implicit-def: $vgpr6
	s_branch .LBB240_1446
.LBB240_1442:
	s_mov_b64 s[12:13], -1
                                        ; implicit-def: $vgpr6
.LBB240_1443:
	s_andn2_b64 vcc, exec, s[12:13]
	s_cbranch_vccnz .LBB240_1445
; %bb.1444:
	s_waitcnt vmcnt(0)
	global_load_dword v1, v[3:4], off
	s_movk_i32 s12, 0x7fff
	v_mov_b32_e32 v2, 0x7fc0
	s_waitcnt vmcnt(0)
	v_bfe_u32 v6, v1, 16, 1
	v_cmp_o_f32_e32 vcc, v1, v1
	v_add3_u32 v1, v1, v6, s12
	v_cndmask_b32_sdwa v6, v2, v1, vcc dst_sel:DWORD dst_unused:UNUSED_PAD src0_sel:DWORD src1_sel:WORD_1
.LBB240_1445:
	s_mov_b64 s[12:13], 0
.LBB240_1446:
	s_andn2_b64 vcc, exec, s[12:13]
	s_cbranch_vccnz .LBB240_1448
; %bb.1447:
	s_waitcnt vmcnt(0)
	global_load_ushort v1, v[3:4], off
	s_movk_i32 s12, 0x7fff
	v_mov_b32_e32 v6, 0x7fc0
	s_waitcnt vmcnt(0)
	v_cvt_f32_f16_e32 v2, v1
	v_cmp_o_f16_e32 vcc, v1, v1
	v_bfe_u32 v1, v2, 16, 1
	v_add3_u32 v1, v2, v1, s12
	v_cndmask_b32_sdwa v6, v6, v1, vcc dst_sel:DWORD dst_unused:UNUSED_PAD src0_sel:DWORD src1_sel:WORD_1
.LBB240_1448:
	s_cbranch_execnz .LBB240_1467
.LBB240_1449:
	s_sext_i32_i16 s12, s28
	s_cmp_lt_i32 s12, 2
	s_cbranch_scc1 .LBB240_1453
; %bb.1450:
	s_cmp_lt_i32 s12, 3
	s_cbranch_scc1 .LBB240_1454
; %bb.1451:
	s_cmp_gt_i32 s12, 3
	s_cbranch_scc0 .LBB240_1455
; %bb.1452:
	s_waitcnt vmcnt(0)
	global_load_dwordx2 v[1:2], v[3:4], off
	s_movk_i32 s12, 0x7fff
	s_waitcnt vmcnt(0)
	v_xor_b32_e32 v7, v1, v2
	v_ffbh_i32_e32 v6, v2
	v_ashrrev_i32_e32 v7, 31, v7
	v_add_u32_e32 v6, -1, v6
	v_add_u32_e32 v7, 32, v7
	v_min_u32_e32 v6, v6, v7
	v_lshlrev_b64 v[1:2], v6, v[1:2]
	v_min_u32_e32 v1, 1, v1
	v_or_b32_e32 v1, v2, v1
	v_cvt_f32_i32_e32 v1, v1
	v_sub_u32_e32 v2, 32, v6
	v_ldexp_f32 v1, v1, v2
	v_bfe_u32 v2, v1, 16, 1
	v_add3_u32 v1, v1, v2, s12
	v_lshrrev_b32_e32 v6, 16, v1
	s_mov_b64 s[12:13], 0
	s_branch .LBB240_1456
.LBB240_1453:
                                        ; implicit-def: $vgpr6
	s_branch .LBB240_1462
.LBB240_1454:
	s_mov_b64 s[12:13], -1
                                        ; implicit-def: $vgpr6
	s_branch .LBB240_1459
.LBB240_1455:
	s_mov_b64 s[12:13], -1
                                        ; implicit-def: $vgpr6
.LBB240_1456:
	s_andn2_b64 vcc, exec, s[12:13]
	s_cbranch_vccnz .LBB240_1458
; %bb.1457:
	s_waitcnt vmcnt(0)
	global_load_dword v1, v[3:4], off
	s_movk_i32 s12, 0x7fff
	s_waitcnt vmcnt(0)
	v_cvt_f32_i32_e32 v1, v1
	v_bfe_u32 v2, v1, 16, 1
	v_add3_u32 v1, v1, v2, s12
	v_lshrrev_b32_e32 v6, 16, v1
.LBB240_1458:
	s_mov_b64 s[12:13], 0
.LBB240_1459:
	s_andn2_b64 vcc, exec, s[12:13]
	s_cbranch_vccnz .LBB240_1461
; %bb.1460:
	s_waitcnt vmcnt(0)
	global_load_sshort v1, v[3:4], off
	s_movk_i32 s12, 0x7fff
	s_waitcnt vmcnt(0)
	v_cvt_f32_i32_e32 v1, v1
	v_bfe_u32 v2, v1, 16, 1
	v_add3_u32 v1, v1, v2, s12
	v_lshrrev_b32_e32 v6, 16, v1
.LBB240_1461:
	s_cbranch_execnz .LBB240_1467
.LBB240_1462:
	s_sext_i32_i16 s12, s28
	s_cmp_gt_i32 s12, 0
	s_cbranch_scc0 .LBB240_1464
; %bb.1463:
	s_waitcnt vmcnt(0)
	global_load_sbyte v1, v[3:4], off
	s_movk_i32 s12, 0x7fff
	s_waitcnt vmcnt(0)
	v_cvt_f32_i32_e32 v1, v1
	v_bfe_u32 v2, v1, 16, 1
	v_add3_u32 v1, v1, v2, s12
	v_lshrrev_b32_e32 v6, 16, v1
	s_mov_b64 s[12:13], 0
	s_branch .LBB240_1465
.LBB240_1464:
	s_mov_b64 s[12:13], -1
                                        ; implicit-def: $vgpr6
.LBB240_1465:
	s_andn2_b64 vcc, exec, s[12:13]
	s_cbranch_vccnz .LBB240_1467
; %bb.1466:
	s_waitcnt vmcnt(0)
	global_load_ubyte v1, v[3:4], off
	s_movk_i32 s12, 0x7fff
	s_waitcnt vmcnt(0)
	v_cvt_f32_ubyte0_e32 v1, v1
	v_bfe_u32 v2, v1, 16, 1
	v_add3_u32 v1, v1, v2, s12
	v_lshrrev_b32_e32 v6, 16, v1
.LBB240_1467:
	s_or_b64 s[16:17], s[16:17], exec
.LBB240_1468:
	s_or_b64 exec, exec, s[0:1]
	s_mov_b64 s[20:21], 0
	s_mov_b64 s[18:19], 0
                                        ; implicit-def: $sgpr22
                                        ; implicit-def: $vgpr1_vgpr2
                                        ; implicit-def: $vgpr3
	s_and_saveexec_b64 s[12:13], s[16:17]
	s_cbranch_execz .LBB240_1486
; %bb.1469:
	s_waitcnt vmcnt(0)
	v_lshlrev_b32_e32 v1, 16, v5
	v_mov_b32_e32 v2, s71
	v_cmp_ge_f32_e32 vcc, s14, v1
	v_cndmask_b32_e32 v3, v6, v2, vcc
	v_mov_b32_e32 v2, s9
	s_and_b32 s22, s15, 0xff
	v_add_co_u32_e32 v1, vcc, s8, v0
	s_cmp_lt_i32 s22, 11
	v_addc_co_u32_e32 v2, vcc, 0, v2, vcc
	s_cbranch_scc1 .LBB240_1489
; %bb.1470:
	s_and_b32 s20, 0xffff, s22
	s_mov_b64 s[14:15], -1
	s_cmp_gt_i32 s20, 25
	s_mov_b64 s[0:1], s[38:39]
	s_cbranch_scc0 .LBB240_1507
; %bb.1471:
	s_mov_b64 s[8:9], -1
	s_cmp_gt_i32 s20, 28
	s_mov_b64 s[0:1], s[38:39]
	s_cbranch_scc0 .LBB240_1491
; %bb.1472:
	s_cmp_gt_i32 s20, 43
	s_mov_b64 s[0:1], s[38:39]
	s_cbranch_scc0 .LBB240_1483
; %bb.1473:
	;; [unrolled: 4-line block ×3, first 2 shown]
	s_cmp_eq_u32 s20, 46
	s_mov_b64 s[0:1], -1
	s_cbranch_scc0 .LBB240_1476
; %bb.1475:
	v_and_b32_e32 v0, 0xffff, v3
	global_store_dword v[1:2], v0, off
	s_mov_b64 s[0:1], 0
.LBB240_1476:
	s_mov_b64 s[8:9], 0
.LBB240_1477:
	s_and_b64 vcc, exec, s[8:9]
	s_cbranch_vccz .LBB240_1482
; %bb.1478:
	s_cmp_eq_u32 s20, 44
	s_mov_b64 s[0:1], -1
	s_cbranch_scc0 .LBB240_1482
; %bb.1479:
	v_and_b32_e32 v4, 0xffff, v3
	v_bfe_u32 v0, v4, 7, 8
	s_movk_i32 s0, 0xff
	v_cmp_ne_u32_e32 vcc, s0, v0
	v_mov_b32_e32 v5, 0xff
	s_and_saveexec_b64 s[8:9], vcc
	s_cbranch_execz .LBB240_1481
; %bb.1480:
	v_lshlrev_b32_e32 v6, 16, v4
	s_mov_b32 s0, 0x3f0000
	v_lshrrev_b32_e32 v5, 7, v4
	v_and_b32_e32 v4, 64, v4
	v_and_or_b32 v0, v6, s0, v0
	v_cmp_ne_u32_e32 vcc, 0, v4
	v_cmp_ne_u32_e64 s[0:1], 0, v0
	s_and_b64 s[0:1], vcc, s[0:1]
	v_cndmask_b32_e64 v0, 0, 1, s[0:1]
	v_add_u32_e32 v5, v5, v0
.LBB240_1481:
	s_or_b64 exec, exec, s[8:9]
	s_mov_b64 s[0:1], 0
	global_store_byte v[1:2], v5, off
.LBB240_1482:
	s_mov_b64 s[8:9], 0
.LBB240_1483:
	s_and_b64 vcc, exec, s[8:9]
	s_cbranch_vccz .LBB240_1490
; %bb.1484:
	s_cmp_eq_u32 s20, 29
	s_mov_b64 s[0:1], -1
	s_cbranch_scc0 .LBB240_1490
; %bb.1485:
	v_lshlrev_b32_e32 v0, 16, v3
	v_trunc_f32_e32 v0, v0
	v_mul_f32_e32 v4, 0x2f800000, v0
	v_floor_f32_e32 v4, v4
	v_fmac_f32_e32 v0, 0xcf800000, v4
	v_cvt_u32_f32_e32 v5, v4
	v_cvt_u32_f32_e32 v4, v0
	s_mov_b64 s[0:1], 0
	s_mov_b64 s[8:9], 0
	global_store_dwordx2 v[1:2], v[4:5], off
	s_branch .LBB240_1491
.LBB240_1486:
	s_or_b64 exec, exec, s[12:13]
	s_and_saveexec_b64 s[0:1], s[38:39]
	s_cbranch_execnz .LBB240_1549
.LBB240_1487:
	s_or_b64 exec, exec, s[0:1]
	s_and_saveexec_b64 s[0:1], s[20:21]
	s_xor_b64 s[0:1], exec, s[0:1]
	s_cbranch_execz .LBB240_1550
.LBB240_1488:
	s_waitcnt vmcnt(0)
	v_and_b32_e32 v0, 0x7fff, v3
	v_cmp_ne_u16_e32 vcc, 0, v0
	v_cndmask_b32_e64 v0, 0, 1, vcc
	global_store_byte v[1:2], v0, off
	s_or_b64 exec, exec, s[0:1]
	s_and_saveexec_b64 s[0:1], s[18:19]
	s_xor_b64 s[0:1], exec, s[0:1]
	s_cbranch_execz .LBB240_1588
	s_branch .LBB240_1551
.LBB240_1489:
	s_mov_b64 s[14:15], 0
	s_mov_b64 s[8:9], -1
	s_mov_b64 s[0:1], s[38:39]
	s_branch .LBB240_1548
.LBB240_1490:
	s_mov_b64 s[8:9], 0
.LBB240_1491:
	s_and_b64 vcc, exec, s[8:9]
	s_cbranch_vccz .LBB240_1506
; %bb.1492:
	s_cmp_lt_i32 s20, 27
	s_mov_b64 s[8:9], -1
	s_cbranch_scc1 .LBB240_1498
; %bb.1493:
	s_cmp_gt_i32 s20, 27
	s_cbranch_scc0 .LBB240_1495
; %bb.1494:
	v_lshlrev_b32_e32 v0, 16, v3
	v_cvt_u32_f32_e32 v0, v0
	s_mov_b64 s[8:9], 0
	global_store_dword v[1:2], v0, off
.LBB240_1495:
	s_andn2_b64 vcc, exec, s[8:9]
	s_cbranch_vccnz .LBB240_1497
; %bb.1496:
	v_lshlrev_b32_e32 v0, 16, v3
	v_cvt_u32_f32_e32 v0, v0
	global_store_short v[1:2], v0, off
.LBB240_1497:
	s_mov_b64 s[8:9], 0
.LBB240_1498:
	s_andn2_b64 vcc, exec, s[8:9]
	s_cbranch_vccnz .LBB240_1506
; %bb.1499:
	v_lshlrev_b32_e32 v5, 16, v3
	v_and_b32_e32 v4, 0x7fffffff, v5
	s_mov_b32 s8, 0x43800000
	v_cmp_gt_u32_e32 vcc, s8, v4
	v_mov_b32_e32 v6, 0x80
	s_and_saveexec_b64 s[8:9], vcc
	s_cbranch_execz .LBB240_1505
; %bb.1500:
	s_mov_b32 s14, 0x3bffffff
	v_and_b32_e32 v0, 0xffff, v3
	v_cmp_lt_u32_e32 vcc, s14, v4
	s_mov_b64 s[14:15], 0
                                        ; implicit-def: $vgpr4
	s_and_saveexec_b64 s[16:17], vcc
	s_xor_b64 s[16:17], exec, s[16:17]
	s_cbranch_execz .LBB240_1647
; %bb.1501:
	v_bfe_u32 v4, v0, 4, 1
	s_mov_b32 s18, 0x487ffff
	v_add3_u32 v4, v5, v4, s18
	s_mov_b64 s[14:15], exec
	v_lshrrev_b32_e32 v4, 20, v4
                                        ; implicit-def: $vgpr5
	s_andn2_saveexec_b64 s[16:17], s[16:17]
	s_cbranch_execnz .LBB240_1648
.LBB240_1502:
	s_or_b64 exec, exec, s[16:17]
	v_mov_b32_e32 v6, 0
	s_and_saveexec_b64 s[16:17], s[14:15]
.LBB240_1503:
	v_lshrrev_b32_e32 v0, 8, v0
	s_movk_i32 s14, 0x80
	v_and_or_b32 v6, v0, s14, v4
.LBB240_1504:
	s_or_b64 exec, exec, s[16:17]
.LBB240_1505:
	s_or_b64 exec, exec, s[8:9]
	global_store_byte v[1:2], v6, off
.LBB240_1506:
	s_mov_b64 s[14:15], 0
.LBB240_1507:
	s_mov_b64 s[8:9], 0
	s_and_b64 vcc, exec, s[14:15]
	s_cbranch_vccz .LBB240_1547
; %bb.1508:
	s_cmp_gt_i32 s20, 22
	s_mov_b64 s[14:15], -1
	s_cbranch_scc0 .LBB240_1540
; %bb.1509:
	s_cmp_lt_i32 s20, 24
	s_cbranch_scc1 .LBB240_1529
; %bb.1510:
	s_cmp_gt_i32 s20, 24
	s_cbranch_scc0 .LBB240_1518
; %bb.1511:
	v_lshlrev_b32_e32 v5, 16, v3
	v_and_b32_e32 v4, 0x7fffffff, v5
	s_mov_b32 s14, 0x47800000
	v_cmp_gt_u32_e32 vcc, s14, v4
	v_mov_b32_e32 v6, 0x80
	s_and_saveexec_b64 s[14:15], vcc
	s_cbranch_execz .LBB240_1517
; %bb.1512:
	s_mov_b32 s16, 0x37ffffff
	v_and_b32_e32 v0, 0xffff, v3
	v_cmp_lt_u32_e32 vcc, s16, v4
	s_mov_b64 s[16:17], 0
                                        ; implicit-def: $vgpr4
	s_and_saveexec_b64 s[18:19], vcc
	s_xor_b64 s[18:19], exec, s[18:19]
	s_cbranch_execz .LBB240_1771
; %bb.1513:
	v_bfe_u32 v4, v0, 5, 1
	s_mov_b32 s21, 0x88fffff
	v_add3_u32 v4, v5, v4, s21
	s_mov_b64 s[16:17], exec
	v_lshrrev_b32_e32 v4, 21, v4
                                        ; implicit-def: $vgpr5
	s_andn2_saveexec_b64 s[18:19], s[18:19]
	s_cbranch_execnz .LBB240_1772
.LBB240_1514:
	s_or_b64 exec, exec, s[18:19]
	v_mov_b32_e32 v6, 0
	s_and_saveexec_b64 s[18:19], s[16:17]
.LBB240_1515:
	v_lshrrev_b32_e32 v0, 8, v0
	s_movk_i32 s16, 0x80
	v_and_or_b32 v6, v0, s16, v4
.LBB240_1516:
	s_or_b64 exec, exec, s[18:19]
.LBB240_1517:
	s_or_b64 exec, exec, s[14:15]
	s_mov_b64 s[14:15], 0
	global_store_byte v[1:2], v6, off
.LBB240_1518:
	s_and_b64 vcc, exec, s[14:15]
	s_cbranch_vccz .LBB240_1528
; %bb.1519:
	v_lshlrev_b32_e32 v5, 16, v3
	v_and_b32_e32 v6, 0x7fffffff, v5
	s_mov_b32 s14, 0x43f00000
	v_and_b32_e32 v0, 0xffff, v3
	v_cmp_gt_u32_e32 vcc, s14, v6
                                        ; implicit-def: $vgpr4
	s_and_saveexec_b64 s[14:15], vcc
	s_xor_b64 s[14:15], exec, s[14:15]
	s_cbranch_execz .LBB240_1525
; %bb.1520:
	s_mov_b32 s16, 0x3c7fffff
	v_cmp_lt_u32_e32 vcc, s16, v6
                                        ; implicit-def: $vgpr4
	s_and_saveexec_b64 s[16:17], vcc
	s_xor_b64 s[16:17], exec, s[16:17]
; %bb.1521:
	v_bfe_u32 v4, v0, 4, 1
	s_mov_b32 s18, 0x407ffff
	v_add3_u32 v4, v5, v4, s18
	v_lshrrev_b32_e32 v5, 20, v4
	v_and_b32_e32 v4, 0xff00000, v4
	s_mov_b32 s18, 0x7f00000
	v_mov_b32_e32 v6, 0x7e
	v_cmp_ne_u32_e32 vcc, s18, v4
	v_cndmask_b32_e32 v4, v6, v5, vcc
                                        ; implicit-def: $vgpr5
; %bb.1522:
	s_andn2_saveexec_b64 s[16:17], s[16:17]
; %bb.1523:
	s_mov_b32 s18, 0x46800000
	v_add_f32_e64 v4, |v5|, s18
; %bb.1524:
	s_or_b64 exec, exec, s[16:17]
                                        ; implicit-def: $vgpr6
.LBB240_1525:
	s_andn2_saveexec_b64 s[14:15], s[14:15]
; %bb.1526:
	s_mov_b32 s16, 0x7f800000
	v_mov_b32_e32 v4, 0x7e
	v_mov_b32_e32 v5, 0x7f
	v_cmp_lt_u32_e32 vcc, s16, v6
	v_cndmask_b32_e32 v4, v4, v5, vcc
; %bb.1527:
	s_or_b64 exec, exec, s[14:15]
	v_lshrrev_b32_e32 v0, 8, v0
	s_movk_i32 s14, 0x80
	v_and_or_b32 v0, v0, s14, v4
	global_store_byte v[1:2], v0, off
.LBB240_1528:
	s_mov_b64 s[14:15], 0
.LBB240_1529:
	s_andn2_b64 vcc, exec, s[14:15]
	s_cbranch_vccnz .LBB240_1539
; %bb.1530:
	v_lshlrev_b32_e32 v5, 16, v3
	v_and_b32_e32 v6, 0x7fffffff, v5
	s_mov_b32 s14, 0x47800000
	v_and_b32_e32 v0, 0xffff, v3
	v_cmp_gt_u32_e32 vcc, s14, v6
                                        ; implicit-def: $vgpr4
	s_and_saveexec_b64 s[14:15], vcc
	s_xor_b64 s[14:15], exec, s[14:15]
	s_cbranch_execz .LBB240_1536
; %bb.1531:
	s_mov_b32 s16, 0x387fffff
	v_cmp_lt_u32_e32 vcc, s16, v6
                                        ; implicit-def: $vgpr4
	s_and_saveexec_b64 s[16:17], vcc
	s_xor_b64 s[16:17], exec, s[16:17]
; %bb.1532:
	v_bfe_u32 v4, v0, 5, 1
	s_mov_b32 s18, 0x80fffff
	v_add3_u32 v4, v5, v4, s18
	v_lshrrev_b32_e32 v4, 21, v4
                                        ; implicit-def: $vgpr5
; %bb.1533:
	s_andn2_saveexec_b64 s[16:17], s[16:17]
; %bb.1534:
	s_mov_b32 s18, 0x43000000
	v_add_f32_e64 v4, |v5|, s18
; %bb.1535:
	s_or_b64 exec, exec, s[16:17]
                                        ; implicit-def: $vgpr6
.LBB240_1536:
	s_andn2_saveexec_b64 s[14:15], s[14:15]
; %bb.1537:
	s_mov_b32 s16, 0x7f800000
	v_mov_b32_e32 v4, 0x7c
	v_mov_b32_e32 v5, 0x7f
	v_cmp_lt_u32_e32 vcc, s16, v6
	v_cndmask_b32_e32 v4, v4, v5, vcc
; %bb.1538:
	s_or_b64 exec, exec, s[14:15]
	v_lshrrev_b32_e32 v0, 8, v0
	s_movk_i32 s14, 0x80
	v_and_or_b32 v0, v0, s14, v4
	global_store_byte v[1:2], v0, off
.LBB240_1539:
	s_mov_b64 s[14:15], 0
.LBB240_1540:
	s_andn2_b64 vcc, exec, s[14:15]
	s_mov_b64 s[14:15], 0
	s_cbranch_vccnz .LBB240_1548
; %bb.1541:
	s_cmp_gt_i32 s20, 14
	s_mov_b64 s[16:17], -1
	s_cbranch_scc0 .LBB240_1545
; %bb.1542:
	s_cmp_eq_u32 s20, 15
	s_mov_b64 s[0:1], -1
	s_cbranch_scc0 .LBB240_1544
; %bb.1543:
	global_store_short v[1:2], v3, off
	s_mov_b64 s[0:1], 0
.LBB240_1544:
	s_mov_b64 s[16:17], 0
.LBB240_1545:
	s_and_b64 vcc, exec, s[16:17]
	s_cbranch_vccz .LBB240_1548
; %bb.1546:
	s_cmp_lg_u32 s20, 11
	s_cselect_b64 s[16:17], -1, 0
	s_andn2_b64 s[0:1], s[0:1], exec
	s_and_b64 s[16:17], s[16:17], exec
	s_mov_b64 s[14:15], -1
	s_or_b64 s[0:1], s[0:1], s[16:17]
	s_branch .LBB240_1548
.LBB240_1547:
	s_mov_b64 s[14:15], 0
.LBB240_1548:
	s_and_b64 s[18:19], s[8:9], exec
	s_andn2_b64 s[8:9], s[38:39], exec
	s_and_b64 s[0:1], s[0:1], exec
	s_and_b64 s[20:21], s[14:15], exec
	s_or_b64 s[38:39], s[8:9], s[0:1]
	s_or_b64 exec, exec, s[12:13]
	s_and_saveexec_b64 s[0:1], s[38:39]
	s_cbranch_execz .LBB240_1487
.LBB240_1549:
	s_or_b64 s[10:11], s[10:11], exec
	s_andn2_b64 s[20:21], s[20:21], exec
	s_trap 2
	s_or_b64 exec, exec, s[0:1]
	s_and_saveexec_b64 s[0:1], s[20:21]
	s_xor_b64 s[0:1], exec, s[0:1]
	s_cbranch_execnz .LBB240_1488
.LBB240_1550:
	s_or_b64 exec, exec, s[0:1]
	s_and_saveexec_b64 s[0:1], s[18:19]
	s_xor_b64 s[0:1], exec, s[0:1]
	s_cbranch_execz .LBB240_1588
.LBB240_1551:
	s_sext_i32_i16 s12, s22
	s_cmp_lt_i32 s12, 5
	s_mov_b64 s[8:9], -1
	s_cbranch_scc1 .LBB240_1572
; %bb.1552:
	s_cmp_lt_i32 s12, 8
	s_cbranch_scc1 .LBB240_1562
; %bb.1553:
	s_cmp_lt_i32 s12, 9
	s_cbranch_scc1 .LBB240_1559
; %bb.1554:
	s_cmp_gt_i32 s12, 9
	s_cbranch_scc0 .LBB240_1556
; %bb.1555:
	s_waitcnt vmcnt(0)
	v_lshlrev_b32_e32 v0, 16, v3
	v_cvt_f64_f32_e32 v[4:5], v0
	v_mov_b32_e32 v6, 0
	v_mov_b32_e32 v7, v6
	s_mov_b64 s[8:9], 0
	global_store_dwordx4 v[1:2], v[4:7], off
.LBB240_1556:
	s_andn2_b64 vcc, exec, s[8:9]
	s_cbranch_vccnz .LBB240_1558
; %bb.1557:
	s_waitcnt vmcnt(0)
	v_lshlrev_b32_e32 v4, 16, v3
	v_mov_b32_e32 v5, 0
	global_store_dwordx2 v[1:2], v[4:5], off
.LBB240_1558:
	s_mov_b64 s[8:9], 0
.LBB240_1559:
	s_andn2_b64 vcc, exec, s[8:9]
	s_cbranch_vccnz .LBB240_1561
; %bb.1560:
	s_waitcnt vmcnt(0)
	v_lshlrev_b32_e32 v0, 16, v3
	v_cvt_f16_f32_e32 v0, v0
	global_store_dword v[1:2], v0, off
.LBB240_1561:
	s_mov_b64 s[8:9], 0
.LBB240_1562:
	s_andn2_b64 vcc, exec, s[8:9]
	s_cbranch_vccnz .LBB240_1571
; %bb.1563:
	s_sext_i32_i16 s12, s22
	s_cmp_lt_i32 s12, 6
	s_mov_b64 s[8:9], -1
	s_cbranch_scc1 .LBB240_1569
; %bb.1564:
	s_cmp_gt_i32 s12, 6
	s_cbranch_scc0 .LBB240_1566
; %bb.1565:
	s_waitcnt vmcnt(0)
	v_lshlrev_b32_e32 v0, 16, v3
	v_cvt_f64_f32_e32 v[4:5], v0
	s_mov_b64 s[8:9], 0
	global_store_dwordx2 v[1:2], v[4:5], off
.LBB240_1566:
	s_andn2_b64 vcc, exec, s[8:9]
	s_cbranch_vccnz .LBB240_1568
; %bb.1567:
	s_waitcnt vmcnt(0)
	v_lshlrev_b32_e32 v0, 16, v3
	global_store_dword v[1:2], v0, off
.LBB240_1568:
	s_mov_b64 s[8:9], 0
.LBB240_1569:
	s_andn2_b64 vcc, exec, s[8:9]
	s_cbranch_vccnz .LBB240_1571
; %bb.1570:
	s_waitcnt vmcnt(0)
	v_lshlrev_b32_e32 v0, 16, v3
	v_cvt_f16_f32_e32 v0, v0
	global_store_short v[1:2], v0, off
.LBB240_1571:
	s_mov_b64 s[8:9], 0
.LBB240_1572:
	s_andn2_b64 vcc, exec, s[8:9]
	s_cbranch_vccnz .LBB240_1588
; %bb.1573:
	s_sext_i32_i16 s12, s22
	s_cmp_lt_i32 s12, 2
	s_mov_b64 s[8:9], -1
	s_cbranch_scc1 .LBB240_1583
; %bb.1574:
	s_cmp_lt_i32 s12, 3
	s_cbranch_scc1 .LBB240_1580
; %bb.1575:
	s_cmp_gt_i32 s12, 3
	s_cbranch_scc0 .LBB240_1577
; %bb.1576:
	s_waitcnt vmcnt(0)
	v_lshlrev_b32_e32 v0, 16, v3
	v_trunc_f32_e32 v0, v0
	s_mov_b32 s8, 0x2f800000
	v_mul_f32_e64 v4, |v0|, s8
	v_floor_f32_e32 v4, v4
	s_mov_b32 s8, 0xcf800000
	v_cvt_u32_f32_e32 v5, v4
	v_fma_f32 v4, v4, s8, |v0|
	v_cvt_u32_f32_e32 v4, v4
	v_ashrrev_i32_e32 v0, 31, v0
	v_xor_b32_e32 v5, v5, v0
	s_mov_b64 s[8:9], 0
	v_xor_b32_e32 v4, v4, v0
	v_sub_co_u32_e32 v4, vcc, v4, v0
	v_subb_co_u32_e32 v5, vcc, v5, v0, vcc
	global_store_dwordx2 v[1:2], v[4:5], off
.LBB240_1577:
	s_andn2_b64 vcc, exec, s[8:9]
	s_cbranch_vccnz .LBB240_1579
; %bb.1578:
	s_waitcnt vmcnt(0)
	v_lshlrev_b32_e32 v0, 16, v3
	v_cvt_i32_f32_e32 v0, v0
	global_store_dword v[1:2], v0, off
.LBB240_1579:
	s_mov_b64 s[8:9], 0
.LBB240_1580:
	s_andn2_b64 vcc, exec, s[8:9]
	s_cbranch_vccnz .LBB240_1582
; %bb.1581:
	s_waitcnt vmcnt(0)
	v_lshlrev_b32_e32 v0, 16, v3
	v_cvt_i32_f32_e32 v0, v0
	global_store_short v[1:2], v0, off
.LBB240_1582:
	s_mov_b64 s[8:9], 0
.LBB240_1583:
	s_andn2_b64 vcc, exec, s[8:9]
	s_cbranch_vccnz .LBB240_1588
; %bb.1584:
	s_sext_i32_i16 s12, s22
	s_mov_b64 s[8:9], -1
	s_cmp_gt_i32 s12, 0
	s_waitcnt vmcnt(0)
	v_lshlrev_b32_e32 v0, 16, v3
	s_cbranch_scc0 .LBB240_1586
; %bb.1585:
	v_cvt_i32_f32_e32 v3, v0
	s_mov_b64 s[8:9], 0
	global_store_byte v[1:2], v3, off
.LBB240_1586:
	s_andn2_b64 vcc, exec, s[8:9]
	s_cbranch_vccnz .LBB240_1588
; %bb.1587:
	v_trunc_f32_e32 v0, v0
	s_mov_b32 s8, 0x2f800000
	v_mul_f32_e64 v3, |v0|, s8
	v_floor_f32_e32 v3, v3
	s_mov_b32 s8, 0xcf800000
	v_fma_f32 v3, v3, s8, |v0|
	v_cvt_u32_f32_e32 v3, v3
	v_ashrrev_i32_e32 v0, 31, v0
	v_xor_b32_e32 v3, v3, v0
	v_sub_u32_e32 v0, v3, v0
	global_store_byte v[1:2], v0, off
.LBB240_1588:
	s_or_b64 exec, exec, s[0:1]
	s_and_b64 s[12:13], s[10:11], exec
                                        ; implicit-def: $vgpr23
                                        ; implicit-def: $vgpr8
.LBB240_1589:
	s_or_saveexec_b64 s[14:15], s[26:27]
	s_mov_b64 s[0:1], 0
                                        ; implicit-def: $vgpr0_vgpr1
                                        ; implicit-def: $sgpr18
                                        ; implicit-def: $vgpr2
	s_xor_b64 exec, exec, s[14:15]
	s_cbranch_execz .LBB240_3102
; %bb.1590:
	v_cndmask_b32_e64 v0, 0, 1, s[24:25]
	v_cmp_ne_u32_e64 s[0:1], 1, v0
	s_andn2_b64 vcc, exec, s[24:25]
	s_cbranch_vccnz .LBB240_1596
; %bb.1591:
	s_cmp_lg_u32 s33, 0
	s_cbranch_scc0 .LBB240_1597
; %bb.1592:
	s_min_u32 s8, s70, 15
	s_add_i32 s6, s8, 1
	s_and_b32 s9, s6, 30
	s_add_u32 s6, s2, 0xffffffe8
	s_addc_u32 s7, s3, -1
	v_mov_b32_e32 v19, 0
	v_mov_b32_e32 v21, 0
	s_waitcnt vmcnt(0)
	v_mov_b32_e32 v6, 0
	v_mov_b32_e32 v0, v8
.LBB240_1593:                           ; =>This Inner Loop Header: Depth=1
	s_load_dwordx4 s[16:19], s[6:7], 0x1c
	s_load_dwordx2 s[10:11], s[6:7], 0x2c
	s_load_dwordx2 s[24:25], s[6:7], 0xec
	s_load_dwordx4 s[20:23], s[6:7], 0xdc
	s_add_u32 s6, s6, 24
	s_waitcnt lgkmcnt(0)
	v_mul_hi_u32 v1, s17, v0
	s_addc_u32 s7, s7, 0
	s_add_i32 s9, s9, -2
	s_cmp_lg_u32 s9, 0
	v_add_u32_e32 v1, v0, v1
	v_lshrrev_b32_e32 v1, s18, v1
	v_mul_lo_u32 v2, v1, s16
	v_mul_hi_u32 v3, s10, v1
	v_sub_u32_e32 v2, v0, v2
	v_add_u32_e32 v0, v1, v3
	v_lshrrev_b32_e32 v0, s11, v0
	v_mul_lo_u32 v5, v0, s19
	v_mul_lo_u32 v3, v2, s20
	;; [unrolled: 1-line block ×4, first 2 shown]
	v_sub_u32_e32 v1, v1, v5
	v_mul_lo_u32 v5, v1, s23
	v_mul_lo_u32 v7, v1, s24
	;; [unrolled: 1-line block ×3, first 2 shown]
	v_add3_u32 v6, v3, v6, v5
	v_add3_u32 v21, v4, v21, v7
	;; [unrolled: 1-line block ×3, first 2 shown]
	s_cbranch_scc1 .LBB240_1593
; %bb.1594:
	s_bitcmp1_b32 s8, 0
	s_cselect_b64 s[8:9], -1, 0
	s_and_b64 vcc, exec, s[8:9]
	s_cbranch_vccnz .LBB240_1598
; %bb.1595:
	s_load_dwordx2 s[8:9], s[6:7], 0x1c
	s_load_dword s16, s[6:7], 0x24
	s_load_dwordx2 s[10:11], s[6:7], 0xdc
	s_waitcnt lgkmcnt(0)
	v_mul_hi_u32 v1, s9, v0
	v_add_u32_e32 v1, v0, v1
	v_lshrrev_b32_e32 v1, s16, v1
	v_mul_lo_u32 v1, v1, s8
	s_load_dword s8, s[6:7], 0xe4
	v_sub_u32_e32 v0, v0, v1
	v_mad_u64_u32 v[6:7], s[6:7], v0, s10, v[6:7]
	v_mad_u64_u32 v[21:22], s[6:7], v0, s11, v[21:22]
	s_waitcnt lgkmcnt(0)
	v_mad_u64_u32 v[19:20], s[6:7], v0, s8, v[19:20]
	s_cbranch_execz .LBB240_1599
	s_branch .LBB240_1601
.LBB240_1596:
                                        ; implicit-def: $vgpr6
                                        ; implicit-def: $vgpr21
                                        ; implicit-def: $vgpr19
	s_branch .LBB240_1599
.LBB240_1597:
	s_waitcnt vmcnt(0)
	v_mov_b32_e32 v6, 0
	v_mov_b32_e32 v21, 0
	v_mov_b32_e32 v19, 0
.LBB240_1598:
	s_cbranch_execnz .LBB240_1601
.LBB240_1599:
	s_load_dwordx4 s[8:11], s[2:3], 0x4
	s_load_dwordx4 s[16:19], s[2:3], 0xc4
	s_cmp_lt_u32 s33, 2
	s_waitcnt lgkmcnt(0)
	v_mul_hi_u32 v0, s9, v8
	v_add_u32_e32 v0, v8, v0
	v_lshrrev_b32_e32 v0, s10, v0
	v_mul_lo_u32 v1, v0, s8
	v_sub_u32_e32 v1, v8, v1
	s_waitcnt vmcnt(0)
	v_mul_lo_u32 v6, v1, s16
	v_mul_lo_u32 v21, v1, s17
	;; [unrolled: 1-line block ×3, first 2 shown]
	s_cbranch_scc1 .LBB240_1601
; %bb.1600:
	s_load_dwordx4 s[8:11], s[2:3], 0x10
	s_load_dwordx4 s[16:19], s[2:3], 0xd0
	s_waitcnt lgkmcnt(0)
	v_mul_hi_u32 v1, s9, v0
	v_add_u32_e32 v1, v0, v1
	v_lshrrev_b32_e32 v1, s10, v1
	v_mul_lo_u32 v1, v1, s8
	v_sub_u32_e32 v0, v0, v1
	v_mad_u64_u32 v[6:7], s[6:7], v0, s16, v[6:7]
	v_mad_u64_u32 v[21:22], s[6:7], v0, s17, v[21:22]
	;; [unrolled: 1-line block ×3, first 2 shown]
.LBB240_1601:
	s_and_b64 vcc, exec, s[0:1]
	v_add_u32_e32 v0, 0x80, v8
	s_cbranch_vccnz .LBB240_1607
; %bb.1602:
	s_cmp_lg_u32 s33, 0
	s_cbranch_scc0 .LBB240_1608
; %bb.1603:
	s_min_u32 s8, s70, 15
	s_add_i32 s6, s8, 1
	s_and_b32 s9, s6, 30
	s_add_u32 s6, s2, 0xffffffe8
	s_addc_u32 s7, s3, -1
	v_mov_b32_e32 v15, 0
	v_mov_b32_e32 v17, 0
	;; [unrolled: 1-line block ×4, first 2 shown]
.LBB240_1604:                           ; =>This Inner Loop Header: Depth=1
	s_load_dwordx4 s[16:19], s[6:7], 0x1c
	s_load_dwordx2 s[10:11], s[6:7], 0x2c
	s_load_dwordx2 s[24:25], s[6:7], 0xec
	s_load_dwordx4 s[20:23], s[6:7], 0xdc
	s_add_u32 s6, s6, 24
	s_waitcnt lgkmcnt(0)
	v_mul_hi_u32 v2, s17, v1
	s_addc_u32 s7, s7, 0
	s_add_i32 s9, s9, -2
	s_cmp_lg_u32 s9, 0
	v_add_u32_e32 v2, v1, v2
	v_lshrrev_b32_e32 v2, s18, v2
	s_waitcnt vmcnt(0)
	v_mul_lo_u32 v3, v2, s16
	v_mul_hi_u32 v5, s10, v2
	v_sub_u32_e32 v3, v1, v3
	v_add_u32_e32 v1, v2, v5
	v_lshrrev_b32_e32 v1, s11, v1
	v_mul_lo_u32 v9, v1, s19
	v_mul_lo_u32 v5, v3, s20
	v_mul_lo_u32 v7, v3, s21
	v_mul_lo_u32 v3, v3, s22
	v_sub_u32_e32 v2, v2, v9
	v_mul_lo_u32 v9, v2, s23
	v_mul_lo_u32 v10, v2, s24
	;; [unrolled: 1-line block ×3, first 2 shown]
	v_add3_u32 v4, v5, v4, v9
	v_add3_u32 v17, v7, v17, v10
	v_add3_u32 v15, v3, v15, v2
	s_cbranch_scc1 .LBB240_1604
; %bb.1605:
	s_bitcmp1_b32 s8, 0
	s_cselect_b64 s[8:9], -1, 0
	s_and_b64 vcc, exec, s[8:9]
	s_cbranch_vccnz .LBB240_1609
; %bb.1606:
	s_load_dwordx2 s[8:9], s[6:7], 0x1c
	s_load_dword s16, s[6:7], 0x24
	s_load_dwordx2 s[10:11], s[6:7], 0xdc
	s_waitcnt lgkmcnt(0)
	v_mul_hi_u32 v2, s9, v1
	v_add_u32_e32 v2, v1, v2
	v_lshrrev_b32_e32 v2, s16, v2
	v_mul_lo_u32 v2, v2, s8
	s_load_dword s8, s[6:7], 0xe4
	v_sub_u32_e32 v1, v1, v2
	v_mad_u64_u32 v[4:5], s[6:7], v1, s10, v[4:5]
	v_mad_u64_u32 v[17:18], s[6:7], v1, s11, v[17:18]
	s_waitcnt lgkmcnt(0)
	v_mad_u64_u32 v[15:16], s[6:7], v1, s8, v[15:16]
	s_cbranch_execz .LBB240_1610
	s_branch .LBB240_1612
.LBB240_1607:
                                        ; implicit-def: $vgpr4
                                        ; implicit-def: $vgpr17
                                        ; implicit-def: $vgpr15
	s_branch .LBB240_1610
.LBB240_1608:
	v_mov_b32_e32 v4, 0
	v_mov_b32_e32 v17, 0
	;; [unrolled: 1-line block ×3, first 2 shown]
.LBB240_1609:
	s_cbranch_execnz .LBB240_1612
.LBB240_1610:
	s_load_dwordx4 s[8:11], s[2:3], 0x4
	s_load_dwordx4 s[16:19], s[2:3], 0xc4
	s_cmp_lt_u32 s33, 2
	s_waitcnt lgkmcnt(0)
	v_mul_hi_u32 v1, s9, v0
	v_add_u32_e32 v1, v0, v1
	v_lshrrev_b32_e32 v1, s10, v1
	v_mul_lo_u32 v2, v1, s8
	v_sub_u32_e32 v0, v0, v2
	v_mul_lo_u32 v4, v0, s16
	v_mul_lo_u32 v17, v0, s17
	;; [unrolled: 1-line block ×3, first 2 shown]
	s_cbranch_scc1 .LBB240_1612
; %bb.1611:
	s_load_dwordx4 s[8:11], s[2:3], 0x10
	s_load_dwordx4 s[16:19], s[2:3], 0xd0
	s_waitcnt lgkmcnt(0)
	v_mul_hi_u32 v0, s9, v1
	v_add_u32_e32 v0, v1, v0
	v_lshrrev_b32_e32 v0, s10, v0
	v_mul_lo_u32 v0, v0, s8
	v_sub_u32_e32 v0, v1, v0
	s_waitcnt vmcnt(0)
	v_mad_u64_u32 v[4:5], s[6:7], v0, s16, v[4:5]
	v_mad_u64_u32 v[17:18], s[6:7], v0, s17, v[17:18]
	;; [unrolled: 1-line block ×3, first 2 shown]
.LBB240_1612:
	s_and_b64 vcc, exec, s[0:1]
	v_add_u32_e32 v0, 0x100, v8
	s_cbranch_vccnz .LBB240_1618
; %bb.1613:
	s_cmp_lg_u32 s33, 0
	s_cbranch_scc0 .LBB240_1619
; %bb.1614:
	s_min_u32 s8, s70, 15
	s_add_i32 s6, s8, 1
	s_and_b32 s9, s6, 30
	s_add_u32 s6, s2, 0xffffffe8
	s_addc_u32 s7, s3, -1
	v_mov_b32_e32 v11, 0
	v_mov_b32_e32 v13, 0
	;; [unrolled: 1-line block ×4, first 2 shown]
.LBB240_1615:                           ; =>This Inner Loop Header: Depth=1
	s_load_dwordx4 s[16:19], s[6:7], 0x1c
	s_load_dwordx2 s[10:11], s[6:7], 0x2c
	s_load_dwordx2 s[24:25], s[6:7], 0xec
	s_load_dwordx4 s[20:23], s[6:7], 0xdc
	s_add_u32 s6, s6, 24
	s_waitcnt vmcnt(0) lgkmcnt(0)
	v_mul_hi_u32 v3, s17, v1
	s_addc_u32 s7, s7, 0
	s_add_i32 s9, s9, -2
	s_cmp_lg_u32 s9, 0
	v_add_u32_e32 v3, v1, v3
	v_lshrrev_b32_e32 v3, s18, v3
	v_mul_lo_u32 v5, v3, s16
	v_mul_hi_u32 v7, s10, v3
	v_sub_u32_e32 v5, v1, v5
	v_add_u32_e32 v1, v3, v7
	v_lshrrev_b32_e32 v1, s11, v1
	v_mul_lo_u32 v9, v1, s19
	v_mul_lo_u32 v7, v5, s20
	v_mul_lo_u32 v8, v5, s21
	v_mul_lo_u32 v5, v5, s22
	v_sub_u32_e32 v3, v3, v9
	v_mul_lo_u32 v9, v3, s23
	v_mul_lo_u32 v10, v3, s24
	;; [unrolled: 1-line block ×3, first 2 shown]
	v_add3_u32 v2, v7, v2, v9
	v_add3_u32 v13, v8, v13, v10
	;; [unrolled: 1-line block ×3, first 2 shown]
	s_cbranch_scc1 .LBB240_1615
; %bb.1616:
	s_bitcmp1_b32 s8, 0
	s_cselect_b64 s[8:9], -1, 0
	s_and_b64 vcc, exec, s[8:9]
	s_cbranch_vccnz .LBB240_1620
; %bb.1617:
	s_load_dwordx2 s[8:9], s[6:7], 0x1c
	s_load_dword s16, s[6:7], 0x24
	s_load_dwordx2 s[10:11], s[6:7], 0xdc
	s_waitcnt lgkmcnt(0)
	v_mul_hi_u32 v3, s9, v1
	v_add_u32_e32 v3, v1, v3
	v_lshrrev_b32_e32 v3, s16, v3
	v_mul_lo_u32 v3, v3, s8
	s_load_dword s8, s[6:7], 0xe4
	v_sub_u32_e32 v1, v1, v3
	v_mad_u64_u32 v[2:3], s[6:7], v1, s10, v[2:3]
	v_mad_u64_u32 v[13:14], s[6:7], v1, s11, v[13:14]
	s_waitcnt lgkmcnt(0)
	v_mad_u64_u32 v[11:12], s[6:7], v1, s8, v[11:12]
	s_cbranch_execz .LBB240_1621
	s_branch .LBB240_1623
.LBB240_1618:
                                        ; implicit-def: $vgpr2
                                        ; implicit-def: $vgpr13
                                        ; implicit-def: $vgpr11
	s_branch .LBB240_1621
.LBB240_1619:
	v_mov_b32_e32 v2, 0
	v_mov_b32_e32 v13, 0
	;; [unrolled: 1-line block ×3, first 2 shown]
.LBB240_1620:
	s_cbranch_execnz .LBB240_1623
.LBB240_1621:
	s_load_dwordx4 s[8:11], s[2:3], 0x4
	s_load_dwordx4 s[16:19], s[2:3], 0xc4
	s_cmp_lt_u32 s33, 2
	s_waitcnt lgkmcnt(0)
	v_mul_hi_u32 v1, s9, v0
	v_add_u32_e32 v1, v0, v1
	v_lshrrev_b32_e32 v1, s10, v1
	v_mul_lo_u32 v2, v1, s8
	v_sub_u32_e32 v0, v0, v2
	v_mul_lo_u32 v2, v0, s16
	v_mul_lo_u32 v13, v0, s17
	;; [unrolled: 1-line block ×3, first 2 shown]
	s_cbranch_scc1 .LBB240_1623
; %bb.1622:
	s_load_dwordx4 s[8:11], s[2:3], 0x10
	s_load_dwordx4 s[16:19], s[2:3], 0xd0
	s_waitcnt lgkmcnt(0)
	v_mul_hi_u32 v0, s9, v1
	v_add_u32_e32 v0, v1, v0
	v_lshrrev_b32_e32 v0, s10, v0
	v_mul_lo_u32 v0, v0, s8
	v_sub_u32_e32 v0, v1, v0
	s_waitcnt vmcnt(0)
	v_mad_u64_u32 v[2:3], s[6:7], v0, s16, v[2:3]
	v_mad_u64_u32 v[13:14], s[6:7], v0, s17, v[13:14]
	;; [unrolled: 1-line block ×3, first 2 shown]
.LBB240_1623:
	s_and_b64 vcc, exec, s[0:1]
	s_cbranch_vccnz .LBB240_1629
; %bb.1624:
	s_cmp_lg_u32 s33, 0
	s_cbranch_scc0 .LBB240_1630
; %bb.1625:
	s_min_u32 s6, s70, 15
	s_add_i32 s0, s6, 1
	s_and_b32 s7, s0, 30
	s_add_u32 s0, s2, 0xffffffe8
	s_addc_u32 s1, s3, -1
	v_mov_b32_e32 v7, 0
	v_mov_b32_e32 v9, 0
	;; [unrolled: 1-line block ×4, first 2 shown]
.LBB240_1626:                           ; =>This Inner Loop Header: Depth=1
	s_load_dwordx4 s[8:11], s[0:1], 0x1c
	s_load_dwordx2 s[20:21], s[0:1], 0x2c
	s_load_dwordx2 s[22:23], s[0:1], 0xec
	s_load_dwordx4 s[16:19], s[0:1], 0xdc
	s_add_u32 s0, s0, 24
	s_waitcnt vmcnt(0) lgkmcnt(0)
	v_mul_hi_u32 v3, s9, v1
	s_addc_u32 s1, s1, 0
	s_add_i32 s7, s7, -2
	s_cmp_lg_u32 s7, 0
	v_add_u32_e32 v3, v1, v3
	v_lshrrev_b32_e32 v3, s10, v3
	v_mul_lo_u32 v5, v3, s8
	v_mul_hi_u32 v8, s20, v3
	v_sub_u32_e32 v5, v1, v5
	v_add_u32_e32 v1, v3, v8
	v_lshrrev_b32_e32 v1, s21, v1
	v_mul_lo_u32 v12, v1, s11
	v_mul_lo_u32 v8, v5, s16
	;; [unrolled: 1-line block ×4, first 2 shown]
	v_sub_u32_e32 v3, v3, v12
	v_mul_lo_u32 v12, v3, s19
	v_mul_lo_u32 v14, v3, s22
	;; [unrolled: 1-line block ×3, first 2 shown]
	v_add3_u32 v0, v8, v0, v12
	v_add3_u32 v9, v10, v9, v14
	;; [unrolled: 1-line block ×3, first 2 shown]
	s_cbranch_scc1 .LBB240_1626
; %bb.1627:
	s_bitcmp1_b32 s6, 0
	s_cselect_b64 s[6:7], -1, 0
	s_and_b64 vcc, exec, s[6:7]
	s_cbranch_vccnz .LBB240_1631
; %bb.1628:
	s_load_dwordx2 s[6:7], s[0:1], 0x1c
	s_load_dword s10, s[0:1], 0x24
	s_load_dwordx2 s[8:9], s[0:1], 0xdc
	s_waitcnt lgkmcnt(0)
	v_mul_hi_u32 v3, s7, v1
	v_add_u32_e32 v3, v1, v3
	v_lshrrev_b32_e32 v3, s10, v3
	v_mul_lo_u32 v3, v3, s6
	s_load_dword s6, s[0:1], 0xe4
	v_sub_u32_e32 v3, v1, v3
	v_mad_u64_u32 v[0:1], s[0:1], v3, s8, v[0:1]
	v_mad_u64_u32 v[9:10], s[0:1], v3, s9, v[9:10]
	s_waitcnt lgkmcnt(0)
	v_mad_u64_u32 v[7:8], s[0:1], v3, s6, v[7:8]
	s_cbranch_execz .LBB240_1632
	s_branch .LBB240_1634
.LBB240_1629:
                                        ; implicit-def: $vgpr0
                                        ; implicit-def: $vgpr9
                                        ; implicit-def: $vgpr7
	s_branch .LBB240_1632
.LBB240_1630:
	v_mov_b32_e32 v0, 0
	v_mov_b32_e32 v9, 0
	;; [unrolled: 1-line block ×3, first 2 shown]
.LBB240_1631:
	s_cbranch_execnz .LBB240_1634
.LBB240_1632:
	s_load_dwordx4 s[8:11], s[2:3], 0x4
	s_load_dwordx4 s[16:19], s[2:3], 0xc4
	s_cmp_lt_u32 s33, 2
	s_waitcnt lgkmcnt(0)
	v_mul_hi_u32 v0, s9, v23
	v_add_u32_e32 v0, v23, v0
	v_lshrrev_b32_e32 v1, s10, v0
	v_mul_lo_u32 v0, v1, s8
	s_waitcnt vmcnt(0)
	v_sub_u32_e32 v3, v23, v0
	v_mul_lo_u32 v0, v3, s16
	v_mul_lo_u32 v9, v3, s17
	;; [unrolled: 1-line block ×3, first 2 shown]
	s_cbranch_scc1 .LBB240_1634
; %bb.1633:
	s_load_dwordx4 s[8:11], s[2:3], 0x10
	s_load_dwordx4 s[16:19], s[2:3], 0xd0
	s_waitcnt lgkmcnt(0)
	v_mul_hi_u32 v3, s9, v1
	v_add_u32_e32 v3, v1, v3
	v_lshrrev_b32_e32 v3, s10, v3
	v_mul_lo_u32 v3, v3, s8
	v_sub_u32_e32 v3, v1, v3
	v_mad_u64_u32 v[0:1], s[0:1], v3, s16, v[0:1]
	v_mad_u64_u32 v[9:10], s[0:1], v3, s17, v[9:10]
	;; [unrolled: 1-line block ×3, first 2 shown]
.LBB240_1634:
	s_load_dwordx4 s[8:11], s[2:3], 0x188
	s_load_dword s25, s[4:5], 0x1ac
	s_waitcnt lgkmcnt(0)
	v_mov_b32_e32 v1, s11
	s_bfe_u32 s20, s25, 0x80008
	v_add_co_u32_e32 v20, vcc, s10, v21
	s_cmp_lt_i32 s20, 11
	v_addc_co_u32_e32 v21, vcc, 0, v1, vcc
	s_cbranch_scc1 .LBB240_1641
; %bb.1635:
	s_and_b32 s21, 0xffff, s20
	s_cmp_gt_i32 s21, 25
	s_mov_b64 s[6:7], 0
	s_cbranch_scc0 .LBB240_1643
; %bb.1636:
	s_cmp_gt_i32 s21, 28
	s_cbranch_scc0 .LBB240_1644
; %bb.1637:
	s_cmp_gt_i32 s21, 43
	;; [unrolled: 3-line block ×3, first 2 shown]
	s_cbranch_scc0 .LBB240_1646
; %bb.1639:
	s_cmp_eq_u32 s21, 46
	s_mov_b64 s[4:5], 0
	s_cbranch_scc0 .LBB240_1649
; %bb.1640:
	global_load_dword v1, v[20:21], off
	s_mov_b64 s[0:1], 0
	s_mov_b64 s[16:17], -1
	s_branch .LBB240_1650
.LBB240_1641:
	s_mov_b64 s[16:17], 0
                                        ; implicit-def: $vgpr1
	s_mov_b64 s[4:5], s[12:13]
	s_cbranch_execnz .LBB240_1712
.LBB240_1642:
	s_andn2_b64 vcc, exec, s[16:17]
	s_cbranch_vccz .LBB240_1757
	s_branch .LBB240_3100
.LBB240_1643:
	s_mov_b64 s[16:17], 0
	s_mov_b64 s[0:1], 0
                                        ; implicit-def: $vgpr1
	s_cbranch_execnz .LBB240_1677
	s_branch .LBB240_1708
.LBB240_1644:
	s_mov_b64 s[16:17], 0
	s_mov_b64 s[0:1], 0
                                        ; implicit-def: $vgpr1
	s_cbranch_execz .LBB240_1676
	s_branch .LBB240_1659
.LBB240_1645:
	s_mov_b64 s[16:17], 0
	s_mov_b64 s[0:1], 0
                                        ; implicit-def: $vgpr1
	s_cbranch_execnz .LBB240_1655
	s_branch .LBB240_1658
.LBB240_1646:
	s_mov_b64 s[4:5], -1
	s_mov_b64 s[16:17], 0
	s_mov_b64 s[0:1], 0
                                        ; implicit-def: $vgpr1
	s_branch .LBB240_1650
.LBB240_1647:
	s_andn2_saveexec_b64 s[16:17], s[16:17]
	s_cbranch_execz .LBB240_1502
.LBB240_1648:
	s_mov_b32 s18, 0x46000000
	v_add_f32_e64 v4, |v5|, s18
	v_and_b32_e32 v4, 0xff, v4
	v_cmp_ne_u32_e32 vcc, 0, v4
	s_andn2_b64 s[14:15], s[14:15], exec
	s_and_b64 s[18:19], vcc, exec
	s_or_b64 s[14:15], s[14:15], s[18:19]
	s_or_b64 exec, exec, s[16:17]
	v_mov_b32_e32 v6, 0
	s_and_saveexec_b64 s[16:17], s[14:15]
	s_cbranch_execnz .LBB240_1503
	s_branch .LBB240_1504
.LBB240_1649:
	s_mov_b64 s[0:1], -1
                                        ; implicit-def: $vgpr1
	s_mov_b64 s[16:17], 0
.LBB240_1650:
	s_and_b64 vcc, exec, s[4:5]
	s_cbranch_vccz .LBB240_1653
; %bb.1651:
	s_cmp_eq_u32 s21, 44
	s_cbranch_scc0 .LBB240_1654
; %bb.1652:
	global_load_ubyte v1, v[20:21], off
	s_movk_i32 s4, 0xff
	s_waitcnt vmcnt(1)
	v_mov_b32_e32 v3, 0x7f800001
	v_mov_b32_e32 v5, 0x400000
	;; [unrolled: 1-line block ×3, first 2 shown]
	s_mov_b64 s[0:1], 0
	s_mov_b64 s[16:17], -1
	s_waitcnt vmcnt(0)
	v_lshlrev_b32_e32 v10, 23, v1
	v_cmp_ne_u32_e32 vcc, s4, v1
	v_cndmask_b32_e32 v3, v3, v10, vcc
	v_cmp_ne_u32_e32 vcc, 0, v1
	v_cndmask_b32_e32 v1, v5, v3, vcc
	v_add_u32_e32 v3, 0x7fff, v1
	v_cmp_o_f32_e32 vcc, v1, v1
	v_cndmask_b32_sdwa v1, v8, v3, vcc dst_sel:DWORD dst_unused:UNUSED_PAD src0_sel:DWORD src1_sel:WORD_1
.LBB240_1653:
	s_branch .LBB240_1658
.LBB240_1654:
	s_mov_b64 s[0:1], -1
                                        ; implicit-def: $vgpr1
	s_branch .LBB240_1658
.LBB240_1655:
	s_cmp_eq_u32 s21, 29
	s_cbranch_scc0 .LBB240_1657
; %bb.1656:
	global_load_dwordx2 v[22:23], v[20:21], off
	s_movk_i32 s4, 0x7fff
	s_mov_b64 s[0:1], 0
	s_mov_b64 s[16:17], -1
	s_waitcnt vmcnt(0)
	v_ffbh_u32_e32 v1, v23
	v_min_u32_e32 v1, 32, v1
	v_lshlrev_b64 v[22:23], v1, v[22:23]
	v_sub_u32_e32 v1, 32, v1
	v_min_u32_e32 v3, 1, v22
	v_or_b32_e32 v3, v23, v3
	v_cvt_f32_u32_e32 v3, v3
	v_ldexp_f32 v1, v3, v1
	v_bfe_u32 v3, v1, 16, 1
	v_add3_u32 v1, v1, v3, s4
	v_lshrrev_b32_e32 v1, 16, v1
	s_branch .LBB240_1658
.LBB240_1657:
	s_mov_b64 s[0:1], -1
                                        ; implicit-def: $vgpr1
.LBB240_1658:
	s_branch .LBB240_1676
.LBB240_1659:
	s_cmp_lt_i32 s21, 27
	s_cbranch_scc1 .LBB240_1662
; %bb.1660:
	s_cmp_gt_i32 s21, 27
	s_cbranch_scc0 .LBB240_1663
; %bb.1661:
	global_load_dword v1, v[20:21], off
	s_movk_i32 s4, 0x7fff
	s_waitcnt vmcnt(0)
	v_cvt_f32_u32_e32 v1, v1
	v_bfe_u32 v3, v1, 16, 1
	v_add3_u32 v1, v1, v3, s4
	v_lshrrev_b32_e32 v1, 16, v1
	s_mov_b64 s[4:5], 0
	s_branch .LBB240_1664
.LBB240_1662:
	s_mov_b64 s[4:5], -1
                                        ; implicit-def: $vgpr1
	s_branch .LBB240_1667
.LBB240_1663:
	s_mov_b64 s[4:5], -1
                                        ; implicit-def: $vgpr1
.LBB240_1664:
	s_andn2_b64 vcc, exec, s[4:5]
	s_cbranch_vccnz .LBB240_1666
; %bb.1665:
	global_load_ushort v1, v[20:21], off
	s_movk_i32 s4, 0x7fff
	s_waitcnt vmcnt(0)
	v_cvt_f32_u32_e32 v1, v1
	v_bfe_u32 v3, v1, 16, 1
	v_add3_u32 v1, v1, v3, s4
	v_lshrrev_b32_e32 v1, 16, v1
.LBB240_1666:
	s_mov_b64 s[4:5], 0
.LBB240_1667:
	s_andn2_b64 vcc, exec, s[4:5]
	s_cbranch_vccnz .LBB240_1675
; %bb.1668:
	global_load_ubyte v1, v[20:21], off
	s_movk_i32 s4, 0x7f
	s_waitcnt vmcnt(0)
	v_cmp_lt_i16_e32 vcc, s4, v1
	s_mov_b64 s[4:5], 0
	s_and_saveexec_b64 s[16:17], vcc
	s_xor_b64 s[16:17], exec, s[16:17]
	s_cbranch_execz .LBB240_1688
; %bb.1669:
	s_movk_i32 s4, 0x80
	v_cmp_eq_u16_e32 vcc, s4, v1
	s_mov_b64 s[4:5], -1
	s_and_saveexec_b64 s[18:19], vcc
; %bb.1670:
	s_xor_b64 s[4:5], exec, -1
; %bb.1671:
	s_or_b64 exec, exec, s[18:19]
	s_and_b64 s[4:5], s[4:5], exec
	s_or_saveexec_b64 s[16:17], s[16:17]
	v_mov_b32_e32 v3, 0x7f800001
	s_xor_b64 exec, exec, s[16:17]
	s_cbranch_execnz .LBB240_1689
.LBB240_1672:
	s_or_b64 exec, exec, s[16:17]
	s_and_saveexec_b64 s[16:17], s[4:5]
	s_cbranch_execz .LBB240_1674
.LBB240_1673:
	v_lshlrev_b32_e32 v3, 24, v1
	v_and_b32_e32 v1, 0xffff, v1
	v_and_b32_e32 v5, 7, v1
	v_ffbh_u32_e32 v10, v5
	v_min_u32_e32 v10, 32, v10
	v_subrev_u32_e32 v12, 28, v10
	v_bfe_u32 v8, v1, 3, 4
	v_lshlrev_b32_e32 v1, v12, v1
	v_sub_u32_e32 v10, 29, v10
	v_and_b32_e32 v1, 7, v1
	v_cmp_eq_u32_e32 vcc, 0, v8
	v_cndmask_b32_e32 v8, v8, v10, vcc
	v_cndmask_b32_e32 v1, v5, v1, vcc
	v_mov_b32_e32 v5, 0x3b800000
	v_lshlrev_b32_e32 v1, 20, v1
	v_and_b32_e32 v3, 0x80000000, v3
	v_lshl_add_u32 v5, v8, 23, v5
	v_or3_b32 v3, v3, v5, v1
.LBB240_1674:
	s_or_b64 exec, exec, s[16:17]
	v_bfe_u32 v1, v3, 16, 1
	s_movk_i32 s4, 0x7fff
	v_add3_u32 v1, v3, v1, s4
	v_cmp_o_f32_e32 vcc, v3, v3
	v_mov_b32_e32 v3, 0x7fc0
	v_cndmask_b32_sdwa v1, v3, v1, vcc dst_sel:DWORD dst_unused:UNUSED_PAD src0_sel:DWORD src1_sel:WORD_1
.LBB240_1675:
	s_mov_b64 s[16:17], -1
.LBB240_1676:
	s_branch .LBB240_1708
.LBB240_1677:
	s_cmp_gt_i32 s21, 22
	s_cbranch_scc0 .LBB240_1687
; %bb.1678:
	s_cmp_lt_i32 s21, 24
	s_cbranch_scc1 .LBB240_1690
; %bb.1679:
	s_cmp_gt_i32 s21, 24
	s_cbranch_scc0 .LBB240_1691
; %bb.1680:
	global_load_ubyte v1, v[20:21], off
	s_movk_i32 s4, 0x7f
	s_waitcnt vmcnt(0)
	v_cmp_lt_i16_e32 vcc, s4, v1
	s_mov_b64 s[4:5], 0
	s_and_saveexec_b64 s[6:7], vcc
	s_xor_b64 s[6:7], exec, s[6:7]
	s_cbranch_execz .LBB240_1702
; %bb.1681:
	s_movk_i32 s4, 0x80
	v_cmp_eq_u16_e32 vcc, s4, v1
	s_mov_b64 s[4:5], -1
	s_and_saveexec_b64 s[16:17], vcc
; %bb.1682:
	s_xor_b64 s[4:5], exec, -1
; %bb.1683:
	s_or_b64 exec, exec, s[16:17]
	s_and_b64 s[4:5], s[4:5], exec
	s_or_saveexec_b64 s[6:7], s[6:7]
	v_mov_b32_e32 v3, 0x7f800001
	s_xor_b64 exec, exec, s[6:7]
	s_cbranch_execnz .LBB240_1703
.LBB240_1684:
	s_or_b64 exec, exec, s[6:7]
	s_and_saveexec_b64 s[6:7], s[4:5]
	s_cbranch_execz .LBB240_1686
.LBB240_1685:
	v_lshlrev_b32_e32 v3, 24, v1
	v_and_b32_e32 v1, 0xffff, v1
	v_and_b32_e32 v5, 3, v1
	v_ffbh_u32_e32 v10, v5
	v_min_u32_e32 v10, 32, v10
	v_subrev_u32_e32 v12, 29, v10
	v_bfe_u32 v8, v1, 2, 5
	v_lshlrev_b32_e32 v1, v12, v1
	v_sub_u32_e32 v10, 30, v10
	v_and_b32_e32 v1, 3, v1
	v_cmp_eq_u32_e32 vcc, 0, v8
	v_cndmask_b32_e32 v8, v8, v10, vcc
	v_cndmask_b32_e32 v1, v5, v1, vcc
	v_mov_b32_e32 v5, 0x37800000
	v_lshlrev_b32_e32 v1, 21, v1
	v_and_b32_e32 v3, 0x80000000, v3
	v_lshl_add_u32 v5, v8, 23, v5
	v_or3_b32 v3, v3, v5, v1
.LBB240_1686:
	s_or_b64 exec, exec, s[6:7]
	v_bfe_u32 v1, v3, 16, 1
	s_movk_i32 s4, 0x7fff
	v_add3_u32 v1, v3, v1, s4
	v_cmp_o_f32_e32 vcc, v3, v3
	v_mov_b32_e32 v3, 0x7fc0
	v_cndmask_b32_sdwa v1, v3, v1, vcc dst_sel:DWORD dst_unused:UNUSED_PAD src0_sel:DWORD src1_sel:WORD_1
	s_mov_b64 s[4:5], 0
	s_branch .LBB240_1692
.LBB240_1687:
                                        ; implicit-def: $vgpr1
	s_mov_b64 s[6:7], 0
	s_branch .LBB240_1698
.LBB240_1688:
	s_or_saveexec_b64 s[16:17], s[16:17]
	v_mov_b32_e32 v3, 0x7f800001
	s_xor_b64 exec, exec, s[16:17]
	s_cbranch_execz .LBB240_1672
.LBB240_1689:
	v_cmp_ne_u16_e32 vcc, 0, v1
	s_andn2_b64 s[4:5], s[4:5], exec
	s_and_b64 s[18:19], vcc, exec
	v_mov_b32_e32 v3, 0
	s_or_b64 s[4:5], s[4:5], s[18:19]
	s_or_b64 exec, exec, s[16:17]
	s_and_saveexec_b64 s[16:17], s[4:5]
	s_cbranch_execnz .LBB240_1673
	s_branch .LBB240_1674
.LBB240_1690:
	s_mov_b64 s[4:5], -1
                                        ; implicit-def: $vgpr1
	s_branch .LBB240_1695
.LBB240_1691:
	s_mov_b64 s[4:5], -1
                                        ; implicit-def: $vgpr1
.LBB240_1692:
	s_and_b64 vcc, exec, s[4:5]
	s_cbranch_vccz .LBB240_1694
; %bb.1693:
	global_load_ubyte v1, v[20:21], off
	s_mov_b32 s4, 0x7f800000
	s_brev_b32 s5, 1
	s_movk_i32 s6, 0x7fff
	s_waitcnt vmcnt(0)
	v_lshlrev_b32_e32 v1, 24, v1
	v_and_b32_e32 v3, 0x7f000000, v1
	v_ffbh_u32_e32 v5, v3
	v_min_u32_e32 v5, 32, v5
	v_sub_u32_e64 v5, v5, 4 clamp
	v_lshlrev_b32_e32 v10, v5, v3
	v_lshlrev_b32_e32 v5, 23, v5
	v_lshrrev_b32_e32 v10, 4, v10
	v_add_u32_e32 v8, 0x1000000, v3
	v_sub_u32_e32 v5, v10, v5
	v_ashrrev_i32_e32 v8, 8, v8
	v_add_u32_e32 v5, 0x3c000000, v5
	v_and_or_b32 v5, v8, s4, v5
	v_cmp_ne_u32_e32 vcc, 0, v3
	v_cndmask_b32_e32 v3, 0, v5, vcc
	v_and_or_b32 v1, v1, s5, v3
	v_bfe_u32 v3, v3, 16, 1
	v_add3_u32 v3, v1, v3, s6
	v_cmp_o_f32_e32 vcc, v1, v1
	v_mov_b32_e32 v1, 0x7fc0
	v_cndmask_b32_sdwa v1, v1, v3, vcc dst_sel:DWORD dst_unused:UNUSED_PAD src0_sel:DWORD src1_sel:WORD_1
.LBB240_1694:
	s_mov_b64 s[4:5], 0
.LBB240_1695:
	s_andn2_b64 vcc, exec, s[4:5]
	s_cbranch_vccnz .LBB240_1697
; %bb.1696:
	global_load_ubyte v1, v[20:21], off
	s_movk_i32 s4, 0x7f00
	s_brev_b32 s5, 16
	s_brev_b32 s6, 1
	s_movk_i32 s7, 0x7fff
	s_waitcnt vmcnt(0)
	v_lshlrev_b16_e32 v3, 8, v1
	v_lshlrev_b32_e32 v1, 25, v1
	v_lshrrev_b32_e32 v5, 4, v1
	v_and_or_b32 v8, v3, s4, 0.5
	v_or_b32_e32 v5, 0x70000000, v5
	v_add_f32_e32 v8, -0.5, v8
	v_mul_f32_e32 v5, 0x7800000, v5
	v_cmp_gt_u32_e32 vcc, s5, v1
	v_bfe_i32 v3, v3, 0, 16
	v_cndmask_b32_e32 v1, v5, v8, vcc
	v_and_or_b32 v3, v3, s6, v1
	v_bfe_u32 v1, v1, 16, 1
	v_add3_u32 v1, v3, v1, s7
	v_cmp_o_f32_e32 vcc, v3, v3
	v_mov_b32_e32 v3, 0x7fc0
	v_cndmask_b32_sdwa v1, v3, v1, vcc dst_sel:DWORD dst_unused:UNUSED_PAD src0_sel:DWORD src1_sel:WORD_1
.LBB240_1697:
	s_mov_b64 s[16:17], -1
	s_mov_b64 s[6:7], 0
	s_cbranch_execnz .LBB240_1708
.LBB240_1698:
	s_cmp_gt_i32 s21, 14
	s_cbranch_scc0 .LBB240_1701
; %bb.1699:
	s_cmp_eq_u32 s21, 15
	s_cbranch_scc0 .LBB240_1704
; %bb.1700:
	global_load_ushort v1, v[20:21], off
	s_mov_b64 s[0:1], 0
	s_mov_b64 s[16:17], -1
	s_branch .LBB240_1705
.LBB240_1701:
	s_mov_b64 s[4:5], -1
                                        ; implicit-def: $vgpr1
	s_branch .LBB240_1706
.LBB240_1702:
	s_or_saveexec_b64 s[6:7], s[6:7]
	v_mov_b32_e32 v3, 0x7f800001
	s_xor_b64 exec, exec, s[6:7]
	s_cbranch_execz .LBB240_1684
.LBB240_1703:
	v_cmp_ne_u16_e32 vcc, 0, v1
	s_andn2_b64 s[4:5], s[4:5], exec
	s_and_b64 s[16:17], vcc, exec
	v_mov_b32_e32 v3, 0
	s_or_b64 s[4:5], s[4:5], s[16:17]
	s_or_b64 exec, exec, s[6:7]
	s_and_saveexec_b64 s[6:7], s[4:5]
	s_cbranch_execnz .LBB240_1685
	s_branch .LBB240_1686
.LBB240_1704:
	s_mov_b64 s[0:1], -1
                                        ; implicit-def: $vgpr1
.LBB240_1705:
	s_mov_b64 s[4:5], 0
.LBB240_1706:
	s_and_b64 vcc, exec, s[4:5]
	s_cbranch_vccz .LBB240_1708
; %bb.1707:
	s_cmp_lg_u32 s21, 11
	s_mov_b64 s[6:7], -1
	s_cselect_b64 s[0:1], -1, 0
.LBB240_1708:
	s_and_b64 vcc, exec, s[0:1]
	s_mov_b64 s[4:5], s[12:13]
	s_cbranch_vccnz .LBB240_1769
; %bb.1709:
	s_andn2_b64 vcc, exec, s[6:7]
	s_cbranch_vccnz .LBB240_1711
.LBB240_1710:
	global_load_ubyte v1, v[20:21], off
	s_mov_b64 s[16:17], -1
	s_waitcnt vmcnt(0)
	v_cmp_ne_u16_e32 vcc, 0, v1
	v_cndmask_b32_e64 v1, 0, 1.0, vcc
	v_lshrrev_b32_e32 v1, 16, v1
.LBB240_1711:
	s_branch .LBB240_1642
.LBB240_1712:
	s_and_b32 s6, 0xffff, s20
	s_cmp_lt_i32 s6, 5
	s_cbranch_scc1 .LBB240_1717
; %bb.1713:
	s_cmp_lt_i32 s6, 8
	s_cbranch_scc1 .LBB240_1718
; %bb.1714:
	;; [unrolled: 3-line block ×3, first 2 shown]
	s_cmp_gt_i32 s6, 9
	s_cbranch_scc0 .LBB240_1720
; %bb.1716:
	global_load_dwordx2 v[22:23], v[20:21], off
	s_movk_i32 s0, 0x7fff
	s_waitcnt vmcnt(1)
	v_mov_b32_e32 v3, 0x7fc0
	s_waitcnt vmcnt(0)
	v_cvt_f32_f64_e32 v1, v[22:23]
	v_bfe_u32 v5, v1, 16, 1
	v_cmp_o_f32_e32 vcc, v1, v1
	v_add3_u32 v1, v1, v5, s0
	v_cndmask_b32_sdwa v1, v3, v1, vcc dst_sel:DWORD dst_unused:UNUSED_PAD src0_sel:DWORD src1_sel:WORD_1
	s_mov_b64 s[0:1], 0
	s_branch .LBB240_1721
.LBB240_1717:
                                        ; implicit-def: $vgpr1
	s_branch .LBB240_1738
.LBB240_1718:
                                        ; implicit-def: $vgpr1
	s_branch .LBB240_1727
.LBB240_1719:
	s_mov_b64 s[0:1], -1
                                        ; implicit-def: $vgpr1
	s_branch .LBB240_1724
.LBB240_1720:
	s_mov_b64 s[0:1], -1
                                        ; implicit-def: $vgpr1
.LBB240_1721:
	s_andn2_b64 vcc, exec, s[0:1]
	s_cbranch_vccnz .LBB240_1723
; %bb.1722:
	global_load_dword v1, v[20:21], off
	s_movk_i32 s0, 0x7fff
	s_waitcnt vmcnt(1)
	v_mov_b32_e32 v3, 0x7fc0
	s_waitcnt vmcnt(0)
	v_bfe_u32 v5, v1, 16, 1
	v_cmp_o_f32_e32 vcc, v1, v1
	v_add3_u32 v1, v1, v5, s0
	v_cndmask_b32_sdwa v1, v3, v1, vcc dst_sel:DWORD dst_unused:UNUSED_PAD src0_sel:DWORD src1_sel:WORD_1
.LBB240_1723:
	s_mov_b64 s[0:1], 0
.LBB240_1724:
	s_andn2_b64 vcc, exec, s[0:1]
	s_cbranch_vccnz .LBB240_1726
; %bb.1725:
	global_load_dword v1, v[20:21], off
	s_movk_i32 s0, 0x7fff
	s_waitcnt vmcnt(1)
	v_mov_b32_e32 v5, 0x7fc0
	s_waitcnt vmcnt(0)
	v_cvt_f32_f16_e32 v3, v1
	v_cmp_o_f16_e32 vcc, v1, v1
	v_bfe_u32 v1, v3, 16, 1
	v_add3_u32 v1, v3, v1, s0
	v_cndmask_b32_sdwa v1, v5, v1, vcc dst_sel:DWORD dst_unused:UNUSED_PAD src0_sel:DWORD src1_sel:WORD_1
.LBB240_1726:
	s_cbranch_execnz .LBB240_1737
.LBB240_1727:
	s_cmp_lt_i32 s6, 6
	s_cbranch_scc1 .LBB240_1730
; %bb.1728:
	s_cmp_gt_i32 s6, 6
	s_cbranch_scc0 .LBB240_1731
; %bb.1729:
	global_load_dwordx2 v[22:23], v[20:21], off
	s_movk_i32 s0, 0x7fff
	s_waitcnt vmcnt(1)
	v_mov_b32_e32 v3, 0x7fc0
	s_waitcnt vmcnt(0)
	v_cvt_f32_f64_e32 v1, v[22:23]
	v_bfe_u32 v5, v1, 16, 1
	v_cmp_o_f32_e32 vcc, v1, v1
	v_add3_u32 v1, v1, v5, s0
	v_cndmask_b32_sdwa v1, v3, v1, vcc dst_sel:DWORD dst_unused:UNUSED_PAD src0_sel:DWORD src1_sel:WORD_1
	s_mov_b64 s[0:1], 0
	s_branch .LBB240_1732
.LBB240_1730:
	s_mov_b64 s[0:1], -1
                                        ; implicit-def: $vgpr1
	s_branch .LBB240_1735
.LBB240_1731:
	s_mov_b64 s[0:1], -1
                                        ; implicit-def: $vgpr1
.LBB240_1732:
	s_andn2_b64 vcc, exec, s[0:1]
	s_cbranch_vccnz .LBB240_1734
; %bb.1733:
	global_load_dword v1, v[20:21], off
	s_movk_i32 s0, 0x7fff
	s_waitcnt vmcnt(1)
	v_mov_b32_e32 v3, 0x7fc0
	s_waitcnt vmcnt(0)
	v_bfe_u32 v5, v1, 16, 1
	v_cmp_o_f32_e32 vcc, v1, v1
	v_add3_u32 v1, v1, v5, s0
	v_cndmask_b32_sdwa v1, v3, v1, vcc dst_sel:DWORD dst_unused:UNUSED_PAD src0_sel:DWORD src1_sel:WORD_1
.LBB240_1734:
	s_mov_b64 s[0:1], 0
.LBB240_1735:
	s_andn2_b64 vcc, exec, s[0:1]
	s_cbranch_vccnz .LBB240_1737
; %bb.1736:
	global_load_ushort v1, v[20:21], off
	s_movk_i32 s0, 0x7fff
	s_waitcnt vmcnt(1)
	v_mov_b32_e32 v5, 0x7fc0
	s_waitcnt vmcnt(0)
	v_cvt_f32_f16_e32 v3, v1
	v_cmp_o_f16_e32 vcc, v1, v1
	v_bfe_u32 v1, v3, 16, 1
	v_add3_u32 v1, v3, v1, s0
	v_cndmask_b32_sdwa v1, v5, v1, vcc dst_sel:DWORD dst_unused:UNUSED_PAD src0_sel:DWORD src1_sel:WORD_1
.LBB240_1737:
	s_cbranch_execnz .LBB240_1756
.LBB240_1738:
	s_cmp_lt_i32 s6, 2
	s_cbranch_scc1 .LBB240_1742
; %bb.1739:
	s_cmp_lt_i32 s6, 3
	s_cbranch_scc1 .LBB240_1743
; %bb.1740:
	s_cmp_gt_i32 s6, 3
	s_cbranch_scc0 .LBB240_1744
; %bb.1741:
	global_load_dwordx2 v[22:23], v[20:21], off
	s_movk_i32 s0, 0x7fff
	s_waitcnt vmcnt(0)
	v_xor_b32_e32 v3, v22, v23
	v_ffbh_i32_e32 v1, v23
	v_ashrrev_i32_e32 v3, 31, v3
	v_add_u32_e32 v1, -1, v1
	v_add_u32_e32 v3, 32, v3
	v_min_u32_e32 v1, v1, v3
	v_lshlrev_b64 v[22:23], v1, v[22:23]
	v_sub_u32_e32 v1, 32, v1
	v_min_u32_e32 v3, 1, v22
	v_or_b32_e32 v3, v23, v3
	v_cvt_f32_i32_e32 v3, v3
	v_ldexp_f32 v1, v3, v1
	v_bfe_u32 v3, v1, 16, 1
	v_add3_u32 v1, v1, v3, s0
	v_lshrrev_b32_e32 v1, 16, v1
	s_mov_b64 s[0:1], 0
	s_branch .LBB240_1745
.LBB240_1742:
                                        ; implicit-def: $vgpr1
	s_branch .LBB240_1751
.LBB240_1743:
	s_mov_b64 s[0:1], -1
                                        ; implicit-def: $vgpr1
	s_branch .LBB240_1748
.LBB240_1744:
	s_mov_b64 s[0:1], -1
                                        ; implicit-def: $vgpr1
.LBB240_1745:
	s_andn2_b64 vcc, exec, s[0:1]
	s_cbranch_vccnz .LBB240_1747
; %bb.1746:
	global_load_dword v1, v[20:21], off
	s_movk_i32 s0, 0x7fff
	s_waitcnt vmcnt(0)
	v_cvt_f32_i32_e32 v1, v1
	v_bfe_u32 v3, v1, 16, 1
	v_add3_u32 v1, v1, v3, s0
	v_lshrrev_b32_e32 v1, 16, v1
.LBB240_1747:
	s_mov_b64 s[0:1], 0
.LBB240_1748:
	s_andn2_b64 vcc, exec, s[0:1]
	s_cbranch_vccnz .LBB240_1750
; %bb.1749:
	global_load_sshort v1, v[20:21], off
	s_movk_i32 s0, 0x7fff
	s_waitcnt vmcnt(0)
	v_cvt_f32_i32_e32 v1, v1
	v_bfe_u32 v3, v1, 16, 1
	v_add3_u32 v1, v1, v3, s0
	v_lshrrev_b32_e32 v1, 16, v1
.LBB240_1750:
	s_cbranch_execnz .LBB240_1756
.LBB240_1751:
	s_cmp_gt_i32 s6, 0
	s_cbranch_scc0 .LBB240_1753
; %bb.1752:
	global_load_sbyte v1, v[20:21], off
	s_movk_i32 s0, 0x7fff
	s_waitcnt vmcnt(0)
	v_cvt_f32_i32_e32 v1, v1
	v_bfe_u32 v3, v1, 16, 1
	v_add3_u32 v1, v1, v3, s0
	v_lshrrev_b32_e32 v1, 16, v1
	s_mov_b64 s[0:1], 0
	s_branch .LBB240_1754
.LBB240_1753:
	s_mov_b64 s[0:1], -1
                                        ; implicit-def: $vgpr1
.LBB240_1754:
	s_andn2_b64 vcc, exec, s[0:1]
	s_cbranch_vccnz .LBB240_1756
; %bb.1755:
	global_load_ubyte v1, v[20:21], off
	s_movk_i32 s0, 0x7fff
	s_waitcnt vmcnt(0)
	v_cvt_f32_ubyte0_e32 v1, v1
	v_bfe_u32 v3, v1, 16, 1
	v_add3_u32 v1, v1, v3, s0
	v_lshrrev_b32_e32 v1, 16, v1
.LBB240_1756:
.LBB240_1757:
	s_load_dwordx2 s[0:1], s[2:3], 0x198
	s_bfe_u32 s24, s25, 0x80010
	s_cmp_lt_i32 s24, 11
	s_waitcnt vmcnt(0) lgkmcnt(0)
	v_mov_b32_e32 v3, s1
	v_add_co_u32_e32 v18, vcc, s0, v19
	v_addc_co_u32_e32 v19, vcc, 0, v3, vcc
	s_cbranch_scc1 .LBB240_1764
; %bb.1758:
	s_and_b32 s26, 0xffff, s24
	s_cmp_gt_i32 s26, 25
	s_mov_b64 s[16:17], 0
	s_cbranch_scc0 .LBB240_1766
; %bb.1759:
	s_cmp_gt_i32 s26, 28
	s_cbranch_scc0 .LBB240_1767
; %bb.1760:
	s_cmp_gt_i32 s26, 43
	;; [unrolled: 3-line block ×3, first 2 shown]
	s_cbranch_scc0 .LBB240_1770
; %bb.1762:
	s_cmp_eq_u32 s26, 46
	s_mov_b64 s[20:21], 0
	s_cbranch_scc0 .LBB240_1773
; %bb.1763:
	global_load_dword v3, v[18:19], off
	s_mov_b64 s[6:7], 0
	s_mov_b64 s[18:19], -1
	s_branch .LBB240_1774
.LBB240_1764:
	s_mov_b64 s[18:19], 0
                                        ; implicit-def: $vgpr3
	s_cbranch_execnz .LBB240_1839
.LBB240_1765:
	s_andn2_b64 vcc, exec, s[18:19]
	s_cbranch_vccnz .LBB240_3100
	s_branch .LBB240_1886
.LBB240_1766:
	s_mov_b64 s[18:19], 0
	s_mov_b64 s[6:7], 0
                                        ; implicit-def: $vgpr3
	s_cbranch_execnz .LBB240_1803
	s_branch .LBB240_1835
.LBB240_1767:
	s_mov_b64 s[20:21], -1
	s_mov_b64 s[18:19], 0
	s_mov_b64 s[6:7], 0
                                        ; implicit-def: $vgpr3
	s_branch .LBB240_1784
.LBB240_1768:
	s_mov_b64 s[20:21], -1
	s_mov_b64 s[18:19], 0
	s_mov_b64 s[6:7], 0
                                        ; implicit-def: $vgpr3
	s_branch .LBB240_1779
.LBB240_1769:
	s_or_b64 s[4:5], s[12:13], exec
	s_trap 2
	s_cbranch_execz .LBB240_1710
	s_branch .LBB240_1711
.LBB240_1770:
	s_mov_b64 s[20:21], -1
	s_mov_b64 s[18:19], 0
	s_mov_b64 s[6:7], 0
                                        ; implicit-def: $vgpr3
	s_branch .LBB240_1774
.LBB240_1771:
	s_andn2_saveexec_b64 s[18:19], s[18:19]
	s_cbranch_execz .LBB240_1514
.LBB240_1772:
	s_mov_b32 s21, 0x42800000
	v_add_f32_e64 v4, |v5|, s21
	v_and_b32_e32 v4, 0xff, v4
	v_cmp_ne_u32_e32 vcc, 0, v4
	s_andn2_b64 s[16:17], s[16:17], exec
	s_and_b64 s[28:29], vcc, exec
	s_or_b64 s[16:17], s[16:17], s[28:29]
	s_or_b64 exec, exec, s[18:19]
	v_mov_b32_e32 v6, 0
	s_and_saveexec_b64 s[18:19], s[16:17]
	s_cbranch_execnz .LBB240_1515
	s_branch .LBB240_1516
.LBB240_1773:
	s_mov_b64 s[6:7], -1
                                        ; implicit-def: $vgpr3
	s_mov_b64 s[18:19], 0
.LBB240_1774:
	s_and_b64 vcc, exec, s[20:21]
	s_cbranch_vccz .LBB240_1778
; %bb.1775:
	s_cmp_eq_u32 s26, 44
	s_cbranch_scc0 .LBB240_1777
; %bb.1776:
	global_load_ubyte v3, v[18:19], off
	s_movk_i32 s18, 0xff
	v_mov_b32_e32 v5, 0x7f800001
	v_mov_b32_e32 v8, 0x400000
	;; [unrolled: 1-line block ×3, first 2 shown]
	s_mov_b64 s[6:7], 0
	s_waitcnt vmcnt(0)
	v_lshlrev_b32_e32 v12, 23, v3
	v_cmp_ne_u32_e32 vcc, s18, v3
	v_cndmask_b32_e32 v5, v5, v12, vcc
	v_cmp_ne_u32_e32 vcc, 0, v3
	v_cndmask_b32_e32 v3, v8, v5, vcc
	v_add_u32_e32 v5, 0x7fff, v3
	v_cmp_o_f32_e32 vcc, v3, v3
	v_cndmask_b32_sdwa v3, v10, v5, vcc dst_sel:DWORD dst_unused:UNUSED_PAD src0_sel:DWORD src1_sel:WORD_1
	s_mov_b64 s[18:19], -1
	s_branch .LBB240_1778
.LBB240_1777:
	s_mov_b64 s[6:7], -1
                                        ; implicit-def: $vgpr3
.LBB240_1778:
	s_mov_b64 s[20:21], 0
.LBB240_1779:
	s_and_b64 vcc, exec, s[20:21]
	s_cbranch_vccz .LBB240_1783
; %bb.1780:
	s_cmp_eq_u32 s26, 29
	s_cbranch_scc0 .LBB240_1782
; %bb.1781:
	global_load_dwordx2 v[20:21], v[18:19], off
	s_movk_i32 s18, 0x7fff
	s_mov_b64 s[6:7], 0
	s_mov_b64 s[20:21], 0
	s_waitcnt vmcnt(0)
	v_ffbh_u32_e32 v3, v21
	v_min_u32_e32 v3, 32, v3
	v_lshlrev_b64 v[20:21], v3, v[20:21]
	v_sub_u32_e32 v3, 32, v3
	v_min_u32_e32 v5, 1, v20
	v_or_b32_e32 v5, v21, v5
	v_cvt_f32_u32_e32 v5, v5
	v_ldexp_f32 v3, v5, v3
	v_bfe_u32 v5, v3, 16, 1
	v_add3_u32 v3, v3, v5, s18
	v_lshrrev_b32_e32 v3, 16, v3
	s_mov_b64 s[18:19], -1
	s_branch .LBB240_1784
.LBB240_1782:
	s_mov_b64 s[6:7], -1
                                        ; implicit-def: $vgpr3
.LBB240_1783:
	s_mov_b64 s[20:21], 0
.LBB240_1784:
	s_and_b64 vcc, exec, s[20:21]
	s_cbranch_vccz .LBB240_1802
; %bb.1785:
	s_cmp_lt_i32 s26, 27
	s_cbranch_scc1 .LBB240_1788
; %bb.1786:
	s_cmp_gt_i32 s26, 27
	s_cbranch_scc0 .LBB240_1789
; %bb.1787:
	global_load_dword v3, v[18:19], off
	s_movk_i32 s18, 0x7fff
	s_waitcnt vmcnt(0)
	v_cvt_f32_u32_e32 v3, v3
	v_bfe_u32 v5, v3, 16, 1
	v_add3_u32 v3, v3, v5, s18
	v_lshrrev_b32_e32 v3, 16, v3
	s_mov_b64 s[18:19], 0
	s_branch .LBB240_1790
.LBB240_1788:
	s_mov_b64 s[18:19], -1
                                        ; implicit-def: $vgpr3
	s_branch .LBB240_1793
.LBB240_1789:
	s_mov_b64 s[18:19], -1
                                        ; implicit-def: $vgpr3
.LBB240_1790:
	s_andn2_b64 vcc, exec, s[18:19]
	s_cbranch_vccnz .LBB240_1792
; %bb.1791:
	global_load_ushort v3, v[18:19], off
	s_movk_i32 s18, 0x7fff
	s_waitcnt vmcnt(0)
	v_cvt_f32_u32_e32 v3, v3
	v_bfe_u32 v5, v3, 16, 1
	v_add3_u32 v3, v3, v5, s18
	v_lshrrev_b32_e32 v3, 16, v3
.LBB240_1792:
	s_mov_b64 s[18:19], 0
.LBB240_1793:
	s_andn2_b64 vcc, exec, s[18:19]
	s_cbranch_vccnz .LBB240_1801
; %bb.1794:
	global_load_ubyte v3, v[18:19], off
	s_movk_i32 s18, 0x7f
	s_waitcnt vmcnt(0)
	v_cmp_lt_i16_e32 vcc, s18, v3
	s_mov_b64 s[18:19], 0
	s_and_saveexec_b64 s[20:21], vcc
	s_xor_b64 s[20:21], exec, s[20:21]
	s_cbranch_execz .LBB240_1814
; %bb.1795:
	s_movk_i32 s18, 0x80
	v_cmp_eq_u16_e32 vcc, s18, v3
	s_mov_b64 s[18:19], -1
	s_and_saveexec_b64 s[22:23], vcc
; %bb.1796:
	s_xor_b64 s[18:19], exec, -1
; %bb.1797:
	s_or_b64 exec, exec, s[22:23]
	s_and_b64 s[18:19], s[18:19], exec
	s_or_saveexec_b64 s[20:21], s[20:21]
	v_mov_b32_e32 v5, 0x7f800001
	s_xor_b64 exec, exec, s[20:21]
	s_cbranch_execnz .LBB240_1815
.LBB240_1798:
	s_or_b64 exec, exec, s[20:21]
	s_and_saveexec_b64 s[20:21], s[18:19]
	s_cbranch_execz .LBB240_1800
.LBB240_1799:
	v_lshlrev_b32_e32 v5, 24, v3
	v_and_b32_e32 v3, 0xffff, v3
	v_and_b32_e32 v8, 7, v3
	v_ffbh_u32_e32 v12, v8
	v_min_u32_e32 v12, 32, v12
	v_subrev_u32_e32 v14, 28, v12
	v_bfe_u32 v10, v3, 3, 4
	v_lshlrev_b32_e32 v3, v14, v3
	v_sub_u32_e32 v12, 29, v12
	v_and_b32_e32 v3, 7, v3
	v_cmp_eq_u32_e32 vcc, 0, v10
	v_cndmask_b32_e32 v10, v10, v12, vcc
	v_cndmask_b32_e32 v3, v8, v3, vcc
	v_mov_b32_e32 v8, 0x3b800000
	v_lshlrev_b32_e32 v3, 20, v3
	v_and_b32_e32 v5, 0x80000000, v5
	v_lshl_add_u32 v8, v10, 23, v8
	v_or3_b32 v5, v5, v8, v3
.LBB240_1800:
	s_or_b64 exec, exec, s[20:21]
	v_bfe_u32 v3, v5, 16, 1
	s_movk_i32 s18, 0x7fff
	v_add3_u32 v3, v5, v3, s18
	v_cmp_o_f32_e32 vcc, v5, v5
	v_mov_b32_e32 v5, 0x7fc0
	v_cndmask_b32_sdwa v3, v5, v3, vcc dst_sel:DWORD dst_unused:UNUSED_PAD src0_sel:DWORD src1_sel:WORD_1
.LBB240_1801:
	s_mov_b64 s[18:19], -1
.LBB240_1802:
	s_branch .LBB240_1835
.LBB240_1803:
	s_cmp_gt_i32 s26, 22
	s_cbranch_scc0 .LBB240_1813
; %bb.1804:
	s_cmp_lt_i32 s26, 24
	s_cbranch_scc1 .LBB240_1816
; %bb.1805:
	s_cmp_gt_i32 s26, 24
	s_cbranch_scc0 .LBB240_1817
; %bb.1806:
	global_load_ubyte v3, v[18:19], off
	s_movk_i32 s16, 0x7f
	s_waitcnt vmcnt(0)
	v_cmp_lt_i16_e32 vcc, s16, v3
	s_mov_b64 s[16:17], 0
	s_and_saveexec_b64 s[18:19], vcc
	s_xor_b64 s[18:19], exec, s[18:19]
	s_cbranch_execz .LBB240_1829
; %bb.1807:
	s_movk_i32 s16, 0x80
	v_cmp_eq_u16_e32 vcc, s16, v3
	s_mov_b64 s[16:17], -1
	s_and_saveexec_b64 s[20:21], vcc
; %bb.1808:
	s_xor_b64 s[16:17], exec, -1
; %bb.1809:
	s_or_b64 exec, exec, s[20:21]
	s_and_b64 s[16:17], s[16:17], exec
	s_or_saveexec_b64 s[18:19], s[18:19]
	v_mov_b32_e32 v5, 0x7f800001
	s_xor_b64 exec, exec, s[18:19]
	s_cbranch_execnz .LBB240_1830
.LBB240_1810:
	s_or_b64 exec, exec, s[18:19]
	s_and_saveexec_b64 s[18:19], s[16:17]
	s_cbranch_execz .LBB240_1812
.LBB240_1811:
	v_lshlrev_b32_e32 v5, 24, v3
	v_and_b32_e32 v3, 0xffff, v3
	v_and_b32_e32 v8, 3, v3
	v_ffbh_u32_e32 v12, v8
	v_min_u32_e32 v12, 32, v12
	v_subrev_u32_e32 v14, 29, v12
	v_bfe_u32 v10, v3, 2, 5
	v_lshlrev_b32_e32 v3, v14, v3
	v_sub_u32_e32 v12, 30, v12
	v_and_b32_e32 v3, 3, v3
	v_cmp_eq_u32_e32 vcc, 0, v10
	v_cndmask_b32_e32 v10, v10, v12, vcc
	v_cndmask_b32_e32 v3, v8, v3, vcc
	v_mov_b32_e32 v8, 0x37800000
	v_lshlrev_b32_e32 v3, 21, v3
	v_and_b32_e32 v5, 0x80000000, v5
	v_lshl_add_u32 v8, v10, 23, v8
	v_or3_b32 v5, v5, v8, v3
.LBB240_1812:
	s_or_b64 exec, exec, s[18:19]
	v_bfe_u32 v3, v5, 16, 1
	s_movk_i32 s16, 0x7fff
	v_add3_u32 v3, v5, v3, s16
	v_cmp_o_f32_e32 vcc, v5, v5
	v_mov_b32_e32 v5, 0x7fc0
	v_cndmask_b32_sdwa v3, v5, v3, vcc dst_sel:DWORD dst_unused:UNUSED_PAD src0_sel:DWORD src1_sel:WORD_1
	s_mov_b64 s[16:17], 0
	s_branch .LBB240_1818
.LBB240_1813:
	s_mov_b64 s[16:17], -1
                                        ; implicit-def: $vgpr3
	s_branch .LBB240_1824
.LBB240_1814:
	s_or_saveexec_b64 s[20:21], s[20:21]
	v_mov_b32_e32 v5, 0x7f800001
	s_xor_b64 exec, exec, s[20:21]
	s_cbranch_execz .LBB240_1798
.LBB240_1815:
	v_cmp_ne_u16_e32 vcc, 0, v3
	s_andn2_b64 s[18:19], s[18:19], exec
	s_and_b64 s[22:23], vcc, exec
	v_mov_b32_e32 v5, 0
	s_or_b64 s[18:19], s[18:19], s[22:23]
	s_or_b64 exec, exec, s[20:21]
	s_and_saveexec_b64 s[20:21], s[18:19]
	s_cbranch_execnz .LBB240_1799
	s_branch .LBB240_1800
.LBB240_1816:
	s_mov_b64 s[16:17], -1
                                        ; implicit-def: $vgpr3
	s_branch .LBB240_1821
.LBB240_1817:
	s_mov_b64 s[16:17], -1
                                        ; implicit-def: $vgpr3
.LBB240_1818:
	s_and_b64 vcc, exec, s[16:17]
	s_cbranch_vccz .LBB240_1820
; %bb.1819:
	global_load_ubyte v3, v[18:19], off
	s_mov_b32 s16, 0x7f800000
	s_brev_b32 s17, 1
	s_movk_i32 s18, 0x7fff
	s_waitcnt vmcnt(0)
	v_lshlrev_b32_e32 v3, 24, v3
	v_and_b32_e32 v5, 0x7f000000, v3
	v_ffbh_u32_e32 v8, v5
	v_min_u32_e32 v8, 32, v8
	v_sub_u32_e64 v8, v8, 4 clamp
	v_lshlrev_b32_e32 v12, v8, v5
	v_lshlrev_b32_e32 v8, 23, v8
	v_lshrrev_b32_e32 v12, 4, v12
	v_add_u32_e32 v10, 0x1000000, v5
	v_sub_u32_e32 v8, v12, v8
	v_ashrrev_i32_e32 v10, 8, v10
	v_add_u32_e32 v8, 0x3c000000, v8
	v_and_or_b32 v8, v10, s16, v8
	v_cmp_ne_u32_e32 vcc, 0, v5
	v_cndmask_b32_e32 v5, 0, v8, vcc
	v_and_or_b32 v3, v3, s17, v5
	v_bfe_u32 v5, v5, 16, 1
	v_add3_u32 v5, v3, v5, s18
	v_cmp_o_f32_e32 vcc, v3, v3
	v_mov_b32_e32 v3, 0x7fc0
	v_cndmask_b32_sdwa v3, v3, v5, vcc dst_sel:DWORD dst_unused:UNUSED_PAD src0_sel:DWORD src1_sel:WORD_1
.LBB240_1820:
	s_mov_b64 s[16:17], 0
.LBB240_1821:
	s_andn2_b64 vcc, exec, s[16:17]
	s_cbranch_vccnz .LBB240_1823
; %bb.1822:
	global_load_ubyte v3, v[18:19], off
	s_movk_i32 s16, 0x7f00
	s_brev_b32 s17, 16
	s_brev_b32 s18, 1
	s_movk_i32 s19, 0x7fff
	s_waitcnt vmcnt(0)
	v_lshlrev_b16_e32 v5, 8, v3
	v_lshlrev_b32_e32 v3, 25, v3
	v_lshrrev_b32_e32 v8, 4, v3
	v_and_or_b32 v10, v5, s16, 0.5
	v_or_b32_e32 v8, 0x70000000, v8
	v_add_f32_e32 v10, -0.5, v10
	v_mul_f32_e32 v8, 0x7800000, v8
	v_cmp_gt_u32_e32 vcc, s17, v3
	v_bfe_i32 v5, v5, 0, 16
	v_cndmask_b32_e32 v3, v8, v10, vcc
	v_and_or_b32 v5, v5, s18, v3
	v_bfe_u32 v3, v3, 16, 1
	v_add3_u32 v3, v5, v3, s19
	v_cmp_o_f32_e32 vcc, v5, v5
	v_mov_b32_e32 v5, 0x7fc0
	v_cndmask_b32_sdwa v3, v5, v3, vcc dst_sel:DWORD dst_unused:UNUSED_PAD src0_sel:DWORD src1_sel:WORD_1
.LBB240_1823:
	s_mov_b64 s[16:17], 0
	s_mov_b64 s[18:19], -1
.LBB240_1824:
	s_andn2_b64 vcc, exec, s[16:17]
	s_mov_b64 s[16:17], 0
	s_cbranch_vccnz .LBB240_1835
; %bb.1825:
	s_cmp_gt_i32 s26, 14
	s_cbranch_scc0 .LBB240_1828
; %bb.1826:
	s_cmp_eq_u32 s26, 15
	s_cbranch_scc0 .LBB240_1831
; %bb.1827:
	global_load_ushort v3, v[18:19], off
	s_mov_b64 s[6:7], 0
	s_mov_b64 s[18:19], -1
	s_branch .LBB240_1832
.LBB240_1828:
	s_mov_b64 s[20:21], -1
                                        ; implicit-def: $vgpr3
	s_branch .LBB240_1833
.LBB240_1829:
	s_or_saveexec_b64 s[18:19], s[18:19]
	v_mov_b32_e32 v5, 0x7f800001
	s_xor_b64 exec, exec, s[18:19]
	s_cbranch_execz .LBB240_1810
.LBB240_1830:
	v_cmp_ne_u16_e32 vcc, 0, v3
	s_andn2_b64 s[16:17], s[16:17], exec
	s_and_b64 s[20:21], vcc, exec
	v_mov_b32_e32 v5, 0
	s_or_b64 s[16:17], s[16:17], s[20:21]
	s_or_b64 exec, exec, s[18:19]
	s_and_saveexec_b64 s[18:19], s[16:17]
	s_cbranch_execnz .LBB240_1811
	s_branch .LBB240_1812
.LBB240_1831:
	s_mov_b64 s[6:7], -1
                                        ; implicit-def: $vgpr3
.LBB240_1832:
	s_mov_b64 s[20:21], 0
.LBB240_1833:
	s_and_b64 vcc, exec, s[20:21]
	s_cbranch_vccz .LBB240_1835
; %bb.1834:
	s_cmp_lg_u32 s26, 11
	s_mov_b64 s[16:17], -1
	s_cselect_b64 s[6:7], -1, 0
.LBB240_1835:
	s_and_b64 vcc, exec, s[6:7]
	s_cbranch_vccnz .LBB240_1898
; %bb.1836:
	s_andn2_b64 vcc, exec, s[16:17]
	s_cbranch_vccnz .LBB240_1838
.LBB240_1837:
	global_load_ubyte v3, v[18:19], off
	s_mov_b64 s[18:19], -1
	s_waitcnt vmcnt(0)
	v_cmp_ne_u16_e32 vcc, 0, v3
	v_cndmask_b32_e64 v3, 0, 1.0, vcc
	v_lshrrev_b32_e32 v3, 16, v3
.LBB240_1838:
	s_branch .LBB240_1765
.LBB240_1839:
	s_and_b32 s16, 0xffff, s24
	s_cmp_lt_i32 s16, 5
	s_cbranch_scc1 .LBB240_1844
; %bb.1840:
	s_cmp_lt_i32 s16, 8
	s_cbranch_scc1 .LBB240_1845
; %bb.1841:
	;; [unrolled: 3-line block ×3, first 2 shown]
	s_cmp_gt_i32 s16, 9
	s_cbranch_scc0 .LBB240_1847
; %bb.1843:
	global_load_dwordx2 v[20:21], v[18:19], off
	s_movk_i32 s6, 0x7fff
	v_mov_b32_e32 v5, 0x7fc0
	s_waitcnt vmcnt(0)
	v_cvt_f32_f64_e32 v3, v[20:21]
	v_bfe_u32 v8, v3, 16, 1
	v_cmp_o_f32_e32 vcc, v3, v3
	v_add3_u32 v3, v3, v8, s6
	v_cndmask_b32_sdwa v3, v5, v3, vcc dst_sel:DWORD dst_unused:UNUSED_PAD src0_sel:DWORD src1_sel:WORD_1
	s_mov_b64 s[6:7], 0
	s_branch .LBB240_1848
.LBB240_1844:
                                        ; implicit-def: $vgpr3
	s_branch .LBB240_1866
.LBB240_1845:
	s_mov_b64 s[6:7], -1
                                        ; implicit-def: $vgpr3
	s_branch .LBB240_1854
.LBB240_1846:
	s_mov_b64 s[6:7], -1
                                        ; implicit-def: $vgpr3
	s_branch .LBB240_1851
.LBB240_1847:
	s_mov_b64 s[6:7], -1
                                        ; implicit-def: $vgpr3
.LBB240_1848:
	s_andn2_b64 vcc, exec, s[6:7]
	s_cbranch_vccnz .LBB240_1850
; %bb.1849:
	global_load_dword v3, v[18:19], off
	s_movk_i32 s6, 0x7fff
	v_mov_b32_e32 v5, 0x7fc0
	s_waitcnt vmcnt(0)
	v_bfe_u32 v8, v3, 16, 1
	v_cmp_o_f32_e32 vcc, v3, v3
	v_add3_u32 v3, v3, v8, s6
	v_cndmask_b32_sdwa v3, v5, v3, vcc dst_sel:DWORD dst_unused:UNUSED_PAD src0_sel:DWORD src1_sel:WORD_1
.LBB240_1850:
	s_mov_b64 s[6:7], 0
.LBB240_1851:
	s_andn2_b64 vcc, exec, s[6:7]
	s_cbranch_vccnz .LBB240_1853
; %bb.1852:
	global_load_dword v3, v[18:19], off
	s_movk_i32 s6, 0x7fff
	v_mov_b32_e32 v8, 0x7fc0
	s_waitcnt vmcnt(0)
	v_cvt_f32_f16_e32 v5, v3
	v_cmp_o_f16_e32 vcc, v3, v3
	v_bfe_u32 v3, v5, 16, 1
	v_add3_u32 v3, v5, v3, s6
	v_cndmask_b32_sdwa v3, v8, v3, vcc dst_sel:DWORD dst_unused:UNUSED_PAD src0_sel:DWORD src1_sel:WORD_1
.LBB240_1853:
	s_mov_b64 s[6:7], 0
.LBB240_1854:
	s_andn2_b64 vcc, exec, s[6:7]
	s_cbranch_vccnz .LBB240_1865
; %bb.1855:
	s_cmp_lt_i32 s16, 6
	s_cbranch_scc1 .LBB240_1858
; %bb.1856:
	s_cmp_gt_i32 s16, 6
	s_cbranch_scc0 .LBB240_1859
; %bb.1857:
	global_load_dwordx2 v[20:21], v[18:19], off
	s_movk_i32 s6, 0x7fff
	v_mov_b32_e32 v5, 0x7fc0
	s_waitcnt vmcnt(0)
	v_cvt_f32_f64_e32 v3, v[20:21]
	v_bfe_u32 v8, v3, 16, 1
	v_cmp_o_f32_e32 vcc, v3, v3
	v_add3_u32 v3, v3, v8, s6
	v_cndmask_b32_sdwa v3, v5, v3, vcc dst_sel:DWORD dst_unused:UNUSED_PAD src0_sel:DWORD src1_sel:WORD_1
	s_mov_b64 s[6:7], 0
	s_branch .LBB240_1860
.LBB240_1858:
	s_mov_b64 s[6:7], -1
                                        ; implicit-def: $vgpr3
	s_branch .LBB240_1863
.LBB240_1859:
	s_mov_b64 s[6:7], -1
                                        ; implicit-def: $vgpr3
.LBB240_1860:
	s_andn2_b64 vcc, exec, s[6:7]
	s_cbranch_vccnz .LBB240_1862
; %bb.1861:
	global_load_dword v3, v[18:19], off
	s_movk_i32 s6, 0x7fff
	v_mov_b32_e32 v5, 0x7fc0
	s_waitcnt vmcnt(0)
	v_bfe_u32 v8, v3, 16, 1
	v_cmp_o_f32_e32 vcc, v3, v3
	v_add3_u32 v3, v3, v8, s6
	v_cndmask_b32_sdwa v3, v5, v3, vcc dst_sel:DWORD dst_unused:UNUSED_PAD src0_sel:DWORD src1_sel:WORD_1
.LBB240_1862:
	s_mov_b64 s[6:7], 0
.LBB240_1863:
	s_andn2_b64 vcc, exec, s[6:7]
	s_cbranch_vccnz .LBB240_1865
; %bb.1864:
	global_load_ushort v3, v[18:19], off
	s_movk_i32 s6, 0x7fff
	v_mov_b32_e32 v8, 0x7fc0
	s_waitcnt vmcnt(0)
	v_cvt_f32_f16_e32 v5, v3
	v_cmp_o_f16_e32 vcc, v3, v3
	v_bfe_u32 v3, v5, 16, 1
	v_add3_u32 v3, v5, v3, s6
	v_cndmask_b32_sdwa v3, v8, v3, vcc dst_sel:DWORD dst_unused:UNUSED_PAD src0_sel:DWORD src1_sel:WORD_1
.LBB240_1865:
	s_cbranch_execnz .LBB240_1885
.LBB240_1866:
	s_cmp_lt_i32 s16, 2
	s_cbranch_scc1 .LBB240_1870
; %bb.1867:
	s_cmp_lt_i32 s16, 3
	s_cbranch_scc1 .LBB240_1871
; %bb.1868:
	s_cmp_gt_i32 s16, 3
	s_cbranch_scc0 .LBB240_1872
; %bb.1869:
	global_load_dwordx2 v[20:21], v[18:19], off
	s_movk_i32 s6, 0x7fff
	s_waitcnt vmcnt(0)
	v_xor_b32_e32 v5, v20, v21
	v_ffbh_i32_e32 v3, v21
	v_ashrrev_i32_e32 v5, 31, v5
	v_add_u32_e32 v3, -1, v3
	v_add_u32_e32 v5, 32, v5
	v_min_u32_e32 v3, v3, v5
	v_lshlrev_b64 v[20:21], v3, v[20:21]
	v_sub_u32_e32 v3, 32, v3
	v_min_u32_e32 v5, 1, v20
	v_or_b32_e32 v5, v21, v5
	v_cvt_f32_i32_e32 v5, v5
	v_ldexp_f32 v3, v5, v3
	v_bfe_u32 v5, v3, 16, 1
	v_add3_u32 v3, v3, v5, s6
	v_lshrrev_b32_e32 v3, 16, v3
	s_mov_b64 s[6:7], 0
	s_branch .LBB240_1873
.LBB240_1870:
	s_mov_b64 s[6:7], -1
                                        ; implicit-def: $vgpr3
	s_branch .LBB240_1879
.LBB240_1871:
	s_mov_b64 s[6:7], -1
                                        ; implicit-def: $vgpr3
	s_branch .LBB240_1876
.LBB240_1872:
	s_mov_b64 s[6:7], -1
                                        ; implicit-def: $vgpr3
.LBB240_1873:
	s_andn2_b64 vcc, exec, s[6:7]
	s_cbranch_vccnz .LBB240_1875
; %bb.1874:
	global_load_dword v3, v[18:19], off
	s_movk_i32 s6, 0x7fff
	s_waitcnt vmcnt(0)
	v_cvt_f32_i32_e32 v3, v3
	v_bfe_u32 v5, v3, 16, 1
	v_add3_u32 v3, v3, v5, s6
	v_lshrrev_b32_e32 v3, 16, v3
.LBB240_1875:
	s_mov_b64 s[6:7], 0
.LBB240_1876:
	s_andn2_b64 vcc, exec, s[6:7]
	s_cbranch_vccnz .LBB240_1878
; %bb.1877:
	global_load_sshort v3, v[18:19], off
	s_movk_i32 s6, 0x7fff
	s_waitcnt vmcnt(0)
	v_cvt_f32_i32_e32 v3, v3
	v_bfe_u32 v5, v3, 16, 1
	v_add3_u32 v3, v3, v5, s6
	v_lshrrev_b32_e32 v3, 16, v3
.LBB240_1878:
	s_mov_b64 s[6:7], 0
.LBB240_1879:
	s_andn2_b64 vcc, exec, s[6:7]
	s_cbranch_vccnz .LBB240_1885
; %bb.1880:
	s_cmp_gt_i32 s16, 0
	s_cbranch_scc0 .LBB240_1882
; %bb.1881:
	global_load_sbyte v3, v[18:19], off
	s_movk_i32 s6, 0x7fff
	s_waitcnt vmcnt(0)
	v_cvt_f32_i32_e32 v3, v3
	v_bfe_u32 v5, v3, 16, 1
	v_add3_u32 v3, v3, v5, s6
	v_lshrrev_b32_e32 v3, 16, v3
	s_mov_b64 s[6:7], 0
	s_branch .LBB240_1883
.LBB240_1882:
	s_mov_b64 s[6:7], -1
                                        ; implicit-def: $vgpr3
.LBB240_1883:
	s_andn2_b64 vcc, exec, s[6:7]
	s_cbranch_vccnz .LBB240_1885
; %bb.1884:
	global_load_ubyte v3, v[18:19], off
	s_movk_i32 s6, 0x7fff
	s_waitcnt vmcnt(0)
	v_cvt_f32_ubyte0_e32 v3, v3
	v_bfe_u32 v5, v3, 16, 1
	v_add3_u32 v3, v3, v5, s6
	v_lshrrev_b32_e32 v3, 16, v3
.LBB240_1885:
.LBB240_1886:
	s_lshr_b32 s6, s25, 8
	v_mov_b32_e32 v5, s11
	s_and_b32 s24, s6, 0xff
	v_add_co_u32_e32 v16, vcc, s10, v17
	s_cmp_lt_i32 s24, 11
	v_addc_co_u32_e32 v17, vcc, 0, v5, vcc
	s_cbranch_scc1 .LBB240_1893
; %bb.1887:
	s_and_b32 s26, 0xffff, s24
	s_cmp_gt_i32 s26, 25
	s_mov_b64 s[16:17], 0
	s_cbranch_scc0 .LBB240_1895
; %bb.1888:
	s_cmp_gt_i32 s26, 28
	s_cbranch_scc0 .LBB240_1896
; %bb.1889:
	s_cmp_gt_i32 s26, 43
	s_cbranch_scc0 .LBB240_1897
; %bb.1890:
	s_cmp_gt_i32 s26, 45
	s_cbranch_scc0 .LBB240_1899
; %bb.1891:
	s_cmp_eq_u32 s26, 46
	s_mov_b64 s[20:21], 0
	s_cbranch_scc0 .LBB240_1900
; %bb.1892:
	global_load_dword v18, v[16:17], off
	s_mov_b64 s[6:7], 0
	s_mov_b64 s[18:19], -1
	s_branch .LBB240_1901
.LBB240_1893:
	s_mov_b64 s[18:19], 0
                                        ; implicit-def: $vgpr18
	s_cbranch_execnz .LBB240_1967
.LBB240_1894:
	s_andn2_b64 vcc, exec, s[18:19]
	s_cbranch_vccnz .LBB240_3100
	s_branch .LBB240_2015
.LBB240_1895:
	s_mov_b64 s[20:21], -1
	s_mov_b64 s[18:19], 0
	s_mov_b64 s[6:7], 0
                                        ; implicit-def: $vgpr18
	s_branch .LBB240_1930
.LBB240_1896:
	s_mov_b64 s[20:21], -1
	s_mov_b64 s[18:19], 0
	s_mov_b64 s[6:7], 0
                                        ; implicit-def: $vgpr18
	s_branch .LBB240_1911
.LBB240_1897:
	s_mov_b64 s[20:21], -1
	s_mov_b64 s[18:19], 0
	s_mov_b64 s[6:7], 0
                                        ; implicit-def: $vgpr18
	s_branch .LBB240_1906
.LBB240_1898:
	s_trap 2
	s_or_b64 s[4:5], s[4:5], exec
	s_cbranch_execz .LBB240_1837
	s_branch .LBB240_1838
.LBB240_1899:
	s_mov_b64 s[20:21], -1
	s_mov_b64 s[18:19], 0
	s_mov_b64 s[6:7], 0
                                        ; implicit-def: $vgpr18
	s_branch .LBB240_1901
.LBB240_1900:
	s_mov_b64 s[6:7], -1
                                        ; implicit-def: $vgpr18
	s_mov_b64 s[18:19], 0
.LBB240_1901:
	s_and_b64 vcc, exec, s[20:21]
	s_cbranch_vccz .LBB240_1905
; %bb.1902:
	s_cmp_eq_u32 s26, 44
	s_cbranch_scc0 .LBB240_1904
; %bb.1903:
	global_load_ubyte v5, v[16:17], off
	s_movk_i32 s18, 0xff
	v_mov_b32_e32 v8, 0x7f800001
	v_mov_b32_e32 v10, 0x400000
	;; [unrolled: 1-line block ×3, first 2 shown]
	s_mov_b64 s[6:7], 0
	s_waitcnt vmcnt(0)
	v_lshlrev_b32_e32 v14, 23, v5
	v_cmp_ne_u32_e32 vcc, s18, v5
	v_cndmask_b32_e32 v8, v8, v14, vcc
	v_cmp_ne_u32_e32 vcc, 0, v5
	v_cndmask_b32_e32 v5, v10, v8, vcc
	v_add_u32_e32 v8, 0x7fff, v5
	v_cmp_o_f32_e32 vcc, v5, v5
	v_cndmask_b32_sdwa v18, v12, v8, vcc dst_sel:DWORD dst_unused:UNUSED_PAD src0_sel:DWORD src1_sel:WORD_1
	s_mov_b64 s[18:19], -1
	s_branch .LBB240_1905
.LBB240_1904:
	s_mov_b64 s[6:7], -1
                                        ; implicit-def: $vgpr18
.LBB240_1905:
	s_mov_b64 s[20:21], 0
.LBB240_1906:
	s_and_b64 vcc, exec, s[20:21]
	s_cbranch_vccz .LBB240_1910
; %bb.1907:
	s_cmp_eq_u32 s26, 29
	s_cbranch_scc0 .LBB240_1909
; %bb.1908:
	global_load_dwordx2 v[18:19], v[16:17], off
	s_movk_i32 s18, 0x7fff
	s_mov_b64 s[6:7], 0
	s_mov_b64 s[20:21], 0
	s_waitcnt vmcnt(0)
	v_ffbh_u32_e32 v5, v19
	v_min_u32_e32 v5, 32, v5
	v_lshlrev_b64 v[18:19], v5, v[18:19]
	v_sub_u32_e32 v5, 32, v5
	v_min_u32_e32 v8, 1, v18
	v_or_b32_e32 v8, v19, v8
	v_cvt_f32_u32_e32 v8, v8
	v_ldexp_f32 v5, v8, v5
	v_bfe_u32 v8, v5, 16, 1
	v_add3_u32 v5, v5, v8, s18
	v_lshrrev_b32_e32 v18, 16, v5
	s_mov_b64 s[18:19], -1
	s_branch .LBB240_1911
.LBB240_1909:
	s_mov_b64 s[6:7], -1
                                        ; implicit-def: $vgpr18
.LBB240_1910:
	s_mov_b64 s[20:21], 0
.LBB240_1911:
	s_and_b64 vcc, exec, s[20:21]
	s_cbranch_vccz .LBB240_1929
; %bb.1912:
	s_cmp_lt_i32 s26, 27
	s_cbranch_scc1 .LBB240_1915
; %bb.1913:
	s_cmp_gt_i32 s26, 27
	s_cbranch_scc0 .LBB240_1916
; %bb.1914:
	global_load_dword v5, v[16:17], off
	s_movk_i32 s18, 0x7fff
	s_waitcnt vmcnt(0)
	v_cvt_f32_u32_e32 v5, v5
	v_bfe_u32 v8, v5, 16, 1
	v_add3_u32 v5, v5, v8, s18
	v_lshrrev_b32_e32 v18, 16, v5
	s_mov_b64 s[18:19], 0
	s_branch .LBB240_1917
.LBB240_1915:
	s_mov_b64 s[18:19], -1
                                        ; implicit-def: $vgpr18
	s_branch .LBB240_1920
.LBB240_1916:
	s_mov_b64 s[18:19], -1
                                        ; implicit-def: $vgpr18
.LBB240_1917:
	s_andn2_b64 vcc, exec, s[18:19]
	s_cbranch_vccnz .LBB240_1919
; %bb.1918:
	global_load_ushort v5, v[16:17], off
	s_movk_i32 s18, 0x7fff
	s_waitcnt vmcnt(0)
	v_cvt_f32_u32_e32 v5, v5
	v_bfe_u32 v8, v5, 16, 1
	v_add3_u32 v5, v5, v8, s18
	v_lshrrev_b32_e32 v18, 16, v5
.LBB240_1919:
	s_mov_b64 s[18:19], 0
.LBB240_1920:
	s_andn2_b64 vcc, exec, s[18:19]
	s_cbranch_vccnz .LBB240_1928
; %bb.1921:
	global_load_ubyte v5, v[16:17], off
	s_movk_i32 s18, 0x7f
	s_waitcnt vmcnt(0)
	v_cmp_lt_i16_e32 vcc, s18, v5
	s_mov_b64 s[18:19], 0
	s_and_saveexec_b64 s[20:21], vcc
	s_xor_b64 s[20:21], exec, s[20:21]
	s_cbranch_execz .LBB240_1942
; %bb.1922:
	s_movk_i32 s18, 0x80
	v_cmp_eq_u16_e32 vcc, s18, v5
	s_mov_b64 s[18:19], -1
	s_and_saveexec_b64 s[22:23], vcc
; %bb.1923:
	s_xor_b64 s[18:19], exec, -1
; %bb.1924:
	s_or_b64 exec, exec, s[22:23]
	s_and_b64 s[18:19], s[18:19], exec
	s_or_saveexec_b64 s[20:21], s[20:21]
	v_mov_b32_e32 v8, 0x7f800001
	s_xor_b64 exec, exec, s[20:21]
	s_cbranch_execnz .LBB240_1943
.LBB240_1925:
	s_or_b64 exec, exec, s[20:21]
	s_and_saveexec_b64 s[20:21], s[18:19]
	s_cbranch_execz .LBB240_1927
.LBB240_1926:
	v_lshlrev_b32_e32 v8, 24, v5
	v_and_b32_e32 v5, 0xffff, v5
	v_and_b32_e32 v10, 7, v5
	v_ffbh_u32_e32 v14, v10
	v_min_u32_e32 v14, 32, v14
	v_subrev_u32_e32 v18, 28, v14
	v_bfe_u32 v12, v5, 3, 4
	v_lshlrev_b32_e32 v5, v18, v5
	v_sub_u32_e32 v14, 29, v14
	v_and_b32_e32 v5, 7, v5
	v_cmp_eq_u32_e32 vcc, 0, v12
	v_cndmask_b32_e32 v12, v12, v14, vcc
	v_cndmask_b32_e32 v5, v10, v5, vcc
	v_mov_b32_e32 v10, 0x3b800000
	v_lshlrev_b32_e32 v5, 20, v5
	v_and_b32_e32 v8, 0x80000000, v8
	v_lshl_add_u32 v10, v12, 23, v10
	v_or3_b32 v8, v8, v10, v5
.LBB240_1927:
	s_or_b64 exec, exec, s[20:21]
	v_bfe_u32 v5, v8, 16, 1
	s_movk_i32 s18, 0x7fff
	v_add3_u32 v5, v8, v5, s18
	v_cmp_o_f32_e32 vcc, v8, v8
	v_mov_b32_e32 v8, 0x7fc0
	v_cndmask_b32_sdwa v18, v8, v5, vcc dst_sel:DWORD dst_unused:UNUSED_PAD src0_sel:DWORD src1_sel:WORD_1
.LBB240_1928:
	s_mov_b64 s[18:19], -1
.LBB240_1929:
	s_mov_b64 s[20:21], 0
.LBB240_1930:
	s_and_b64 vcc, exec, s[20:21]
	s_cbranch_vccz .LBB240_1963
; %bb.1931:
	s_cmp_gt_i32 s26, 22
	s_cbranch_scc0 .LBB240_1941
; %bb.1932:
	s_cmp_lt_i32 s26, 24
	s_cbranch_scc1 .LBB240_1944
; %bb.1933:
	s_cmp_gt_i32 s26, 24
	s_cbranch_scc0 .LBB240_1945
; %bb.1934:
	global_load_ubyte v5, v[16:17], off
	s_movk_i32 s16, 0x7f
	s_waitcnt vmcnt(0)
	v_cmp_lt_i16_e32 vcc, s16, v5
	s_mov_b64 s[16:17], 0
	s_and_saveexec_b64 s[18:19], vcc
	s_xor_b64 s[18:19], exec, s[18:19]
	s_cbranch_execz .LBB240_1957
; %bb.1935:
	s_movk_i32 s16, 0x80
	v_cmp_eq_u16_e32 vcc, s16, v5
	s_mov_b64 s[16:17], -1
	s_and_saveexec_b64 s[20:21], vcc
; %bb.1936:
	s_xor_b64 s[16:17], exec, -1
; %bb.1937:
	s_or_b64 exec, exec, s[20:21]
	s_and_b64 s[16:17], s[16:17], exec
	s_or_saveexec_b64 s[18:19], s[18:19]
	v_mov_b32_e32 v8, 0x7f800001
	s_xor_b64 exec, exec, s[18:19]
	s_cbranch_execnz .LBB240_1958
.LBB240_1938:
	s_or_b64 exec, exec, s[18:19]
	s_and_saveexec_b64 s[18:19], s[16:17]
	s_cbranch_execz .LBB240_1940
.LBB240_1939:
	v_lshlrev_b32_e32 v8, 24, v5
	v_and_b32_e32 v5, 0xffff, v5
	v_and_b32_e32 v10, 3, v5
	v_ffbh_u32_e32 v14, v10
	v_min_u32_e32 v14, 32, v14
	v_subrev_u32_e32 v18, 29, v14
	v_bfe_u32 v12, v5, 2, 5
	v_lshlrev_b32_e32 v5, v18, v5
	v_sub_u32_e32 v14, 30, v14
	v_and_b32_e32 v5, 3, v5
	v_cmp_eq_u32_e32 vcc, 0, v12
	v_cndmask_b32_e32 v12, v12, v14, vcc
	v_cndmask_b32_e32 v5, v10, v5, vcc
	v_mov_b32_e32 v10, 0x37800000
	v_lshlrev_b32_e32 v5, 21, v5
	v_and_b32_e32 v8, 0x80000000, v8
	v_lshl_add_u32 v10, v12, 23, v10
	v_or3_b32 v8, v8, v10, v5
.LBB240_1940:
	s_or_b64 exec, exec, s[18:19]
	v_bfe_u32 v5, v8, 16, 1
	s_movk_i32 s16, 0x7fff
	v_add3_u32 v5, v8, v5, s16
	v_cmp_o_f32_e32 vcc, v8, v8
	v_mov_b32_e32 v8, 0x7fc0
	v_cndmask_b32_sdwa v18, v8, v5, vcc dst_sel:DWORD dst_unused:UNUSED_PAD src0_sel:DWORD src1_sel:WORD_1
	s_mov_b64 s[16:17], 0
	s_branch .LBB240_1946
.LBB240_1941:
	s_mov_b64 s[16:17], -1
                                        ; implicit-def: $vgpr18
	s_branch .LBB240_1952
.LBB240_1942:
	s_or_saveexec_b64 s[20:21], s[20:21]
	v_mov_b32_e32 v8, 0x7f800001
	s_xor_b64 exec, exec, s[20:21]
	s_cbranch_execz .LBB240_1925
.LBB240_1943:
	v_cmp_ne_u16_e32 vcc, 0, v5
	s_andn2_b64 s[18:19], s[18:19], exec
	s_and_b64 s[22:23], vcc, exec
	v_mov_b32_e32 v8, 0
	s_or_b64 s[18:19], s[18:19], s[22:23]
	s_or_b64 exec, exec, s[20:21]
	s_and_saveexec_b64 s[20:21], s[18:19]
	s_cbranch_execnz .LBB240_1926
	s_branch .LBB240_1927
.LBB240_1944:
	s_mov_b64 s[16:17], -1
                                        ; implicit-def: $vgpr18
	s_branch .LBB240_1949
.LBB240_1945:
	s_mov_b64 s[16:17], -1
                                        ; implicit-def: $vgpr18
.LBB240_1946:
	s_and_b64 vcc, exec, s[16:17]
	s_cbranch_vccz .LBB240_1948
; %bb.1947:
	global_load_ubyte v5, v[16:17], off
	s_mov_b32 s16, 0x7f800000
	s_brev_b32 s17, 1
	s_movk_i32 s18, 0x7fff
	s_waitcnt vmcnt(0)
	v_lshlrev_b32_e32 v5, 24, v5
	v_and_b32_e32 v8, 0x7f000000, v5
	v_ffbh_u32_e32 v10, v8
	v_min_u32_e32 v10, 32, v10
	v_sub_u32_e64 v10, v10, 4 clamp
	v_lshlrev_b32_e32 v14, v10, v8
	v_lshlrev_b32_e32 v10, 23, v10
	v_lshrrev_b32_e32 v14, 4, v14
	v_add_u32_e32 v12, 0x1000000, v8
	v_sub_u32_e32 v10, v14, v10
	v_ashrrev_i32_e32 v12, 8, v12
	v_add_u32_e32 v10, 0x3c000000, v10
	v_and_or_b32 v10, v12, s16, v10
	v_cmp_ne_u32_e32 vcc, 0, v8
	v_cndmask_b32_e32 v8, 0, v10, vcc
	v_and_or_b32 v5, v5, s17, v8
	v_bfe_u32 v8, v8, 16, 1
	v_add3_u32 v8, v5, v8, s18
	v_cmp_o_f32_e32 vcc, v5, v5
	v_mov_b32_e32 v5, 0x7fc0
	v_cndmask_b32_sdwa v18, v5, v8, vcc dst_sel:DWORD dst_unused:UNUSED_PAD src0_sel:DWORD src1_sel:WORD_1
.LBB240_1948:
	s_mov_b64 s[16:17], 0
.LBB240_1949:
	s_andn2_b64 vcc, exec, s[16:17]
	s_cbranch_vccnz .LBB240_1951
; %bb.1950:
	global_load_ubyte v5, v[16:17], off
	s_movk_i32 s16, 0x7f00
	s_brev_b32 s17, 16
	s_brev_b32 s18, 1
	s_movk_i32 s19, 0x7fff
	s_waitcnt vmcnt(0)
	v_lshlrev_b16_e32 v8, 8, v5
	v_lshlrev_b32_e32 v5, 25, v5
	v_lshrrev_b32_e32 v10, 4, v5
	v_and_or_b32 v12, v8, s16, 0.5
	v_or_b32_e32 v10, 0x70000000, v10
	v_add_f32_e32 v12, -0.5, v12
	v_mul_f32_e32 v10, 0x7800000, v10
	v_cmp_gt_u32_e32 vcc, s17, v5
	v_bfe_i32 v8, v8, 0, 16
	v_cndmask_b32_e32 v5, v10, v12, vcc
	v_and_or_b32 v8, v8, s18, v5
	v_bfe_u32 v5, v5, 16, 1
	v_add3_u32 v5, v8, v5, s19
	v_cmp_o_f32_e32 vcc, v8, v8
	v_mov_b32_e32 v8, 0x7fc0
	v_cndmask_b32_sdwa v18, v8, v5, vcc dst_sel:DWORD dst_unused:UNUSED_PAD src0_sel:DWORD src1_sel:WORD_1
.LBB240_1951:
	s_mov_b64 s[16:17], 0
	s_mov_b64 s[18:19], -1
.LBB240_1952:
	s_andn2_b64 vcc, exec, s[16:17]
	s_mov_b64 s[16:17], 0
	s_cbranch_vccnz .LBB240_1963
; %bb.1953:
	s_cmp_gt_i32 s26, 14
	s_cbranch_scc0 .LBB240_1956
; %bb.1954:
	s_cmp_eq_u32 s26, 15
	s_cbranch_scc0 .LBB240_1959
; %bb.1955:
	global_load_ushort v18, v[16:17], off
	s_mov_b64 s[6:7], 0
	s_mov_b64 s[18:19], -1
	s_branch .LBB240_1960
.LBB240_1956:
	s_mov_b64 s[20:21], -1
                                        ; implicit-def: $vgpr18
	s_branch .LBB240_1961
.LBB240_1957:
	s_or_saveexec_b64 s[18:19], s[18:19]
	v_mov_b32_e32 v8, 0x7f800001
	s_xor_b64 exec, exec, s[18:19]
	s_cbranch_execz .LBB240_1938
.LBB240_1958:
	v_cmp_ne_u16_e32 vcc, 0, v5
	s_andn2_b64 s[16:17], s[16:17], exec
	s_and_b64 s[20:21], vcc, exec
	v_mov_b32_e32 v8, 0
	s_or_b64 s[16:17], s[16:17], s[20:21]
	s_or_b64 exec, exec, s[18:19]
	s_and_saveexec_b64 s[18:19], s[16:17]
	s_cbranch_execnz .LBB240_1939
	s_branch .LBB240_1940
.LBB240_1959:
	s_mov_b64 s[6:7], -1
                                        ; implicit-def: $vgpr18
.LBB240_1960:
	s_mov_b64 s[20:21], 0
.LBB240_1961:
	s_and_b64 vcc, exec, s[20:21]
	s_cbranch_vccz .LBB240_1963
; %bb.1962:
	s_cmp_lg_u32 s26, 11
	s_mov_b64 s[16:17], -1
	s_cselect_b64 s[6:7], -1, 0
.LBB240_1963:
	s_and_b64 vcc, exec, s[6:7]
	s_cbranch_vccnz .LBB240_2026
; %bb.1964:
	s_andn2_b64 vcc, exec, s[16:17]
	s_cbranch_vccnz .LBB240_1966
.LBB240_1965:
	global_load_ubyte v5, v[16:17], off
	s_mov_b64 s[18:19], -1
	s_waitcnt vmcnt(0)
	v_cmp_ne_u16_e32 vcc, 0, v5
	v_cndmask_b32_e64 v5, 0, 1.0, vcc
	v_lshrrev_b32_e32 v18, 16, v5
.LBB240_1966:
	s_branch .LBB240_1894
.LBB240_1967:
	s_and_b32 s16, 0xffff, s24
	s_cmp_lt_i32 s16, 5
	s_cbranch_scc1 .LBB240_1972
; %bb.1968:
	s_cmp_lt_i32 s16, 8
	s_cbranch_scc1 .LBB240_1973
; %bb.1969:
	;; [unrolled: 3-line block ×3, first 2 shown]
	s_cmp_gt_i32 s16, 9
	s_cbranch_scc0 .LBB240_1975
; %bb.1971:
	global_load_dwordx2 v[18:19], v[16:17], off
	s_movk_i32 s6, 0x7fff
	v_mov_b32_e32 v8, 0x7fc0
	s_waitcnt vmcnt(0)
	v_cvt_f32_f64_e32 v5, v[18:19]
	v_bfe_u32 v10, v5, 16, 1
	v_cmp_o_f32_e32 vcc, v5, v5
	v_add3_u32 v5, v5, v10, s6
	v_cndmask_b32_sdwa v18, v8, v5, vcc dst_sel:DWORD dst_unused:UNUSED_PAD src0_sel:DWORD src1_sel:WORD_1
	s_mov_b64 s[6:7], 0
	s_branch .LBB240_1976
.LBB240_1972:
	s_mov_b64 s[6:7], -1
                                        ; implicit-def: $vgpr18
	s_branch .LBB240_1994
.LBB240_1973:
	s_mov_b64 s[6:7], -1
                                        ; implicit-def: $vgpr18
	s_branch .LBB240_1982
.LBB240_1974:
	s_mov_b64 s[6:7], -1
                                        ; implicit-def: $vgpr18
	s_branch .LBB240_1979
.LBB240_1975:
	s_mov_b64 s[6:7], -1
                                        ; implicit-def: $vgpr18
.LBB240_1976:
	s_andn2_b64 vcc, exec, s[6:7]
	s_cbranch_vccnz .LBB240_1978
; %bb.1977:
	global_load_dword v5, v[16:17], off
	s_movk_i32 s6, 0x7fff
	v_mov_b32_e32 v8, 0x7fc0
	s_waitcnt vmcnt(0)
	v_bfe_u32 v10, v5, 16, 1
	v_cmp_o_f32_e32 vcc, v5, v5
	v_add3_u32 v5, v5, v10, s6
	v_cndmask_b32_sdwa v18, v8, v5, vcc dst_sel:DWORD dst_unused:UNUSED_PAD src0_sel:DWORD src1_sel:WORD_1
.LBB240_1978:
	s_mov_b64 s[6:7], 0
.LBB240_1979:
	s_andn2_b64 vcc, exec, s[6:7]
	s_cbranch_vccnz .LBB240_1981
; %bb.1980:
	global_load_dword v5, v[16:17], off
	s_movk_i32 s6, 0x7fff
	v_mov_b32_e32 v10, 0x7fc0
	s_waitcnt vmcnt(0)
	v_cvt_f32_f16_e32 v8, v5
	v_cmp_o_f16_e32 vcc, v5, v5
	v_bfe_u32 v5, v8, 16, 1
	v_add3_u32 v5, v8, v5, s6
	v_cndmask_b32_sdwa v18, v10, v5, vcc dst_sel:DWORD dst_unused:UNUSED_PAD src0_sel:DWORD src1_sel:WORD_1
.LBB240_1981:
	s_mov_b64 s[6:7], 0
.LBB240_1982:
	s_andn2_b64 vcc, exec, s[6:7]
	s_cbranch_vccnz .LBB240_1993
; %bb.1983:
	s_cmp_lt_i32 s16, 6
	s_cbranch_scc1 .LBB240_1986
; %bb.1984:
	s_cmp_gt_i32 s16, 6
	s_cbranch_scc0 .LBB240_1987
; %bb.1985:
	global_load_dwordx2 v[18:19], v[16:17], off
	s_movk_i32 s6, 0x7fff
	v_mov_b32_e32 v8, 0x7fc0
	s_waitcnt vmcnt(0)
	v_cvt_f32_f64_e32 v5, v[18:19]
	v_bfe_u32 v10, v5, 16, 1
	v_cmp_o_f32_e32 vcc, v5, v5
	v_add3_u32 v5, v5, v10, s6
	v_cndmask_b32_sdwa v18, v8, v5, vcc dst_sel:DWORD dst_unused:UNUSED_PAD src0_sel:DWORD src1_sel:WORD_1
	s_mov_b64 s[6:7], 0
	s_branch .LBB240_1988
.LBB240_1986:
	s_mov_b64 s[6:7], -1
                                        ; implicit-def: $vgpr18
	s_branch .LBB240_1991
.LBB240_1987:
	s_mov_b64 s[6:7], -1
                                        ; implicit-def: $vgpr18
.LBB240_1988:
	s_andn2_b64 vcc, exec, s[6:7]
	s_cbranch_vccnz .LBB240_1990
; %bb.1989:
	global_load_dword v5, v[16:17], off
	s_movk_i32 s6, 0x7fff
	v_mov_b32_e32 v8, 0x7fc0
	s_waitcnt vmcnt(0)
	v_bfe_u32 v10, v5, 16, 1
	v_cmp_o_f32_e32 vcc, v5, v5
	v_add3_u32 v5, v5, v10, s6
	v_cndmask_b32_sdwa v18, v8, v5, vcc dst_sel:DWORD dst_unused:UNUSED_PAD src0_sel:DWORD src1_sel:WORD_1
.LBB240_1990:
	s_mov_b64 s[6:7], 0
.LBB240_1991:
	s_andn2_b64 vcc, exec, s[6:7]
	s_cbranch_vccnz .LBB240_1993
; %bb.1992:
	global_load_ushort v5, v[16:17], off
	s_movk_i32 s6, 0x7fff
	v_mov_b32_e32 v10, 0x7fc0
	s_waitcnt vmcnt(0)
	v_cvt_f32_f16_e32 v8, v5
	v_cmp_o_f16_e32 vcc, v5, v5
	v_bfe_u32 v5, v8, 16, 1
	v_add3_u32 v5, v8, v5, s6
	v_cndmask_b32_sdwa v18, v10, v5, vcc dst_sel:DWORD dst_unused:UNUSED_PAD src0_sel:DWORD src1_sel:WORD_1
.LBB240_1993:
	s_mov_b64 s[6:7], 0
.LBB240_1994:
	s_andn2_b64 vcc, exec, s[6:7]
	s_cbranch_vccnz .LBB240_2014
; %bb.1995:
	s_cmp_lt_i32 s16, 2
	s_cbranch_scc1 .LBB240_1999
; %bb.1996:
	s_cmp_lt_i32 s16, 3
	s_cbranch_scc1 .LBB240_2000
; %bb.1997:
	s_cmp_gt_i32 s16, 3
	s_cbranch_scc0 .LBB240_2001
; %bb.1998:
	global_load_dwordx2 v[18:19], v[16:17], off
	s_movk_i32 s6, 0x7fff
	s_waitcnt vmcnt(0)
	v_xor_b32_e32 v8, v18, v19
	v_ffbh_i32_e32 v5, v19
	v_ashrrev_i32_e32 v8, 31, v8
	v_add_u32_e32 v5, -1, v5
	v_add_u32_e32 v8, 32, v8
	v_min_u32_e32 v5, v5, v8
	v_lshlrev_b64 v[18:19], v5, v[18:19]
	v_sub_u32_e32 v5, 32, v5
	v_min_u32_e32 v8, 1, v18
	v_or_b32_e32 v8, v19, v8
	v_cvt_f32_i32_e32 v8, v8
	v_ldexp_f32 v5, v8, v5
	v_bfe_u32 v8, v5, 16, 1
	v_add3_u32 v5, v5, v8, s6
	v_lshrrev_b32_e32 v18, 16, v5
	s_mov_b64 s[6:7], 0
	s_branch .LBB240_2002
.LBB240_1999:
	s_mov_b64 s[6:7], -1
                                        ; implicit-def: $vgpr18
	s_branch .LBB240_2008
.LBB240_2000:
	s_mov_b64 s[6:7], -1
                                        ; implicit-def: $vgpr18
	s_branch .LBB240_2005
.LBB240_2001:
	s_mov_b64 s[6:7], -1
                                        ; implicit-def: $vgpr18
.LBB240_2002:
	s_andn2_b64 vcc, exec, s[6:7]
	s_cbranch_vccnz .LBB240_2004
; %bb.2003:
	global_load_dword v5, v[16:17], off
	s_movk_i32 s6, 0x7fff
	s_waitcnt vmcnt(0)
	v_cvt_f32_i32_e32 v5, v5
	v_bfe_u32 v8, v5, 16, 1
	v_add3_u32 v5, v5, v8, s6
	v_lshrrev_b32_e32 v18, 16, v5
.LBB240_2004:
	s_mov_b64 s[6:7], 0
.LBB240_2005:
	s_andn2_b64 vcc, exec, s[6:7]
	s_cbranch_vccnz .LBB240_2007
; %bb.2006:
	global_load_sshort v5, v[16:17], off
	s_movk_i32 s6, 0x7fff
	s_waitcnt vmcnt(0)
	v_cvt_f32_i32_e32 v5, v5
	v_bfe_u32 v8, v5, 16, 1
	v_add3_u32 v5, v5, v8, s6
	v_lshrrev_b32_e32 v18, 16, v5
.LBB240_2007:
	s_mov_b64 s[6:7], 0
.LBB240_2008:
	s_andn2_b64 vcc, exec, s[6:7]
	s_cbranch_vccnz .LBB240_2014
; %bb.2009:
	s_cmp_gt_i32 s16, 0
	s_cbranch_scc0 .LBB240_2011
; %bb.2010:
	global_load_sbyte v5, v[16:17], off
	s_movk_i32 s6, 0x7fff
	s_waitcnt vmcnt(0)
	v_cvt_f32_i32_e32 v5, v5
	v_bfe_u32 v8, v5, 16, 1
	v_add3_u32 v5, v5, v8, s6
	v_lshrrev_b32_e32 v18, 16, v5
	s_mov_b64 s[6:7], 0
	s_branch .LBB240_2012
.LBB240_2011:
	s_mov_b64 s[6:7], -1
                                        ; implicit-def: $vgpr18
.LBB240_2012:
	s_andn2_b64 vcc, exec, s[6:7]
	s_cbranch_vccnz .LBB240_2014
; %bb.2013:
	global_load_ubyte v5, v[16:17], off
	s_movk_i32 s6, 0x7fff
	s_waitcnt vmcnt(0)
	v_cvt_f32_ubyte0_e32 v5, v5
	v_bfe_u32 v8, v5, 16, 1
	v_add3_u32 v5, v5, v8, s6
	v_lshrrev_b32_e32 v18, 16, v5
.LBB240_2014:
.LBB240_2015:
	s_lshr_b32 s6, s25, 16
	v_mov_b32_e32 v5, s1
	s_and_b32 s25, s6, 0xff
	v_add_co_u32_e32 v14, vcc, s0, v15
	s_cmp_lt_i32 s25, 11
	v_addc_co_u32_e32 v15, vcc, 0, v5, vcc
	s_cbranch_scc1 .LBB240_2022
; %bb.2016:
	s_and_b32 s26, 0xffff, s25
	s_cmp_gt_i32 s26, 25
	s_mov_b64 s[16:17], 0
	s_cbranch_scc0 .LBB240_2023
; %bb.2017:
	s_cmp_gt_i32 s26, 28
	s_cbranch_scc0 .LBB240_2024
; %bb.2018:
	s_cmp_gt_i32 s26, 43
	;; [unrolled: 3-line block ×3, first 2 shown]
	s_cbranch_scc0 .LBB240_2027
; %bb.2020:
	s_cmp_eq_u32 s26, 46
	s_mov_b64 s[20:21], 0
	s_cbranch_scc0 .LBB240_2028
; %bb.2021:
	global_load_dword v16, v[14:15], off
	s_mov_b64 s[6:7], 0
	s_mov_b64 s[18:19], -1
	s_branch .LBB240_2029
.LBB240_2022:
	s_mov_b64 s[6:7], -1
	s_mov_b64 s[18:19], 0
                                        ; implicit-def: $vgpr16
	s_branch .LBB240_2095
.LBB240_2023:
	s_mov_b64 s[20:21], -1
	s_mov_b64 s[18:19], 0
	s_mov_b64 s[6:7], 0
                                        ; implicit-def: $vgpr16
	s_branch .LBB240_2058
.LBB240_2024:
	s_mov_b64 s[20:21], -1
	s_mov_b64 s[18:19], 0
	s_mov_b64 s[6:7], 0
                                        ; implicit-def: $vgpr16
	s_branch .LBB240_2039
.LBB240_2025:
	s_mov_b64 s[20:21], -1
	s_mov_b64 s[18:19], 0
	s_mov_b64 s[6:7], 0
                                        ; implicit-def: $vgpr16
	s_branch .LBB240_2034
.LBB240_2026:
	s_trap 2
	s_or_b64 s[4:5], s[4:5], exec
	s_cbranch_execz .LBB240_1965
	s_branch .LBB240_1966
.LBB240_2027:
	s_mov_b64 s[20:21], -1
	s_mov_b64 s[18:19], 0
	s_mov_b64 s[6:7], 0
                                        ; implicit-def: $vgpr16
	s_branch .LBB240_2029
.LBB240_2028:
	s_mov_b64 s[6:7], -1
                                        ; implicit-def: $vgpr16
	s_mov_b64 s[18:19], 0
.LBB240_2029:
	s_and_b64 vcc, exec, s[20:21]
	s_cbranch_vccz .LBB240_2033
; %bb.2030:
	s_cmp_eq_u32 s26, 44
	s_cbranch_scc0 .LBB240_2032
; %bb.2031:
	global_load_ubyte v5, v[14:15], off
	s_movk_i32 s18, 0xff
	v_mov_b32_e32 v8, 0x7f800001
	v_mov_b32_e32 v10, 0x400000
	;; [unrolled: 1-line block ×3, first 2 shown]
	s_mov_b64 s[6:7], 0
	s_waitcnt vmcnt(0)
	v_lshlrev_b32_e32 v16, 23, v5
	v_cmp_ne_u32_e32 vcc, s18, v5
	v_cndmask_b32_e32 v8, v8, v16, vcc
	v_cmp_ne_u32_e32 vcc, 0, v5
	v_cndmask_b32_e32 v5, v10, v8, vcc
	v_add_u32_e32 v8, 0x7fff, v5
	v_cmp_o_f32_e32 vcc, v5, v5
	v_cndmask_b32_sdwa v16, v12, v8, vcc dst_sel:DWORD dst_unused:UNUSED_PAD src0_sel:DWORD src1_sel:WORD_1
	s_mov_b64 s[18:19], -1
	s_branch .LBB240_2033
.LBB240_2032:
	s_mov_b64 s[6:7], -1
                                        ; implicit-def: $vgpr16
.LBB240_2033:
	s_mov_b64 s[20:21], 0
.LBB240_2034:
	s_and_b64 vcc, exec, s[20:21]
	s_cbranch_vccz .LBB240_2038
; %bb.2035:
	s_cmp_eq_u32 s26, 29
	s_cbranch_scc0 .LBB240_2037
; %bb.2036:
	global_load_dwordx2 v[16:17], v[14:15], off
	s_movk_i32 s18, 0x7fff
	s_mov_b64 s[6:7], 0
	s_mov_b64 s[20:21], 0
	s_waitcnt vmcnt(0)
	v_ffbh_u32_e32 v5, v17
	v_min_u32_e32 v5, 32, v5
	v_lshlrev_b64 v[16:17], v5, v[16:17]
	v_sub_u32_e32 v5, 32, v5
	v_min_u32_e32 v8, 1, v16
	v_or_b32_e32 v8, v17, v8
	v_cvt_f32_u32_e32 v8, v8
	v_ldexp_f32 v5, v8, v5
	v_bfe_u32 v8, v5, 16, 1
	v_add3_u32 v5, v5, v8, s18
	v_lshrrev_b32_e32 v16, 16, v5
	s_mov_b64 s[18:19], -1
	s_branch .LBB240_2039
.LBB240_2037:
	s_mov_b64 s[6:7], -1
                                        ; implicit-def: $vgpr16
.LBB240_2038:
	s_mov_b64 s[20:21], 0
.LBB240_2039:
	s_and_b64 vcc, exec, s[20:21]
	s_cbranch_vccz .LBB240_2057
; %bb.2040:
	s_cmp_lt_i32 s26, 27
	s_cbranch_scc1 .LBB240_2043
; %bb.2041:
	s_cmp_gt_i32 s26, 27
	s_cbranch_scc0 .LBB240_2044
; %bb.2042:
	global_load_dword v5, v[14:15], off
	s_movk_i32 s18, 0x7fff
	s_waitcnt vmcnt(0)
	v_cvt_f32_u32_e32 v5, v5
	v_bfe_u32 v8, v5, 16, 1
	v_add3_u32 v5, v5, v8, s18
	v_lshrrev_b32_e32 v16, 16, v5
	s_mov_b64 s[18:19], 0
	s_branch .LBB240_2045
.LBB240_2043:
	s_mov_b64 s[18:19], -1
                                        ; implicit-def: $vgpr16
	s_branch .LBB240_2048
.LBB240_2044:
	s_mov_b64 s[18:19], -1
                                        ; implicit-def: $vgpr16
.LBB240_2045:
	s_andn2_b64 vcc, exec, s[18:19]
	s_cbranch_vccnz .LBB240_2047
; %bb.2046:
	global_load_ushort v5, v[14:15], off
	s_movk_i32 s18, 0x7fff
	s_waitcnt vmcnt(0)
	v_cvt_f32_u32_e32 v5, v5
	v_bfe_u32 v8, v5, 16, 1
	v_add3_u32 v5, v5, v8, s18
	v_lshrrev_b32_e32 v16, 16, v5
.LBB240_2047:
	s_mov_b64 s[18:19], 0
.LBB240_2048:
	s_andn2_b64 vcc, exec, s[18:19]
	s_cbranch_vccnz .LBB240_2056
; %bb.2049:
	global_load_ubyte v5, v[14:15], off
	s_movk_i32 s18, 0x7f
	s_waitcnt vmcnt(0)
	v_cmp_lt_i16_e32 vcc, s18, v5
	s_mov_b64 s[18:19], 0
	s_and_saveexec_b64 s[20:21], vcc
	s_xor_b64 s[20:21], exec, s[20:21]
	s_cbranch_execz .LBB240_2070
; %bb.2050:
	s_movk_i32 s18, 0x80
	v_cmp_eq_u16_e32 vcc, s18, v5
	s_mov_b64 s[18:19], -1
	s_and_saveexec_b64 s[22:23], vcc
; %bb.2051:
	s_xor_b64 s[18:19], exec, -1
; %bb.2052:
	s_or_b64 exec, exec, s[22:23]
	s_and_b64 s[18:19], s[18:19], exec
	s_or_saveexec_b64 s[20:21], s[20:21]
	v_mov_b32_e32 v8, 0x7f800001
	s_xor_b64 exec, exec, s[20:21]
	s_cbranch_execnz .LBB240_2071
.LBB240_2053:
	s_or_b64 exec, exec, s[20:21]
	s_and_saveexec_b64 s[20:21], s[18:19]
	s_cbranch_execz .LBB240_2055
.LBB240_2054:
	v_lshlrev_b32_e32 v8, 24, v5
	v_and_b32_e32 v5, 0xffff, v5
	v_and_b32_e32 v10, 7, v5
	v_ffbh_u32_e32 v16, v10
	v_min_u32_e32 v16, 32, v16
	v_subrev_u32_e32 v17, 28, v16
	v_bfe_u32 v12, v5, 3, 4
	v_lshlrev_b32_e32 v5, v17, v5
	v_sub_u32_e32 v16, 29, v16
	v_and_b32_e32 v5, 7, v5
	v_cmp_eq_u32_e32 vcc, 0, v12
	v_cndmask_b32_e32 v12, v12, v16, vcc
	v_cndmask_b32_e32 v5, v10, v5, vcc
	v_mov_b32_e32 v10, 0x3b800000
	v_lshlrev_b32_e32 v5, 20, v5
	v_and_b32_e32 v8, 0x80000000, v8
	v_lshl_add_u32 v10, v12, 23, v10
	v_or3_b32 v8, v8, v10, v5
.LBB240_2055:
	s_or_b64 exec, exec, s[20:21]
	v_bfe_u32 v5, v8, 16, 1
	s_movk_i32 s18, 0x7fff
	v_add3_u32 v5, v8, v5, s18
	v_cmp_o_f32_e32 vcc, v8, v8
	v_mov_b32_e32 v8, 0x7fc0
	v_cndmask_b32_sdwa v16, v8, v5, vcc dst_sel:DWORD dst_unused:UNUSED_PAD src0_sel:DWORD src1_sel:WORD_1
.LBB240_2056:
	s_mov_b64 s[18:19], -1
.LBB240_2057:
	s_mov_b64 s[20:21], 0
.LBB240_2058:
	s_and_b64 vcc, exec, s[20:21]
	s_cbranch_vccz .LBB240_2091
; %bb.2059:
	s_cmp_gt_i32 s26, 22
	s_cbranch_scc0 .LBB240_2069
; %bb.2060:
	s_cmp_lt_i32 s26, 24
	s_cbranch_scc1 .LBB240_2072
; %bb.2061:
	s_cmp_gt_i32 s26, 24
	s_cbranch_scc0 .LBB240_2073
; %bb.2062:
	global_load_ubyte v5, v[14:15], off
	s_movk_i32 s16, 0x7f
	s_waitcnt vmcnt(0)
	v_cmp_lt_i16_e32 vcc, s16, v5
	s_mov_b64 s[16:17], 0
	s_and_saveexec_b64 s[18:19], vcc
	s_xor_b64 s[18:19], exec, s[18:19]
	s_cbranch_execz .LBB240_2085
; %bb.2063:
	s_movk_i32 s16, 0x80
	v_cmp_eq_u16_e32 vcc, s16, v5
	s_mov_b64 s[16:17], -1
	s_and_saveexec_b64 s[20:21], vcc
; %bb.2064:
	s_xor_b64 s[16:17], exec, -1
; %bb.2065:
	s_or_b64 exec, exec, s[20:21]
	s_and_b64 s[16:17], s[16:17], exec
	s_or_saveexec_b64 s[18:19], s[18:19]
	v_mov_b32_e32 v8, 0x7f800001
	s_xor_b64 exec, exec, s[18:19]
	s_cbranch_execnz .LBB240_2086
.LBB240_2066:
	s_or_b64 exec, exec, s[18:19]
	s_and_saveexec_b64 s[18:19], s[16:17]
	s_cbranch_execz .LBB240_2068
.LBB240_2067:
	v_lshlrev_b32_e32 v8, 24, v5
	v_and_b32_e32 v5, 0xffff, v5
	v_and_b32_e32 v10, 3, v5
	v_ffbh_u32_e32 v16, v10
	v_min_u32_e32 v16, 32, v16
	v_subrev_u32_e32 v17, 29, v16
	v_bfe_u32 v12, v5, 2, 5
	v_lshlrev_b32_e32 v5, v17, v5
	v_sub_u32_e32 v16, 30, v16
	v_and_b32_e32 v5, 3, v5
	v_cmp_eq_u32_e32 vcc, 0, v12
	v_cndmask_b32_e32 v12, v12, v16, vcc
	v_cndmask_b32_e32 v5, v10, v5, vcc
	v_mov_b32_e32 v10, 0x37800000
	v_lshlrev_b32_e32 v5, 21, v5
	v_and_b32_e32 v8, 0x80000000, v8
	v_lshl_add_u32 v10, v12, 23, v10
	v_or3_b32 v8, v8, v10, v5
.LBB240_2068:
	s_or_b64 exec, exec, s[18:19]
	v_bfe_u32 v5, v8, 16, 1
	s_movk_i32 s16, 0x7fff
	v_add3_u32 v5, v8, v5, s16
	v_cmp_o_f32_e32 vcc, v8, v8
	v_mov_b32_e32 v8, 0x7fc0
	v_cndmask_b32_sdwa v16, v8, v5, vcc dst_sel:DWORD dst_unused:UNUSED_PAD src0_sel:DWORD src1_sel:WORD_1
	s_mov_b64 s[16:17], 0
	s_branch .LBB240_2074
.LBB240_2069:
	s_mov_b64 s[16:17], -1
                                        ; implicit-def: $vgpr16
	s_branch .LBB240_2080
.LBB240_2070:
	s_or_saveexec_b64 s[20:21], s[20:21]
	v_mov_b32_e32 v8, 0x7f800001
	s_xor_b64 exec, exec, s[20:21]
	s_cbranch_execz .LBB240_2053
.LBB240_2071:
	v_cmp_ne_u16_e32 vcc, 0, v5
	s_andn2_b64 s[18:19], s[18:19], exec
	s_and_b64 s[22:23], vcc, exec
	v_mov_b32_e32 v8, 0
	s_or_b64 s[18:19], s[18:19], s[22:23]
	s_or_b64 exec, exec, s[20:21]
	s_and_saveexec_b64 s[20:21], s[18:19]
	s_cbranch_execnz .LBB240_2054
	s_branch .LBB240_2055
.LBB240_2072:
	s_mov_b64 s[16:17], -1
                                        ; implicit-def: $vgpr16
	s_branch .LBB240_2077
.LBB240_2073:
	s_mov_b64 s[16:17], -1
                                        ; implicit-def: $vgpr16
.LBB240_2074:
	s_and_b64 vcc, exec, s[16:17]
	s_cbranch_vccz .LBB240_2076
; %bb.2075:
	global_load_ubyte v5, v[14:15], off
	s_mov_b32 s16, 0x7f800000
	s_brev_b32 s17, 1
	s_movk_i32 s18, 0x7fff
	s_waitcnt vmcnt(0)
	v_lshlrev_b32_e32 v5, 24, v5
	v_and_b32_e32 v8, 0x7f000000, v5
	v_ffbh_u32_e32 v10, v8
	v_min_u32_e32 v10, 32, v10
	v_sub_u32_e64 v10, v10, 4 clamp
	v_lshlrev_b32_e32 v16, v10, v8
	v_lshlrev_b32_e32 v10, 23, v10
	v_lshrrev_b32_e32 v16, 4, v16
	v_add_u32_e32 v12, 0x1000000, v8
	v_sub_u32_e32 v10, v16, v10
	v_ashrrev_i32_e32 v12, 8, v12
	v_add_u32_e32 v10, 0x3c000000, v10
	v_and_or_b32 v10, v12, s16, v10
	v_cmp_ne_u32_e32 vcc, 0, v8
	v_cndmask_b32_e32 v8, 0, v10, vcc
	v_and_or_b32 v5, v5, s17, v8
	v_bfe_u32 v8, v8, 16, 1
	v_add3_u32 v8, v5, v8, s18
	v_cmp_o_f32_e32 vcc, v5, v5
	v_mov_b32_e32 v5, 0x7fc0
	v_cndmask_b32_sdwa v16, v5, v8, vcc dst_sel:DWORD dst_unused:UNUSED_PAD src0_sel:DWORD src1_sel:WORD_1
.LBB240_2076:
	s_mov_b64 s[16:17], 0
.LBB240_2077:
	s_andn2_b64 vcc, exec, s[16:17]
	s_cbranch_vccnz .LBB240_2079
; %bb.2078:
	global_load_ubyte v5, v[14:15], off
	s_movk_i32 s16, 0x7f00
	s_brev_b32 s17, 16
	s_brev_b32 s18, 1
	s_movk_i32 s19, 0x7fff
	s_waitcnt vmcnt(0)
	v_lshlrev_b16_e32 v8, 8, v5
	v_lshlrev_b32_e32 v5, 25, v5
	v_lshrrev_b32_e32 v10, 4, v5
	v_and_or_b32 v12, v8, s16, 0.5
	v_or_b32_e32 v10, 0x70000000, v10
	v_add_f32_e32 v12, -0.5, v12
	v_mul_f32_e32 v10, 0x7800000, v10
	v_cmp_gt_u32_e32 vcc, s17, v5
	v_bfe_i32 v8, v8, 0, 16
	v_cndmask_b32_e32 v5, v10, v12, vcc
	v_and_or_b32 v8, v8, s18, v5
	v_bfe_u32 v5, v5, 16, 1
	v_add3_u32 v5, v8, v5, s19
	v_cmp_o_f32_e32 vcc, v8, v8
	v_mov_b32_e32 v8, 0x7fc0
	v_cndmask_b32_sdwa v16, v8, v5, vcc dst_sel:DWORD dst_unused:UNUSED_PAD src0_sel:DWORD src1_sel:WORD_1
.LBB240_2079:
	s_mov_b64 s[16:17], 0
	s_mov_b64 s[18:19], -1
.LBB240_2080:
	s_andn2_b64 vcc, exec, s[16:17]
	s_mov_b64 s[16:17], 0
	s_cbranch_vccnz .LBB240_2091
; %bb.2081:
	s_cmp_gt_i32 s26, 14
	s_cbranch_scc0 .LBB240_2084
; %bb.2082:
	s_cmp_eq_u32 s26, 15
	s_cbranch_scc0 .LBB240_2087
; %bb.2083:
	global_load_ushort v16, v[14:15], off
	s_mov_b64 s[6:7], 0
	s_mov_b64 s[18:19], -1
	s_branch .LBB240_2088
.LBB240_2084:
	s_mov_b64 s[20:21], -1
                                        ; implicit-def: $vgpr16
	s_branch .LBB240_2089
.LBB240_2085:
	s_or_saveexec_b64 s[18:19], s[18:19]
	v_mov_b32_e32 v8, 0x7f800001
	s_xor_b64 exec, exec, s[18:19]
	s_cbranch_execz .LBB240_2066
.LBB240_2086:
	v_cmp_ne_u16_e32 vcc, 0, v5
	s_andn2_b64 s[16:17], s[16:17], exec
	s_and_b64 s[20:21], vcc, exec
	v_mov_b32_e32 v8, 0
	s_or_b64 s[16:17], s[16:17], s[20:21]
	s_or_b64 exec, exec, s[18:19]
	s_and_saveexec_b64 s[18:19], s[16:17]
	s_cbranch_execnz .LBB240_2067
	s_branch .LBB240_2068
.LBB240_2087:
	s_mov_b64 s[6:7], -1
                                        ; implicit-def: $vgpr16
.LBB240_2088:
	s_mov_b64 s[20:21], 0
.LBB240_2089:
	s_and_b64 vcc, exec, s[20:21]
	s_cbranch_vccz .LBB240_2091
; %bb.2090:
	s_cmp_lg_u32 s26, 11
	s_mov_b64 s[16:17], -1
	s_cselect_b64 s[6:7], -1, 0
.LBB240_2091:
	s_and_b64 vcc, exec, s[6:7]
	s_cbranch_vccnz .LBB240_2156
; %bb.2092:
	s_andn2_b64 vcc, exec, s[16:17]
	s_cbranch_vccnz .LBB240_2094
.LBB240_2093:
	global_load_ubyte v5, v[14:15], off
	s_mov_b64 s[18:19], -1
	s_waitcnt vmcnt(0)
	v_cmp_ne_u16_e32 vcc, 0, v5
	v_cndmask_b32_e64 v5, 0, 1.0, vcc
	v_lshrrev_b32_e32 v16, 16, v5
.LBB240_2094:
	s_mov_b64 s[6:7], 0
.LBB240_2095:
	s_and_b64 vcc, exec, s[6:7]
	s_cbranch_vccz .LBB240_2144
; %bb.2096:
	s_and_b32 s16, 0xffff, s25
	s_cmp_lt_i32 s16, 5
	s_cbranch_scc1 .LBB240_2101
; %bb.2097:
	s_cmp_lt_i32 s16, 8
	s_cbranch_scc1 .LBB240_2102
; %bb.2098:
	;; [unrolled: 3-line block ×3, first 2 shown]
	s_cmp_gt_i32 s16, 9
	s_cbranch_scc0 .LBB240_2104
; %bb.2100:
	global_load_dwordx2 v[16:17], v[14:15], off
	s_movk_i32 s6, 0x7fff
	v_mov_b32_e32 v8, 0x7fc0
	s_waitcnt vmcnt(0)
	v_cvt_f32_f64_e32 v5, v[16:17]
	v_bfe_u32 v10, v5, 16, 1
	v_cmp_o_f32_e32 vcc, v5, v5
	v_add3_u32 v5, v5, v10, s6
	v_cndmask_b32_sdwa v16, v8, v5, vcc dst_sel:DWORD dst_unused:UNUSED_PAD src0_sel:DWORD src1_sel:WORD_1
	s_mov_b64 s[6:7], 0
	s_branch .LBB240_2105
.LBB240_2101:
	s_mov_b64 s[6:7], -1
                                        ; implicit-def: $vgpr16
	s_branch .LBB240_2123
.LBB240_2102:
	s_mov_b64 s[6:7], -1
                                        ; implicit-def: $vgpr16
	s_branch .LBB240_2111
.LBB240_2103:
	s_mov_b64 s[6:7], -1
                                        ; implicit-def: $vgpr16
	s_branch .LBB240_2108
.LBB240_2104:
	s_mov_b64 s[6:7], -1
                                        ; implicit-def: $vgpr16
.LBB240_2105:
	s_andn2_b64 vcc, exec, s[6:7]
	s_cbranch_vccnz .LBB240_2107
; %bb.2106:
	global_load_dword v5, v[14:15], off
	s_movk_i32 s6, 0x7fff
	v_mov_b32_e32 v8, 0x7fc0
	s_waitcnt vmcnt(0)
	v_bfe_u32 v10, v5, 16, 1
	v_cmp_o_f32_e32 vcc, v5, v5
	v_add3_u32 v5, v5, v10, s6
	v_cndmask_b32_sdwa v16, v8, v5, vcc dst_sel:DWORD dst_unused:UNUSED_PAD src0_sel:DWORD src1_sel:WORD_1
.LBB240_2107:
	s_mov_b64 s[6:7], 0
.LBB240_2108:
	s_andn2_b64 vcc, exec, s[6:7]
	s_cbranch_vccnz .LBB240_2110
; %bb.2109:
	global_load_dword v5, v[14:15], off
	s_movk_i32 s6, 0x7fff
	v_mov_b32_e32 v10, 0x7fc0
	s_waitcnt vmcnt(0)
	v_cvt_f32_f16_e32 v8, v5
	v_cmp_o_f16_e32 vcc, v5, v5
	v_bfe_u32 v5, v8, 16, 1
	v_add3_u32 v5, v8, v5, s6
	v_cndmask_b32_sdwa v16, v10, v5, vcc dst_sel:DWORD dst_unused:UNUSED_PAD src0_sel:DWORD src1_sel:WORD_1
.LBB240_2110:
	s_mov_b64 s[6:7], 0
.LBB240_2111:
	s_andn2_b64 vcc, exec, s[6:7]
	s_cbranch_vccnz .LBB240_2122
; %bb.2112:
	s_cmp_lt_i32 s16, 6
	s_cbranch_scc1 .LBB240_2115
; %bb.2113:
	s_cmp_gt_i32 s16, 6
	s_cbranch_scc0 .LBB240_2116
; %bb.2114:
	global_load_dwordx2 v[16:17], v[14:15], off
	s_movk_i32 s6, 0x7fff
	v_mov_b32_e32 v8, 0x7fc0
	s_waitcnt vmcnt(0)
	v_cvt_f32_f64_e32 v5, v[16:17]
	v_bfe_u32 v10, v5, 16, 1
	v_cmp_o_f32_e32 vcc, v5, v5
	v_add3_u32 v5, v5, v10, s6
	v_cndmask_b32_sdwa v16, v8, v5, vcc dst_sel:DWORD dst_unused:UNUSED_PAD src0_sel:DWORD src1_sel:WORD_1
	s_mov_b64 s[6:7], 0
	s_branch .LBB240_2117
.LBB240_2115:
	s_mov_b64 s[6:7], -1
                                        ; implicit-def: $vgpr16
	s_branch .LBB240_2120
.LBB240_2116:
	s_mov_b64 s[6:7], -1
                                        ; implicit-def: $vgpr16
.LBB240_2117:
	s_andn2_b64 vcc, exec, s[6:7]
	s_cbranch_vccnz .LBB240_2119
; %bb.2118:
	global_load_dword v5, v[14:15], off
	s_movk_i32 s6, 0x7fff
	v_mov_b32_e32 v8, 0x7fc0
	s_waitcnt vmcnt(0)
	v_bfe_u32 v10, v5, 16, 1
	v_cmp_o_f32_e32 vcc, v5, v5
	v_add3_u32 v5, v5, v10, s6
	v_cndmask_b32_sdwa v16, v8, v5, vcc dst_sel:DWORD dst_unused:UNUSED_PAD src0_sel:DWORD src1_sel:WORD_1
.LBB240_2119:
	s_mov_b64 s[6:7], 0
.LBB240_2120:
	s_andn2_b64 vcc, exec, s[6:7]
	s_cbranch_vccnz .LBB240_2122
; %bb.2121:
	global_load_ushort v5, v[14:15], off
	s_movk_i32 s6, 0x7fff
	v_mov_b32_e32 v10, 0x7fc0
	s_waitcnt vmcnt(0)
	v_cvt_f32_f16_e32 v8, v5
	v_cmp_o_f16_e32 vcc, v5, v5
	v_bfe_u32 v5, v8, 16, 1
	v_add3_u32 v5, v8, v5, s6
	v_cndmask_b32_sdwa v16, v10, v5, vcc dst_sel:DWORD dst_unused:UNUSED_PAD src0_sel:DWORD src1_sel:WORD_1
.LBB240_2122:
	s_mov_b64 s[6:7], 0
.LBB240_2123:
	s_andn2_b64 vcc, exec, s[6:7]
	s_cbranch_vccnz .LBB240_2143
; %bb.2124:
	s_cmp_lt_i32 s16, 2
	s_cbranch_scc1 .LBB240_2128
; %bb.2125:
	s_cmp_lt_i32 s16, 3
	s_cbranch_scc1 .LBB240_2129
; %bb.2126:
	s_cmp_gt_i32 s16, 3
	s_cbranch_scc0 .LBB240_2130
; %bb.2127:
	global_load_dwordx2 v[16:17], v[14:15], off
	s_movk_i32 s6, 0x7fff
	s_waitcnt vmcnt(0)
	v_xor_b32_e32 v8, v16, v17
	v_ffbh_i32_e32 v5, v17
	v_ashrrev_i32_e32 v8, 31, v8
	v_add_u32_e32 v5, -1, v5
	v_add_u32_e32 v8, 32, v8
	v_min_u32_e32 v5, v5, v8
	v_lshlrev_b64 v[16:17], v5, v[16:17]
	v_sub_u32_e32 v5, 32, v5
	v_min_u32_e32 v8, 1, v16
	v_or_b32_e32 v8, v17, v8
	v_cvt_f32_i32_e32 v8, v8
	v_ldexp_f32 v5, v8, v5
	v_bfe_u32 v8, v5, 16, 1
	v_add3_u32 v5, v5, v8, s6
	v_lshrrev_b32_e32 v16, 16, v5
	s_mov_b64 s[6:7], 0
	s_branch .LBB240_2131
.LBB240_2128:
	s_mov_b64 s[6:7], -1
                                        ; implicit-def: $vgpr16
	s_branch .LBB240_2137
.LBB240_2129:
	s_mov_b64 s[6:7], -1
                                        ; implicit-def: $vgpr16
	s_branch .LBB240_2134
.LBB240_2130:
	s_mov_b64 s[6:7], -1
                                        ; implicit-def: $vgpr16
.LBB240_2131:
	s_andn2_b64 vcc, exec, s[6:7]
	s_cbranch_vccnz .LBB240_2133
; %bb.2132:
	global_load_dword v5, v[14:15], off
	s_movk_i32 s6, 0x7fff
	s_waitcnt vmcnt(0)
	v_cvt_f32_i32_e32 v5, v5
	v_bfe_u32 v8, v5, 16, 1
	v_add3_u32 v5, v5, v8, s6
	v_lshrrev_b32_e32 v16, 16, v5
.LBB240_2133:
	s_mov_b64 s[6:7], 0
.LBB240_2134:
	s_andn2_b64 vcc, exec, s[6:7]
	s_cbranch_vccnz .LBB240_2136
; %bb.2135:
	global_load_sshort v5, v[14:15], off
	s_movk_i32 s6, 0x7fff
	s_waitcnt vmcnt(0)
	v_cvt_f32_i32_e32 v5, v5
	v_bfe_u32 v8, v5, 16, 1
	v_add3_u32 v5, v5, v8, s6
	v_lshrrev_b32_e32 v16, 16, v5
.LBB240_2136:
	s_mov_b64 s[6:7], 0
.LBB240_2137:
	s_andn2_b64 vcc, exec, s[6:7]
	s_cbranch_vccnz .LBB240_2143
; %bb.2138:
	s_cmp_gt_i32 s16, 0
	s_cbranch_scc0 .LBB240_2140
; %bb.2139:
	global_load_sbyte v5, v[14:15], off
	s_movk_i32 s6, 0x7fff
	s_waitcnt vmcnt(0)
	v_cvt_f32_i32_e32 v5, v5
	v_bfe_u32 v8, v5, 16, 1
	v_add3_u32 v5, v5, v8, s6
	v_lshrrev_b32_e32 v16, 16, v5
	s_mov_b64 s[6:7], 0
	s_branch .LBB240_2141
.LBB240_2140:
	s_mov_b64 s[6:7], -1
                                        ; implicit-def: $vgpr16
.LBB240_2141:
	s_andn2_b64 vcc, exec, s[6:7]
	s_cbranch_vccnz .LBB240_2143
; %bb.2142:
	global_load_ubyte v5, v[14:15], off
	s_movk_i32 s6, 0x7fff
	s_waitcnt vmcnt(0)
	v_cvt_f32_ubyte0_e32 v5, v5
	v_bfe_u32 v8, v5, 16, 1
	v_add3_u32 v5, v5, v8, s6
	v_lshrrev_b32_e32 v16, 16, v5
.LBB240_2143:
	s_mov_b64 s[18:19], -1
.LBB240_2144:
	s_andn2_b64 vcc, exec, s[18:19]
	s_cbranch_vccnz .LBB240_3100
; %bb.2145:
	v_mov_b32_e32 v5, s11
	v_add_co_u32_e32 v12, vcc, s10, v13
	s_cmp_lt_i32 s24, 11
	v_addc_co_u32_e32 v13, vcc, 0, v5, vcc
	s_cbranch_scc1 .LBB240_2152
; %bb.2146:
	s_and_b32 s26, 0xffff, s24
	s_cmp_gt_i32 s26, 25
	s_mov_b64 s[16:17], 0
	s_cbranch_scc0 .LBB240_2153
; %bb.2147:
	s_cmp_gt_i32 s26, 28
	s_cbranch_scc0 .LBB240_2154
; %bb.2148:
	s_cmp_gt_i32 s26, 43
	;; [unrolled: 3-line block ×3, first 2 shown]
	s_cbranch_scc0 .LBB240_2157
; %bb.2150:
	s_cmp_eq_u32 s26, 46
	s_mov_b64 s[20:21], 0
	s_cbranch_scc0 .LBB240_2158
; %bb.2151:
	global_load_dword v14, v[12:13], off
	s_mov_b64 s[6:7], 0
	s_mov_b64 s[18:19], -1
	s_branch .LBB240_2159
.LBB240_2152:
	s_mov_b64 s[6:7], -1
	s_mov_b64 s[18:19], 0
                                        ; implicit-def: $vgpr14
	s_branch .LBB240_2225
.LBB240_2153:
	s_mov_b64 s[20:21], -1
	s_mov_b64 s[18:19], 0
	s_mov_b64 s[6:7], 0
                                        ; implicit-def: $vgpr14
	s_branch .LBB240_2188
.LBB240_2154:
	s_mov_b64 s[20:21], -1
	s_mov_b64 s[18:19], 0
	s_mov_b64 s[6:7], 0
                                        ; implicit-def: $vgpr14
	s_branch .LBB240_2169
.LBB240_2155:
	s_mov_b64 s[20:21], -1
	s_mov_b64 s[18:19], 0
	s_mov_b64 s[6:7], 0
                                        ; implicit-def: $vgpr14
	s_branch .LBB240_2164
.LBB240_2156:
	s_trap 2
	s_or_b64 s[4:5], s[4:5], exec
	s_cbranch_execz .LBB240_2093
	s_branch .LBB240_2094
.LBB240_2157:
	s_mov_b64 s[20:21], -1
	s_mov_b64 s[18:19], 0
	s_mov_b64 s[6:7], 0
                                        ; implicit-def: $vgpr14
	s_branch .LBB240_2159
.LBB240_2158:
	s_mov_b64 s[6:7], -1
                                        ; implicit-def: $vgpr14
	s_mov_b64 s[18:19], 0
.LBB240_2159:
	s_and_b64 vcc, exec, s[20:21]
	s_cbranch_vccz .LBB240_2163
; %bb.2160:
	s_cmp_eq_u32 s26, 44
	s_cbranch_scc0 .LBB240_2162
; %bb.2161:
	global_load_ubyte v5, v[12:13], off
	s_movk_i32 s18, 0xff
	v_mov_b32_e32 v8, 0x7f800001
	v_mov_b32_e32 v10, 0x400000
	s_waitcnt vmcnt(1)
	v_mov_b32_e32 v14, 0x7fc0
	s_mov_b64 s[6:7], 0
	s_waitcnt vmcnt(0)
	v_lshlrev_b32_e32 v15, 23, v5
	v_cmp_ne_u32_e32 vcc, s18, v5
	v_cndmask_b32_e32 v8, v8, v15, vcc
	v_cmp_ne_u32_e32 vcc, 0, v5
	v_cndmask_b32_e32 v5, v10, v8, vcc
	v_add_u32_e32 v8, 0x7fff, v5
	v_cmp_o_f32_e32 vcc, v5, v5
	v_cndmask_b32_sdwa v14, v14, v8, vcc dst_sel:DWORD dst_unused:UNUSED_PAD src0_sel:DWORD src1_sel:WORD_1
	s_mov_b64 s[18:19], -1
	s_branch .LBB240_2163
.LBB240_2162:
	s_mov_b64 s[6:7], -1
                                        ; implicit-def: $vgpr14
.LBB240_2163:
	s_mov_b64 s[20:21], 0
.LBB240_2164:
	s_and_b64 vcc, exec, s[20:21]
	s_cbranch_vccz .LBB240_2168
; %bb.2165:
	s_cmp_eq_u32 s26, 29
	s_cbranch_scc0 .LBB240_2167
; %bb.2166:
	global_load_dwordx2 v[14:15], v[12:13], off
	s_movk_i32 s18, 0x7fff
	s_mov_b64 s[6:7], 0
	s_mov_b64 s[20:21], 0
	s_waitcnt vmcnt(0)
	v_ffbh_u32_e32 v5, v15
	v_min_u32_e32 v5, 32, v5
	v_lshlrev_b64 v[14:15], v5, v[14:15]
	v_sub_u32_e32 v5, 32, v5
	v_min_u32_e32 v8, 1, v14
	v_or_b32_e32 v8, v15, v8
	v_cvt_f32_u32_e32 v8, v8
	v_ldexp_f32 v5, v8, v5
	v_bfe_u32 v8, v5, 16, 1
	v_add3_u32 v5, v5, v8, s18
	v_lshrrev_b32_e32 v14, 16, v5
	s_mov_b64 s[18:19], -1
	s_branch .LBB240_2169
.LBB240_2167:
	s_mov_b64 s[6:7], -1
                                        ; implicit-def: $vgpr14
.LBB240_2168:
	s_mov_b64 s[20:21], 0
.LBB240_2169:
	s_and_b64 vcc, exec, s[20:21]
	s_cbranch_vccz .LBB240_2187
; %bb.2170:
	s_cmp_lt_i32 s26, 27
	s_cbranch_scc1 .LBB240_2173
; %bb.2171:
	s_cmp_gt_i32 s26, 27
	s_cbranch_scc0 .LBB240_2174
; %bb.2172:
	global_load_dword v5, v[12:13], off
	s_movk_i32 s18, 0x7fff
	s_waitcnt vmcnt(0)
	v_cvt_f32_u32_e32 v5, v5
	v_bfe_u32 v8, v5, 16, 1
	v_add3_u32 v5, v5, v8, s18
	v_lshrrev_b32_e32 v14, 16, v5
	s_mov_b64 s[18:19], 0
	s_branch .LBB240_2175
.LBB240_2173:
	s_mov_b64 s[18:19], -1
                                        ; implicit-def: $vgpr14
	s_branch .LBB240_2178
.LBB240_2174:
	s_mov_b64 s[18:19], -1
                                        ; implicit-def: $vgpr14
.LBB240_2175:
	s_andn2_b64 vcc, exec, s[18:19]
	s_cbranch_vccnz .LBB240_2177
; %bb.2176:
	global_load_ushort v5, v[12:13], off
	s_movk_i32 s18, 0x7fff
	s_waitcnt vmcnt(0)
	v_cvt_f32_u32_e32 v5, v5
	v_bfe_u32 v8, v5, 16, 1
	v_add3_u32 v5, v5, v8, s18
	v_lshrrev_b32_e32 v14, 16, v5
.LBB240_2177:
	s_mov_b64 s[18:19], 0
.LBB240_2178:
	s_andn2_b64 vcc, exec, s[18:19]
	s_cbranch_vccnz .LBB240_2186
; %bb.2179:
	global_load_ubyte v5, v[12:13], off
	s_movk_i32 s18, 0x7f
	s_waitcnt vmcnt(0)
	v_cmp_lt_i16_e32 vcc, s18, v5
	s_mov_b64 s[18:19], 0
	s_and_saveexec_b64 s[20:21], vcc
	s_xor_b64 s[20:21], exec, s[20:21]
	s_cbranch_execz .LBB240_2200
; %bb.2180:
	s_movk_i32 s18, 0x80
	v_cmp_eq_u16_e32 vcc, s18, v5
	s_mov_b64 s[18:19], -1
	s_and_saveexec_b64 s[22:23], vcc
; %bb.2181:
	s_xor_b64 s[18:19], exec, -1
; %bb.2182:
	s_or_b64 exec, exec, s[22:23]
	s_and_b64 s[18:19], s[18:19], exec
	s_or_saveexec_b64 s[20:21], s[20:21]
	v_mov_b32_e32 v8, 0x7f800001
	s_xor_b64 exec, exec, s[20:21]
	s_cbranch_execnz .LBB240_2201
.LBB240_2183:
	s_or_b64 exec, exec, s[20:21]
	s_and_saveexec_b64 s[20:21], s[18:19]
	s_cbranch_execz .LBB240_2185
.LBB240_2184:
	v_lshlrev_b32_e32 v8, 24, v5
	v_and_b32_e32 v5, 0xffff, v5
	v_and_b32_e32 v10, 7, v5
	v_ffbh_u32_e32 v15, v10
	v_min_u32_e32 v15, 32, v15
	v_subrev_u32_e32 v17, 28, v15
	v_bfe_u32 v14, v5, 3, 4
	v_lshlrev_b32_e32 v5, v17, v5
	v_sub_u32_e32 v15, 29, v15
	v_and_b32_e32 v5, 7, v5
	v_cmp_eq_u32_e32 vcc, 0, v14
	v_cndmask_b32_e32 v14, v14, v15, vcc
	v_cndmask_b32_e32 v5, v10, v5, vcc
	v_mov_b32_e32 v10, 0x3b800000
	v_lshlrev_b32_e32 v5, 20, v5
	v_and_b32_e32 v8, 0x80000000, v8
	v_lshl_add_u32 v10, v14, 23, v10
	v_or3_b32 v8, v8, v10, v5
.LBB240_2185:
	s_or_b64 exec, exec, s[20:21]
	v_bfe_u32 v5, v8, 16, 1
	s_movk_i32 s18, 0x7fff
	v_add3_u32 v5, v8, v5, s18
	v_cmp_o_f32_e32 vcc, v8, v8
	v_mov_b32_e32 v8, 0x7fc0
	v_cndmask_b32_sdwa v14, v8, v5, vcc dst_sel:DWORD dst_unused:UNUSED_PAD src0_sel:DWORD src1_sel:WORD_1
.LBB240_2186:
	s_mov_b64 s[18:19], -1
.LBB240_2187:
	s_mov_b64 s[20:21], 0
.LBB240_2188:
	s_and_b64 vcc, exec, s[20:21]
	s_cbranch_vccz .LBB240_2221
; %bb.2189:
	s_cmp_gt_i32 s26, 22
	s_cbranch_scc0 .LBB240_2199
; %bb.2190:
	s_cmp_lt_i32 s26, 24
	s_cbranch_scc1 .LBB240_2202
; %bb.2191:
	s_cmp_gt_i32 s26, 24
	s_cbranch_scc0 .LBB240_2203
; %bb.2192:
	global_load_ubyte v5, v[12:13], off
	s_movk_i32 s16, 0x7f
	s_waitcnt vmcnt(0)
	v_cmp_lt_i16_e32 vcc, s16, v5
	s_mov_b64 s[16:17], 0
	s_and_saveexec_b64 s[18:19], vcc
	s_xor_b64 s[18:19], exec, s[18:19]
	s_cbranch_execz .LBB240_2215
; %bb.2193:
	s_movk_i32 s16, 0x80
	v_cmp_eq_u16_e32 vcc, s16, v5
	s_mov_b64 s[16:17], -1
	s_and_saveexec_b64 s[20:21], vcc
; %bb.2194:
	s_xor_b64 s[16:17], exec, -1
; %bb.2195:
	s_or_b64 exec, exec, s[20:21]
	s_and_b64 s[16:17], s[16:17], exec
	s_or_saveexec_b64 s[18:19], s[18:19]
	v_mov_b32_e32 v8, 0x7f800001
	s_xor_b64 exec, exec, s[18:19]
	s_cbranch_execnz .LBB240_2216
.LBB240_2196:
	s_or_b64 exec, exec, s[18:19]
	s_and_saveexec_b64 s[18:19], s[16:17]
	s_cbranch_execz .LBB240_2198
.LBB240_2197:
	v_lshlrev_b32_e32 v8, 24, v5
	v_and_b32_e32 v5, 0xffff, v5
	v_and_b32_e32 v10, 3, v5
	v_ffbh_u32_e32 v15, v10
	v_min_u32_e32 v15, 32, v15
	v_subrev_u32_e32 v17, 29, v15
	v_bfe_u32 v14, v5, 2, 5
	v_lshlrev_b32_e32 v5, v17, v5
	v_sub_u32_e32 v15, 30, v15
	v_and_b32_e32 v5, 3, v5
	v_cmp_eq_u32_e32 vcc, 0, v14
	v_cndmask_b32_e32 v14, v14, v15, vcc
	v_cndmask_b32_e32 v5, v10, v5, vcc
	v_mov_b32_e32 v10, 0x37800000
	v_lshlrev_b32_e32 v5, 21, v5
	v_and_b32_e32 v8, 0x80000000, v8
	v_lshl_add_u32 v10, v14, 23, v10
	v_or3_b32 v8, v8, v10, v5
.LBB240_2198:
	s_or_b64 exec, exec, s[18:19]
	v_bfe_u32 v5, v8, 16, 1
	s_movk_i32 s16, 0x7fff
	v_add3_u32 v5, v8, v5, s16
	v_cmp_o_f32_e32 vcc, v8, v8
	v_mov_b32_e32 v8, 0x7fc0
	v_cndmask_b32_sdwa v14, v8, v5, vcc dst_sel:DWORD dst_unused:UNUSED_PAD src0_sel:DWORD src1_sel:WORD_1
	s_mov_b64 s[16:17], 0
	s_branch .LBB240_2204
.LBB240_2199:
	s_mov_b64 s[16:17], -1
                                        ; implicit-def: $vgpr14
	s_branch .LBB240_2210
.LBB240_2200:
	s_or_saveexec_b64 s[20:21], s[20:21]
	v_mov_b32_e32 v8, 0x7f800001
	s_xor_b64 exec, exec, s[20:21]
	s_cbranch_execz .LBB240_2183
.LBB240_2201:
	v_cmp_ne_u16_e32 vcc, 0, v5
	s_andn2_b64 s[18:19], s[18:19], exec
	s_and_b64 s[22:23], vcc, exec
	v_mov_b32_e32 v8, 0
	s_or_b64 s[18:19], s[18:19], s[22:23]
	s_or_b64 exec, exec, s[20:21]
	s_and_saveexec_b64 s[20:21], s[18:19]
	s_cbranch_execnz .LBB240_2184
	s_branch .LBB240_2185
.LBB240_2202:
	s_mov_b64 s[16:17], -1
                                        ; implicit-def: $vgpr14
	s_branch .LBB240_2207
.LBB240_2203:
	s_mov_b64 s[16:17], -1
                                        ; implicit-def: $vgpr14
.LBB240_2204:
	s_and_b64 vcc, exec, s[16:17]
	s_cbranch_vccz .LBB240_2206
; %bb.2205:
	global_load_ubyte v5, v[12:13], off
	s_mov_b32 s16, 0x7f800000
	s_brev_b32 s17, 1
	s_movk_i32 s18, 0x7fff
	s_waitcnt vmcnt(0)
	v_lshlrev_b32_e32 v5, 24, v5
	v_and_b32_e32 v8, 0x7f000000, v5
	v_ffbh_u32_e32 v10, v8
	v_min_u32_e32 v10, 32, v10
	v_sub_u32_e64 v10, v10, 4 clamp
	v_lshlrev_b32_e32 v15, v10, v8
	v_lshlrev_b32_e32 v10, 23, v10
	v_lshrrev_b32_e32 v15, 4, v15
	v_add_u32_e32 v14, 0x1000000, v8
	v_sub_u32_e32 v10, v15, v10
	v_ashrrev_i32_e32 v14, 8, v14
	v_add_u32_e32 v10, 0x3c000000, v10
	v_and_or_b32 v10, v14, s16, v10
	v_cmp_ne_u32_e32 vcc, 0, v8
	v_cndmask_b32_e32 v8, 0, v10, vcc
	v_and_or_b32 v5, v5, s17, v8
	v_bfe_u32 v8, v8, 16, 1
	v_add3_u32 v8, v5, v8, s18
	v_cmp_o_f32_e32 vcc, v5, v5
	v_mov_b32_e32 v5, 0x7fc0
	v_cndmask_b32_sdwa v14, v5, v8, vcc dst_sel:DWORD dst_unused:UNUSED_PAD src0_sel:DWORD src1_sel:WORD_1
.LBB240_2206:
	s_mov_b64 s[16:17], 0
.LBB240_2207:
	s_andn2_b64 vcc, exec, s[16:17]
	s_cbranch_vccnz .LBB240_2209
; %bb.2208:
	global_load_ubyte v5, v[12:13], off
	s_movk_i32 s16, 0x7f00
	s_brev_b32 s17, 16
	s_brev_b32 s18, 1
	s_movk_i32 s19, 0x7fff
	s_waitcnt vmcnt(0)
	v_lshlrev_b16_e32 v8, 8, v5
	v_lshlrev_b32_e32 v5, 25, v5
	v_lshrrev_b32_e32 v10, 4, v5
	v_and_or_b32 v14, v8, s16, 0.5
	v_or_b32_e32 v10, 0x70000000, v10
	v_add_f32_e32 v14, -0.5, v14
	v_mul_f32_e32 v10, 0x7800000, v10
	v_cmp_gt_u32_e32 vcc, s17, v5
	v_bfe_i32 v8, v8, 0, 16
	v_cndmask_b32_e32 v5, v10, v14, vcc
	v_and_or_b32 v8, v8, s18, v5
	v_bfe_u32 v5, v5, 16, 1
	v_add3_u32 v5, v8, v5, s19
	v_cmp_o_f32_e32 vcc, v8, v8
	v_mov_b32_e32 v8, 0x7fc0
	v_cndmask_b32_sdwa v14, v8, v5, vcc dst_sel:DWORD dst_unused:UNUSED_PAD src0_sel:DWORD src1_sel:WORD_1
.LBB240_2209:
	s_mov_b64 s[16:17], 0
	s_mov_b64 s[18:19], -1
.LBB240_2210:
	s_andn2_b64 vcc, exec, s[16:17]
	s_mov_b64 s[16:17], 0
	s_cbranch_vccnz .LBB240_2221
; %bb.2211:
	s_cmp_gt_i32 s26, 14
	s_cbranch_scc0 .LBB240_2214
; %bb.2212:
	s_cmp_eq_u32 s26, 15
	s_cbranch_scc0 .LBB240_2217
; %bb.2213:
	global_load_ushort v14, v[12:13], off
	s_mov_b64 s[6:7], 0
	s_mov_b64 s[18:19], -1
	s_branch .LBB240_2218
.LBB240_2214:
	s_mov_b64 s[20:21], -1
                                        ; implicit-def: $vgpr14
	s_branch .LBB240_2219
.LBB240_2215:
	s_or_saveexec_b64 s[18:19], s[18:19]
	v_mov_b32_e32 v8, 0x7f800001
	s_xor_b64 exec, exec, s[18:19]
	s_cbranch_execz .LBB240_2196
.LBB240_2216:
	v_cmp_ne_u16_e32 vcc, 0, v5
	s_andn2_b64 s[16:17], s[16:17], exec
	s_and_b64 s[20:21], vcc, exec
	v_mov_b32_e32 v8, 0
	s_or_b64 s[16:17], s[16:17], s[20:21]
	s_or_b64 exec, exec, s[18:19]
	s_and_saveexec_b64 s[18:19], s[16:17]
	s_cbranch_execnz .LBB240_2197
	s_branch .LBB240_2198
.LBB240_2217:
	s_mov_b64 s[6:7], -1
                                        ; implicit-def: $vgpr14
.LBB240_2218:
	s_mov_b64 s[20:21], 0
.LBB240_2219:
	s_and_b64 vcc, exec, s[20:21]
	s_cbranch_vccz .LBB240_2221
; %bb.2220:
	s_cmp_lg_u32 s26, 11
	s_mov_b64 s[16:17], -1
	s_cselect_b64 s[6:7], -1, 0
.LBB240_2221:
	s_and_b64 vcc, exec, s[6:7]
	s_cbranch_vccnz .LBB240_2286
; %bb.2222:
	s_andn2_b64 vcc, exec, s[16:17]
	s_cbranch_vccnz .LBB240_2224
.LBB240_2223:
	global_load_ubyte v5, v[12:13], off
	s_mov_b64 s[18:19], -1
	s_waitcnt vmcnt(0)
	v_cmp_ne_u16_e32 vcc, 0, v5
	v_cndmask_b32_e64 v5, 0, 1.0, vcc
	v_lshrrev_b32_e32 v14, 16, v5
.LBB240_2224:
	s_mov_b64 s[6:7], 0
.LBB240_2225:
	s_and_b64 vcc, exec, s[6:7]
	s_cbranch_vccz .LBB240_2274
; %bb.2226:
	s_and_b32 s16, 0xffff, s24
	s_cmp_lt_i32 s16, 5
	s_cbranch_scc1 .LBB240_2231
; %bb.2227:
	s_cmp_lt_i32 s16, 8
	s_cbranch_scc1 .LBB240_2232
; %bb.2228:
	;; [unrolled: 3-line block ×3, first 2 shown]
	s_cmp_gt_i32 s16, 9
	s_cbranch_scc0 .LBB240_2234
; %bb.2230:
	global_load_dwordx2 v[14:15], v[12:13], off
	s_movk_i32 s6, 0x7fff
	v_mov_b32_e32 v8, 0x7fc0
	s_waitcnt vmcnt(0)
	v_cvt_f32_f64_e32 v5, v[14:15]
	v_bfe_u32 v10, v5, 16, 1
	v_cmp_o_f32_e32 vcc, v5, v5
	v_add3_u32 v5, v5, v10, s6
	v_cndmask_b32_sdwa v14, v8, v5, vcc dst_sel:DWORD dst_unused:UNUSED_PAD src0_sel:DWORD src1_sel:WORD_1
	s_mov_b64 s[6:7], 0
	s_branch .LBB240_2235
.LBB240_2231:
	s_mov_b64 s[6:7], -1
                                        ; implicit-def: $vgpr14
	s_branch .LBB240_2253
.LBB240_2232:
	s_mov_b64 s[6:7], -1
                                        ; implicit-def: $vgpr14
	s_branch .LBB240_2241
.LBB240_2233:
	s_mov_b64 s[6:7], -1
                                        ; implicit-def: $vgpr14
	s_branch .LBB240_2238
.LBB240_2234:
	s_mov_b64 s[6:7], -1
                                        ; implicit-def: $vgpr14
.LBB240_2235:
	s_andn2_b64 vcc, exec, s[6:7]
	s_cbranch_vccnz .LBB240_2237
; %bb.2236:
	global_load_dword v5, v[12:13], off
	s_movk_i32 s6, 0x7fff
	v_mov_b32_e32 v8, 0x7fc0
	s_waitcnt vmcnt(0)
	v_bfe_u32 v10, v5, 16, 1
	v_cmp_o_f32_e32 vcc, v5, v5
	v_add3_u32 v5, v5, v10, s6
	v_cndmask_b32_sdwa v14, v8, v5, vcc dst_sel:DWORD dst_unused:UNUSED_PAD src0_sel:DWORD src1_sel:WORD_1
.LBB240_2237:
	s_mov_b64 s[6:7], 0
.LBB240_2238:
	s_andn2_b64 vcc, exec, s[6:7]
	s_cbranch_vccnz .LBB240_2240
; %bb.2239:
	global_load_dword v5, v[12:13], off
	s_movk_i32 s6, 0x7fff
	v_mov_b32_e32 v10, 0x7fc0
	s_waitcnt vmcnt(0)
	v_cvt_f32_f16_e32 v8, v5
	v_cmp_o_f16_e32 vcc, v5, v5
	v_bfe_u32 v5, v8, 16, 1
	v_add3_u32 v5, v8, v5, s6
	v_cndmask_b32_sdwa v14, v10, v5, vcc dst_sel:DWORD dst_unused:UNUSED_PAD src0_sel:DWORD src1_sel:WORD_1
.LBB240_2240:
	s_mov_b64 s[6:7], 0
.LBB240_2241:
	s_andn2_b64 vcc, exec, s[6:7]
	s_cbranch_vccnz .LBB240_2252
; %bb.2242:
	s_cmp_lt_i32 s16, 6
	s_cbranch_scc1 .LBB240_2245
; %bb.2243:
	s_cmp_gt_i32 s16, 6
	s_cbranch_scc0 .LBB240_2246
; %bb.2244:
	global_load_dwordx2 v[14:15], v[12:13], off
	s_movk_i32 s6, 0x7fff
	v_mov_b32_e32 v8, 0x7fc0
	s_waitcnt vmcnt(0)
	v_cvt_f32_f64_e32 v5, v[14:15]
	v_bfe_u32 v10, v5, 16, 1
	v_cmp_o_f32_e32 vcc, v5, v5
	v_add3_u32 v5, v5, v10, s6
	v_cndmask_b32_sdwa v14, v8, v5, vcc dst_sel:DWORD dst_unused:UNUSED_PAD src0_sel:DWORD src1_sel:WORD_1
	s_mov_b64 s[6:7], 0
	s_branch .LBB240_2247
.LBB240_2245:
	s_mov_b64 s[6:7], -1
                                        ; implicit-def: $vgpr14
	s_branch .LBB240_2250
.LBB240_2246:
	s_mov_b64 s[6:7], -1
                                        ; implicit-def: $vgpr14
.LBB240_2247:
	s_andn2_b64 vcc, exec, s[6:7]
	s_cbranch_vccnz .LBB240_2249
; %bb.2248:
	global_load_dword v5, v[12:13], off
	s_movk_i32 s6, 0x7fff
	v_mov_b32_e32 v8, 0x7fc0
	s_waitcnt vmcnt(0)
	v_bfe_u32 v10, v5, 16, 1
	v_cmp_o_f32_e32 vcc, v5, v5
	v_add3_u32 v5, v5, v10, s6
	v_cndmask_b32_sdwa v14, v8, v5, vcc dst_sel:DWORD dst_unused:UNUSED_PAD src0_sel:DWORD src1_sel:WORD_1
.LBB240_2249:
	s_mov_b64 s[6:7], 0
.LBB240_2250:
	s_andn2_b64 vcc, exec, s[6:7]
	s_cbranch_vccnz .LBB240_2252
; %bb.2251:
	global_load_ushort v5, v[12:13], off
	s_movk_i32 s6, 0x7fff
	v_mov_b32_e32 v10, 0x7fc0
	s_waitcnt vmcnt(0)
	v_cvt_f32_f16_e32 v8, v5
	v_cmp_o_f16_e32 vcc, v5, v5
	v_bfe_u32 v5, v8, 16, 1
	v_add3_u32 v5, v8, v5, s6
	v_cndmask_b32_sdwa v14, v10, v5, vcc dst_sel:DWORD dst_unused:UNUSED_PAD src0_sel:DWORD src1_sel:WORD_1
.LBB240_2252:
	s_mov_b64 s[6:7], 0
.LBB240_2253:
	s_andn2_b64 vcc, exec, s[6:7]
	s_cbranch_vccnz .LBB240_2273
; %bb.2254:
	s_cmp_lt_i32 s16, 2
	s_cbranch_scc1 .LBB240_2258
; %bb.2255:
	s_cmp_lt_i32 s16, 3
	s_cbranch_scc1 .LBB240_2259
; %bb.2256:
	s_cmp_gt_i32 s16, 3
	s_cbranch_scc0 .LBB240_2260
; %bb.2257:
	global_load_dwordx2 v[14:15], v[12:13], off
	s_movk_i32 s6, 0x7fff
	s_waitcnt vmcnt(0)
	v_xor_b32_e32 v8, v14, v15
	v_ffbh_i32_e32 v5, v15
	v_ashrrev_i32_e32 v8, 31, v8
	v_add_u32_e32 v5, -1, v5
	v_add_u32_e32 v8, 32, v8
	v_min_u32_e32 v5, v5, v8
	v_lshlrev_b64 v[14:15], v5, v[14:15]
	v_sub_u32_e32 v5, 32, v5
	v_min_u32_e32 v8, 1, v14
	v_or_b32_e32 v8, v15, v8
	v_cvt_f32_i32_e32 v8, v8
	v_ldexp_f32 v5, v8, v5
	v_bfe_u32 v8, v5, 16, 1
	v_add3_u32 v5, v5, v8, s6
	v_lshrrev_b32_e32 v14, 16, v5
	s_mov_b64 s[6:7], 0
	s_branch .LBB240_2261
.LBB240_2258:
	s_mov_b64 s[6:7], -1
                                        ; implicit-def: $vgpr14
	s_branch .LBB240_2267
.LBB240_2259:
	s_mov_b64 s[6:7], -1
                                        ; implicit-def: $vgpr14
	s_branch .LBB240_2264
.LBB240_2260:
	s_mov_b64 s[6:7], -1
                                        ; implicit-def: $vgpr14
.LBB240_2261:
	s_andn2_b64 vcc, exec, s[6:7]
	s_cbranch_vccnz .LBB240_2263
; %bb.2262:
	global_load_dword v5, v[12:13], off
	s_movk_i32 s6, 0x7fff
	s_waitcnt vmcnt(0)
	v_cvt_f32_i32_e32 v5, v5
	v_bfe_u32 v8, v5, 16, 1
	v_add3_u32 v5, v5, v8, s6
	v_lshrrev_b32_e32 v14, 16, v5
.LBB240_2263:
	s_mov_b64 s[6:7], 0
.LBB240_2264:
	s_andn2_b64 vcc, exec, s[6:7]
	s_cbranch_vccnz .LBB240_2266
; %bb.2265:
	global_load_sshort v5, v[12:13], off
	s_movk_i32 s6, 0x7fff
	s_waitcnt vmcnt(0)
	v_cvt_f32_i32_e32 v5, v5
	v_bfe_u32 v8, v5, 16, 1
	v_add3_u32 v5, v5, v8, s6
	v_lshrrev_b32_e32 v14, 16, v5
.LBB240_2266:
	s_mov_b64 s[6:7], 0
.LBB240_2267:
	s_andn2_b64 vcc, exec, s[6:7]
	s_cbranch_vccnz .LBB240_2273
; %bb.2268:
	s_cmp_gt_i32 s16, 0
	s_cbranch_scc0 .LBB240_2270
; %bb.2269:
	global_load_sbyte v5, v[12:13], off
	s_movk_i32 s6, 0x7fff
	s_waitcnt vmcnt(0)
	v_cvt_f32_i32_e32 v5, v5
	v_bfe_u32 v8, v5, 16, 1
	v_add3_u32 v5, v5, v8, s6
	v_lshrrev_b32_e32 v14, 16, v5
	s_mov_b64 s[6:7], 0
	s_branch .LBB240_2271
.LBB240_2270:
	s_mov_b64 s[6:7], -1
                                        ; implicit-def: $vgpr14
.LBB240_2271:
	s_andn2_b64 vcc, exec, s[6:7]
	s_cbranch_vccnz .LBB240_2273
; %bb.2272:
	global_load_ubyte v5, v[12:13], off
	s_movk_i32 s6, 0x7fff
	s_waitcnt vmcnt(0)
	v_cvt_f32_ubyte0_e32 v5, v5
	v_bfe_u32 v8, v5, 16, 1
	v_add3_u32 v5, v5, v8, s6
	v_lshrrev_b32_e32 v14, 16, v5
.LBB240_2273:
	s_mov_b64 s[18:19], -1
.LBB240_2274:
	s_andn2_b64 vcc, exec, s[18:19]
	s_cbranch_vccnz .LBB240_3100
; %bb.2275:
	v_mov_b32_e32 v5, s1
	v_add_co_u32_e32 v10, vcc, s0, v11
	s_cmp_lt_i32 s25, 11
	v_addc_co_u32_e32 v11, vcc, 0, v5, vcc
	s_cbranch_scc1 .LBB240_2282
; %bb.2276:
	s_and_b32 s26, 0xffff, s25
	s_cmp_gt_i32 s26, 25
	s_mov_b64 s[16:17], 0
	s_cbranch_scc0 .LBB240_2283
; %bb.2277:
	s_cmp_gt_i32 s26, 28
	s_cbranch_scc0 .LBB240_2284
; %bb.2278:
	s_cmp_gt_i32 s26, 43
	;; [unrolled: 3-line block ×3, first 2 shown]
	s_cbranch_scc0 .LBB240_2287
; %bb.2280:
	s_cmp_eq_u32 s26, 46
	s_mov_b64 s[20:21], 0
	s_cbranch_scc0 .LBB240_2290
; %bb.2281:
	global_load_dword v12, v[10:11], off
	s_mov_b64 s[6:7], 0
	s_mov_b64 s[18:19], -1
	s_branch .LBB240_2291
.LBB240_2282:
	s_mov_b64 s[6:7], -1
	s_mov_b64 s[18:19], 0
                                        ; implicit-def: $vgpr12
	s_branch .LBB240_2357
.LBB240_2283:
	s_mov_b64 s[20:21], -1
	s_mov_b64 s[18:19], 0
	s_mov_b64 s[6:7], 0
                                        ; implicit-def: $vgpr12
	s_branch .LBB240_2320
.LBB240_2284:
	s_mov_b64 s[20:21], -1
	s_mov_b64 s[18:19], 0
	s_mov_b64 s[6:7], 0
                                        ; implicit-def: $vgpr12
	s_branch .LBB240_2301
.LBB240_2285:
	s_mov_b64 s[20:21], -1
	s_mov_b64 s[18:19], 0
	s_mov_b64 s[6:7], 0
                                        ; implicit-def: $vgpr12
	s_branch .LBB240_2296
.LBB240_2286:
	s_trap 2
	s_or_b64 s[4:5], s[4:5], exec
	s_cbranch_execz .LBB240_2223
	s_branch .LBB240_2224
.LBB240_2287:
	s_mov_b64 s[20:21], -1
	s_mov_b64 s[18:19], 0
	s_mov_b64 s[6:7], 0
                                        ; implicit-def: $vgpr12
	s_branch .LBB240_2291
.LBB240_2288:
	s_andn2_saveexec_b64 s[64:65], s[64:65]
	s_cbranch_execz .LBB240_1119
.LBB240_2289:
	s_mov_b32 s69, 0x42800000
	v_add_f32_e64 v4, |v5|, s69
	v_and_b32_e32 v4, 0xff, v4
	v_cmp_ne_u32_e32 vcc, 0, v4
	s_andn2_b64 s[62:63], s[62:63], exec
	s_and_b64 s[76:77], vcc, exec
	s_or_b64 s[62:63], s[62:63], s[76:77]
	s_or_b64 exec, exec, s[64:65]
	v_mov_b32_e32 v6, 0
	s_and_saveexec_b64 s[64:65], s[62:63]
	s_cbranch_execnz .LBB240_1120
	s_branch .LBB240_1121
.LBB240_2290:
	s_mov_b64 s[6:7], -1
                                        ; implicit-def: $vgpr12
	s_mov_b64 s[18:19], 0
.LBB240_2291:
	s_and_b64 vcc, exec, s[20:21]
	s_cbranch_vccz .LBB240_2295
; %bb.2292:
	s_cmp_eq_u32 s26, 44
	s_cbranch_scc0 .LBB240_2294
; %bb.2293:
	global_load_ubyte v5, v[10:11], off
	s_movk_i32 s18, 0xff
	v_mov_b32_e32 v8, 0x7f800001
	s_waitcnt vmcnt(1)
	v_mov_b32_e32 v12, 0x400000
	v_mov_b32_e32 v13, 0x7fc0
	s_mov_b64 s[6:7], 0
	s_waitcnt vmcnt(0)
	v_lshlrev_b32_e32 v15, 23, v5
	v_cmp_ne_u32_e32 vcc, s18, v5
	v_cndmask_b32_e32 v8, v8, v15, vcc
	v_cmp_ne_u32_e32 vcc, 0, v5
	v_cndmask_b32_e32 v5, v12, v8, vcc
	v_add_u32_e32 v8, 0x7fff, v5
	v_cmp_o_f32_e32 vcc, v5, v5
	v_cndmask_b32_sdwa v12, v13, v8, vcc dst_sel:DWORD dst_unused:UNUSED_PAD src0_sel:DWORD src1_sel:WORD_1
	s_mov_b64 s[18:19], -1
	s_branch .LBB240_2295
.LBB240_2294:
	s_mov_b64 s[6:7], -1
                                        ; implicit-def: $vgpr12
.LBB240_2295:
	s_mov_b64 s[20:21], 0
.LBB240_2296:
	s_and_b64 vcc, exec, s[20:21]
	s_cbranch_vccz .LBB240_2300
; %bb.2297:
	s_cmp_eq_u32 s26, 29
	s_cbranch_scc0 .LBB240_2299
; %bb.2298:
	global_load_dwordx2 v[12:13], v[10:11], off
	s_movk_i32 s18, 0x7fff
	s_mov_b64 s[6:7], 0
	s_mov_b64 s[20:21], 0
	s_waitcnt vmcnt(0)
	v_ffbh_u32_e32 v5, v13
	v_min_u32_e32 v5, 32, v5
	v_lshlrev_b64 v[12:13], v5, v[12:13]
	v_sub_u32_e32 v5, 32, v5
	v_min_u32_e32 v8, 1, v12
	v_or_b32_e32 v8, v13, v8
	v_cvt_f32_u32_e32 v8, v8
	v_ldexp_f32 v5, v8, v5
	v_bfe_u32 v8, v5, 16, 1
	v_add3_u32 v5, v5, v8, s18
	v_lshrrev_b32_e32 v12, 16, v5
	s_mov_b64 s[18:19], -1
	s_branch .LBB240_2301
.LBB240_2299:
	s_mov_b64 s[6:7], -1
                                        ; implicit-def: $vgpr12
.LBB240_2300:
	s_mov_b64 s[20:21], 0
.LBB240_2301:
	s_and_b64 vcc, exec, s[20:21]
	s_cbranch_vccz .LBB240_2319
; %bb.2302:
	s_cmp_lt_i32 s26, 27
	s_cbranch_scc1 .LBB240_2305
; %bb.2303:
	s_cmp_gt_i32 s26, 27
	s_cbranch_scc0 .LBB240_2306
; %bb.2304:
	global_load_dword v5, v[10:11], off
	s_movk_i32 s18, 0x7fff
	s_waitcnt vmcnt(0)
	v_cvt_f32_u32_e32 v5, v5
	v_bfe_u32 v8, v5, 16, 1
	v_add3_u32 v5, v5, v8, s18
	v_lshrrev_b32_e32 v12, 16, v5
	s_mov_b64 s[18:19], 0
	s_branch .LBB240_2307
.LBB240_2305:
	s_mov_b64 s[18:19], -1
                                        ; implicit-def: $vgpr12
	s_branch .LBB240_2310
.LBB240_2306:
	s_mov_b64 s[18:19], -1
                                        ; implicit-def: $vgpr12
.LBB240_2307:
	s_andn2_b64 vcc, exec, s[18:19]
	s_cbranch_vccnz .LBB240_2309
; %bb.2308:
	global_load_ushort v5, v[10:11], off
	s_movk_i32 s18, 0x7fff
	s_waitcnt vmcnt(0)
	v_cvt_f32_u32_e32 v5, v5
	v_bfe_u32 v8, v5, 16, 1
	v_add3_u32 v5, v5, v8, s18
	v_lshrrev_b32_e32 v12, 16, v5
.LBB240_2309:
	s_mov_b64 s[18:19], 0
.LBB240_2310:
	s_andn2_b64 vcc, exec, s[18:19]
	s_cbranch_vccnz .LBB240_2318
; %bb.2311:
	global_load_ubyte v5, v[10:11], off
	s_movk_i32 s18, 0x7f
	s_waitcnt vmcnt(0)
	v_cmp_lt_i16_e32 vcc, s18, v5
	s_mov_b64 s[18:19], 0
	s_and_saveexec_b64 s[20:21], vcc
	s_xor_b64 s[20:21], exec, s[20:21]
	s_cbranch_execz .LBB240_2332
; %bb.2312:
	s_movk_i32 s18, 0x80
	v_cmp_eq_u16_e32 vcc, s18, v5
	s_mov_b64 s[18:19], -1
	s_and_saveexec_b64 s[22:23], vcc
; %bb.2313:
	s_xor_b64 s[18:19], exec, -1
; %bb.2314:
	s_or_b64 exec, exec, s[22:23]
	s_and_b64 s[18:19], s[18:19], exec
	s_or_saveexec_b64 s[20:21], s[20:21]
	v_mov_b32_e32 v8, 0x7f800001
	s_xor_b64 exec, exec, s[20:21]
	s_cbranch_execnz .LBB240_2333
.LBB240_2315:
	s_or_b64 exec, exec, s[20:21]
	s_and_saveexec_b64 s[20:21], s[18:19]
	s_cbranch_execz .LBB240_2317
.LBB240_2316:
	v_lshlrev_b32_e32 v8, 24, v5
	v_and_b32_e32 v5, 0xffff, v5
	v_and_b32_e32 v12, 7, v5
	v_ffbh_u32_e32 v15, v12
	v_min_u32_e32 v15, 32, v15
	v_subrev_u32_e32 v17, 28, v15
	v_bfe_u32 v13, v5, 3, 4
	v_lshlrev_b32_e32 v5, v17, v5
	v_sub_u32_e32 v15, 29, v15
	v_and_b32_e32 v5, 7, v5
	v_cmp_eq_u32_e32 vcc, 0, v13
	v_cndmask_b32_e32 v13, v13, v15, vcc
	v_cndmask_b32_e32 v5, v12, v5, vcc
	v_mov_b32_e32 v12, 0x3b800000
	v_lshlrev_b32_e32 v5, 20, v5
	v_and_b32_e32 v8, 0x80000000, v8
	v_lshl_add_u32 v12, v13, 23, v12
	v_or3_b32 v8, v8, v12, v5
.LBB240_2317:
	s_or_b64 exec, exec, s[20:21]
	v_bfe_u32 v5, v8, 16, 1
	s_movk_i32 s18, 0x7fff
	v_add3_u32 v5, v8, v5, s18
	v_cmp_o_f32_e32 vcc, v8, v8
	v_mov_b32_e32 v8, 0x7fc0
	v_cndmask_b32_sdwa v12, v8, v5, vcc dst_sel:DWORD dst_unused:UNUSED_PAD src0_sel:DWORD src1_sel:WORD_1
.LBB240_2318:
	s_mov_b64 s[18:19], -1
.LBB240_2319:
	s_mov_b64 s[20:21], 0
.LBB240_2320:
	s_and_b64 vcc, exec, s[20:21]
	s_cbranch_vccz .LBB240_2353
; %bb.2321:
	s_cmp_gt_i32 s26, 22
	s_cbranch_scc0 .LBB240_2331
; %bb.2322:
	s_cmp_lt_i32 s26, 24
	s_cbranch_scc1 .LBB240_2334
; %bb.2323:
	s_cmp_gt_i32 s26, 24
	s_cbranch_scc0 .LBB240_2335
; %bb.2324:
	global_load_ubyte v5, v[10:11], off
	s_movk_i32 s16, 0x7f
	s_waitcnt vmcnt(0)
	v_cmp_lt_i16_e32 vcc, s16, v5
	s_mov_b64 s[16:17], 0
	s_and_saveexec_b64 s[18:19], vcc
	s_xor_b64 s[18:19], exec, s[18:19]
	s_cbranch_execz .LBB240_2347
; %bb.2325:
	s_movk_i32 s16, 0x80
	v_cmp_eq_u16_e32 vcc, s16, v5
	s_mov_b64 s[16:17], -1
	s_and_saveexec_b64 s[20:21], vcc
; %bb.2326:
	s_xor_b64 s[16:17], exec, -1
; %bb.2327:
	s_or_b64 exec, exec, s[20:21]
	s_and_b64 s[16:17], s[16:17], exec
	s_or_saveexec_b64 s[18:19], s[18:19]
	v_mov_b32_e32 v8, 0x7f800001
	s_xor_b64 exec, exec, s[18:19]
	s_cbranch_execnz .LBB240_2348
.LBB240_2328:
	s_or_b64 exec, exec, s[18:19]
	s_and_saveexec_b64 s[18:19], s[16:17]
	s_cbranch_execz .LBB240_2330
.LBB240_2329:
	v_lshlrev_b32_e32 v8, 24, v5
	v_and_b32_e32 v5, 0xffff, v5
	v_and_b32_e32 v12, 3, v5
	v_ffbh_u32_e32 v15, v12
	v_min_u32_e32 v15, 32, v15
	v_subrev_u32_e32 v17, 29, v15
	v_bfe_u32 v13, v5, 2, 5
	v_lshlrev_b32_e32 v5, v17, v5
	v_sub_u32_e32 v15, 30, v15
	v_and_b32_e32 v5, 3, v5
	v_cmp_eq_u32_e32 vcc, 0, v13
	v_cndmask_b32_e32 v13, v13, v15, vcc
	v_cndmask_b32_e32 v5, v12, v5, vcc
	v_mov_b32_e32 v12, 0x37800000
	v_lshlrev_b32_e32 v5, 21, v5
	v_and_b32_e32 v8, 0x80000000, v8
	v_lshl_add_u32 v12, v13, 23, v12
	v_or3_b32 v8, v8, v12, v5
.LBB240_2330:
	s_or_b64 exec, exec, s[18:19]
	v_bfe_u32 v5, v8, 16, 1
	s_movk_i32 s16, 0x7fff
	v_add3_u32 v5, v8, v5, s16
	v_cmp_o_f32_e32 vcc, v8, v8
	v_mov_b32_e32 v8, 0x7fc0
	v_cndmask_b32_sdwa v12, v8, v5, vcc dst_sel:DWORD dst_unused:UNUSED_PAD src0_sel:DWORD src1_sel:WORD_1
	s_mov_b64 s[16:17], 0
	s_branch .LBB240_2336
.LBB240_2331:
	s_mov_b64 s[16:17], -1
                                        ; implicit-def: $vgpr12
	s_branch .LBB240_2342
.LBB240_2332:
	s_or_saveexec_b64 s[20:21], s[20:21]
	v_mov_b32_e32 v8, 0x7f800001
	s_xor_b64 exec, exec, s[20:21]
	s_cbranch_execz .LBB240_2315
.LBB240_2333:
	v_cmp_ne_u16_e32 vcc, 0, v5
	s_andn2_b64 s[18:19], s[18:19], exec
	s_and_b64 s[22:23], vcc, exec
	v_mov_b32_e32 v8, 0
	s_or_b64 s[18:19], s[18:19], s[22:23]
	s_or_b64 exec, exec, s[20:21]
	s_and_saveexec_b64 s[20:21], s[18:19]
	s_cbranch_execnz .LBB240_2316
	s_branch .LBB240_2317
.LBB240_2334:
	s_mov_b64 s[16:17], -1
                                        ; implicit-def: $vgpr12
	s_branch .LBB240_2339
.LBB240_2335:
	s_mov_b64 s[16:17], -1
                                        ; implicit-def: $vgpr12
.LBB240_2336:
	s_and_b64 vcc, exec, s[16:17]
	s_cbranch_vccz .LBB240_2338
; %bb.2337:
	global_load_ubyte v5, v[10:11], off
	s_mov_b32 s16, 0x7f800000
	s_brev_b32 s17, 1
	s_movk_i32 s18, 0x7fff
	s_waitcnt vmcnt(0)
	v_lshlrev_b32_e32 v5, 24, v5
	v_and_b32_e32 v8, 0x7f000000, v5
	v_ffbh_u32_e32 v12, v8
	v_min_u32_e32 v12, 32, v12
	v_sub_u32_e64 v12, v12, 4 clamp
	v_lshlrev_b32_e32 v15, v12, v8
	v_lshlrev_b32_e32 v12, 23, v12
	v_lshrrev_b32_e32 v15, 4, v15
	v_add_u32_e32 v13, 0x1000000, v8
	v_sub_u32_e32 v12, v15, v12
	v_ashrrev_i32_e32 v13, 8, v13
	v_add_u32_e32 v12, 0x3c000000, v12
	v_and_or_b32 v12, v13, s16, v12
	v_cmp_ne_u32_e32 vcc, 0, v8
	v_cndmask_b32_e32 v8, 0, v12, vcc
	v_and_or_b32 v5, v5, s17, v8
	v_bfe_u32 v8, v8, 16, 1
	v_add3_u32 v8, v5, v8, s18
	v_cmp_o_f32_e32 vcc, v5, v5
	v_mov_b32_e32 v5, 0x7fc0
	v_cndmask_b32_sdwa v12, v5, v8, vcc dst_sel:DWORD dst_unused:UNUSED_PAD src0_sel:DWORD src1_sel:WORD_1
.LBB240_2338:
	s_mov_b64 s[16:17], 0
.LBB240_2339:
	s_andn2_b64 vcc, exec, s[16:17]
	s_cbranch_vccnz .LBB240_2341
; %bb.2340:
	global_load_ubyte v5, v[10:11], off
	s_movk_i32 s16, 0x7f00
	s_brev_b32 s17, 16
	s_brev_b32 s18, 1
	s_movk_i32 s19, 0x7fff
	s_waitcnt vmcnt(0)
	v_lshlrev_b16_e32 v8, 8, v5
	v_lshlrev_b32_e32 v5, 25, v5
	v_lshrrev_b32_e32 v12, 4, v5
	v_and_or_b32 v13, v8, s16, 0.5
	v_or_b32_e32 v12, 0x70000000, v12
	v_add_f32_e32 v13, -0.5, v13
	v_mul_f32_e32 v12, 0x7800000, v12
	v_cmp_gt_u32_e32 vcc, s17, v5
	v_bfe_i32 v8, v8, 0, 16
	v_cndmask_b32_e32 v5, v12, v13, vcc
	v_and_or_b32 v8, v8, s18, v5
	v_bfe_u32 v5, v5, 16, 1
	v_add3_u32 v5, v8, v5, s19
	v_cmp_o_f32_e32 vcc, v8, v8
	v_mov_b32_e32 v8, 0x7fc0
	v_cndmask_b32_sdwa v12, v8, v5, vcc dst_sel:DWORD dst_unused:UNUSED_PAD src0_sel:DWORD src1_sel:WORD_1
.LBB240_2341:
	s_mov_b64 s[16:17], 0
	s_mov_b64 s[18:19], -1
.LBB240_2342:
	s_andn2_b64 vcc, exec, s[16:17]
	s_mov_b64 s[16:17], 0
	s_cbranch_vccnz .LBB240_2353
; %bb.2343:
	s_cmp_gt_i32 s26, 14
	s_cbranch_scc0 .LBB240_2346
; %bb.2344:
	s_cmp_eq_u32 s26, 15
	s_cbranch_scc0 .LBB240_2349
; %bb.2345:
	global_load_ushort v12, v[10:11], off
	s_mov_b64 s[6:7], 0
	s_mov_b64 s[18:19], -1
	s_branch .LBB240_2350
.LBB240_2346:
	s_mov_b64 s[20:21], -1
                                        ; implicit-def: $vgpr12
	s_branch .LBB240_2351
.LBB240_2347:
	s_or_saveexec_b64 s[18:19], s[18:19]
	v_mov_b32_e32 v8, 0x7f800001
	s_xor_b64 exec, exec, s[18:19]
	s_cbranch_execz .LBB240_2328
.LBB240_2348:
	v_cmp_ne_u16_e32 vcc, 0, v5
	s_andn2_b64 s[16:17], s[16:17], exec
	s_and_b64 s[20:21], vcc, exec
	v_mov_b32_e32 v8, 0
	s_or_b64 s[16:17], s[16:17], s[20:21]
	s_or_b64 exec, exec, s[18:19]
	s_and_saveexec_b64 s[18:19], s[16:17]
	s_cbranch_execnz .LBB240_2329
	s_branch .LBB240_2330
.LBB240_2349:
	s_mov_b64 s[6:7], -1
                                        ; implicit-def: $vgpr12
.LBB240_2350:
	s_mov_b64 s[20:21], 0
.LBB240_2351:
	s_and_b64 vcc, exec, s[20:21]
	s_cbranch_vccz .LBB240_2353
; %bb.2352:
	s_cmp_lg_u32 s26, 11
	s_mov_b64 s[16:17], -1
	s_cselect_b64 s[6:7], -1, 0
.LBB240_2353:
	s_and_b64 vcc, exec, s[6:7]
	s_cbranch_vccnz .LBB240_2418
; %bb.2354:
	s_andn2_b64 vcc, exec, s[16:17]
	s_cbranch_vccnz .LBB240_2356
.LBB240_2355:
	global_load_ubyte v5, v[10:11], off
	s_mov_b64 s[18:19], -1
	s_waitcnt vmcnt(0)
	v_cmp_ne_u16_e32 vcc, 0, v5
	v_cndmask_b32_e64 v5, 0, 1.0, vcc
	v_lshrrev_b32_e32 v12, 16, v5
.LBB240_2356:
	s_mov_b64 s[6:7], 0
.LBB240_2357:
	s_and_b64 vcc, exec, s[6:7]
	s_cbranch_vccz .LBB240_2406
; %bb.2358:
	s_and_b32 s16, 0xffff, s25
	s_cmp_lt_i32 s16, 5
	s_cbranch_scc1 .LBB240_2363
; %bb.2359:
	s_cmp_lt_i32 s16, 8
	s_cbranch_scc1 .LBB240_2364
; %bb.2360:
	;; [unrolled: 3-line block ×3, first 2 shown]
	s_cmp_gt_i32 s16, 9
	s_cbranch_scc0 .LBB240_2366
; %bb.2362:
	global_load_dwordx2 v[12:13], v[10:11], off
	s_movk_i32 s6, 0x7fff
	v_mov_b32_e32 v8, 0x7fc0
	s_waitcnt vmcnt(0)
	v_cvt_f32_f64_e32 v5, v[12:13]
	v_bfe_u32 v12, v5, 16, 1
	v_cmp_o_f32_e32 vcc, v5, v5
	v_add3_u32 v5, v5, v12, s6
	v_cndmask_b32_sdwa v12, v8, v5, vcc dst_sel:DWORD dst_unused:UNUSED_PAD src0_sel:DWORD src1_sel:WORD_1
	s_mov_b64 s[6:7], 0
	s_branch .LBB240_2367
.LBB240_2363:
	s_mov_b64 s[6:7], -1
                                        ; implicit-def: $vgpr12
	s_branch .LBB240_2385
.LBB240_2364:
	s_mov_b64 s[6:7], -1
                                        ; implicit-def: $vgpr12
	s_branch .LBB240_2373
.LBB240_2365:
	s_mov_b64 s[6:7], -1
                                        ; implicit-def: $vgpr12
	s_branch .LBB240_2370
.LBB240_2366:
	s_mov_b64 s[6:7], -1
                                        ; implicit-def: $vgpr12
.LBB240_2367:
	s_andn2_b64 vcc, exec, s[6:7]
	s_cbranch_vccnz .LBB240_2369
; %bb.2368:
	global_load_dword v5, v[10:11], off
	s_movk_i32 s6, 0x7fff
	v_mov_b32_e32 v8, 0x7fc0
	s_waitcnt vmcnt(0)
	v_bfe_u32 v12, v5, 16, 1
	v_cmp_o_f32_e32 vcc, v5, v5
	v_add3_u32 v5, v5, v12, s6
	v_cndmask_b32_sdwa v12, v8, v5, vcc dst_sel:DWORD dst_unused:UNUSED_PAD src0_sel:DWORD src1_sel:WORD_1
.LBB240_2369:
	s_mov_b64 s[6:7], 0
.LBB240_2370:
	s_andn2_b64 vcc, exec, s[6:7]
	s_cbranch_vccnz .LBB240_2372
; %bb.2371:
	global_load_dword v5, v[10:11], off
	s_movk_i32 s6, 0x7fff
	s_waitcnt vmcnt(1)
	v_mov_b32_e32 v12, 0x7fc0
	s_waitcnt vmcnt(0)
	v_cvt_f32_f16_e32 v8, v5
	v_cmp_o_f16_e32 vcc, v5, v5
	v_bfe_u32 v5, v8, 16, 1
	v_add3_u32 v5, v8, v5, s6
	v_cndmask_b32_sdwa v12, v12, v5, vcc dst_sel:DWORD dst_unused:UNUSED_PAD src0_sel:DWORD src1_sel:WORD_1
.LBB240_2372:
	s_mov_b64 s[6:7], 0
.LBB240_2373:
	s_andn2_b64 vcc, exec, s[6:7]
	s_cbranch_vccnz .LBB240_2384
; %bb.2374:
	s_cmp_lt_i32 s16, 6
	s_cbranch_scc1 .LBB240_2377
; %bb.2375:
	s_cmp_gt_i32 s16, 6
	s_cbranch_scc0 .LBB240_2378
; %bb.2376:
	global_load_dwordx2 v[12:13], v[10:11], off
	s_movk_i32 s6, 0x7fff
	v_mov_b32_e32 v8, 0x7fc0
	s_waitcnt vmcnt(0)
	v_cvt_f32_f64_e32 v5, v[12:13]
	v_bfe_u32 v12, v5, 16, 1
	v_cmp_o_f32_e32 vcc, v5, v5
	v_add3_u32 v5, v5, v12, s6
	v_cndmask_b32_sdwa v12, v8, v5, vcc dst_sel:DWORD dst_unused:UNUSED_PAD src0_sel:DWORD src1_sel:WORD_1
	s_mov_b64 s[6:7], 0
	s_branch .LBB240_2379
.LBB240_2377:
	s_mov_b64 s[6:7], -1
                                        ; implicit-def: $vgpr12
	s_branch .LBB240_2382
.LBB240_2378:
	s_mov_b64 s[6:7], -1
                                        ; implicit-def: $vgpr12
.LBB240_2379:
	s_andn2_b64 vcc, exec, s[6:7]
	s_cbranch_vccnz .LBB240_2381
; %bb.2380:
	global_load_dword v5, v[10:11], off
	s_movk_i32 s6, 0x7fff
	v_mov_b32_e32 v8, 0x7fc0
	s_waitcnt vmcnt(0)
	v_bfe_u32 v12, v5, 16, 1
	v_cmp_o_f32_e32 vcc, v5, v5
	v_add3_u32 v5, v5, v12, s6
	v_cndmask_b32_sdwa v12, v8, v5, vcc dst_sel:DWORD dst_unused:UNUSED_PAD src0_sel:DWORD src1_sel:WORD_1
.LBB240_2381:
	s_mov_b64 s[6:7], 0
.LBB240_2382:
	s_andn2_b64 vcc, exec, s[6:7]
	s_cbranch_vccnz .LBB240_2384
; %bb.2383:
	global_load_ushort v5, v[10:11], off
	s_movk_i32 s6, 0x7fff
	s_waitcnt vmcnt(1)
	v_mov_b32_e32 v12, 0x7fc0
	s_waitcnt vmcnt(0)
	v_cvt_f32_f16_e32 v8, v5
	v_cmp_o_f16_e32 vcc, v5, v5
	v_bfe_u32 v5, v8, 16, 1
	v_add3_u32 v5, v8, v5, s6
	v_cndmask_b32_sdwa v12, v12, v5, vcc dst_sel:DWORD dst_unused:UNUSED_PAD src0_sel:DWORD src1_sel:WORD_1
.LBB240_2384:
	s_mov_b64 s[6:7], 0
.LBB240_2385:
	s_andn2_b64 vcc, exec, s[6:7]
	s_cbranch_vccnz .LBB240_2405
; %bb.2386:
	s_cmp_lt_i32 s16, 2
	s_cbranch_scc1 .LBB240_2390
; %bb.2387:
	s_cmp_lt_i32 s16, 3
	s_cbranch_scc1 .LBB240_2391
; %bb.2388:
	s_cmp_gt_i32 s16, 3
	s_cbranch_scc0 .LBB240_2392
; %bb.2389:
	global_load_dwordx2 v[12:13], v[10:11], off
	s_movk_i32 s6, 0x7fff
	s_waitcnt vmcnt(0)
	v_xor_b32_e32 v8, v12, v13
	v_ffbh_i32_e32 v5, v13
	v_ashrrev_i32_e32 v8, 31, v8
	v_add_u32_e32 v5, -1, v5
	v_add_u32_e32 v8, 32, v8
	v_min_u32_e32 v5, v5, v8
	v_lshlrev_b64 v[12:13], v5, v[12:13]
	v_sub_u32_e32 v5, 32, v5
	v_min_u32_e32 v8, 1, v12
	v_or_b32_e32 v8, v13, v8
	v_cvt_f32_i32_e32 v8, v8
	v_ldexp_f32 v5, v8, v5
	v_bfe_u32 v8, v5, 16, 1
	v_add3_u32 v5, v5, v8, s6
	v_lshrrev_b32_e32 v12, 16, v5
	s_mov_b64 s[6:7], 0
	s_branch .LBB240_2393
.LBB240_2390:
	s_mov_b64 s[6:7], -1
                                        ; implicit-def: $vgpr12
	s_branch .LBB240_2399
.LBB240_2391:
	s_mov_b64 s[6:7], -1
                                        ; implicit-def: $vgpr12
	s_branch .LBB240_2396
.LBB240_2392:
	s_mov_b64 s[6:7], -1
                                        ; implicit-def: $vgpr12
.LBB240_2393:
	s_andn2_b64 vcc, exec, s[6:7]
	s_cbranch_vccnz .LBB240_2395
; %bb.2394:
	global_load_dword v5, v[10:11], off
	s_movk_i32 s6, 0x7fff
	s_waitcnt vmcnt(0)
	v_cvt_f32_i32_e32 v5, v5
	v_bfe_u32 v8, v5, 16, 1
	v_add3_u32 v5, v5, v8, s6
	v_lshrrev_b32_e32 v12, 16, v5
.LBB240_2395:
	s_mov_b64 s[6:7], 0
.LBB240_2396:
	s_andn2_b64 vcc, exec, s[6:7]
	s_cbranch_vccnz .LBB240_2398
; %bb.2397:
	global_load_sshort v5, v[10:11], off
	s_movk_i32 s6, 0x7fff
	s_waitcnt vmcnt(0)
	v_cvt_f32_i32_e32 v5, v5
	v_bfe_u32 v8, v5, 16, 1
	v_add3_u32 v5, v5, v8, s6
	v_lshrrev_b32_e32 v12, 16, v5
.LBB240_2398:
	s_mov_b64 s[6:7], 0
.LBB240_2399:
	s_andn2_b64 vcc, exec, s[6:7]
	s_cbranch_vccnz .LBB240_2405
; %bb.2400:
	s_cmp_gt_i32 s16, 0
	s_cbranch_scc0 .LBB240_2402
; %bb.2401:
	global_load_sbyte v5, v[10:11], off
	s_movk_i32 s6, 0x7fff
	s_waitcnt vmcnt(0)
	v_cvt_f32_i32_e32 v5, v5
	v_bfe_u32 v8, v5, 16, 1
	v_add3_u32 v5, v5, v8, s6
	v_lshrrev_b32_e32 v12, 16, v5
	s_mov_b64 s[6:7], 0
	s_branch .LBB240_2403
.LBB240_2402:
	s_mov_b64 s[6:7], -1
                                        ; implicit-def: $vgpr12
.LBB240_2403:
	s_andn2_b64 vcc, exec, s[6:7]
	s_cbranch_vccnz .LBB240_2405
; %bb.2404:
	global_load_ubyte v5, v[10:11], off
	s_movk_i32 s6, 0x7fff
	s_waitcnt vmcnt(0)
	v_cvt_f32_ubyte0_e32 v5, v5
	v_bfe_u32 v8, v5, 16, 1
	v_add3_u32 v5, v5, v8, s6
	v_lshrrev_b32_e32 v12, 16, v5
.LBB240_2405:
	s_mov_b64 s[18:19], -1
.LBB240_2406:
	s_andn2_b64 vcc, exec, s[18:19]
	s_cbranch_vccnz .LBB240_3100
; %bb.2407:
	v_mov_b32_e32 v5, s11
	v_add_co_u32_e32 v8, vcc, s10, v9
	s_cmp_lt_i32 s24, 11
	v_addc_co_u32_e32 v9, vcc, 0, v5, vcc
	s_cbranch_scc1 .LBB240_2414
; %bb.2408:
	s_and_b32 s22, 0xffff, s24
	s_cmp_gt_i32 s22, 25
	s_mov_b64 s[10:11], 0
	s_cbranch_scc0 .LBB240_2415
; %bb.2409:
	s_cmp_gt_i32 s22, 28
	s_cbranch_scc0 .LBB240_2416
; %bb.2410:
	s_cmp_gt_i32 s22, 43
	;; [unrolled: 3-line block ×3, first 2 shown]
	s_cbranch_scc0 .LBB240_2419
; %bb.2412:
	s_cmp_eq_u32 s22, 46
	s_mov_b64 s[18:19], 0
	s_cbranch_scc0 .LBB240_2420
; %bb.2413:
	global_load_dword v10, v[8:9], off
	s_mov_b64 s[6:7], 0
	s_mov_b64 s[16:17], -1
	s_branch .LBB240_2421
.LBB240_2414:
	s_mov_b64 s[6:7], -1
	s_mov_b64 s[16:17], 0
                                        ; implicit-def: $vgpr10
	s_branch .LBB240_2487
.LBB240_2415:
	s_mov_b64 s[18:19], -1
	s_mov_b64 s[16:17], 0
	s_mov_b64 s[6:7], 0
                                        ; implicit-def: $vgpr10
	s_branch .LBB240_2450
.LBB240_2416:
	s_mov_b64 s[18:19], -1
	s_mov_b64 s[16:17], 0
	s_mov_b64 s[6:7], 0
                                        ; implicit-def: $vgpr10
	s_branch .LBB240_2431
.LBB240_2417:
	s_mov_b64 s[18:19], -1
	s_mov_b64 s[16:17], 0
	s_mov_b64 s[6:7], 0
                                        ; implicit-def: $vgpr10
	s_branch .LBB240_2426
.LBB240_2418:
	s_trap 2
	s_or_b64 s[4:5], s[4:5], exec
	s_cbranch_execz .LBB240_2355
	s_branch .LBB240_2356
.LBB240_2419:
	s_mov_b64 s[18:19], -1
	s_mov_b64 s[16:17], 0
	s_mov_b64 s[6:7], 0
                                        ; implicit-def: $vgpr10
	s_branch .LBB240_2421
.LBB240_2420:
	s_mov_b64 s[6:7], -1
                                        ; implicit-def: $vgpr10
	s_mov_b64 s[16:17], 0
.LBB240_2421:
	s_and_b64 vcc, exec, s[18:19]
	s_cbranch_vccz .LBB240_2425
; %bb.2422:
	s_cmp_eq_u32 s22, 44
	s_cbranch_scc0 .LBB240_2424
; %bb.2423:
	global_load_ubyte v5, v[8:9], off
	s_movk_i32 s16, 0xff
	s_waitcnt vmcnt(1)
	v_mov_b32_e32 v10, 0x7f800001
	v_mov_b32_e32 v11, 0x400000
	;; [unrolled: 1-line block ×3, first 2 shown]
	s_mov_b64 s[6:7], 0
	s_waitcnt vmcnt(0)
	v_lshlrev_b32_e32 v15, 23, v5
	v_cmp_ne_u32_e32 vcc, s16, v5
	v_cndmask_b32_e32 v10, v10, v15, vcc
	v_cmp_ne_u32_e32 vcc, 0, v5
	v_cndmask_b32_e32 v5, v11, v10, vcc
	v_add_u32_e32 v10, 0x7fff, v5
	v_cmp_o_f32_e32 vcc, v5, v5
	v_cndmask_b32_sdwa v10, v13, v10, vcc dst_sel:DWORD dst_unused:UNUSED_PAD src0_sel:DWORD src1_sel:WORD_1
	s_mov_b64 s[16:17], -1
	s_branch .LBB240_2425
.LBB240_2424:
	s_mov_b64 s[6:7], -1
                                        ; implicit-def: $vgpr10
.LBB240_2425:
	s_mov_b64 s[18:19], 0
.LBB240_2426:
	s_and_b64 vcc, exec, s[18:19]
	s_cbranch_vccz .LBB240_2430
; %bb.2427:
	s_cmp_eq_u32 s22, 29
	s_cbranch_scc0 .LBB240_2429
; %bb.2428:
	global_load_dwordx2 v[10:11], v[8:9], off
	s_movk_i32 s16, 0x7fff
	s_mov_b64 s[6:7], 0
	s_mov_b64 s[18:19], 0
	s_waitcnt vmcnt(0)
	v_ffbh_u32_e32 v5, v11
	v_min_u32_e32 v5, 32, v5
	v_lshlrev_b64 v[10:11], v5, v[10:11]
	v_sub_u32_e32 v5, 32, v5
	v_min_u32_e32 v10, 1, v10
	v_or_b32_e32 v10, v11, v10
	v_cvt_f32_u32_e32 v10, v10
	v_ldexp_f32 v5, v10, v5
	v_bfe_u32 v10, v5, 16, 1
	v_add3_u32 v5, v5, v10, s16
	v_lshrrev_b32_e32 v10, 16, v5
	s_mov_b64 s[16:17], -1
	s_branch .LBB240_2431
.LBB240_2429:
	s_mov_b64 s[6:7], -1
                                        ; implicit-def: $vgpr10
.LBB240_2430:
	s_mov_b64 s[18:19], 0
.LBB240_2431:
	s_and_b64 vcc, exec, s[18:19]
	s_cbranch_vccz .LBB240_2449
; %bb.2432:
	s_cmp_lt_i32 s22, 27
	s_cbranch_scc1 .LBB240_2435
; %bb.2433:
	s_cmp_gt_i32 s22, 27
	s_cbranch_scc0 .LBB240_2436
; %bb.2434:
	global_load_dword v5, v[8:9], off
	s_movk_i32 s16, 0x7fff
	s_waitcnt vmcnt(0)
	v_cvt_f32_u32_e32 v5, v5
	v_bfe_u32 v10, v5, 16, 1
	v_add3_u32 v5, v5, v10, s16
	v_lshrrev_b32_e32 v10, 16, v5
	s_mov_b64 s[16:17], 0
	s_branch .LBB240_2437
.LBB240_2435:
	s_mov_b64 s[16:17], -1
                                        ; implicit-def: $vgpr10
	s_branch .LBB240_2440
.LBB240_2436:
	s_mov_b64 s[16:17], -1
                                        ; implicit-def: $vgpr10
.LBB240_2437:
	s_andn2_b64 vcc, exec, s[16:17]
	s_cbranch_vccnz .LBB240_2439
; %bb.2438:
	global_load_ushort v5, v[8:9], off
	s_movk_i32 s16, 0x7fff
	s_waitcnt vmcnt(0)
	v_cvt_f32_u32_e32 v5, v5
	v_bfe_u32 v10, v5, 16, 1
	v_add3_u32 v5, v5, v10, s16
	v_lshrrev_b32_e32 v10, 16, v5
.LBB240_2439:
	s_mov_b64 s[16:17], 0
.LBB240_2440:
	s_andn2_b64 vcc, exec, s[16:17]
	s_cbranch_vccnz .LBB240_2448
; %bb.2441:
	global_load_ubyte v5, v[8:9], off
	s_movk_i32 s16, 0x7f
	s_waitcnt vmcnt(0)
	v_cmp_lt_i16_e32 vcc, s16, v5
	s_mov_b64 s[16:17], 0
	s_and_saveexec_b64 s[18:19], vcc
	s_xor_b64 s[18:19], exec, s[18:19]
	s_cbranch_execz .LBB240_2462
; %bb.2442:
	s_movk_i32 s16, 0x80
	v_cmp_eq_u16_e32 vcc, s16, v5
	s_mov_b64 s[16:17], -1
	s_and_saveexec_b64 s[20:21], vcc
; %bb.2443:
	s_xor_b64 s[16:17], exec, -1
; %bb.2444:
	s_or_b64 exec, exec, s[20:21]
	s_and_b64 s[16:17], s[16:17], exec
	s_or_saveexec_b64 s[18:19], s[18:19]
	v_mov_b32_e32 v10, 0x7f800001
	s_xor_b64 exec, exec, s[18:19]
	s_cbranch_execnz .LBB240_2463
.LBB240_2445:
	s_or_b64 exec, exec, s[18:19]
	s_and_saveexec_b64 s[18:19], s[16:17]
	s_cbranch_execz .LBB240_2447
.LBB240_2446:
	v_lshlrev_b32_e32 v10, 24, v5
	v_and_b32_e32 v5, 0xffff, v5
	v_and_b32_e32 v11, 7, v5
	v_ffbh_u32_e32 v15, v11
	v_min_u32_e32 v15, 32, v15
	v_subrev_u32_e32 v17, 28, v15
	v_bfe_u32 v13, v5, 3, 4
	v_lshlrev_b32_e32 v5, v17, v5
	v_sub_u32_e32 v15, 29, v15
	v_and_b32_e32 v5, 7, v5
	v_cmp_eq_u32_e32 vcc, 0, v13
	v_cndmask_b32_e32 v13, v13, v15, vcc
	v_cndmask_b32_e32 v5, v11, v5, vcc
	v_mov_b32_e32 v11, 0x3b800000
	v_lshlrev_b32_e32 v5, 20, v5
	v_and_b32_e32 v10, 0x80000000, v10
	v_lshl_add_u32 v11, v13, 23, v11
	v_or3_b32 v10, v10, v11, v5
.LBB240_2447:
	s_or_b64 exec, exec, s[18:19]
	v_bfe_u32 v5, v10, 16, 1
	s_movk_i32 s16, 0x7fff
	v_add3_u32 v5, v10, v5, s16
	v_cmp_o_f32_e32 vcc, v10, v10
	v_mov_b32_e32 v10, 0x7fc0
	v_cndmask_b32_sdwa v10, v10, v5, vcc dst_sel:DWORD dst_unused:UNUSED_PAD src0_sel:DWORD src1_sel:WORD_1
.LBB240_2448:
	s_mov_b64 s[16:17], -1
.LBB240_2449:
	s_mov_b64 s[18:19], 0
.LBB240_2450:
	s_and_b64 vcc, exec, s[18:19]
	s_cbranch_vccz .LBB240_2483
; %bb.2451:
	s_cmp_gt_i32 s22, 22
	s_cbranch_scc0 .LBB240_2461
; %bb.2452:
	s_cmp_lt_i32 s22, 24
	s_cbranch_scc1 .LBB240_2464
; %bb.2453:
	s_cmp_gt_i32 s22, 24
	s_cbranch_scc0 .LBB240_2465
; %bb.2454:
	global_load_ubyte v5, v[8:9], off
	s_movk_i32 s10, 0x7f
	s_waitcnt vmcnt(0)
	v_cmp_lt_i16_e32 vcc, s10, v5
	s_mov_b64 s[10:11], 0
	s_and_saveexec_b64 s[16:17], vcc
	s_xor_b64 s[16:17], exec, s[16:17]
	s_cbranch_execz .LBB240_2477
; %bb.2455:
	s_movk_i32 s10, 0x80
	v_cmp_eq_u16_e32 vcc, s10, v5
	s_mov_b64 s[10:11], -1
	s_and_saveexec_b64 s[18:19], vcc
; %bb.2456:
	s_xor_b64 s[10:11], exec, -1
; %bb.2457:
	s_or_b64 exec, exec, s[18:19]
	s_and_b64 s[10:11], s[10:11], exec
	s_or_saveexec_b64 s[16:17], s[16:17]
	v_mov_b32_e32 v10, 0x7f800001
	s_xor_b64 exec, exec, s[16:17]
	s_cbranch_execnz .LBB240_2478
.LBB240_2458:
	s_or_b64 exec, exec, s[16:17]
	s_and_saveexec_b64 s[16:17], s[10:11]
	s_cbranch_execz .LBB240_2460
.LBB240_2459:
	v_lshlrev_b32_e32 v10, 24, v5
	v_and_b32_e32 v5, 0xffff, v5
	v_and_b32_e32 v11, 3, v5
	v_ffbh_u32_e32 v15, v11
	v_min_u32_e32 v15, 32, v15
	v_subrev_u32_e32 v17, 29, v15
	v_bfe_u32 v13, v5, 2, 5
	v_lshlrev_b32_e32 v5, v17, v5
	v_sub_u32_e32 v15, 30, v15
	v_and_b32_e32 v5, 3, v5
	v_cmp_eq_u32_e32 vcc, 0, v13
	v_cndmask_b32_e32 v13, v13, v15, vcc
	v_cndmask_b32_e32 v5, v11, v5, vcc
	v_mov_b32_e32 v11, 0x37800000
	v_lshlrev_b32_e32 v5, 21, v5
	v_and_b32_e32 v10, 0x80000000, v10
	v_lshl_add_u32 v11, v13, 23, v11
	v_or3_b32 v10, v10, v11, v5
.LBB240_2460:
	s_or_b64 exec, exec, s[16:17]
	v_bfe_u32 v5, v10, 16, 1
	s_movk_i32 s10, 0x7fff
	v_add3_u32 v5, v10, v5, s10
	v_cmp_o_f32_e32 vcc, v10, v10
	v_mov_b32_e32 v10, 0x7fc0
	v_cndmask_b32_sdwa v10, v10, v5, vcc dst_sel:DWORD dst_unused:UNUSED_PAD src0_sel:DWORD src1_sel:WORD_1
	s_mov_b64 s[10:11], 0
	s_branch .LBB240_2466
.LBB240_2461:
	s_mov_b64 s[10:11], -1
                                        ; implicit-def: $vgpr10
	s_branch .LBB240_2472
.LBB240_2462:
	s_or_saveexec_b64 s[18:19], s[18:19]
	v_mov_b32_e32 v10, 0x7f800001
	s_xor_b64 exec, exec, s[18:19]
	s_cbranch_execz .LBB240_2445
.LBB240_2463:
	v_cmp_ne_u16_e32 vcc, 0, v5
	s_andn2_b64 s[16:17], s[16:17], exec
	s_and_b64 s[20:21], vcc, exec
	v_mov_b32_e32 v10, 0
	s_or_b64 s[16:17], s[16:17], s[20:21]
	s_or_b64 exec, exec, s[18:19]
	s_and_saveexec_b64 s[18:19], s[16:17]
	s_cbranch_execnz .LBB240_2446
	s_branch .LBB240_2447
.LBB240_2464:
	s_mov_b64 s[10:11], -1
                                        ; implicit-def: $vgpr10
	s_branch .LBB240_2469
.LBB240_2465:
	s_mov_b64 s[10:11], -1
                                        ; implicit-def: $vgpr10
.LBB240_2466:
	s_and_b64 vcc, exec, s[10:11]
	s_cbranch_vccz .LBB240_2468
; %bb.2467:
	global_load_ubyte v5, v[8:9], off
	s_mov_b32 s10, 0x7f800000
	s_brev_b32 s11, 1
	s_movk_i32 s16, 0x7fff
	s_waitcnt vmcnt(0)
	v_lshlrev_b32_e32 v5, 24, v5
	v_and_b32_e32 v10, 0x7f000000, v5
	v_ffbh_u32_e32 v11, v10
	v_min_u32_e32 v11, 32, v11
	v_sub_u32_e64 v11, v11, 4 clamp
	v_lshlrev_b32_e32 v15, v11, v10
	v_lshlrev_b32_e32 v11, 23, v11
	v_lshrrev_b32_e32 v15, 4, v15
	v_add_u32_e32 v13, 0x1000000, v10
	v_sub_u32_e32 v11, v15, v11
	v_ashrrev_i32_e32 v13, 8, v13
	v_add_u32_e32 v11, 0x3c000000, v11
	v_and_or_b32 v11, v13, s10, v11
	v_cmp_ne_u32_e32 vcc, 0, v10
	v_cndmask_b32_e32 v10, 0, v11, vcc
	v_and_or_b32 v5, v5, s11, v10
	v_bfe_u32 v10, v10, 16, 1
	v_add3_u32 v10, v5, v10, s16
	v_cmp_o_f32_e32 vcc, v5, v5
	v_mov_b32_e32 v5, 0x7fc0
	v_cndmask_b32_sdwa v10, v5, v10, vcc dst_sel:DWORD dst_unused:UNUSED_PAD src0_sel:DWORD src1_sel:WORD_1
.LBB240_2468:
	s_mov_b64 s[10:11], 0
.LBB240_2469:
	s_andn2_b64 vcc, exec, s[10:11]
	s_cbranch_vccnz .LBB240_2471
; %bb.2470:
	global_load_ubyte v5, v[8:9], off
	s_movk_i32 s10, 0x7f00
	s_brev_b32 s11, 16
	s_brev_b32 s16, 1
	s_movk_i32 s17, 0x7fff
	s_waitcnt vmcnt(0)
	v_lshlrev_b16_e32 v10, 8, v5
	v_lshlrev_b32_e32 v5, 25, v5
	v_lshrrev_b32_e32 v11, 4, v5
	v_and_or_b32 v13, v10, s10, 0.5
	v_or_b32_e32 v11, 0x70000000, v11
	v_add_f32_e32 v13, -0.5, v13
	v_mul_f32_e32 v11, 0x7800000, v11
	v_cmp_gt_u32_e32 vcc, s11, v5
	v_bfe_i32 v10, v10, 0, 16
	v_cndmask_b32_e32 v5, v11, v13, vcc
	v_and_or_b32 v10, v10, s16, v5
	v_bfe_u32 v5, v5, 16, 1
	v_add3_u32 v5, v10, v5, s17
	v_cmp_o_f32_e32 vcc, v10, v10
	v_mov_b32_e32 v10, 0x7fc0
	v_cndmask_b32_sdwa v10, v10, v5, vcc dst_sel:DWORD dst_unused:UNUSED_PAD src0_sel:DWORD src1_sel:WORD_1
.LBB240_2471:
	s_mov_b64 s[10:11], 0
	s_mov_b64 s[16:17], -1
.LBB240_2472:
	s_andn2_b64 vcc, exec, s[10:11]
	s_mov_b64 s[10:11], 0
	s_cbranch_vccnz .LBB240_2483
; %bb.2473:
	s_cmp_gt_i32 s22, 14
	s_cbranch_scc0 .LBB240_2476
; %bb.2474:
	s_cmp_eq_u32 s22, 15
	s_cbranch_scc0 .LBB240_2479
; %bb.2475:
	global_load_ushort v10, v[8:9], off
	s_mov_b64 s[6:7], 0
	s_mov_b64 s[16:17], -1
	s_branch .LBB240_2480
.LBB240_2476:
	s_mov_b64 s[18:19], -1
                                        ; implicit-def: $vgpr10
	s_branch .LBB240_2481
.LBB240_2477:
	s_or_saveexec_b64 s[16:17], s[16:17]
	v_mov_b32_e32 v10, 0x7f800001
	s_xor_b64 exec, exec, s[16:17]
	s_cbranch_execz .LBB240_2458
.LBB240_2478:
	v_cmp_ne_u16_e32 vcc, 0, v5
	s_andn2_b64 s[10:11], s[10:11], exec
	s_and_b64 s[18:19], vcc, exec
	v_mov_b32_e32 v10, 0
	s_or_b64 s[10:11], s[10:11], s[18:19]
	s_or_b64 exec, exec, s[16:17]
	s_and_saveexec_b64 s[16:17], s[10:11]
	s_cbranch_execnz .LBB240_2459
	s_branch .LBB240_2460
.LBB240_2479:
	s_mov_b64 s[6:7], -1
                                        ; implicit-def: $vgpr10
.LBB240_2480:
	s_mov_b64 s[18:19], 0
.LBB240_2481:
	s_and_b64 vcc, exec, s[18:19]
	s_cbranch_vccz .LBB240_2483
; %bb.2482:
	s_cmp_lg_u32 s22, 11
	s_mov_b64 s[10:11], -1
	s_cselect_b64 s[6:7], -1, 0
.LBB240_2483:
	s_and_b64 vcc, exec, s[6:7]
	s_cbranch_vccnz .LBB240_2548
; %bb.2484:
	s_andn2_b64 vcc, exec, s[10:11]
	s_cbranch_vccnz .LBB240_2486
.LBB240_2485:
	global_load_ubyte v5, v[8:9], off
	s_mov_b64 s[16:17], -1
	s_waitcnt vmcnt(0)
	v_cmp_ne_u16_e32 vcc, 0, v5
	v_cndmask_b32_e64 v5, 0, 1.0, vcc
	v_lshrrev_b32_e32 v10, 16, v5
.LBB240_2486:
	s_mov_b64 s[6:7], 0
.LBB240_2487:
	s_and_b64 vcc, exec, s[6:7]
	s_cbranch_vccz .LBB240_2536
; %bb.2488:
	s_and_b32 s10, 0xffff, s24
	s_cmp_lt_i32 s10, 5
	s_cbranch_scc1 .LBB240_2493
; %bb.2489:
	s_cmp_lt_i32 s10, 8
	s_cbranch_scc1 .LBB240_2494
; %bb.2490:
	;; [unrolled: 3-line block ×3, first 2 shown]
	s_cmp_gt_i32 s10, 9
	s_cbranch_scc0 .LBB240_2496
; %bb.2492:
	global_load_dwordx2 v[10:11], v[8:9], off
	s_movk_i32 s6, 0x7fff
	s_waitcnt vmcnt(0)
	v_cvt_f32_f64_e32 v5, v[10:11]
	v_mov_b32_e32 v10, 0x7fc0
	v_bfe_u32 v11, v5, 16, 1
	v_cmp_o_f32_e32 vcc, v5, v5
	v_add3_u32 v5, v5, v11, s6
	v_cndmask_b32_sdwa v10, v10, v5, vcc dst_sel:DWORD dst_unused:UNUSED_PAD src0_sel:DWORD src1_sel:WORD_1
	s_mov_b64 s[6:7], 0
	s_branch .LBB240_2497
.LBB240_2493:
	s_mov_b64 s[6:7], -1
                                        ; implicit-def: $vgpr10
	s_branch .LBB240_2515
.LBB240_2494:
	s_mov_b64 s[6:7], -1
                                        ; implicit-def: $vgpr10
	s_branch .LBB240_2503
.LBB240_2495:
	s_mov_b64 s[6:7], -1
                                        ; implicit-def: $vgpr10
	s_branch .LBB240_2500
.LBB240_2496:
	s_mov_b64 s[6:7], -1
                                        ; implicit-def: $vgpr10
.LBB240_2497:
	s_andn2_b64 vcc, exec, s[6:7]
	s_cbranch_vccnz .LBB240_2499
; %bb.2498:
	global_load_dword v5, v[8:9], off
	s_movk_i32 s6, 0x7fff
	s_waitcnt vmcnt(1)
	v_mov_b32_e32 v10, 0x7fc0
	s_waitcnt vmcnt(0)
	v_bfe_u32 v11, v5, 16, 1
	v_cmp_o_f32_e32 vcc, v5, v5
	v_add3_u32 v5, v5, v11, s6
	v_cndmask_b32_sdwa v10, v10, v5, vcc dst_sel:DWORD dst_unused:UNUSED_PAD src0_sel:DWORD src1_sel:WORD_1
.LBB240_2499:
	s_mov_b64 s[6:7], 0
.LBB240_2500:
	s_andn2_b64 vcc, exec, s[6:7]
	s_cbranch_vccnz .LBB240_2502
; %bb.2501:
	global_load_dword v5, v[8:9], off
	s_movk_i32 s6, 0x7fff
	v_mov_b32_e32 v11, 0x7fc0
	s_waitcnt vmcnt(0)
	v_cvt_f32_f16_e32 v10, v5
	v_cmp_o_f16_e32 vcc, v5, v5
	v_bfe_u32 v5, v10, 16, 1
	v_add3_u32 v5, v10, v5, s6
	v_cndmask_b32_sdwa v10, v11, v5, vcc dst_sel:DWORD dst_unused:UNUSED_PAD src0_sel:DWORD src1_sel:WORD_1
.LBB240_2502:
	s_mov_b64 s[6:7], 0
.LBB240_2503:
	s_andn2_b64 vcc, exec, s[6:7]
	s_cbranch_vccnz .LBB240_2514
; %bb.2504:
	s_cmp_lt_i32 s10, 6
	s_cbranch_scc1 .LBB240_2507
; %bb.2505:
	s_cmp_gt_i32 s10, 6
	s_cbranch_scc0 .LBB240_2508
; %bb.2506:
	global_load_dwordx2 v[10:11], v[8:9], off
	s_movk_i32 s6, 0x7fff
	s_waitcnt vmcnt(0)
	v_cvt_f32_f64_e32 v5, v[10:11]
	v_mov_b32_e32 v10, 0x7fc0
	v_bfe_u32 v11, v5, 16, 1
	v_cmp_o_f32_e32 vcc, v5, v5
	v_add3_u32 v5, v5, v11, s6
	v_cndmask_b32_sdwa v10, v10, v5, vcc dst_sel:DWORD dst_unused:UNUSED_PAD src0_sel:DWORD src1_sel:WORD_1
	s_mov_b64 s[6:7], 0
	s_branch .LBB240_2509
.LBB240_2507:
	s_mov_b64 s[6:7], -1
                                        ; implicit-def: $vgpr10
	s_branch .LBB240_2512
.LBB240_2508:
	s_mov_b64 s[6:7], -1
                                        ; implicit-def: $vgpr10
.LBB240_2509:
	s_andn2_b64 vcc, exec, s[6:7]
	s_cbranch_vccnz .LBB240_2511
; %bb.2510:
	global_load_dword v5, v[8:9], off
	s_movk_i32 s6, 0x7fff
	s_waitcnt vmcnt(1)
	v_mov_b32_e32 v10, 0x7fc0
	s_waitcnt vmcnt(0)
	v_bfe_u32 v11, v5, 16, 1
	v_cmp_o_f32_e32 vcc, v5, v5
	v_add3_u32 v5, v5, v11, s6
	v_cndmask_b32_sdwa v10, v10, v5, vcc dst_sel:DWORD dst_unused:UNUSED_PAD src0_sel:DWORD src1_sel:WORD_1
.LBB240_2511:
	s_mov_b64 s[6:7], 0
.LBB240_2512:
	s_andn2_b64 vcc, exec, s[6:7]
	s_cbranch_vccnz .LBB240_2514
; %bb.2513:
	global_load_ushort v5, v[8:9], off
	s_movk_i32 s6, 0x7fff
	v_mov_b32_e32 v11, 0x7fc0
	s_waitcnt vmcnt(0)
	v_cvt_f32_f16_e32 v10, v5
	v_cmp_o_f16_e32 vcc, v5, v5
	v_bfe_u32 v5, v10, 16, 1
	v_add3_u32 v5, v10, v5, s6
	v_cndmask_b32_sdwa v10, v11, v5, vcc dst_sel:DWORD dst_unused:UNUSED_PAD src0_sel:DWORD src1_sel:WORD_1
.LBB240_2514:
	s_mov_b64 s[6:7], 0
.LBB240_2515:
	s_andn2_b64 vcc, exec, s[6:7]
	s_cbranch_vccnz .LBB240_2535
; %bb.2516:
	s_cmp_lt_i32 s10, 2
	s_cbranch_scc1 .LBB240_2520
; %bb.2517:
	s_cmp_lt_i32 s10, 3
	s_cbranch_scc1 .LBB240_2521
; %bb.2518:
	s_cmp_gt_i32 s10, 3
	s_cbranch_scc0 .LBB240_2522
; %bb.2519:
	global_load_dwordx2 v[10:11], v[8:9], off
	s_movk_i32 s6, 0x7fff
	s_waitcnt vmcnt(0)
	v_xor_b32_e32 v13, v10, v11
	v_ffbh_i32_e32 v5, v11
	v_ashrrev_i32_e32 v13, 31, v13
	v_add_u32_e32 v5, -1, v5
	v_add_u32_e32 v13, 32, v13
	v_min_u32_e32 v5, v5, v13
	v_lshlrev_b64 v[10:11], v5, v[10:11]
	v_sub_u32_e32 v5, 32, v5
	v_min_u32_e32 v10, 1, v10
	v_or_b32_e32 v10, v11, v10
	v_cvt_f32_i32_e32 v10, v10
	v_ldexp_f32 v5, v10, v5
	v_bfe_u32 v10, v5, 16, 1
	v_add3_u32 v5, v5, v10, s6
	v_lshrrev_b32_e32 v10, 16, v5
	s_mov_b64 s[6:7], 0
	s_branch .LBB240_2523
.LBB240_2520:
	s_mov_b64 s[6:7], -1
                                        ; implicit-def: $vgpr10
	s_branch .LBB240_2529
.LBB240_2521:
	s_mov_b64 s[6:7], -1
                                        ; implicit-def: $vgpr10
	s_branch .LBB240_2526
.LBB240_2522:
	s_mov_b64 s[6:7], -1
                                        ; implicit-def: $vgpr10
.LBB240_2523:
	s_andn2_b64 vcc, exec, s[6:7]
	s_cbranch_vccnz .LBB240_2525
; %bb.2524:
	global_load_dword v5, v[8:9], off
	s_movk_i32 s6, 0x7fff
	s_waitcnt vmcnt(0)
	v_cvt_f32_i32_e32 v5, v5
	v_bfe_u32 v10, v5, 16, 1
	v_add3_u32 v5, v5, v10, s6
	v_lshrrev_b32_e32 v10, 16, v5
.LBB240_2525:
	s_mov_b64 s[6:7], 0
.LBB240_2526:
	s_andn2_b64 vcc, exec, s[6:7]
	s_cbranch_vccnz .LBB240_2528
; %bb.2527:
	global_load_sshort v5, v[8:9], off
	s_movk_i32 s6, 0x7fff
	s_waitcnt vmcnt(0)
	v_cvt_f32_i32_e32 v5, v5
	v_bfe_u32 v10, v5, 16, 1
	v_add3_u32 v5, v5, v10, s6
	v_lshrrev_b32_e32 v10, 16, v5
.LBB240_2528:
	s_mov_b64 s[6:7], 0
.LBB240_2529:
	s_andn2_b64 vcc, exec, s[6:7]
	s_cbranch_vccnz .LBB240_2535
; %bb.2530:
	s_cmp_gt_i32 s10, 0
	s_cbranch_scc0 .LBB240_2532
; %bb.2531:
	global_load_sbyte v5, v[8:9], off
	s_movk_i32 s6, 0x7fff
	s_waitcnt vmcnt(0)
	v_cvt_f32_i32_e32 v5, v5
	v_bfe_u32 v10, v5, 16, 1
	v_add3_u32 v5, v5, v10, s6
	v_lshrrev_b32_e32 v10, 16, v5
	s_mov_b64 s[6:7], 0
	s_branch .LBB240_2533
.LBB240_2532:
	s_mov_b64 s[6:7], -1
                                        ; implicit-def: $vgpr10
.LBB240_2533:
	s_andn2_b64 vcc, exec, s[6:7]
	s_cbranch_vccnz .LBB240_2535
; %bb.2534:
	global_load_ubyte v5, v[8:9], off
	s_movk_i32 s6, 0x7fff
	s_waitcnt vmcnt(0)
	v_cvt_f32_ubyte0_e32 v5, v5
	v_bfe_u32 v8, v5, 16, 1
	v_add3_u32 v5, v5, v8, s6
	v_lshrrev_b32_e32 v10, 16, v5
.LBB240_2535:
	s_mov_b64 s[16:17], -1
.LBB240_2536:
	s_andn2_b64 vcc, exec, s[16:17]
	s_cbranch_vccnz .LBB240_3100
; %bb.2537:
	v_mov_b32_e32 v5, s1
	v_add_co_u32_e32 v7, vcc, s0, v7
	s_cmp_lt_i32 s25, 11
	v_addc_co_u32_e32 v8, vcc, 0, v5, vcc
	s_cbranch_scc1 .LBB240_2544
; %bb.2538:
	s_and_b32 s20, 0xffff, s25
	s_cmp_gt_i32 s20, 25
	s_mov_b64 s[6:7], 0
	s_cbranch_scc0 .LBB240_2545
; %bb.2539:
	s_cmp_gt_i32 s20, 28
	s_cbranch_scc0 .LBB240_2546
; %bb.2540:
	s_cmp_gt_i32 s20, 43
	;; [unrolled: 3-line block ×3, first 2 shown]
	s_cbranch_scc0 .LBB240_2549
; %bb.2542:
	s_cmp_eq_u32 s20, 46
	s_mov_b64 s[16:17], 0
	s_cbranch_scc0 .LBB240_2550
; %bb.2543:
	global_load_dword v9, v[7:8], off
	s_mov_b64 s[0:1], 0
	s_mov_b64 s[10:11], -1
	s_branch .LBB240_2551
.LBB240_2544:
	s_mov_b64 s[0:1], -1
	s_mov_b64 s[10:11], 0
                                        ; implicit-def: $vgpr9
	s_branch .LBB240_2617
.LBB240_2545:
	s_mov_b64 s[16:17], -1
	s_mov_b64 s[10:11], 0
	s_mov_b64 s[0:1], 0
                                        ; implicit-def: $vgpr9
	s_branch .LBB240_2580
.LBB240_2546:
	s_mov_b64 s[16:17], -1
	s_mov_b64 s[10:11], 0
	s_mov_b64 s[0:1], 0
                                        ; implicit-def: $vgpr9
	s_branch .LBB240_2561
.LBB240_2547:
	s_mov_b64 s[16:17], -1
	s_mov_b64 s[10:11], 0
	s_mov_b64 s[0:1], 0
                                        ; implicit-def: $vgpr9
	s_branch .LBB240_2556
.LBB240_2548:
	s_trap 2
	s_or_b64 s[4:5], s[4:5], exec
	s_cbranch_execz .LBB240_2485
	s_branch .LBB240_2486
.LBB240_2549:
	s_mov_b64 s[16:17], -1
	s_mov_b64 s[10:11], 0
	s_mov_b64 s[0:1], 0
                                        ; implicit-def: $vgpr9
	s_branch .LBB240_2551
.LBB240_2550:
	s_mov_b64 s[0:1], -1
                                        ; implicit-def: $vgpr9
	s_mov_b64 s[10:11], 0
.LBB240_2551:
	s_and_b64 vcc, exec, s[16:17]
	s_cbranch_vccz .LBB240_2555
; %bb.2552:
	s_cmp_eq_u32 s20, 44
	s_cbranch_scc0 .LBB240_2554
; %bb.2553:
	global_load_ubyte v5, v[7:8], off
	s_movk_i32 s10, 0xff
	s_waitcnt vmcnt(1)
	v_mov_b32_e32 v9, 0x7f800001
	v_mov_b32_e32 v11, 0x400000
	;; [unrolled: 1-line block ×3, first 2 shown]
	s_mov_b64 s[0:1], 0
	s_waitcnt vmcnt(0)
	v_lshlrev_b32_e32 v15, 23, v5
	v_cmp_ne_u32_e32 vcc, s10, v5
	v_cndmask_b32_e32 v9, v9, v15, vcc
	v_cmp_ne_u32_e32 vcc, 0, v5
	v_cndmask_b32_e32 v5, v11, v9, vcc
	v_add_u32_e32 v9, 0x7fff, v5
	v_cmp_o_f32_e32 vcc, v5, v5
	v_cndmask_b32_sdwa v9, v13, v9, vcc dst_sel:DWORD dst_unused:UNUSED_PAD src0_sel:DWORD src1_sel:WORD_1
	s_mov_b64 s[10:11], -1
	s_branch .LBB240_2555
.LBB240_2554:
	s_mov_b64 s[0:1], -1
                                        ; implicit-def: $vgpr9
.LBB240_2555:
	s_mov_b64 s[16:17], 0
.LBB240_2556:
	s_and_b64 vcc, exec, s[16:17]
	s_cbranch_vccz .LBB240_2560
; %bb.2557:
	s_cmp_eq_u32 s20, 29
	s_cbranch_scc0 .LBB240_2559
; %bb.2558:
	global_load_dwordx2 v[19:20], v[7:8], off
	s_movk_i32 s10, 0x7fff
	s_mov_b64 s[0:1], 0
	s_mov_b64 s[16:17], 0
	s_waitcnt vmcnt(0)
	v_ffbh_u32_e32 v5, v20
	v_min_u32_e32 v5, 32, v5
	v_lshlrev_b64 v[19:20], v5, v[19:20]
	v_sub_u32_e32 v5, 32, v5
	v_min_u32_e32 v9, 1, v19
	v_or_b32_e32 v9, v20, v9
	v_cvt_f32_u32_e32 v9, v9
	v_ldexp_f32 v5, v9, v5
	v_bfe_u32 v9, v5, 16, 1
	v_add3_u32 v5, v5, v9, s10
	v_lshrrev_b32_e32 v9, 16, v5
	s_mov_b64 s[10:11], -1
	s_branch .LBB240_2561
.LBB240_2559:
	s_mov_b64 s[0:1], -1
                                        ; implicit-def: $vgpr9
.LBB240_2560:
	s_mov_b64 s[16:17], 0
.LBB240_2561:
	s_and_b64 vcc, exec, s[16:17]
	s_cbranch_vccz .LBB240_2579
; %bb.2562:
	s_cmp_lt_i32 s20, 27
	s_cbranch_scc1 .LBB240_2565
; %bb.2563:
	s_cmp_gt_i32 s20, 27
	s_cbranch_scc0 .LBB240_2566
; %bb.2564:
	global_load_dword v5, v[7:8], off
	s_movk_i32 s10, 0x7fff
	s_waitcnt vmcnt(0)
	v_cvt_f32_u32_e32 v5, v5
	v_bfe_u32 v9, v5, 16, 1
	v_add3_u32 v5, v5, v9, s10
	v_lshrrev_b32_e32 v9, 16, v5
	s_mov_b64 s[10:11], 0
	s_branch .LBB240_2567
.LBB240_2565:
	s_mov_b64 s[10:11], -1
                                        ; implicit-def: $vgpr9
	s_branch .LBB240_2570
.LBB240_2566:
	s_mov_b64 s[10:11], -1
                                        ; implicit-def: $vgpr9
.LBB240_2567:
	s_andn2_b64 vcc, exec, s[10:11]
	s_cbranch_vccnz .LBB240_2569
; %bb.2568:
	global_load_ushort v5, v[7:8], off
	s_movk_i32 s10, 0x7fff
	s_waitcnt vmcnt(0)
	v_cvt_f32_u32_e32 v5, v5
	v_bfe_u32 v9, v5, 16, 1
	v_add3_u32 v5, v5, v9, s10
	v_lshrrev_b32_e32 v9, 16, v5
.LBB240_2569:
	s_mov_b64 s[10:11], 0
.LBB240_2570:
	s_andn2_b64 vcc, exec, s[10:11]
	s_cbranch_vccnz .LBB240_2578
; %bb.2571:
	global_load_ubyte v5, v[7:8], off
	s_movk_i32 s10, 0x7f
	s_waitcnt vmcnt(0)
	v_cmp_lt_i16_e32 vcc, s10, v5
	s_mov_b64 s[10:11], 0
	s_and_saveexec_b64 s[16:17], vcc
	s_xor_b64 s[16:17], exec, s[16:17]
	s_cbranch_execz .LBB240_2592
; %bb.2572:
	s_movk_i32 s10, 0x80
	v_cmp_eq_u16_e32 vcc, s10, v5
	s_mov_b64 s[10:11], -1
	s_and_saveexec_b64 s[18:19], vcc
; %bb.2573:
	s_xor_b64 s[10:11], exec, -1
; %bb.2574:
	s_or_b64 exec, exec, s[18:19]
	s_and_b64 s[10:11], s[10:11], exec
	s_or_saveexec_b64 s[16:17], s[16:17]
	v_mov_b32_e32 v9, 0x7f800001
	s_xor_b64 exec, exec, s[16:17]
	s_cbranch_execnz .LBB240_2593
.LBB240_2575:
	s_or_b64 exec, exec, s[16:17]
	s_and_saveexec_b64 s[16:17], s[10:11]
	s_cbranch_execz .LBB240_2577
.LBB240_2576:
	v_lshlrev_b32_e32 v9, 24, v5
	v_and_b32_e32 v5, 0xffff, v5
	v_and_b32_e32 v11, 7, v5
	v_ffbh_u32_e32 v15, v11
	v_min_u32_e32 v15, 32, v15
	v_subrev_u32_e32 v17, 28, v15
	v_bfe_u32 v13, v5, 3, 4
	v_lshlrev_b32_e32 v5, v17, v5
	v_sub_u32_e32 v15, 29, v15
	v_and_b32_e32 v5, 7, v5
	v_cmp_eq_u32_e32 vcc, 0, v13
	v_cndmask_b32_e32 v13, v13, v15, vcc
	v_cndmask_b32_e32 v5, v11, v5, vcc
	v_mov_b32_e32 v11, 0x3b800000
	v_lshlrev_b32_e32 v5, 20, v5
	v_and_b32_e32 v9, 0x80000000, v9
	v_lshl_add_u32 v11, v13, 23, v11
	v_or3_b32 v9, v9, v11, v5
.LBB240_2577:
	s_or_b64 exec, exec, s[16:17]
	v_bfe_u32 v5, v9, 16, 1
	s_movk_i32 s10, 0x7fff
	v_add3_u32 v5, v9, v5, s10
	v_cmp_o_f32_e32 vcc, v9, v9
	v_mov_b32_e32 v9, 0x7fc0
	v_cndmask_b32_sdwa v9, v9, v5, vcc dst_sel:DWORD dst_unused:UNUSED_PAD src0_sel:DWORD src1_sel:WORD_1
.LBB240_2578:
	s_mov_b64 s[10:11], -1
.LBB240_2579:
	s_mov_b64 s[16:17], 0
.LBB240_2580:
	s_and_b64 vcc, exec, s[16:17]
	s_cbranch_vccz .LBB240_2613
; %bb.2581:
	s_cmp_gt_i32 s20, 22
	s_cbranch_scc0 .LBB240_2591
; %bb.2582:
	s_cmp_lt_i32 s20, 24
	s_cbranch_scc1 .LBB240_2594
; %bb.2583:
	s_cmp_gt_i32 s20, 24
	s_cbranch_scc0 .LBB240_2595
; %bb.2584:
	global_load_ubyte v5, v[7:8], off
	s_movk_i32 s6, 0x7f
	s_waitcnt vmcnt(0)
	v_cmp_lt_i16_e32 vcc, s6, v5
	s_mov_b64 s[6:7], 0
	s_and_saveexec_b64 s[10:11], vcc
	s_xor_b64 s[10:11], exec, s[10:11]
	s_cbranch_execz .LBB240_2607
; %bb.2585:
	s_movk_i32 s6, 0x80
	v_cmp_eq_u16_e32 vcc, s6, v5
	s_mov_b64 s[6:7], -1
	s_and_saveexec_b64 s[16:17], vcc
; %bb.2586:
	s_xor_b64 s[6:7], exec, -1
; %bb.2587:
	s_or_b64 exec, exec, s[16:17]
	s_and_b64 s[6:7], s[6:7], exec
	s_or_saveexec_b64 s[10:11], s[10:11]
	v_mov_b32_e32 v9, 0x7f800001
	s_xor_b64 exec, exec, s[10:11]
	s_cbranch_execnz .LBB240_2608
.LBB240_2588:
	s_or_b64 exec, exec, s[10:11]
	s_and_saveexec_b64 s[10:11], s[6:7]
	s_cbranch_execz .LBB240_2590
.LBB240_2589:
	v_lshlrev_b32_e32 v9, 24, v5
	v_and_b32_e32 v5, 0xffff, v5
	v_and_b32_e32 v11, 3, v5
	v_ffbh_u32_e32 v15, v11
	v_min_u32_e32 v15, 32, v15
	v_subrev_u32_e32 v17, 29, v15
	v_bfe_u32 v13, v5, 2, 5
	v_lshlrev_b32_e32 v5, v17, v5
	v_sub_u32_e32 v15, 30, v15
	v_and_b32_e32 v5, 3, v5
	v_cmp_eq_u32_e32 vcc, 0, v13
	v_cndmask_b32_e32 v13, v13, v15, vcc
	v_cndmask_b32_e32 v5, v11, v5, vcc
	v_mov_b32_e32 v11, 0x37800000
	v_lshlrev_b32_e32 v5, 21, v5
	v_and_b32_e32 v9, 0x80000000, v9
	v_lshl_add_u32 v11, v13, 23, v11
	v_or3_b32 v9, v9, v11, v5
.LBB240_2590:
	s_or_b64 exec, exec, s[10:11]
	v_bfe_u32 v5, v9, 16, 1
	s_movk_i32 s6, 0x7fff
	v_add3_u32 v5, v9, v5, s6
	v_cmp_o_f32_e32 vcc, v9, v9
	v_mov_b32_e32 v9, 0x7fc0
	v_cndmask_b32_sdwa v9, v9, v5, vcc dst_sel:DWORD dst_unused:UNUSED_PAD src0_sel:DWORD src1_sel:WORD_1
	s_mov_b64 s[6:7], 0
	s_branch .LBB240_2596
.LBB240_2591:
	s_mov_b64 s[6:7], -1
                                        ; implicit-def: $vgpr9
	s_branch .LBB240_2602
.LBB240_2592:
	s_or_saveexec_b64 s[16:17], s[16:17]
	v_mov_b32_e32 v9, 0x7f800001
	s_xor_b64 exec, exec, s[16:17]
	s_cbranch_execz .LBB240_2575
.LBB240_2593:
	v_cmp_ne_u16_e32 vcc, 0, v5
	s_andn2_b64 s[10:11], s[10:11], exec
	s_and_b64 s[18:19], vcc, exec
	v_mov_b32_e32 v9, 0
	s_or_b64 s[10:11], s[10:11], s[18:19]
	s_or_b64 exec, exec, s[16:17]
	s_and_saveexec_b64 s[16:17], s[10:11]
	s_cbranch_execnz .LBB240_2576
	s_branch .LBB240_2577
.LBB240_2594:
	s_mov_b64 s[6:7], -1
                                        ; implicit-def: $vgpr9
	s_branch .LBB240_2599
.LBB240_2595:
	s_mov_b64 s[6:7], -1
                                        ; implicit-def: $vgpr9
.LBB240_2596:
	s_and_b64 vcc, exec, s[6:7]
	s_cbranch_vccz .LBB240_2598
; %bb.2597:
	global_load_ubyte v5, v[7:8], off
	s_mov_b32 s6, 0x7f800000
	s_brev_b32 s7, 1
	s_movk_i32 s10, 0x7fff
	s_waitcnt vmcnt(0)
	v_lshlrev_b32_e32 v5, 24, v5
	v_and_b32_e32 v9, 0x7f000000, v5
	v_ffbh_u32_e32 v11, v9
	v_min_u32_e32 v11, 32, v11
	v_sub_u32_e64 v11, v11, 4 clamp
	v_lshlrev_b32_e32 v15, v11, v9
	v_lshlrev_b32_e32 v11, 23, v11
	v_lshrrev_b32_e32 v15, 4, v15
	v_add_u32_e32 v13, 0x1000000, v9
	v_sub_u32_e32 v11, v15, v11
	v_ashrrev_i32_e32 v13, 8, v13
	v_add_u32_e32 v11, 0x3c000000, v11
	v_and_or_b32 v11, v13, s6, v11
	v_cmp_ne_u32_e32 vcc, 0, v9
	v_cndmask_b32_e32 v9, 0, v11, vcc
	v_and_or_b32 v5, v5, s7, v9
	v_bfe_u32 v9, v9, 16, 1
	v_add3_u32 v9, v5, v9, s10
	v_cmp_o_f32_e32 vcc, v5, v5
	v_mov_b32_e32 v5, 0x7fc0
	v_cndmask_b32_sdwa v9, v5, v9, vcc dst_sel:DWORD dst_unused:UNUSED_PAD src0_sel:DWORD src1_sel:WORD_1
.LBB240_2598:
	s_mov_b64 s[6:7], 0
.LBB240_2599:
	s_andn2_b64 vcc, exec, s[6:7]
	s_cbranch_vccnz .LBB240_2601
; %bb.2600:
	global_load_ubyte v5, v[7:8], off
	s_movk_i32 s6, 0x7f00
	s_brev_b32 s7, 16
	s_brev_b32 s10, 1
	s_movk_i32 s11, 0x7fff
	s_waitcnt vmcnt(0)
	v_lshlrev_b16_e32 v9, 8, v5
	v_lshlrev_b32_e32 v5, 25, v5
	v_lshrrev_b32_e32 v11, 4, v5
	v_and_or_b32 v13, v9, s6, 0.5
	v_or_b32_e32 v11, 0x70000000, v11
	v_add_f32_e32 v13, -0.5, v13
	v_mul_f32_e32 v11, 0x7800000, v11
	v_cmp_gt_u32_e32 vcc, s7, v5
	v_bfe_i32 v9, v9, 0, 16
	v_cndmask_b32_e32 v5, v11, v13, vcc
	v_and_or_b32 v9, v9, s10, v5
	v_bfe_u32 v5, v5, 16, 1
	v_add3_u32 v5, v9, v5, s11
	v_cmp_o_f32_e32 vcc, v9, v9
	v_mov_b32_e32 v9, 0x7fc0
	v_cndmask_b32_sdwa v9, v9, v5, vcc dst_sel:DWORD dst_unused:UNUSED_PAD src0_sel:DWORD src1_sel:WORD_1
.LBB240_2601:
	s_mov_b64 s[6:7], 0
	s_mov_b64 s[10:11], -1
.LBB240_2602:
	s_andn2_b64 vcc, exec, s[6:7]
	s_mov_b64 s[6:7], 0
	s_cbranch_vccnz .LBB240_2613
; %bb.2603:
	s_cmp_gt_i32 s20, 14
	s_cbranch_scc0 .LBB240_2606
; %bb.2604:
	s_cmp_eq_u32 s20, 15
	s_cbranch_scc0 .LBB240_2609
; %bb.2605:
	global_load_ushort v9, v[7:8], off
	s_mov_b64 s[0:1], 0
	s_mov_b64 s[10:11], -1
	s_branch .LBB240_2610
.LBB240_2606:
	s_mov_b64 s[16:17], -1
                                        ; implicit-def: $vgpr9
	s_branch .LBB240_2611
.LBB240_2607:
	s_or_saveexec_b64 s[10:11], s[10:11]
	v_mov_b32_e32 v9, 0x7f800001
	s_xor_b64 exec, exec, s[10:11]
	s_cbranch_execz .LBB240_2588
.LBB240_2608:
	v_cmp_ne_u16_e32 vcc, 0, v5
	s_andn2_b64 s[6:7], s[6:7], exec
	s_and_b64 s[16:17], vcc, exec
	v_mov_b32_e32 v9, 0
	s_or_b64 s[6:7], s[6:7], s[16:17]
	s_or_b64 exec, exec, s[10:11]
	s_and_saveexec_b64 s[10:11], s[6:7]
	s_cbranch_execnz .LBB240_2589
	s_branch .LBB240_2590
.LBB240_2609:
	s_mov_b64 s[0:1], -1
                                        ; implicit-def: $vgpr9
.LBB240_2610:
	s_mov_b64 s[16:17], 0
.LBB240_2611:
	s_and_b64 vcc, exec, s[16:17]
	s_cbranch_vccz .LBB240_2613
; %bb.2612:
	s_cmp_lg_u32 s20, 11
	s_mov_b64 s[6:7], -1
	s_cselect_b64 s[0:1], -1, 0
.LBB240_2613:
	s_and_b64 vcc, exec, s[0:1]
	s_cbranch_vccnz .LBB240_3146
; %bb.2614:
	s_andn2_b64 vcc, exec, s[6:7]
	s_cbranch_vccnz .LBB240_2616
.LBB240_2615:
	global_load_ubyte v5, v[7:8], off
	s_mov_b64 s[10:11], -1
	s_waitcnt vmcnt(0)
	v_cmp_ne_u16_e32 vcc, 0, v5
	v_cndmask_b32_e64 v5, 0, 1.0, vcc
	v_lshrrev_b32_e32 v9, 16, v5
.LBB240_2616:
	s_mov_b64 s[0:1], 0
.LBB240_2617:
	s_and_b64 vcc, exec, s[0:1]
	s_cbranch_vccz .LBB240_2666
; %bb.2618:
	s_and_b32 s6, 0xffff, s25
	s_cmp_lt_i32 s6, 5
	s_cbranch_scc1 .LBB240_2623
; %bb.2619:
	s_cmp_lt_i32 s6, 8
	s_cbranch_scc1 .LBB240_2624
; %bb.2620:
	;; [unrolled: 3-line block ×3, first 2 shown]
	s_cmp_gt_i32 s6, 9
	s_cbranch_scc0 .LBB240_2626
; %bb.2622:
	global_load_dwordx2 v[19:20], v[7:8], off
	s_movk_i32 s0, 0x7fff
	s_waitcnt vmcnt(1)
	v_mov_b32_e32 v9, 0x7fc0
	s_waitcnt vmcnt(0)
	v_cvt_f32_f64_e32 v5, v[19:20]
	v_bfe_u32 v11, v5, 16, 1
	v_cmp_o_f32_e32 vcc, v5, v5
	v_add3_u32 v5, v5, v11, s0
	v_cndmask_b32_sdwa v9, v9, v5, vcc dst_sel:DWORD dst_unused:UNUSED_PAD src0_sel:DWORD src1_sel:WORD_1
	s_mov_b64 s[0:1], 0
	s_branch .LBB240_2627
.LBB240_2623:
	s_mov_b64 s[0:1], -1
                                        ; implicit-def: $vgpr9
	s_branch .LBB240_2645
.LBB240_2624:
	s_mov_b64 s[0:1], -1
                                        ; implicit-def: $vgpr9
	s_branch .LBB240_2633
.LBB240_2625:
	s_mov_b64 s[0:1], -1
                                        ; implicit-def: $vgpr9
	s_branch .LBB240_2630
.LBB240_2626:
	s_mov_b64 s[0:1], -1
                                        ; implicit-def: $vgpr9
.LBB240_2627:
	s_andn2_b64 vcc, exec, s[0:1]
	s_cbranch_vccnz .LBB240_2629
; %bb.2628:
	global_load_dword v5, v[7:8], off
	s_movk_i32 s0, 0x7fff
	s_waitcnt vmcnt(1)
	v_mov_b32_e32 v9, 0x7fc0
	s_waitcnt vmcnt(0)
	v_bfe_u32 v11, v5, 16, 1
	v_cmp_o_f32_e32 vcc, v5, v5
	v_add3_u32 v5, v5, v11, s0
	v_cndmask_b32_sdwa v9, v9, v5, vcc dst_sel:DWORD dst_unused:UNUSED_PAD src0_sel:DWORD src1_sel:WORD_1
.LBB240_2629:
	s_mov_b64 s[0:1], 0
.LBB240_2630:
	s_andn2_b64 vcc, exec, s[0:1]
	s_cbranch_vccnz .LBB240_2632
; %bb.2631:
	global_load_dword v5, v[7:8], off
	s_movk_i32 s0, 0x7fff
	v_mov_b32_e32 v11, 0x7fc0
	s_waitcnt vmcnt(0)
	v_cvt_f32_f16_e32 v9, v5
	v_cmp_o_f16_e32 vcc, v5, v5
	v_bfe_u32 v5, v9, 16, 1
	v_add3_u32 v5, v9, v5, s0
	v_cndmask_b32_sdwa v9, v11, v5, vcc dst_sel:DWORD dst_unused:UNUSED_PAD src0_sel:DWORD src1_sel:WORD_1
.LBB240_2632:
	s_mov_b64 s[0:1], 0
.LBB240_2633:
	s_andn2_b64 vcc, exec, s[0:1]
	s_cbranch_vccnz .LBB240_2644
; %bb.2634:
	s_cmp_lt_i32 s6, 6
	s_cbranch_scc1 .LBB240_2637
; %bb.2635:
	s_cmp_gt_i32 s6, 6
	s_cbranch_scc0 .LBB240_2638
; %bb.2636:
	global_load_dwordx2 v[19:20], v[7:8], off
	s_movk_i32 s0, 0x7fff
	s_waitcnt vmcnt(1)
	v_mov_b32_e32 v9, 0x7fc0
	s_waitcnt vmcnt(0)
	v_cvt_f32_f64_e32 v5, v[19:20]
	v_bfe_u32 v11, v5, 16, 1
	v_cmp_o_f32_e32 vcc, v5, v5
	v_add3_u32 v5, v5, v11, s0
	v_cndmask_b32_sdwa v9, v9, v5, vcc dst_sel:DWORD dst_unused:UNUSED_PAD src0_sel:DWORD src1_sel:WORD_1
	s_mov_b64 s[0:1], 0
	s_branch .LBB240_2639
.LBB240_2637:
	s_mov_b64 s[0:1], -1
                                        ; implicit-def: $vgpr9
	s_branch .LBB240_2642
.LBB240_2638:
	s_mov_b64 s[0:1], -1
                                        ; implicit-def: $vgpr9
.LBB240_2639:
	s_andn2_b64 vcc, exec, s[0:1]
	s_cbranch_vccnz .LBB240_2641
; %bb.2640:
	global_load_dword v5, v[7:8], off
	s_movk_i32 s0, 0x7fff
	s_waitcnt vmcnt(1)
	v_mov_b32_e32 v9, 0x7fc0
	s_waitcnt vmcnt(0)
	v_bfe_u32 v11, v5, 16, 1
	v_cmp_o_f32_e32 vcc, v5, v5
	v_add3_u32 v5, v5, v11, s0
	v_cndmask_b32_sdwa v9, v9, v5, vcc dst_sel:DWORD dst_unused:UNUSED_PAD src0_sel:DWORD src1_sel:WORD_1
.LBB240_2641:
	s_mov_b64 s[0:1], 0
.LBB240_2642:
	s_andn2_b64 vcc, exec, s[0:1]
	s_cbranch_vccnz .LBB240_2644
; %bb.2643:
	global_load_ushort v5, v[7:8], off
	s_movk_i32 s0, 0x7fff
	v_mov_b32_e32 v11, 0x7fc0
	s_waitcnt vmcnt(0)
	v_cvt_f32_f16_e32 v9, v5
	v_cmp_o_f16_e32 vcc, v5, v5
	v_bfe_u32 v5, v9, 16, 1
	v_add3_u32 v5, v9, v5, s0
	v_cndmask_b32_sdwa v9, v11, v5, vcc dst_sel:DWORD dst_unused:UNUSED_PAD src0_sel:DWORD src1_sel:WORD_1
.LBB240_2644:
	s_mov_b64 s[0:1], 0
.LBB240_2645:
	s_andn2_b64 vcc, exec, s[0:1]
	s_cbranch_vccnz .LBB240_2665
; %bb.2646:
	s_cmp_lt_i32 s6, 2
	s_cbranch_scc1 .LBB240_2650
; %bb.2647:
	s_cmp_lt_i32 s6, 3
	s_cbranch_scc1 .LBB240_2651
; %bb.2648:
	s_cmp_gt_i32 s6, 3
	s_cbranch_scc0 .LBB240_2652
; %bb.2649:
	global_load_dwordx2 v[19:20], v[7:8], off
	s_movk_i32 s0, 0x7fff
	s_waitcnt vmcnt(0)
	v_xor_b32_e32 v9, v19, v20
	v_ffbh_i32_e32 v5, v20
	v_ashrrev_i32_e32 v9, 31, v9
	v_add_u32_e32 v5, -1, v5
	v_add_u32_e32 v9, 32, v9
	v_min_u32_e32 v5, v5, v9
	v_lshlrev_b64 v[19:20], v5, v[19:20]
	v_sub_u32_e32 v5, 32, v5
	v_min_u32_e32 v9, 1, v19
	v_or_b32_e32 v9, v20, v9
	v_cvt_f32_i32_e32 v9, v9
	v_ldexp_f32 v5, v9, v5
	v_bfe_u32 v9, v5, 16, 1
	v_add3_u32 v5, v5, v9, s0
	v_lshrrev_b32_e32 v9, 16, v5
	s_mov_b64 s[0:1], 0
	s_branch .LBB240_2653
.LBB240_2650:
	s_mov_b64 s[0:1], -1
                                        ; implicit-def: $vgpr9
	s_branch .LBB240_2659
.LBB240_2651:
	s_mov_b64 s[0:1], -1
                                        ; implicit-def: $vgpr9
	s_branch .LBB240_2656
.LBB240_2652:
	s_mov_b64 s[0:1], -1
                                        ; implicit-def: $vgpr9
.LBB240_2653:
	s_andn2_b64 vcc, exec, s[0:1]
	s_cbranch_vccnz .LBB240_2655
; %bb.2654:
	global_load_dword v5, v[7:8], off
	s_movk_i32 s0, 0x7fff
	s_waitcnt vmcnt(0)
	v_cvt_f32_i32_e32 v5, v5
	v_bfe_u32 v9, v5, 16, 1
	v_add3_u32 v5, v5, v9, s0
	v_lshrrev_b32_e32 v9, 16, v5
.LBB240_2655:
	s_mov_b64 s[0:1], 0
.LBB240_2656:
	s_andn2_b64 vcc, exec, s[0:1]
	s_cbranch_vccnz .LBB240_2658
; %bb.2657:
	global_load_sshort v5, v[7:8], off
	s_movk_i32 s0, 0x7fff
	s_waitcnt vmcnt(0)
	v_cvt_f32_i32_e32 v5, v5
	v_bfe_u32 v9, v5, 16, 1
	v_add3_u32 v5, v5, v9, s0
	v_lshrrev_b32_e32 v9, 16, v5
.LBB240_2658:
	s_mov_b64 s[0:1], 0
.LBB240_2659:
	s_andn2_b64 vcc, exec, s[0:1]
	s_cbranch_vccnz .LBB240_2665
; %bb.2660:
	s_cmp_gt_i32 s6, 0
	s_cbranch_scc0 .LBB240_2662
; %bb.2661:
	global_load_sbyte v5, v[7:8], off
	s_movk_i32 s0, 0x7fff
	s_waitcnt vmcnt(0)
	v_cvt_f32_i32_e32 v5, v5
	v_bfe_u32 v9, v5, 16, 1
	v_add3_u32 v5, v5, v9, s0
	v_lshrrev_b32_e32 v9, 16, v5
	s_mov_b64 s[0:1], 0
	s_branch .LBB240_2663
.LBB240_2662:
	s_mov_b64 s[0:1], -1
                                        ; implicit-def: $vgpr9
.LBB240_2663:
	s_andn2_b64 vcc, exec, s[0:1]
	s_cbranch_vccnz .LBB240_2665
; %bb.2664:
	global_load_ubyte v5, v[7:8], off
	s_movk_i32 s0, 0x7fff
	s_waitcnt vmcnt(0)
	v_cvt_f32_ubyte0_e32 v5, v5
	v_bfe_u32 v7, v5, 16, 1
	v_add3_u32 v5, v5, v7, s0
	v_lshrrev_b32_e32 v9, 16, v5
.LBB240_2665:
	s_mov_b64 s[10:11], -1
.LBB240_2666:
	s_andn2_b64 vcc, exec, s[10:11]
	s_cbranch_vccnz .LBB240_3100
; %bb.2667:
	s_load_dwordx2 s[0:1], s[2:3], 0x1a0
	v_lshlrev_b32_e32 v1, 16, v1
	s_waitcnt lgkmcnt(0)
	s_lshr_b32 s19, s0, 16
	s_lshl_b32 s20, s0, 16
	v_mov_b32_e32 v5, s19
	v_cmp_ge_f32_e32 vcc, s20, v1
	s_and_b32 s18, s1, 0xff
	s_waitcnt vmcnt(0)
	v_cndmask_b32_e32 v1, v3, v5, vcc
	v_mov_b32_e32 v3, s9
	v_add_co_u32_e32 v5, vcc, s8, v6
	s_cmp_lt_i32 s18, 11
	v_addc_co_u32_e32 v6, vcc, 0, v3, vcc
	s_cbranch_scc1 .LBB240_2745
; %bb.2668:
	s_and_b32 s21, 0xffff, s18
	s_mov_b64 s[10:11], -1
	s_mov_b64 s[2:3], 0
	s_cmp_gt_i32 s21, 25
	s_mov_b64 s[6:7], 0
	s_mov_b64 s[0:1], 0
	s_cbranch_scc0 .LBB240_2701
; %bb.2669:
	s_cmp_gt_i32 s21, 28
	s_cbranch_scc0 .LBB240_2684
; %bb.2670:
	s_cmp_gt_i32 s21, 43
	;; [unrolled: 3-line block ×3, first 2 shown]
	s_cbranch_scc0 .LBB240_2674
; %bb.2672:
	s_mov_b64 s[0:1], -1
	s_mov_b64 s[10:11], 0
	s_cmp_eq_u32 s21, 46
	s_cbranch_scc0 .LBB240_2674
; %bb.2673:
	v_and_b32_e32 v3, 0xffff, v1
	global_store_dword v[5:6], v3, off
	s_mov_b64 s[0:1], 0
	s_mov_b64 s[6:7], -1
.LBB240_2674:
	s_and_b64 vcc, exec, s[10:11]
	s_cbranch_vccz .LBB240_2679
; %bb.2675:
	s_cmp_eq_u32 s21, 44
	s_mov_b64 s[0:1], -1
	s_cbranch_scc0 .LBB240_2679
; %bb.2676:
	v_and_b32_e32 v7, 0xffff, v1
	v_bfe_u32 v3, v7, 7, 8
	s_movk_i32 s0, 0xff
	v_cmp_ne_u32_e32 vcc, s0, v3
	v_mov_b32_e32 v8, 0xff
	s_and_saveexec_b64 s[6:7], vcc
	s_cbranch_execz .LBB240_2678
; %bb.2677:
	v_lshlrev_b32_e32 v11, 16, v7
	s_mov_b32 s0, 0x3f0000
	v_lshrrev_b32_e32 v8, 7, v7
	v_and_b32_e32 v7, 64, v7
	v_and_or_b32 v3, v11, s0, v3
	v_cmp_ne_u32_e32 vcc, 0, v7
	v_cmp_ne_u32_e64 s[0:1], 0, v3
	s_and_b64 s[0:1], vcc, s[0:1]
	v_cndmask_b32_e64 v3, 0, 1, s[0:1]
	v_add_u32_e32 v8, v8, v3
.LBB240_2678:
	s_or_b64 exec, exec, s[6:7]
	s_mov_b64 s[0:1], 0
	s_mov_b64 s[6:7], -1
	global_store_byte v[5:6], v8, off
.LBB240_2679:
	s_mov_b64 s[10:11], 0
.LBB240_2680:
	s_and_b64 vcc, exec, s[10:11]
	s_cbranch_vccz .LBB240_2683
; %bb.2681:
	s_cmp_eq_u32 s21, 29
	s_mov_b64 s[0:1], -1
	s_cbranch_scc0 .LBB240_2683
; %bb.2682:
	v_lshlrev_b32_e32 v3, 16, v1
	v_trunc_f32_e32 v3, v3
	v_mul_f32_e32 v7, 0x2f800000, v3
	v_floor_f32_e32 v7, v7
	v_fmac_f32_e32 v3, 0xcf800000, v7
	v_cvt_u32_f32_e32 v8, v7
	v_cvt_u32_f32_e32 v7, v3
	s_mov_b64 s[0:1], 0
	s_mov_b64 s[6:7], -1
	global_store_dwordx2 v[5:6], v[7:8], off
.LBB240_2683:
	s_mov_b64 s[10:11], 0
.LBB240_2684:
	s_and_b64 vcc, exec, s[10:11]
	s_cbranch_vccz .LBB240_2700
; %bb.2685:
	s_cmp_lt_i32 s21, 27
	s_mov_b64 s[6:7], -1
	s_cbranch_scc1 .LBB240_2691
; %bb.2686:
	s_cmp_gt_i32 s21, 27
	s_cbranch_scc0 .LBB240_2688
; %bb.2687:
	v_lshlrev_b32_e32 v3, 16, v1
	v_cvt_u32_f32_e32 v3, v3
	s_mov_b64 s[6:7], 0
	global_store_dword v[5:6], v3, off
.LBB240_2688:
	s_andn2_b64 vcc, exec, s[6:7]
	s_cbranch_vccnz .LBB240_2690
; %bb.2689:
	v_lshlrev_b32_e32 v3, 16, v1
	v_cvt_u32_f32_e32 v3, v3
	global_store_short v[5:6], v3, off
.LBB240_2690:
	s_mov_b64 s[6:7], 0
.LBB240_2691:
	s_andn2_b64 vcc, exec, s[6:7]
	s_cbranch_vccnz .LBB240_2699
; %bb.2692:
	v_lshlrev_b32_e32 v8, 16, v1
	v_and_b32_e32 v7, 0x7fffffff, v8
	s_mov_b32 s6, 0x43800000
	v_cmp_gt_u32_e32 vcc, s6, v7
	v_mov_b32_e32 v11, 0x80
	s_and_saveexec_b64 s[6:7], vcc
	s_cbranch_execz .LBB240_2698
; %bb.2693:
	s_mov_b32 s10, 0x3bffffff
	v_and_b32_e32 v3, 0xffff, v1
	v_cmp_lt_u32_e32 vcc, s10, v7
	s_mov_b64 s[10:11], 0
                                        ; implicit-def: $vgpr7
	s_and_saveexec_b64 s[16:17], vcc
	s_xor_b64 s[16:17], exec, s[16:17]
	s_cbranch_execz .LBB240_3147
; %bb.2694:
	v_bfe_u32 v7, v3, 4, 1
	s_mov_b32 s22, 0x487ffff
	v_add3_u32 v7, v8, v7, s22
	s_mov_b64 s[10:11], exec
	v_lshrrev_b32_e32 v7, 20, v7
                                        ; implicit-def: $vgpr8
	s_andn2_saveexec_b64 s[16:17], s[16:17]
	s_cbranch_execnz .LBB240_3148
.LBB240_2695:
	s_or_b64 exec, exec, s[16:17]
	v_mov_b32_e32 v11, 0
	s_and_saveexec_b64 s[16:17], s[10:11]
.LBB240_2696:
	v_lshrrev_b32_e32 v3, 8, v3
	s_movk_i32 s10, 0x80
	v_and_or_b32 v11, v3, s10, v7
.LBB240_2697:
	s_or_b64 exec, exec, s[16:17]
.LBB240_2698:
	s_or_b64 exec, exec, s[6:7]
	global_store_byte v[5:6], v11, off
.LBB240_2699:
	s_mov_b64 s[6:7], -1
.LBB240_2700:
	s_mov_b64 s[10:11], 0
.LBB240_2701:
	s_and_b64 vcc, exec, s[10:11]
	s_cbranch_vccz .LBB240_2741
; %bb.2702:
	s_cmp_gt_i32 s21, 22
	s_mov_b64 s[2:3], -1
	s_cbranch_scc0 .LBB240_2734
; %bb.2703:
	s_cmp_lt_i32 s21, 24
	s_cbranch_scc1 .LBB240_2723
; %bb.2704:
	s_cmp_gt_i32 s21, 24
	s_cbranch_scc0 .LBB240_2712
; %bb.2705:
	v_lshlrev_b32_e32 v8, 16, v1
	v_and_b32_e32 v7, 0x7fffffff, v8
	s_mov_b32 s2, 0x47800000
	v_cmp_gt_u32_e32 vcc, s2, v7
	v_mov_b32_e32 v11, 0x80
	s_and_saveexec_b64 s[2:3], vcc
	s_cbranch_execz .LBB240_2711
; %bb.2706:
	s_mov_b32 s6, 0x37ffffff
	v_and_b32_e32 v3, 0xffff, v1
	v_cmp_lt_u32_e32 vcc, s6, v7
	s_mov_b64 s[6:7], 0
                                        ; implicit-def: $vgpr7
	s_and_saveexec_b64 s[10:11], vcc
	s_xor_b64 s[10:11], exec, s[10:11]
	s_cbranch_execz .LBB240_3150
; %bb.2707:
	v_bfe_u32 v7, v3, 5, 1
	s_mov_b32 s16, 0x88fffff
	v_add3_u32 v7, v8, v7, s16
	s_mov_b64 s[6:7], exec
	v_lshrrev_b32_e32 v7, 21, v7
                                        ; implicit-def: $vgpr8
	s_andn2_saveexec_b64 s[10:11], s[10:11]
	s_cbranch_execnz .LBB240_3151
.LBB240_2708:
	s_or_b64 exec, exec, s[10:11]
	v_mov_b32_e32 v11, 0
	s_and_saveexec_b64 s[10:11], s[6:7]
.LBB240_2709:
	v_lshrrev_b32_e32 v3, 8, v3
	s_movk_i32 s6, 0x80
	v_and_or_b32 v11, v3, s6, v7
.LBB240_2710:
	s_or_b64 exec, exec, s[10:11]
.LBB240_2711:
	s_or_b64 exec, exec, s[2:3]
	s_mov_b64 s[2:3], 0
	global_store_byte v[5:6], v11, off
.LBB240_2712:
	s_and_b64 vcc, exec, s[2:3]
	s_cbranch_vccz .LBB240_2722
; %bb.2713:
	v_lshlrev_b32_e32 v8, 16, v1
	v_and_b32_e32 v11, 0x7fffffff, v8
	s_mov_b32 s2, 0x43f00000
	v_and_b32_e32 v3, 0xffff, v1
	v_cmp_gt_u32_e32 vcc, s2, v11
                                        ; implicit-def: $vgpr7
	s_and_saveexec_b64 s[2:3], vcc
	s_xor_b64 s[2:3], exec, s[2:3]
	s_cbranch_execz .LBB240_2719
; %bb.2714:
	s_mov_b32 s6, 0x3c7fffff
	v_cmp_lt_u32_e32 vcc, s6, v11
                                        ; implicit-def: $vgpr7
	s_and_saveexec_b64 s[6:7], vcc
	s_xor_b64 s[6:7], exec, s[6:7]
; %bb.2715:
	v_bfe_u32 v7, v3, 4, 1
	s_mov_b32 s10, 0x407ffff
	v_add3_u32 v7, v8, v7, s10
	v_lshrrev_b32_e32 v8, 20, v7
	v_and_b32_e32 v7, 0xff00000, v7
	s_mov_b32 s10, 0x7f00000
	v_mov_b32_e32 v11, 0x7e
	v_cmp_ne_u32_e32 vcc, s10, v7
	v_cndmask_b32_e32 v7, v11, v8, vcc
                                        ; implicit-def: $vgpr8
; %bb.2716:
	s_andn2_saveexec_b64 s[6:7], s[6:7]
; %bb.2717:
	s_mov_b32 s10, 0x46800000
	v_add_f32_e64 v7, |v8|, s10
; %bb.2718:
	s_or_b64 exec, exec, s[6:7]
                                        ; implicit-def: $vgpr11
.LBB240_2719:
	s_andn2_saveexec_b64 s[2:3], s[2:3]
; %bb.2720:
	s_mov_b32 s6, 0x7f800000
	v_mov_b32_e32 v7, 0x7e
	v_mov_b32_e32 v8, 0x7f
	v_cmp_lt_u32_e32 vcc, s6, v11
	v_cndmask_b32_e32 v7, v7, v8, vcc
; %bb.2721:
	s_or_b64 exec, exec, s[2:3]
	v_lshrrev_b32_e32 v3, 8, v3
	s_movk_i32 s2, 0x80
	v_and_or_b32 v3, v3, s2, v7
	global_store_byte v[5:6], v3, off
.LBB240_2722:
	s_mov_b64 s[2:3], 0
.LBB240_2723:
	s_andn2_b64 vcc, exec, s[2:3]
	s_cbranch_vccnz .LBB240_2733
; %bb.2724:
	v_lshlrev_b32_e32 v8, 16, v1
	v_and_b32_e32 v11, 0x7fffffff, v8
	s_mov_b32 s2, 0x47800000
	v_and_b32_e32 v3, 0xffff, v1
	v_cmp_gt_u32_e32 vcc, s2, v11
                                        ; implicit-def: $vgpr7
	s_and_saveexec_b64 s[2:3], vcc
	s_xor_b64 s[2:3], exec, s[2:3]
	s_cbranch_execz .LBB240_2730
; %bb.2725:
	s_mov_b32 s6, 0x387fffff
	v_cmp_lt_u32_e32 vcc, s6, v11
                                        ; implicit-def: $vgpr7
	s_and_saveexec_b64 s[6:7], vcc
	s_xor_b64 s[6:7], exec, s[6:7]
; %bb.2726:
	v_bfe_u32 v7, v3, 5, 1
	s_mov_b32 s10, 0x80fffff
	v_add3_u32 v7, v8, v7, s10
	v_lshrrev_b32_e32 v7, 21, v7
                                        ; implicit-def: $vgpr8
; %bb.2727:
	s_andn2_saveexec_b64 s[6:7], s[6:7]
; %bb.2728:
	s_mov_b32 s10, 0x43000000
	v_add_f32_e64 v7, |v8|, s10
; %bb.2729:
	s_or_b64 exec, exec, s[6:7]
                                        ; implicit-def: $vgpr11
.LBB240_2730:
	s_andn2_saveexec_b64 s[2:3], s[2:3]
; %bb.2731:
	s_mov_b32 s6, 0x7f800000
	v_mov_b32_e32 v7, 0x7c
	v_mov_b32_e32 v8, 0x7f
	v_cmp_lt_u32_e32 vcc, s6, v11
	v_cndmask_b32_e32 v7, v7, v8, vcc
; %bb.2732:
	s_or_b64 exec, exec, s[2:3]
	v_lshrrev_b32_e32 v3, 8, v3
	s_movk_i32 s2, 0x80
	v_and_or_b32 v3, v3, s2, v7
	global_store_byte v[5:6], v3, off
.LBB240_2733:
	s_mov_b64 s[2:3], 0
	s_mov_b64 s[6:7], -1
.LBB240_2734:
	s_andn2_b64 vcc, exec, s[2:3]
	s_mov_b64 s[2:3], 0
	s_cbranch_vccnz .LBB240_2741
; %bb.2735:
	s_cmp_gt_i32 s21, 14
	s_mov_b64 s[10:11], -1
	s_cbranch_scc0 .LBB240_2739
; %bb.2736:
	s_cmp_eq_u32 s21, 15
	s_mov_b64 s[0:1], -1
	s_cbranch_scc0 .LBB240_2738
; %bb.2737:
	global_store_short v[5:6], v1, off
	s_mov_b64 s[0:1], 0
	s_mov_b64 s[6:7], -1
.LBB240_2738:
	s_mov_b64 s[10:11], 0
.LBB240_2739:
	s_and_b64 vcc, exec, s[10:11]
	s_cbranch_vccz .LBB240_2741
; %bb.2740:
	s_cmp_lg_u32 s21, 11
	s_mov_b64 s[2:3], -1
	s_cselect_b64 s[0:1], -1, 0
.LBB240_2741:
	s_and_b64 vcc, exec, s[0:1]
	s_cbranch_vccnz .LBB240_3149
; %bb.2742:
	s_andn2_b64 vcc, exec, s[2:3]
	s_cbranch_vccnz .LBB240_2744
.LBB240_2743:
	v_and_b32_e32 v3, 0x7fff, v1
	v_cmp_ne_u16_e32 vcc, 0, v3
	v_cndmask_b32_e64 v3, 0, 1, vcc
	s_mov_b64 s[6:7], -1
	global_store_byte v[5:6], v3, off
.LBB240_2744:
	s_mov_b64 s[0:1], 0
	s_branch .LBB240_2746
.LBB240_2745:
	s_mov_b64 s[0:1], -1
	s_mov_b64 s[6:7], 0
.LBB240_2746:
	s_and_b64 vcc, exec, s[0:1]
	s_cbranch_vccz .LBB240_2785
; %bb.2747:
	s_and_b32 s2, 0xffff, s18
	s_cmp_lt_i32 s2, 5
	s_mov_b64 s[0:1], -1
	s_cbranch_scc1 .LBB240_2768
; %bb.2748:
	s_cmp_lt_i32 s2, 8
	s_cbranch_scc1 .LBB240_2758
; %bb.2749:
	s_cmp_lt_i32 s2, 9
	s_cbranch_scc1 .LBB240_2755
; %bb.2750:
	s_cmp_gt_i32 s2, 9
	s_cbranch_scc0 .LBB240_2752
; %bb.2751:
	v_lshlrev_b32_e32 v3, 16, v1
	v_cvt_f64_f32_e32 v[19:20], v3
	v_mov_b32_e32 v21, 0
	v_mov_b32_e32 v22, v21
	s_mov_b64 s[0:1], 0
	global_store_dwordx4 v[5:6], v[19:22], off
.LBB240_2752:
	s_andn2_b64 vcc, exec, s[0:1]
	s_cbranch_vccnz .LBB240_2754
; %bb.2753:
	v_lshlrev_b32_e32 v7, 16, v1
	v_mov_b32_e32 v8, 0
	global_store_dwordx2 v[5:6], v[7:8], off
.LBB240_2754:
	s_mov_b64 s[0:1], 0
.LBB240_2755:
	s_andn2_b64 vcc, exec, s[0:1]
	s_cbranch_vccnz .LBB240_2757
; %bb.2756:
	v_lshlrev_b32_e32 v3, 16, v1
	v_cvt_f16_f32_e32 v3, v3
	global_store_dword v[5:6], v3, off
.LBB240_2757:
	s_mov_b64 s[0:1], 0
.LBB240_2758:
	s_andn2_b64 vcc, exec, s[0:1]
	s_cbranch_vccnz .LBB240_2767
; %bb.2759:
	s_cmp_lt_i32 s2, 6
	s_mov_b64 s[0:1], -1
	s_cbranch_scc1 .LBB240_2765
; %bb.2760:
	s_cmp_gt_i32 s2, 6
	s_cbranch_scc0 .LBB240_2762
; %bb.2761:
	v_lshlrev_b32_e32 v3, 16, v1
	v_cvt_f64_f32_e32 v[7:8], v3
	s_mov_b64 s[0:1], 0
	global_store_dwordx2 v[5:6], v[7:8], off
.LBB240_2762:
	s_andn2_b64 vcc, exec, s[0:1]
	s_cbranch_vccnz .LBB240_2764
; %bb.2763:
	v_lshlrev_b32_e32 v3, 16, v1
	global_store_dword v[5:6], v3, off
.LBB240_2764:
	s_mov_b64 s[0:1], 0
.LBB240_2765:
	s_andn2_b64 vcc, exec, s[0:1]
	s_cbranch_vccnz .LBB240_2767
; %bb.2766:
	v_lshlrev_b32_e32 v3, 16, v1
	v_cvt_f16_f32_e32 v3, v3
	global_store_short v[5:6], v3, off
.LBB240_2767:
	s_mov_b64 s[0:1], 0
.LBB240_2768:
	s_andn2_b64 vcc, exec, s[0:1]
	s_cbranch_vccnz .LBB240_2784
; %bb.2769:
	s_cmp_lt_i32 s2, 2
	s_mov_b64 s[0:1], -1
	s_cbranch_scc1 .LBB240_2779
; %bb.2770:
	s_cmp_lt_i32 s2, 3
	s_cbranch_scc1 .LBB240_2776
; %bb.2771:
	s_cmp_gt_i32 s2, 3
	s_cbranch_scc0 .LBB240_2773
; %bb.2772:
	v_lshlrev_b32_e32 v3, 16, v1
	v_trunc_f32_e32 v3, v3
	s_mov_b32 s0, 0x2f800000
	v_mul_f32_e64 v7, |v3|, s0
	v_floor_f32_e32 v7, v7
	s_mov_b32 s0, 0xcf800000
	v_cvt_u32_f32_e32 v8, v7
	v_fma_f32 v7, v7, s0, |v3|
	v_cvt_u32_f32_e32 v7, v7
	v_ashrrev_i32_e32 v3, 31, v3
	v_xor_b32_e32 v8, v8, v3
	s_mov_b64 s[0:1], 0
	v_xor_b32_e32 v7, v7, v3
	v_sub_co_u32_e32 v7, vcc, v7, v3
	v_subb_co_u32_e32 v8, vcc, v8, v3, vcc
	global_store_dwordx2 v[5:6], v[7:8], off
.LBB240_2773:
	s_andn2_b64 vcc, exec, s[0:1]
	s_cbranch_vccnz .LBB240_2775
; %bb.2774:
	v_lshlrev_b32_e32 v3, 16, v1
	v_cvt_i32_f32_e32 v3, v3
	global_store_dword v[5:6], v3, off
.LBB240_2775:
	s_mov_b64 s[0:1], 0
.LBB240_2776:
	s_andn2_b64 vcc, exec, s[0:1]
	s_cbranch_vccnz .LBB240_2778
; %bb.2777:
	v_lshlrev_b32_e32 v3, 16, v1
	v_cvt_i32_f32_e32 v3, v3
	global_store_short v[5:6], v3, off
.LBB240_2778:
	s_mov_b64 s[0:1], 0
.LBB240_2779:
	s_andn2_b64 vcc, exec, s[0:1]
	s_cbranch_vccnz .LBB240_2784
; %bb.2780:
	s_mov_b64 s[0:1], -1
	s_cmp_gt_i32 s2, 0
	v_lshlrev_b32_e32 v1, 16, v1
	s_cbranch_scc0 .LBB240_2782
; %bb.2781:
	v_cvt_i32_f32_e32 v3, v1
	s_mov_b64 s[0:1], 0
	global_store_byte v[5:6], v3, off
.LBB240_2782:
	s_andn2_b64 vcc, exec, s[0:1]
	s_cbranch_vccnz .LBB240_2784
; %bb.2783:
	v_trunc_f32_e32 v1, v1
	s_mov_b32 s0, 0x2f800000
	v_mul_f32_e64 v3, |v1|, s0
	v_floor_f32_e32 v3, v3
	s_mov_b32 s0, 0xcf800000
	v_fma_f32 v3, v3, s0, |v1|
	v_cvt_u32_f32_e32 v3, v3
	v_ashrrev_i32_e32 v1, 31, v1
	v_xor_b32_e32 v3, v3, v1
	v_sub_u32_e32 v1, v3, v1
	global_store_byte v[5:6], v1, off
.LBB240_2784:
	s_mov_b64 s[6:7], -1
.LBB240_2785:
	s_andn2_b64 vcc, exec, s[6:7]
	s_cbranch_vccnz .LBB240_3100
; %bb.2786:
	v_lshlrev_b32_e32 v1, 16, v18
	v_mov_b32_e32 v3, s19
	v_cmp_ge_f32_e32 vcc, s20, v1
	v_cndmask_b32_e32 v1, v16, v3, vcc
	v_mov_b32_e32 v5, s9
	s_and_b32 s21, 0xffff, s18
	v_add_co_u32_e32 v3, vcc, s8, v4
	s_cmp_lt_i32 s21, 11
	v_addc_co_u32_e32 v4, vcc, 0, v5, vcc
	s_cbranch_scc1 .LBB240_2864
; %bb.2787:
	s_mov_b64 s[10:11], -1
	s_mov_b64 s[2:3], 0
	s_cmp_gt_i32 s21, 25
	s_mov_b64 s[6:7], 0
	s_mov_b64 s[0:1], 0
	s_cbranch_scc0 .LBB240_2820
; %bb.2788:
	s_cmp_gt_i32 s21, 28
	s_cbranch_scc0 .LBB240_2803
; %bb.2789:
	s_cmp_gt_i32 s21, 43
	;; [unrolled: 3-line block ×3, first 2 shown]
	s_cbranch_scc0 .LBB240_2793
; %bb.2791:
	s_mov_b64 s[0:1], -1
	s_mov_b64 s[10:11], 0
	s_cmp_eq_u32 s21, 46
	s_cbranch_scc0 .LBB240_2793
; %bb.2792:
	v_and_b32_e32 v5, 0xffff, v1
	global_store_dword v[3:4], v5, off
	s_mov_b64 s[0:1], 0
	s_mov_b64 s[6:7], -1
.LBB240_2793:
	s_and_b64 vcc, exec, s[10:11]
	s_cbranch_vccz .LBB240_2798
; %bb.2794:
	s_cmp_eq_u32 s21, 44
	s_mov_b64 s[0:1], -1
	s_cbranch_scc0 .LBB240_2798
; %bb.2795:
	v_and_b32_e32 v6, 0xffff, v1
	v_bfe_u32 v5, v6, 7, 8
	s_movk_i32 s0, 0xff
	v_cmp_ne_u32_e32 vcc, s0, v5
	v_mov_b32_e32 v7, 0xff
	s_and_saveexec_b64 s[6:7], vcc
	s_cbranch_execz .LBB240_2797
; %bb.2796:
	v_lshlrev_b32_e32 v8, 16, v6
	s_mov_b32 s0, 0x3f0000
	v_lshrrev_b32_e32 v7, 7, v6
	v_and_b32_e32 v6, 64, v6
	v_and_or_b32 v5, v8, s0, v5
	v_cmp_ne_u32_e32 vcc, 0, v6
	v_cmp_ne_u32_e64 s[0:1], 0, v5
	s_and_b64 s[0:1], vcc, s[0:1]
	v_cndmask_b32_e64 v5, 0, 1, s[0:1]
	v_add_u32_e32 v7, v7, v5
.LBB240_2797:
	s_or_b64 exec, exec, s[6:7]
	s_mov_b64 s[0:1], 0
	s_mov_b64 s[6:7], -1
	global_store_byte v[3:4], v7, off
.LBB240_2798:
	s_mov_b64 s[10:11], 0
.LBB240_2799:
	s_and_b64 vcc, exec, s[10:11]
	s_cbranch_vccz .LBB240_2802
; %bb.2800:
	s_cmp_eq_u32 s21, 29
	s_mov_b64 s[0:1], -1
	s_cbranch_scc0 .LBB240_2802
; %bb.2801:
	v_lshlrev_b32_e32 v5, 16, v1
	v_trunc_f32_e32 v5, v5
	v_mul_f32_e32 v6, 0x2f800000, v5
	v_floor_f32_e32 v7, v6
	v_fmac_f32_e32 v5, 0xcf800000, v7
	v_cvt_u32_f32_e32 v6, v7
	v_cvt_u32_f32_e32 v5, v5
	s_mov_b64 s[0:1], 0
	s_mov_b64 s[6:7], -1
	global_store_dwordx2 v[3:4], v[5:6], off
.LBB240_2802:
	s_mov_b64 s[10:11], 0
.LBB240_2803:
	s_and_b64 vcc, exec, s[10:11]
	s_cbranch_vccz .LBB240_2819
; %bb.2804:
	s_cmp_lt_i32 s21, 27
	s_mov_b64 s[6:7], -1
	s_cbranch_scc1 .LBB240_2810
; %bb.2805:
	s_cmp_gt_i32 s21, 27
	s_cbranch_scc0 .LBB240_2807
; %bb.2806:
	v_lshlrev_b32_e32 v5, 16, v1
	v_cvt_u32_f32_e32 v5, v5
	s_mov_b64 s[6:7], 0
	global_store_dword v[3:4], v5, off
.LBB240_2807:
	s_andn2_b64 vcc, exec, s[6:7]
	s_cbranch_vccnz .LBB240_2809
; %bb.2808:
	v_lshlrev_b32_e32 v5, 16, v1
	v_cvt_u32_f32_e32 v5, v5
	global_store_short v[3:4], v5, off
.LBB240_2809:
	s_mov_b64 s[6:7], 0
.LBB240_2810:
	s_andn2_b64 vcc, exec, s[6:7]
	s_cbranch_vccnz .LBB240_2818
; %bb.2811:
	v_lshlrev_b32_e32 v7, 16, v1
	v_and_b32_e32 v6, 0x7fffffff, v7
	s_mov_b32 s6, 0x43800000
	v_cmp_gt_u32_e32 vcc, s6, v6
	v_mov_b32_e32 v8, 0x80
	s_and_saveexec_b64 s[6:7], vcc
	s_cbranch_execz .LBB240_2817
; %bb.2812:
	s_mov_b32 s10, 0x3bffffff
	v_and_b32_e32 v5, 0xffff, v1
	v_cmp_lt_u32_e32 vcc, s10, v6
	s_mov_b64 s[10:11], 0
                                        ; implicit-def: $vgpr6
	s_and_saveexec_b64 s[16:17], vcc
	s_xor_b64 s[16:17], exec, s[16:17]
	s_cbranch_execz .LBB240_3152
; %bb.2813:
	v_bfe_u32 v6, v5, 4, 1
	s_mov_b32 s22, 0x487ffff
	v_add3_u32 v6, v7, v6, s22
	s_mov_b64 s[10:11], exec
	v_lshrrev_b32_e32 v6, 20, v6
                                        ; implicit-def: $vgpr7
	s_andn2_saveexec_b64 s[16:17], s[16:17]
	s_cbranch_execnz .LBB240_3153
.LBB240_2814:
	s_or_b64 exec, exec, s[16:17]
	v_mov_b32_e32 v8, 0
	s_and_saveexec_b64 s[16:17], s[10:11]
.LBB240_2815:
	v_lshrrev_b32_e32 v5, 8, v5
	s_movk_i32 s10, 0x80
	v_and_or_b32 v8, v5, s10, v6
.LBB240_2816:
	s_or_b64 exec, exec, s[16:17]
.LBB240_2817:
	s_or_b64 exec, exec, s[6:7]
	global_store_byte v[3:4], v8, off
.LBB240_2818:
	s_mov_b64 s[6:7], -1
.LBB240_2819:
	s_mov_b64 s[10:11], 0
.LBB240_2820:
	s_and_b64 vcc, exec, s[10:11]
	s_cbranch_vccz .LBB240_2860
; %bb.2821:
	s_cmp_gt_i32 s21, 22
	s_mov_b64 s[2:3], -1
	s_cbranch_scc0 .LBB240_2853
; %bb.2822:
	s_cmp_lt_i32 s21, 24
	s_cbranch_scc1 .LBB240_2842
; %bb.2823:
	s_cmp_gt_i32 s21, 24
	s_cbranch_scc0 .LBB240_2831
; %bb.2824:
	v_lshlrev_b32_e32 v7, 16, v1
	v_and_b32_e32 v6, 0x7fffffff, v7
	s_mov_b32 s2, 0x47800000
	v_cmp_gt_u32_e32 vcc, s2, v6
	v_mov_b32_e32 v8, 0x80
	s_and_saveexec_b64 s[2:3], vcc
	s_cbranch_execz .LBB240_2830
; %bb.2825:
	s_mov_b32 s6, 0x37ffffff
	v_and_b32_e32 v5, 0xffff, v1
	v_cmp_lt_u32_e32 vcc, s6, v6
	s_mov_b64 s[6:7], 0
                                        ; implicit-def: $vgpr6
	s_and_saveexec_b64 s[10:11], vcc
	s_xor_b64 s[10:11], exec, s[10:11]
	s_cbranch_execz .LBB240_3155
; %bb.2826:
	v_bfe_u32 v6, v5, 5, 1
	s_mov_b32 s16, 0x88fffff
	v_add3_u32 v6, v7, v6, s16
	s_mov_b64 s[6:7], exec
	v_lshrrev_b32_e32 v6, 21, v6
                                        ; implicit-def: $vgpr7
	s_andn2_saveexec_b64 s[10:11], s[10:11]
	s_cbranch_execnz .LBB240_3156
.LBB240_2827:
	s_or_b64 exec, exec, s[10:11]
	v_mov_b32_e32 v8, 0
	s_and_saveexec_b64 s[10:11], s[6:7]
.LBB240_2828:
	v_lshrrev_b32_e32 v5, 8, v5
	s_movk_i32 s6, 0x80
	v_and_or_b32 v8, v5, s6, v6
.LBB240_2829:
	s_or_b64 exec, exec, s[10:11]
.LBB240_2830:
	s_or_b64 exec, exec, s[2:3]
	s_mov_b64 s[2:3], 0
	global_store_byte v[3:4], v8, off
.LBB240_2831:
	s_and_b64 vcc, exec, s[2:3]
	s_cbranch_vccz .LBB240_2841
; %bb.2832:
	v_lshlrev_b32_e32 v7, 16, v1
	v_and_b32_e32 v8, 0x7fffffff, v7
	s_mov_b32 s2, 0x43f00000
	v_and_b32_e32 v5, 0xffff, v1
	v_cmp_gt_u32_e32 vcc, s2, v8
                                        ; implicit-def: $vgpr6
	s_and_saveexec_b64 s[2:3], vcc
	s_xor_b64 s[2:3], exec, s[2:3]
	s_cbranch_execz .LBB240_2838
; %bb.2833:
	s_mov_b32 s6, 0x3c7fffff
	v_cmp_lt_u32_e32 vcc, s6, v8
                                        ; implicit-def: $vgpr6
	s_and_saveexec_b64 s[6:7], vcc
	s_xor_b64 s[6:7], exec, s[6:7]
; %bb.2834:
	v_bfe_u32 v6, v5, 4, 1
	s_mov_b32 s10, 0x407ffff
	v_add3_u32 v6, v7, v6, s10
	v_lshrrev_b32_e32 v7, 20, v6
	v_and_b32_e32 v6, 0xff00000, v6
	s_mov_b32 s10, 0x7f00000
	v_mov_b32_e32 v8, 0x7e
	v_cmp_ne_u32_e32 vcc, s10, v6
	v_cndmask_b32_e32 v6, v8, v7, vcc
                                        ; implicit-def: $vgpr7
; %bb.2835:
	s_andn2_saveexec_b64 s[6:7], s[6:7]
; %bb.2836:
	s_mov_b32 s10, 0x46800000
	v_add_f32_e64 v6, |v7|, s10
; %bb.2837:
	s_or_b64 exec, exec, s[6:7]
                                        ; implicit-def: $vgpr8
.LBB240_2838:
	s_andn2_saveexec_b64 s[2:3], s[2:3]
; %bb.2839:
	s_mov_b32 s6, 0x7f800000
	v_mov_b32_e32 v6, 0x7e
	v_mov_b32_e32 v7, 0x7f
	v_cmp_lt_u32_e32 vcc, s6, v8
	v_cndmask_b32_e32 v6, v6, v7, vcc
; %bb.2840:
	s_or_b64 exec, exec, s[2:3]
	v_lshrrev_b32_e32 v5, 8, v5
	s_movk_i32 s2, 0x80
	v_and_or_b32 v5, v5, s2, v6
	global_store_byte v[3:4], v5, off
.LBB240_2841:
	s_mov_b64 s[2:3], 0
.LBB240_2842:
	s_andn2_b64 vcc, exec, s[2:3]
	s_cbranch_vccnz .LBB240_2852
; %bb.2843:
	v_lshlrev_b32_e32 v7, 16, v1
	v_and_b32_e32 v8, 0x7fffffff, v7
	s_mov_b32 s2, 0x47800000
	v_and_b32_e32 v5, 0xffff, v1
	v_cmp_gt_u32_e32 vcc, s2, v8
                                        ; implicit-def: $vgpr6
	s_and_saveexec_b64 s[2:3], vcc
	s_xor_b64 s[2:3], exec, s[2:3]
	s_cbranch_execz .LBB240_2849
; %bb.2844:
	s_mov_b32 s6, 0x387fffff
	v_cmp_lt_u32_e32 vcc, s6, v8
                                        ; implicit-def: $vgpr6
	s_and_saveexec_b64 s[6:7], vcc
	s_xor_b64 s[6:7], exec, s[6:7]
; %bb.2845:
	v_bfe_u32 v6, v5, 5, 1
	s_mov_b32 s10, 0x80fffff
	v_add3_u32 v6, v7, v6, s10
	v_lshrrev_b32_e32 v6, 21, v6
                                        ; implicit-def: $vgpr7
; %bb.2846:
	s_andn2_saveexec_b64 s[6:7], s[6:7]
; %bb.2847:
	s_mov_b32 s10, 0x43000000
	v_add_f32_e64 v6, |v7|, s10
; %bb.2848:
	s_or_b64 exec, exec, s[6:7]
                                        ; implicit-def: $vgpr8
.LBB240_2849:
	s_andn2_saveexec_b64 s[2:3], s[2:3]
; %bb.2850:
	s_mov_b32 s6, 0x7f800000
	v_mov_b32_e32 v6, 0x7c
	v_mov_b32_e32 v7, 0x7f
	v_cmp_lt_u32_e32 vcc, s6, v8
	v_cndmask_b32_e32 v6, v6, v7, vcc
; %bb.2851:
	s_or_b64 exec, exec, s[2:3]
	v_lshrrev_b32_e32 v5, 8, v5
	s_movk_i32 s2, 0x80
	v_and_or_b32 v5, v5, s2, v6
	global_store_byte v[3:4], v5, off
.LBB240_2852:
	s_mov_b64 s[2:3], 0
	s_mov_b64 s[6:7], -1
.LBB240_2853:
	s_andn2_b64 vcc, exec, s[2:3]
	s_mov_b64 s[2:3], 0
	s_cbranch_vccnz .LBB240_2860
; %bb.2854:
	s_cmp_gt_i32 s21, 14
	s_mov_b64 s[10:11], -1
	s_cbranch_scc0 .LBB240_2858
; %bb.2855:
	s_cmp_eq_u32 s21, 15
	s_mov_b64 s[0:1], -1
	s_cbranch_scc0 .LBB240_2857
; %bb.2856:
	global_store_short v[3:4], v1, off
	s_mov_b64 s[0:1], 0
	s_mov_b64 s[6:7], -1
.LBB240_2857:
	s_mov_b64 s[10:11], 0
.LBB240_2858:
	s_and_b64 vcc, exec, s[10:11]
	s_cbranch_vccz .LBB240_2860
; %bb.2859:
	s_cmp_lg_u32 s21, 11
	s_mov_b64 s[2:3], -1
	s_cselect_b64 s[0:1], -1, 0
.LBB240_2860:
	s_and_b64 vcc, exec, s[0:1]
	s_cbranch_vccnz .LBB240_3154
; %bb.2861:
	s_andn2_b64 vcc, exec, s[2:3]
	s_cbranch_vccnz .LBB240_2863
.LBB240_2862:
	v_and_b32_e32 v5, 0x7fff, v1
	v_cmp_ne_u16_e32 vcc, 0, v5
	v_cndmask_b32_e64 v5, 0, 1, vcc
	s_mov_b64 s[6:7], -1
	global_store_byte v[3:4], v5, off
.LBB240_2863:
	s_mov_b64 s[0:1], 0
	s_branch .LBB240_2865
.LBB240_2864:
	s_mov_b64 s[0:1], -1
	s_mov_b64 s[6:7], 0
.LBB240_2865:
	s_and_b64 vcc, exec, s[0:1]
	s_cbranch_vccz .LBB240_2904
; %bb.2866:
	s_cmp_lt_i32 s21, 5
	s_mov_b64 s[0:1], -1
	s_cbranch_scc1 .LBB240_2887
; %bb.2867:
	s_cmp_lt_i32 s21, 8
	s_cbranch_scc1 .LBB240_2877
; %bb.2868:
	s_cmp_lt_i32 s21, 9
	s_cbranch_scc1 .LBB240_2874
; %bb.2869:
	s_cmp_gt_i32 s21, 9
	s_cbranch_scc0 .LBB240_2871
; %bb.2870:
	v_lshlrev_b32_e32 v5, 16, v1
	v_cvt_f64_f32_e32 v[5:6], v5
	v_mov_b32_e32 v7, 0
	v_mov_b32_e32 v8, v7
	s_mov_b64 s[0:1], 0
	global_store_dwordx4 v[3:4], v[5:8], off
.LBB240_2871:
	s_andn2_b64 vcc, exec, s[0:1]
	s_cbranch_vccnz .LBB240_2873
; %bb.2872:
	v_lshlrev_b32_e32 v5, 16, v1
	v_mov_b32_e32 v6, 0
	global_store_dwordx2 v[3:4], v[5:6], off
.LBB240_2873:
	s_mov_b64 s[0:1], 0
.LBB240_2874:
	s_andn2_b64 vcc, exec, s[0:1]
	s_cbranch_vccnz .LBB240_2876
; %bb.2875:
	v_lshlrev_b32_e32 v5, 16, v1
	v_cvt_f16_f32_e32 v5, v5
	global_store_dword v[3:4], v5, off
.LBB240_2876:
	s_mov_b64 s[0:1], 0
.LBB240_2877:
	s_andn2_b64 vcc, exec, s[0:1]
	s_cbranch_vccnz .LBB240_2886
; %bb.2878:
	s_cmp_lt_i32 s21, 6
	s_mov_b64 s[0:1], -1
	s_cbranch_scc1 .LBB240_2884
; %bb.2879:
	s_cmp_gt_i32 s21, 6
	s_cbranch_scc0 .LBB240_2881
; %bb.2880:
	v_lshlrev_b32_e32 v5, 16, v1
	v_cvt_f64_f32_e32 v[5:6], v5
	s_mov_b64 s[0:1], 0
	global_store_dwordx2 v[3:4], v[5:6], off
.LBB240_2881:
	s_andn2_b64 vcc, exec, s[0:1]
	s_cbranch_vccnz .LBB240_2883
; %bb.2882:
	v_lshlrev_b32_e32 v5, 16, v1
	global_store_dword v[3:4], v5, off
.LBB240_2883:
	s_mov_b64 s[0:1], 0
.LBB240_2884:
	s_andn2_b64 vcc, exec, s[0:1]
	s_cbranch_vccnz .LBB240_2886
; %bb.2885:
	v_lshlrev_b32_e32 v5, 16, v1
	v_cvt_f16_f32_e32 v5, v5
	global_store_short v[3:4], v5, off
.LBB240_2886:
	s_mov_b64 s[0:1], 0
.LBB240_2887:
	s_andn2_b64 vcc, exec, s[0:1]
	s_cbranch_vccnz .LBB240_2903
; %bb.2888:
	s_cmp_lt_i32 s21, 2
	s_mov_b64 s[0:1], -1
	s_cbranch_scc1 .LBB240_2898
; %bb.2889:
	s_cmp_lt_i32 s21, 3
	s_cbranch_scc1 .LBB240_2895
; %bb.2890:
	s_cmp_gt_i32 s21, 3
	s_cbranch_scc0 .LBB240_2892
; %bb.2891:
	v_lshlrev_b32_e32 v5, 16, v1
	v_trunc_f32_e32 v5, v5
	s_mov_b32 s0, 0x2f800000
	v_mul_f32_e64 v6, |v5|, s0
	v_floor_f32_e32 v6, v6
	s_mov_b32 s0, 0xcf800000
	v_cvt_u32_f32_e32 v7, v6
	v_fma_f32 v6, v6, s0, |v5|
	v_cvt_u32_f32_e32 v6, v6
	v_ashrrev_i32_e32 v8, 31, v5
	v_xor_b32_e32 v7, v7, v8
	s_mov_b64 s[0:1], 0
	v_xor_b32_e32 v5, v6, v8
	v_sub_co_u32_e32 v5, vcc, v5, v8
	v_subb_co_u32_e32 v6, vcc, v7, v8, vcc
	global_store_dwordx2 v[3:4], v[5:6], off
.LBB240_2892:
	s_andn2_b64 vcc, exec, s[0:1]
	s_cbranch_vccnz .LBB240_2894
; %bb.2893:
	v_lshlrev_b32_e32 v5, 16, v1
	v_cvt_i32_f32_e32 v5, v5
	global_store_dword v[3:4], v5, off
.LBB240_2894:
	s_mov_b64 s[0:1], 0
.LBB240_2895:
	s_andn2_b64 vcc, exec, s[0:1]
	s_cbranch_vccnz .LBB240_2897
; %bb.2896:
	v_lshlrev_b32_e32 v5, 16, v1
	v_cvt_i32_f32_e32 v5, v5
	global_store_short v[3:4], v5, off
.LBB240_2897:
	s_mov_b64 s[0:1], 0
.LBB240_2898:
	s_andn2_b64 vcc, exec, s[0:1]
	s_cbranch_vccnz .LBB240_2903
; %bb.2899:
	s_mov_b64 s[0:1], -1
	s_cmp_gt_i32 s21, 0
	v_lshlrev_b32_e32 v1, 16, v1
	s_cbranch_scc0 .LBB240_2901
; %bb.2900:
	v_cvt_i32_f32_e32 v5, v1
	s_mov_b64 s[0:1], 0
	global_store_byte v[3:4], v5, off
.LBB240_2901:
	s_andn2_b64 vcc, exec, s[0:1]
	s_cbranch_vccnz .LBB240_2903
; %bb.2902:
	v_trunc_f32_e32 v1, v1
	s_mov_b32 s0, 0x2f800000
	v_mul_f32_e64 v5, |v1|, s0
	v_floor_f32_e32 v5, v5
	s_mov_b32 s0, 0xcf800000
	v_fma_f32 v5, v5, s0, |v1|
	v_cvt_u32_f32_e32 v5, v5
	v_ashrrev_i32_e32 v1, 31, v1
	v_xor_b32_e32 v5, v5, v1
	v_sub_u32_e32 v1, v5, v1
	global_store_byte v[3:4], v1, off
.LBB240_2903:
	s_mov_b64 s[6:7], -1
.LBB240_2904:
	s_andn2_b64 vcc, exec, s[6:7]
	s_cbranch_vccnz .LBB240_3100
; %bb.2905:
	v_lshlrev_b32_e32 v1, 16, v14
	v_mov_b32_e32 v3, s19
	v_cmp_ge_f32_e32 vcc, s20, v1
	v_cndmask_b32_e32 v3, v12, v3, vcc
	v_mov_b32_e32 v4, s9
	v_add_co_u32_e32 v1, vcc, s8, v2
	s_cmp_lt_i32 s21, 11
	v_addc_co_u32_e32 v2, vcc, 0, v4, vcc
	s_cbranch_scc1 .LBB240_2983
; %bb.2906:
	s_mov_b64 s[10:11], -1
	s_mov_b64 s[2:3], 0
	s_cmp_gt_i32 s21, 25
	s_mov_b64 s[6:7], 0
	s_mov_b64 s[0:1], 0
	s_cbranch_scc0 .LBB240_2939
; %bb.2907:
	s_cmp_gt_i32 s21, 28
	s_cbranch_scc0 .LBB240_2922
; %bb.2908:
	s_cmp_gt_i32 s21, 43
	;; [unrolled: 3-line block ×3, first 2 shown]
	s_cbranch_scc0 .LBB240_2912
; %bb.2910:
	s_mov_b64 s[0:1], -1
	s_mov_b64 s[10:11], 0
	s_cmp_eq_u32 s21, 46
	s_cbranch_scc0 .LBB240_2912
; %bb.2911:
	v_and_b32_e32 v4, 0xffff, v3
	global_store_dword v[1:2], v4, off
	s_mov_b64 s[0:1], 0
	s_mov_b64 s[6:7], -1
.LBB240_2912:
	s_and_b64 vcc, exec, s[10:11]
	s_cbranch_vccz .LBB240_2917
; %bb.2913:
	s_cmp_eq_u32 s21, 44
	s_mov_b64 s[0:1], -1
	s_cbranch_scc0 .LBB240_2917
; %bb.2914:
	v_and_b32_e32 v5, 0xffff, v3
	v_bfe_u32 v4, v5, 7, 8
	s_movk_i32 s0, 0xff
	v_cmp_ne_u32_e32 vcc, s0, v4
	v_mov_b32_e32 v6, 0xff
	s_and_saveexec_b64 s[6:7], vcc
	s_cbranch_execz .LBB240_2916
; %bb.2915:
	v_lshlrev_b32_e32 v7, 16, v5
	s_mov_b32 s0, 0x3f0000
	v_lshrrev_b32_e32 v6, 7, v5
	v_and_b32_e32 v5, 64, v5
	v_and_or_b32 v4, v7, s0, v4
	v_cmp_ne_u32_e32 vcc, 0, v5
	v_cmp_ne_u32_e64 s[0:1], 0, v4
	s_and_b64 s[0:1], vcc, s[0:1]
	v_cndmask_b32_e64 v4, 0, 1, s[0:1]
	v_add_u32_e32 v6, v6, v4
.LBB240_2916:
	s_or_b64 exec, exec, s[6:7]
	s_mov_b64 s[0:1], 0
	s_mov_b64 s[6:7], -1
	global_store_byte v[1:2], v6, off
.LBB240_2917:
	s_mov_b64 s[10:11], 0
.LBB240_2918:
	s_and_b64 vcc, exec, s[10:11]
	s_cbranch_vccz .LBB240_2921
; %bb.2919:
	s_cmp_eq_u32 s21, 29
	s_mov_b64 s[0:1], -1
	s_cbranch_scc0 .LBB240_2921
; %bb.2920:
	v_lshlrev_b32_e32 v4, 16, v3
	v_trunc_f32_e32 v4, v4
	v_mul_f32_e32 v5, 0x2f800000, v4
	v_floor_f32_e32 v6, v5
	v_fmac_f32_e32 v4, 0xcf800000, v6
	v_cvt_u32_f32_e32 v5, v6
	v_cvt_u32_f32_e32 v4, v4
	s_mov_b64 s[0:1], 0
	s_mov_b64 s[6:7], -1
	global_store_dwordx2 v[1:2], v[4:5], off
.LBB240_2921:
	s_mov_b64 s[10:11], 0
.LBB240_2922:
	s_and_b64 vcc, exec, s[10:11]
	s_cbranch_vccz .LBB240_2938
; %bb.2923:
	s_cmp_lt_i32 s21, 27
	s_mov_b64 s[6:7], -1
	s_cbranch_scc1 .LBB240_2929
; %bb.2924:
	s_cmp_gt_i32 s21, 27
	s_cbranch_scc0 .LBB240_2926
; %bb.2925:
	v_lshlrev_b32_e32 v4, 16, v3
	v_cvt_u32_f32_e32 v4, v4
	s_mov_b64 s[6:7], 0
	global_store_dword v[1:2], v4, off
.LBB240_2926:
	s_andn2_b64 vcc, exec, s[6:7]
	s_cbranch_vccnz .LBB240_2928
; %bb.2927:
	v_lshlrev_b32_e32 v4, 16, v3
	v_cvt_u32_f32_e32 v4, v4
	global_store_short v[1:2], v4, off
.LBB240_2928:
	s_mov_b64 s[6:7], 0
.LBB240_2929:
	s_andn2_b64 vcc, exec, s[6:7]
	s_cbranch_vccnz .LBB240_2937
; %bb.2930:
	v_lshlrev_b32_e32 v6, 16, v3
	v_and_b32_e32 v5, 0x7fffffff, v6
	s_mov_b32 s6, 0x43800000
	v_cmp_gt_u32_e32 vcc, s6, v5
	v_mov_b32_e32 v7, 0x80
	s_and_saveexec_b64 s[6:7], vcc
	s_cbranch_execz .LBB240_2936
; %bb.2931:
	s_mov_b32 s10, 0x3bffffff
	v_and_b32_e32 v4, 0xffff, v3
	v_cmp_lt_u32_e32 vcc, s10, v5
	s_mov_b64 s[10:11], 0
                                        ; implicit-def: $vgpr5
	s_and_saveexec_b64 s[16:17], vcc
	s_xor_b64 s[16:17], exec, s[16:17]
	s_cbranch_execz .LBB240_3157
; %bb.2932:
	v_bfe_u32 v5, v4, 4, 1
	s_mov_b32 s22, 0x487ffff
	v_add3_u32 v5, v6, v5, s22
	s_mov_b64 s[10:11], exec
	v_lshrrev_b32_e32 v5, 20, v5
                                        ; implicit-def: $vgpr6
	s_andn2_saveexec_b64 s[16:17], s[16:17]
	s_cbranch_execnz .LBB240_3158
.LBB240_2933:
	s_or_b64 exec, exec, s[16:17]
	v_mov_b32_e32 v7, 0
	s_and_saveexec_b64 s[16:17], s[10:11]
.LBB240_2934:
	v_lshrrev_b32_e32 v4, 8, v4
	s_movk_i32 s10, 0x80
	v_and_or_b32 v7, v4, s10, v5
.LBB240_2935:
	s_or_b64 exec, exec, s[16:17]
.LBB240_2936:
	s_or_b64 exec, exec, s[6:7]
	global_store_byte v[1:2], v7, off
.LBB240_2937:
	s_mov_b64 s[6:7], -1
.LBB240_2938:
	s_mov_b64 s[10:11], 0
.LBB240_2939:
	s_and_b64 vcc, exec, s[10:11]
	s_cbranch_vccz .LBB240_2979
; %bb.2940:
	s_cmp_gt_i32 s21, 22
	s_mov_b64 s[2:3], -1
	s_cbranch_scc0 .LBB240_2972
; %bb.2941:
	s_cmp_lt_i32 s21, 24
	s_cbranch_scc1 .LBB240_2961
; %bb.2942:
	s_cmp_gt_i32 s21, 24
	s_cbranch_scc0 .LBB240_2950
; %bb.2943:
	v_lshlrev_b32_e32 v6, 16, v3
	v_and_b32_e32 v5, 0x7fffffff, v6
	s_mov_b32 s2, 0x47800000
	v_cmp_gt_u32_e32 vcc, s2, v5
	v_mov_b32_e32 v7, 0x80
	s_and_saveexec_b64 s[2:3], vcc
	s_cbranch_execz .LBB240_2949
; %bb.2944:
	s_mov_b32 s6, 0x37ffffff
	v_and_b32_e32 v4, 0xffff, v3
	v_cmp_lt_u32_e32 vcc, s6, v5
	s_mov_b64 s[6:7], 0
                                        ; implicit-def: $vgpr5
	s_and_saveexec_b64 s[10:11], vcc
	s_xor_b64 s[10:11], exec, s[10:11]
	s_cbranch_execz .LBB240_3160
; %bb.2945:
	v_bfe_u32 v5, v4, 5, 1
	s_mov_b32 s16, 0x88fffff
	v_add3_u32 v5, v6, v5, s16
	s_mov_b64 s[6:7], exec
	v_lshrrev_b32_e32 v5, 21, v5
                                        ; implicit-def: $vgpr6
	s_andn2_saveexec_b64 s[10:11], s[10:11]
	s_cbranch_execnz .LBB240_3161
.LBB240_2946:
	s_or_b64 exec, exec, s[10:11]
	v_mov_b32_e32 v7, 0
	s_and_saveexec_b64 s[10:11], s[6:7]
.LBB240_2947:
	v_lshrrev_b32_e32 v4, 8, v4
	s_movk_i32 s6, 0x80
	v_and_or_b32 v7, v4, s6, v5
.LBB240_2948:
	s_or_b64 exec, exec, s[10:11]
.LBB240_2949:
	s_or_b64 exec, exec, s[2:3]
	s_mov_b64 s[2:3], 0
	global_store_byte v[1:2], v7, off
.LBB240_2950:
	s_and_b64 vcc, exec, s[2:3]
	s_cbranch_vccz .LBB240_2960
; %bb.2951:
	v_lshlrev_b32_e32 v6, 16, v3
	v_and_b32_e32 v7, 0x7fffffff, v6
	s_mov_b32 s2, 0x43f00000
	v_and_b32_e32 v4, 0xffff, v3
	v_cmp_gt_u32_e32 vcc, s2, v7
                                        ; implicit-def: $vgpr5
	s_and_saveexec_b64 s[2:3], vcc
	s_xor_b64 s[2:3], exec, s[2:3]
	s_cbranch_execz .LBB240_2957
; %bb.2952:
	s_mov_b32 s6, 0x3c7fffff
	v_cmp_lt_u32_e32 vcc, s6, v7
                                        ; implicit-def: $vgpr5
	s_and_saveexec_b64 s[6:7], vcc
	s_xor_b64 s[6:7], exec, s[6:7]
; %bb.2953:
	v_bfe_u32 v5, v4, 4, 1
	s_mov_b32 s10, 0x407ffff
	v_add3_u32 v5, v6, v5, s10
	v_lshrrev_b32_e32 v6, 20, v5
	v_and_b32_e32 v5, 0xff00000, v5
	s_mov_b32 s10, 0x7f00000
	v_mov_b32_e32 v7, 0x7e
	v_cmp_ne_u32_e32 vcc, s10, v5
	v_cndmask_b32_e32 v5, v7, v6, vcc
                                        ; implicit-def: $vgpr6
; %bb.2954:
	s_andn2_saveexec_b64 s[6:7], s[6:7]
; %bb.2955:
	s_mov_b32 s10, 0x46800000
	v_add_f32_e64 v5, |v6|, s10
; %bb.2956:
	s_or_b64 exec, exec, s[6:7]
                                        ; implicit-def: $vgpr7
.LBB240_2957:
	s_andn2_saveexec_b64 s[2:3], s[2:3]
; %bb.2958:
	s_mov_b32 s6, 0x7f800000
	v_mov_b32_e32 v5, 0x7e
	v_mov_b32_e32 v6, 0x7f
	v_cmp_lt_u32_e32 vcc, s6, v7
	v_cndmask_b32_e32 v5, v5, v6, vcc
; %bb.2959:
	s_or_b64 exec, exec, s[2:3]
	v_lshrrev_b32_e32 v4, 8, v4
	s_movk_i32 s2, 0x80
	v_and_or_b32 v4, v4, s2, v5
	global_store_byte v[1:2], v4, off
.LBB240_2960:
	s_mov_b64 s[2:3], 0
.LBB240_2961:
	s_andn2_b64 vcc, exec, s[2:3]
	s_cbranch_vccnz .LBB240_2971
; %bb.2962:
	v_lshlrev_b32_e32 v6, 16, v3
	v_and_b32_e32 v7, 0x7fffffff, v6
	s_mov_b32 s2, 0x47800000
	v_and_b32_e32 v4, 0xffff, v3
	v_cmp_gt_u32_e32 vcc, s2, v7
                                        ; implicit-def: $vgpr5
	s_and_saveexec_b64 s[2:3], vcc
	s_xor_b64 s[2:3], exec, s[2:3]
	s_cbranch_execz .LBB240_2968
; %bb.2963:
	s_mov_b32 s6, 0x387fffff
	v_cmp_lt_u32_e32 vcc, s6, v7
                                        ; implicit-def: $vgpr5
	s_and_saveexec_b64 s[6:7], vcc
	s_xor_b64 s[6:7], exec, s[6:7]
; %bb.2964:
	v_bfe_u32 v5, v4, 5, 1
	s_mov_b32 s10, 0x80fffff
	v_add3_u32 v5, v6, v5, s10
	v_lshrrev_b32_e32 v5, 21, v5
                                        ; implicit-def: $vgpr6
; %bb.2965:
	s_andn2_saveexec_b64 s[6:7], s[6:7]
; %bb.2966:
	s_mov_b32 s10, 0x43000000
	v_add_f32_e64 v5, |v6|, s10
; %bb.2967:
	s_or_b64 exec, exec, s[6:7]
                                        ; implicit-def: $vgpr7
.LBB240_2968:
	s_andn2_saveexec_b64 s[2:3], s[2:3]
; %bb.2969:
	s_mov_b32 s6, 0x7f800000
	v_mov_b32_e32 v5, 0x7c
	v_mov_b32_e32 v6, 0x7f
	v_cmp_lt_u32_e32 vcc, s6, v7
	v_cndmask_b32_e32 v5, v5, v6, vcc
; %bb.2970:
	s_or_b64 exec, exec, s[2:3]
	v_lshrrev_b32_e32 v4, 8, v4
	s_movk_i32 s2, 0x80
	v_and_or_b32 v4, v4, s2, v5
	global_store_byte v[1:2], v4, off
.LBB240_2971:
	s_mov_b64 s[2:3], 0
	s_mov_b64 s[6:7], -1
.LBB240_2972:
	s_andn2_b64 vcc, exec, s[2:3]
	s_mov_b64 s[2:3], 0
	s_cbranch_vccnz .LBB240_2979
; %bb.2973:
	s_cmp_gt_i32 s21, 14
	s_mov_b64 s[10:11], -1
	s_cbranch_scc0 .LBB240_2977
; %bb.2974:
	s_cmp_eq_u32 s21, 15
	s_mov_b64 s[0:1], -1
	s_cbranch_scc0 .LBB240_2976
; %bb.2975:
	global_store_short v[1:2], v3, off
	s_mov_b64 s[0:1], 0
	s_mov_b64 s[6:7], -1
.LBB240_2976:
	s_mov_b64 s[10:11], 0
.LBB240_2977:
	s_and_b64 vcc, exec, s[10:11]
	s_cbranch_vccz .LBB240_2979
; %bb.2978:
	s_cmp_lg_u32 s21, 11
	s_mov_b64 s[2:3], -1
	s_cselect_b64 s[0:1], -1, 0
.LBB240_2979:
	s_and_b64 vcc, exec, s[0:1]
	s_cbranch_vccnz .LBB240_3159
; %bb.2980:
	s_andn2_b64 vcc, exec, s[2:3]
	s_cbranch_vccnz .LBB240_2982
.LBB240_2981:
	v_and_b32_e32 v4, 0x7fff, v3
	v_cmp_ne_u16_e32 vcc, 0, v4
	v_cndmask_b32_e64 v4, 0, 1, vcc
	s_mov_b64 s[6:7], -1
	global_store_byte v[1:2], v4, off
.LBB240_2982:
	s_mov_b64 s[0:1], 0
	s_branch .LBB240_2984
.LBB240_2983:
	s_mov_b64 s[0:1], -1
	s_mov_b64 s[6:7], 0
.LBB240_2984:
	s_and_b64 vcc, exec, s[0:1]
	s_cbranch_vccz .LBB240_3023
; %bb.2985:
	s_cmp_lt_i32 s21, 5
	s_mov_b64 s[0:1], -1
	s_cbranch_scc1 .LBB240_3006
; %bb.2986:
	s_cmp_lt_i32 s21, 8
	s_cbranch_scc1 .LBB240_2996
; %bb.2987:
	s_cmp_lt_i32 s21, 9
	s_cbranch_scc1 .LBB240_2993
; %bb.2988:
	s_cmp_gt_i32 s21, 9
	s_cbranch_scc0 .LBB240_2990
; %bb.2989:
	v_lshlrev_b32_e32 v4, 16, v3
	v_cvt_f64_f32_e32 v[4:5], v4
	v_mov_b32_e32 v6, 0
	v_mov_b32_e32 v7, v6
	s_mov_b64 s[0:1], 0
	global_store_dwordx4 v[1:2], v[4:7], off
.LBB240_2990:
	s_andn2_b64 vcc, exec, s[0:1]
	s_cbranch_vccnz .LBB240_2992
; %bb.2991:
	v_lshlrev_b32_e32 v4, 16, v3
	v_mov_b32_e32 v5, 0
	global_store_dwordx2 v[1:2], v[4:5], off
.LBB240_2992:
	s_mov_b64 s[0:1], 0
.LBB240_2993:
	s_andn2_b64 vcc, exec, s[0:1]
	s_cbranch_vccnz .LBB240_2995
; %bb.2994:
	v_lshlrev_b32_e32 v4, 16, v3
	v_cvt_f16_f32_e32 v4, v4
	global_store_dword v[1:2], v4, off
.LBB240_2995:
	s_mov_b64 s[0:1], 0
.LBB240_2996:
	s_andn2_b64 vcc, exec, s[0:1]
	s_cbranch_vccnz .LBB240_3005
; %bb.2997:
	s_cmp_lt_i32 s21, 6
	s_mov_b64 s[0:1], -1
	s_cbranch_scc1 .LBB240_3003
; %bb.2998:
	s_cmp_gt_i32 s21, 6
	s_cbranch_scc0 .LBB240_3000
; %bb.2999:
	v_lshlrev_b32_e32 v4, 16, v3
	v_cvt_f64_f32_e32 v[4:5], v4
	s_mov_b64 s[0:1], 0
	global_store_dwordx2 v[1:2], v[4:5], off
.LBB240_3000:
	s_andn2_b64 vcc, exec, s[0:1]
	s_cbranch_vccnz .LBB240_3002
; %bb.3001:
	v_lshlrev_b32_e32 v4, 16, v3
	global_store_dword v[1:2], v4, off
.LBB240_3002:
	s_mov_b64 s[0:1], 0
.LBB240_3003:
	s_andn2_b64 vcc, exec, s[0:1]
	s_cbranch_vccnz .LBB240_3005
; %bb.3004:
	v_lshlrev_b32_e32 v4, 16, v3
	v_cvt_f16_f32_e32 v4, v4
	global_store_short v[1:2], v4, off
.LBB240_3005:
	s_mov_b64 s[0:1], 0
.LBB240_3006:
	s_andn2_b64 vcc, exec, s[0:1]
	s_cbranch_vccnz .LBB240_3022
; %bb.3007:
	s_cmp_lt_i32 s21, 2
	s_mov_b64 s[0:1], -1
	s_cbranch_scc1 .LBB240_3017
; %bb.3008:
	s_cmp_lt_i32 s21, 3
	s_cbranch_scc1 .LBB240_3014
; %bb.3009:
	s_cmp_gt_i32 s21, 3
	s_cbranch_scc0 .LBB240_3011
; %bb.3010:
	v_lshlrev_b32_e32 v4, 16, v3
	v_trunc_f32_e32 v4, v4
	s_mov_b32 s0, 0x2f800000
	v_mul_f32_e64 v5, |v4|, s0
	v_floor_f32_e32 v5, v5
	s_mov_b32 s0, 0xcf800000
	v_cvt_u32_f32_e32 v6, v5
	v_fma_f32 v5, v5, s0, |v4|
	v_cvt_u32_f32_e32 v5, v5
	v_ashrrev_i32_e32 v7, 31, v4
	v_xor_b32_e32 v6, v6, v7
	s_mov_b64 s[0:1], 0
	v_xor_b32_e32 v4, v5, v7
	v_sub_co_u32_e32 v4, vcc, v4, v7
	v_subb_co_u32_e32 v5, vcc, v6, v7, vcc
	global_store_dwordx2 v[1:2], v[4:5], off
.LBB240_3011:
	s_andn2_b64 vcc, exec, s[0:1]
	s_cbranch_vccnz .LBB240_3013
; %bb.3012:
	v_lshlrev_b32_e32 v4, 16, v3
	v_cvt_i32_f32_e32 v4, v4
	global_store_dword v[1:2], v4, off
.LBB240_3013:
	s_mov_b64 s[0:1], 0
.LBB240_3014:
	s_andn2_b64 vcc, exec, s[0:1]
	s_cbranch_vccnz .LBB240_3016
; %bb.3015:
	v_lshlrev_b32_e32 v4, 16, v3
	v_cvt_i32_f32_e32 v4, v4
	global_store_short v[1:2], v4, off
.LBB240_3016:
	s_mov_b64 s[0:1], 0
.LBB240_3017:
	s_andn2_b64 vcc, exec, s[0:1]
	s_cbranch_vccnz .LBB240_3022
; %bb.3018:
	s_cmp_gt_i32 s21, 0
	s_mov_b64 s[0:1], -1
	s_cbranch_scc0 .LBB240_3020
; %bb.3019:
	v_lshlrev_b32_e32 v4, 16, v3
	v_cvt_i32_f32_e32 v4, v4
	s_mov_b64 s[0:1], 0
	global_store_byte v[1:2], v4, off
.LBB240_3020:
	s_andn2_b64 vcc, exec, s[0:1]
	s_cbranch_vccnz .LBB240_3022
; %bb.3021:
	v_lshlrev_b32_e32 v3, 16, v3
	v_trunc_f32_e32 v3, v3
	s_mov_b32 s0, 0x2f800000
	v_mul_f32_e64 v4, |v3|, s0
	v_floor_f32_e32 v4, v4
	s_mov_b32 s0, 0xcf800000
	v_fma_f32 v4, v4, s0, |v3|
	v_cvt_u32_f32_e32 v4, v4
	v_ashrrev_i32_e32 v3, 31, v3
	v_xor_b32_e32 v4, v4, v3
	v_sub_u32_e32 v3, v4, v3
	global_store_byte v[1:2], v3, off
.LBB240_3022:
	s_mov_b64 s[6:7], -1
.LBB240_3023:
	s_andn2_b64 vcc, exec, s[6:7]
	s_cbranch_vccnz .LBB240_3100
; %bb.3024:
	v_lshlrev_b32_e32 v1, 16, v10
	v_mov_b32_e32 v2, s19
	v_cmp_ge_f32_e32 vcc, s20, v1
	v_cndmask_b32_e32 v2, v9, v2, vcc
	v_mov_b32_e32 v1, s9
	v_add_co_u32_e32 v0, vcc, s8, v0
	s_cmp_lt_i32 s21, 11
	v_addc_co_u32_e32 v1, vcc, 0, v1, vcc
	s_cbranch_scc1 .LBB240_3145
; %bb.3025:
	s_mov_b64 s[6:7], -1
	s_mov_b64 s[2:3], 0
	s_cmp_gt_i32 s21, 25
	s_mov_b64 s[0:1], 0
	s_cbranch_scc0 .LBB240_3058
; %bb.3026:
	s_cmp_gt_i32 s21, 28
	s_cbranch_scc0 .LBB240_3042
; %bb.3027:
	s_cmp_gt_i32 s21, 43
	;; [unrolled: 3-line block ×3, first 2 shown]
	s_cbranch_scc0 .LBB240_3032
; %bb.3029:
	s_cmp_eq_u32 s21, 46
	s_mov_b64 s[0:1], -1
	s_cbranch_scc0 .LBB240_3031
; %bb.3030:
	v_and_b32_e32 v3, 0xffff, v2
	global_store_dword v[0:1], v3, off
	s_mov_b64 s[0:1], 0
.LBB240_3031:
	s_mov_b64 s[6:7], 0
.LBB240_3032:
	s_and_b64 vcc, exec, s[6:7]
	s_cbranch_vccz .LBB240_3037
; %bb.3033:
	s_cmp_eq_u32 s21, 44
	s_mov_b64 s[0:1], -1
	s_cbranch_scc0 .LBB240_3037
; %bb.3034:
	v_and_b32_e32 v4, 0xffff, v2
	v_bfe_u32 v3, v4, 7, 8
	s_movk_i32 s0, 0xff
	v_cmp_ne_u32_e32 vcc, s0, v3
	v_mov_b32_e32 v5, 0xff
	s_and_saveexec_b64 s[6:7], vcc
	s_cbranch_execz .LBB240_3036
; %bb.3035:
	v_lshlrev_b32_e32 v6, 16, v4
	s_mov_b32 s0, 0x3f0000
	v_lshrrev_b32_e32 v5, 7, v4
	v_and_b32_e32 v4, 64, v4
	v_and_or_b32 v3, v6, s0, v3
	v_cmp_ne_u32_e32 vcc, 0, v4
	v_cmp_ne_u32_e64 s[0:1], 0, v3
	s_and_b64 s[0:1], vcc, s[0:1]
	v_cndmask_b32_e64 v3, 0, 1, s[0:1]
	v_add_u32_e32 v5, v5, v3
.LBB240_3036:
	s_or_b64 exec, exec, s[6:7]
	s_mov_b64 s[0:1], 0
	global_store_byte v[0:1], v5, off
.LBB240_3037:
	s_mov_b64 s[6:7], 0
.LBB240_3038:
	s_and_b64 vcc, exec, s[6:7]
	s_cbranch_vccz .LBB240_3041
; %bb.3039:
	s_cmp_eq_u32 s21, 29
	s_mov_b64 s[0:1], -1
	s_cbranch_scc0 .LBB240_3041
; %bb.3040:
	v_lshlrev_b32_e32 v3, 16, v2
	v_trunc_f32_e32 v3, v3
	v_mul_f32_e32 v4, 0x2f800000, v3
	v_floor_f32_e32 v5, v4
	v_fmac_f32_e32 v3, 0xcf800000, v5
	v_cvt_u32_f32_e32 v4, v5
	v_cvt_u32_f32_e32 v3, v3
	s_mov_b64 s[0:1], 0
	global_store_dwordx2 v[0:1], v[3:4], off
.LBB240_3041:
	s_mov_b64 s[6:7], 0
.LBB240_3042:
	s_and_b64 vcc, exec, s[6:7]
	s_cbranch_vccz .LBB240_3057
; %bb.3043:
	s_cmp_lt_i32 s21, 27
	s_mov_b64 s[6:7], -1
	s_cbranch_scc1 .LBB240_3049
; %bb.3044:
	s_cmp_gt_i32 s21, 27
	s_cbranch_scc0 .LBB240_3046
; %bb.3045:
	v_lshlrev_b32_e32 v3, 16, v2
	v_cvt_u32_f32_e32 v3, v3
	s_mov_b64 s[6:7], 0
	global_store_dword v[0:1], v3, off
.LBB240_3046:
	s_andn2_b64 vcc, exec, s[6:7]
	s_cbranch_vccnz .LBB240_3048
; %bb.3047:
	v_lshlrev_b32_e32 v3, 16, v2
	v_cvt_u32_f32_e32 v3, v3
	global_store_short v[0:1], v3, off
.LBB240_3048:
	s_mov_b64 s[6:7], 0
.LBB240_3049:
	s_andn2_b64 vcc, exec, s[6:7]
	s_cbranch_vccnz .LBB240_3057
; %bb.3050:
	v_lshlrev_b32_e32 v5, 16, v2
	v_and_b32_e32 v4, 0x7fffffff, v5
	s_mov_b32 s6, 0x43800000
	v_cmp_gt_u32_e32 vcc, s6, v4
	v_mov_b32_e32 v6, 0x80
	s_and_saveexec_b64 s[6:7], vcc
	s_cbranch_execz .LBB240_3056
; %bb.3051:
	s_mov_b32 s8, 0x3bffffff
	v_and_b32_e32 v3, 0xffff, v2
	v_cmp_lt_u32_e32 vcc, s8, v4
	s_mov_b64 s[8:9], 0
                                        ; implicit-def: $vgpr4
	s_and_saveexec_b64 s[10:11], vcc
	s_xor_b64 s[10:11], exec, s[10:11]
	s_cbranch_execz .LBB240_3162
; %bb.3052:
	v_bfe_u32 v4, v3, 4, 1
	s_mov_b32 s16, 0x487ffff
	v_add3_u32 v4, v5, v4, s16
	s_mov_b64 s[8:9], exec
	v_lshrrev_b32_e32 v4, 20, v4
                                        ; implicit-def: $vgpr5
	s_andn2_saveexec_b64 s[10:11], s[10:11]
	s_cbranch_execnz .LBB240_3163
.LBB240_3053:
	s_or_b64 exec, exec, s[10:11]
	v_mov_b32_e32 v6, 0
	s_and_saveexec_b64 s[10:11], s[8:9]
.LBB240_3054:
	v_lshrrev_b32_e32 v3, 8, v3
	s_movk_i32 s8, 0x80
	v_and_or_b32 v6, v3, s8, v4
.LBB240_3055:
	s_or_b64 exec, exec, s[10:11]
.LBB240_3056:
	s_or_b64 exec, exec, s[6:7]
	global_store_byte v[0:1], v6, off
.LBB240_3057:
	s_mov_b64 s[6:7], 0
.LBB240_3058:
	s_and_b64 vcc, exec, s[6:7]
	s_cbranch_vccz .LBB240_3098
; %bb.3059:
	s_cmp_gt_i32 s21, 22
	s_mov_b64 s[2:3], -1
	s_cbranch_scc0 .LBB240_3091
; %bb.3060:
	s_cmp_lt_i32 s21, 24
	s_cbranch_scc1 .LBB240_3080
; %bb.3061:
	s_cmp_gt_i32 s21, 24
	s_cbranch_scc0 .LBB240_3069
; %bb.3062:
	v_lshlrev_b32_e32 v5, 16, v2
	v_and_b32_e32 v4, 0x7fffffff, v5
	s_mov_b32 s2, 0x47800000
	v_cmp_gt_u32_e32 vcc, s2, v4
	v_mov_b32_e32 v6, 0x80
	s_and_saveexec_b64 s[2:3], vcc
	s_cbranch_execz .LBB240_3068
; %bb.3063:
	s_mov_b32 s6, 0x37ffffff
	v_and_b32_e32 v3, 0xffff, v2
	v_cmp_lt_u32_e32 vcc, s6, v4
	s_mov_b64 s[6:7], 0
                                        ; implicit-def: $vgpr4
	s_and_saveexec_b64 s[8:9], vcc
	s_xor_b64 s[8:9], exec, s[8:9]
	s_cbranch_execz .LBB240_3165
; %bb.3064:
	v_bfe_u32 v4, v3, 5, 1
	s_mov_b32 s10, 0x88fffff
	v_add3_u32 v4, v5, v4, s10
	s_mov_b64 s[6:7], exec
	v_lshrrev_b32_e32 v4, 21, v4
                                        ; implicit-def: $vgpr5
	s_andn2_saveexec_b64 s[8:9], s[8:9]
	s_cbranch_execnz .LBB240_3166
.LBB240_3065:
	s_or_b64 exec, exec, s[8:9]
	v_mov_b32_e32 v6, 0
	s_and_saveexec_b64 s[8:9], s[6:7]
.LBB240_3066:
	v_lshrrev_b32_e32 v3, 8, v3
	s_movk_i32 s6, 0x80
	v_and_or_b32 v6, v3, s6, v4
.LBB240_3067:
	s_or_b64 exec, exec, s[8:9]
.LBB240_3068:
	s_or_b64 exec, exec, s[2:3]
	s_mov_b64 s[2:3], 0
	global_store_byte v[0:1], v6, off
.LBB240_3069:
	s_and_b64 vcc, exec, s[2:3]
	s_cbranch_vccz .LBB240_3079
; %bb.3070:
	v_lshlrev_b32_e32 v5, 16, v2
	v_and_b32_e32 v6, 0x7fffffff, v5
	s_mov_b32 s2, 0x43f00000
	v_and_b32_e32 v3, 0xffff, v2
	v_cmp_gt_u32_e32 vcc, s2, v6
                                        ; implicit-def: $vgpr4
	s_and_saveexec_b64 s[2:3], vcc
	s_xor_b64 s[2:3], exec, s[2:3]
	s_cbranch_execz .LBB240_3076
; %bb.3071:
	s_mov_b32 s6, 0x3c7fffff
	v_cmp_lt_u32_e32 vcc, s6, v6
                                        ; implicit-def: $vgpr4
	s_and_saveexec_b64 s[6:7], vcc
	s_xor_b64 s[6:7], exec, s[6:7]
; %bb.3072:
	v_bfe_u32 v4, v3, 4, 1
	s_mov_b32 s8, 0x407ffff
	v_add3_u32 v4, v5, v4, s8
	v_lshrrev_b32_e32 v5, 20, v4
	v_and_b32_e32 v4, 0xff00000, v4
	s_mov_b32 s8, 0x7f00000
	v_mov_b32_e32 v6, 0x7e
	v_cmp_ne_u32_e32 vcc, s8, v4
	v_cndmask_b32_e32 v4, v6, v5, vcc
                                        ; implicit-def: $vgpr5
; %bb.3073:
	s_andn2_saveexec_b64 s[6:7], s[6:7]
; %bb.3074:
	s_mov_b32 s8, 0x46800000
	v_add_f32_e64 v4, |v5|, s8
; %bb.3075:
	s_or_b64 exec, exec, s[6:7]
                                        ; implicit-def: $vgpr6
.LBB240_3076:
	s_andn2_saveexec_b64 s[2:3], s[2:3]
; %bb.3077:
	s_mov_b32 s6, 0x7f800000
	v_mov_b32_e32 v4, 0x7e
	v_mov_b32_e32 v5, 0x7f
	v_cmp_lt_u32_e32 vcc, s6, v6
	v_cndmask_b32_e32 v4, v4, v5, vcc
; %bb.3078:
	s_or_b64 exec, exec, s[2:3]
	v_lshrrev_b32_e32 v3, 8, v3
	s_movk_i32 s2, 0x80
	v_and_or_b32 v3, v3, s2, v4
	global_store_byte v[0:1], v3, off
.LBB240_3079:
	s_mov_b64 s[2:3], 0
.LBB240_3080:
	s_andn2_b64 vcc, exec, s[2:3]
	s_cbranch_vccnz .LBB240_3090
; %bb.3081:
	v_lshlrev_b32_e32 v5, 16, v2
	v_and_b32_e32 v6, 0x7fffffff, v5
	s_mov_b32 s2, 0x47800000
	v_and_b32_e32 v3, 0xffff, v2
	v_cmp_gt_u32_e32 vcc, s2, v6
                                        ; implicit-def: $vgpr4
	s_and_saveexec_b64 s[2:3], vcc
	s_xor_b64 s[2:3], exec, s[2:3]
	s_cbranch_execz .LBB240_3087
; %bb.3082:
	s_mov_b32 s6, 0x387fffff
	v_cmp_lt_u32_e32 vcc, s6, v6
                                        ; implicit-def: $vgpr4
	s_and_saveexec_b64 s[6:7], vcc
	s_xor_b64 s[6:7], exec, s[6:7]
; %bb.3083:
	v_bfe_u32 v4, v3, 5, 1
	s_mov_b32 s8, 0x80fffff
	v_add3_u32 v4, v5, v4, s8
	v_lshrrev_b32_e32 v4, 21, v4
                                        ; implicit-def: $vgpr5
; %bb.3084:
	s_andn2_saveexec_b64 s[6:7], s[6:7]
; %bb.3085:
	s_mov_b32 s8, 0x43000000
	v_add_f32_e64 v4, |v5|, s8
; %bb.3086:
	s_or_b64 exec, exec, s[6:7]
                                        ; implicit-def: $vgpr6
.LBB240_3087:
	s_andn2_saveexec_b64 s[2:3], s[2:3]
; %bb.3088:
	s_mov_b32 s6, 0x7f800000
	v_mov_b32_e32 v4, 0x7c
	v_mov_b32_e32 v5, 0x7f
	v_cmp_lt_u32_e32 vcc, s6, v6
	v_cndmask_b32_e32 v4, v4, v5, vcc
; %bb.3089:
	s_or_b64 exec, exec, s[2:3]
	v_lshrrev_b32_e32 v3, 8, v3
	s_movk_i32 s2, 0x80
	v_and_or_b32 v3, v3, s2, v4
	global_store_byte v[0:1], v3, off
.LBB240_3090:
	s_mov_b64 s[2:3], 0
.LBB240_3091:
	s_andn2_b64 vcc, exec, s[2:3]
	s_mov_b64 s[2:3], 0
	s_cbranch_vccnz .LBB240_3098
; %bb.3092:
	s_cmp_gt_i32 s21, 14
	s_mov_b64 s[6:7], -1
	s_cbranch_scc0 .LBB240_3096
; %bb.3093:
	s_cmp_eq_u32 s21, 15
	s_mov_b64 s[0:1], -1
	s_cbranch_scc0 .LBB240_3095
; %bb.3094:
	global_store_short v[0:1], v2, off
	s_mov_b64 s[0:1], 0
.LBB240_3095:
	s_mov_b64 s[6:7], 0
.LBB240_3096:
	s_and_b64 vcc, exec, s[6:7]
	s_cbranch_vccz .LBB240_3098
; %bb.3097:
	s_cmp_lg_u32 s21, 11
	s_mov_b64 s[2:3], -1
	s_cselect_b64 s[0:1], -1, 0
.LBB240_3098:
	s_and_b64 vcc, exec, s[0:1]
	s_cbranch_vccnz .LBB240_3164
.LBB240_3099:
	s_mov_b64 s[0:1], 0
	s_branch .LBB240_3101
.LBB240_3100:
	s_mov_b64 s[0:1], 0
	s_mov_b64 s[2:3], 0
                                        ; implicit-def: $vgpr0_vgpr1
                                        ; implicit-def: $sgpr18
                                        ; implicit-def: $vgpr2
.LBB240_3101:
	s_and_b64 s[6:7], s[2:3], exec
	s_andn2_b64 s[2:3], s[12:13], exec
	s_and_b64 s[4:5], s[4:5], exec
	s_and_b64 s[0:1], s[0:1], exec
	s_or_b64 s[12:13], s[2:3], s[4:5]
.LBB240_3102:
	s_or_b64 exec, exec, s[14:15]
	s_and_saveexec_b64 s[2:3], s[12:13]
	s_cbranch_execz .LBB240_3105
; %bb.3103:
	; divergent unreachable
	s_or_b64 exec, exec, s[2:3]
	s_and_saveexec_b64 s[2:3], s[6:7]
	s_xor_b64 s[2:3], exec, s[2:3]
	s_cbranch_execnz .LBB240_3106
.LBB240_3104:
	s_or_b64 exec, exec, s[2:3]
	s_and_saveexec_b64 s[2:3], s[0:1]
	s_cbranch_execnz .LBB240_3107
	s_branch .LBB240_3144
.LBB240_3105:
	s_or_b64 exec, exec, s[2:3]
	s_and_saveexec_b64 s[2:3], s[6:7]
	s_xor_b64 s[2:3], exec, s[2:3]
	s_cbranch_execz .LBB240_3104
.LBB240_3106:
	s_waitcnt vmcnt(0)
	v_and_b32_e32 v3, 0x7fff, v2
	v_cmp_ne_u16_e32 vcc, 0, v3
	v_cndmask_b32_e64 v3, 0, 1, vcc
	global_store_byte v[0:1], v3, off
	s_or_b64 exec, exec, s[2:3]
	s_and_saveexec_b64 s[2:3], s[0:1]
	s_cbranch_execz .LBB240_3144
.LBB240_3107:
	s_sext_i32_i16 s2, s18
	s_cmp_lt_i32 s2, 5
	s_mov_b64 s[0:1], -1
	s_cbranch_scc1 .LBB240_3128
; %bb.3108:
	s_cmp_lt_i32 s2, 8
	s_cbranch_scc1 .LBB240_3118
; %bb.3109:
	s_cmp_lt_i32 s2, 9
	s_cbranch_scc1 .LBB240_3115
; %bb.3110:
	s_cmp_gt_i32 s2, 9
	s_cbranch_scc0 .LBB240_3112
; %bb.3111:
	s_waitcnt vmcnt(0)
	v_lshlrev_b32_e32 v3, 16, v2
	v_cvt_f64_f32_e32 v[3:4], v3
	v_mov_b32_e32 v5, 0
	v_mov_b32_e32 v6, v5
	s_mov_b64 s[0:1], 0
	global_store_dwordx4 v[0:1], v[3:6], off
.LBB240_3112:
	s_andn2_b64 vcc, exec, s[0:1]
	s_cbranch_vccnz .LBB240_3114
; %bb.3113:
	s_waitcnt vmcnt(0)
	v_lshlrev_b32_e32 v3, 16, v2
	v_mov_b32_e32 v4, 0
	global_store_dwordx2 v[0:1], v[3:4], off
.LBB240_3114:
	s_mov_b64 s[0:1], 0
.LBB240_3115:
	s_andn2_b64 vcc, exec, s[0:1]
	s_cbranch_vccnz .LBB240_3117
; %bb.3116:
	s_waitcnt vmcnt(0)
	v_lshlrev_b32_e32 v3, 16, v2
	v_cvt_f16_f32_e32 v3, v3
	global_store_dword v[0:1], v3, off
.LBB240_3117:
	s_mov_b64 s[0:1], 0
.LBB240_3118:
	s_andn2_b64 vcc, exec, s[0:1]
	s_cbranch_vccnz .LBB240_3127
; %bb.3119:
	s_sext_i32_i16 s2, s18
	s_cmp_lt_i32 s2, 6
	s_mov_b64 s[0:1], -1
	s_cbranch_scc1 .LBB240_3125
; %bb.3120:
	s_cmp_gt_i32 s2, 6
	s_cbranch_scc0 .LBB240_3122
; %bb.3121:
	s_waitcnt vmcnt(0)
	v_lshlrev_b32_e32 v3, 16, v2
	v_cvt_f64_f32_e32 v[3:4], v3
	s_mov_b64 s[0:1], 0
	global_store_dwordx2 v[0:1], v[3:4], off
.LBB240_3122:
	s_andn2_b64 vcc, exec, s[0:1]
	s_cbranch_vccnz .LBB240_3124
; %bb.3123:
	s_waitcnt vmcnt(0)
	v_lshlrev_b32_e32 v3, 16, v2
	global_store_dword v[0:1], v3, off
.LBB240_3124:
	s_mov_b64 s[0:1], 0
.LBB240_3125:
	s_andn2_b64 vcc, exec, s[0:1]
	s_cbranch_vccnz .LBB240_3127
; %bb.3126:
	s_waitcnt vmcnt(0)
	v_lshlrev_b32_e32 v3, 16, v2
	v_cvt_f16_f32_e32 v3, v3
	global_store_short v[0:1], v3, off
.LBB240_3127:
	s_mov_b64 s[0:1], 0
.LBB240_3128:
	s_andn2_b64 vcc, exec, s[0:1]
	s_cbranch_vccnz .LBB240_3144
; %bb.3129:
	s_sext_i32_i16 s2, s18
	s_cmp_lt_i32 s2, 2
	s_mov_b64 s[0:1], -1
	s_cbranch_scc1 .LBB240_3139
; %bb.3130:
	s_cmp_lt_i32 s2, 3
	s_cbranch_scc1 .LBB240_3136
; %bb.3131:
	s_cmp_gt_i32 s2, 3
	s_cbranch_scc0 .LBB240_3133
; %bb.3132:
	s_waitcnt vmcnt(0)
	v_lshlrev_b32_e32 v3, 16, v2
	v_trunc_f32_e32 v3, v3
	s_mov_b32 s0, 0x2f800000
	v_mul_f32_e64 v4, |v3|, s0
	v_floor_f32_e32 v4, v4
	s_mov_b32 s0, 0xcf800000
	v_cvt_u32_f32_e32 v5, v4
	v_fma_f32 v4, v4, s0, |v3|
	v_cvt_u32_f32_e32 v4, v4
	v_ashrrev_i32_e32 v6, 31, v3
	v_xor_b32_e32 v5, v5, v6
	s_mov_b64 s[0:1], 0
	v_xor_b32_e32 v3, v4, v6
	v_sub_co_u32_e32 v3, vcc, v3, v6
	v_subb_co_u32_e32 v4, vcc, v5, v6, vcc
	global_store_dwordx2 v[0:1], v[3:4], off
.LBB240_3133:
	s_andn2_b64 vcc, exec, s[0:1]
	s_cbranch_vccnz .LBB240_3135
; %bb.3134:
	s_waitcnt vmcnt(0)
	v_lshlrev_b32_e32 v3, 16, v2
	v_cvt_i32_f32_e32 v3, v3
	global_store_dword v[0:1], v3, off
.LBB240_3135:
	s_mov_b64 s[0:1], 0
.LBB240_3136:
	s_andn2_b64 vcc, exec, s[0:1]
	s_cbranch_vccnz .LBB240_3138
; %bb.3137:
	s_waitcnt vmcnt(0)
	v_lshlrev_b32_e32 v3, 16, v2
	v_cvt_i32_f32_e32 v3, v3
	global_store_short v[0:1], v3, off
.LBB240_3138:
	s_mov_b64 s[0:1], 0
.LBB240_3139:
	s_andn2_b64 vcc, exec, s[0:1]
	s_cbranch_vccnz .LBB240_3144
; %bb.3140:
	s_sext_i32_i16 s0, s18
	s_cmp_gt_i32 s0, 0
	s_mov_b64 s[0:1], -1
	s_cbranch_scc0 .LBB240_3142
; %bb.3141:
	s_waitcnt vmcnt(0)
	v_lshlrev_b32_e32 v3, 16, v2
	v_cvt_i32_f32_e32 v3, v3
	s_mov_b64 s[0:1], 0
	global_store_byte v[0:1], v3, off
.LBB240_3142:
	s_andn2_b64 vcc, exec, s[0:1]
	s_cbranch_vccnz .LBB240_3144
; %bb.3143:
	v_lshlrev_b32_e32 v2, 16, v2
	v_trunc_f32_e32 v2, v2
	s_mov_b32 s0, 0x2f800000
	s_waitcnt vmcnt(0)
	v_mul_f32_e64 v3, |v2|, s0
	v_floor_f32_e32 v3, v3
	s_mov_b32 s0, 0xcf800000
	v_fma_f32 v3, v3, s0, |v2|
	v_cvt_u32_f32_e32 v3, v3
	v_ashrrev_i32_e32 v2, 31, v2
	v_xor_b32_e32 v3, v3, v2
	v_sub_u32_e32 v2, v3, v2
	global_store_byte v[0:1], v2, off
	s_endpgm
.LBB240_3144:
	s_endpgm
.LBB240_3145:
	s_mov_b64 s[2:3], 0
	s_mov_b64 s[0:1], -1
	s_branch .LBB240_3101
.LBB240_3146:
	s_trap 2
	s_or_b64 s[4:5], s[4:5], exec
	s_cbranch_execz .LBB240_2615
	s_branch .LBB240_2616
.LBB240_3147:
	s_andn2_saveexec_b64 s[16:17], s[16:17]
	s_cbranch_execz .LBB240_2695
.LBB240_3148:
	s_mov_b32 s22, 0x46000000
	v_add_f32_e64 v7, |v8|, s22
	v_and_b32_e32 v7, 0xff, v7
	v_cmp_ne_u32_e32 vcc, 0, v7
	s_andn2_b64 s[10:11], s[10:11], exec
	s_and_b64 s[22:23], vcc, exec
	s_or_b64 s[10:11], s[10:11], s[22:23]
	s_or_b64 exec, exec, s[16:17]
	v_mov_b32_e32 v11, 0
	s_and_saveexec_b64 s[16:17], s[10:11]
	s_cbranch_execnz .LBB240_2696
	s_branch .LBB240_2697
.LBB240_3149:
	s_trap 2
	s_or_b64 s[4:5], s[4:5], exec
	s_cbranch_execz .LBB240_2743
	s_branch .LBB240_2744
.LBB240_3150:
	s_andn2_saveexec_b64 s[10:11], s[10:11]
	s_cbranch_execz .LBB240_2708
.LBB240_3151:
	s_mov_b32 s16, 0x42800000
	v_add_f32_e64 v7, |v8|, s16
	v_and_b32_e32 v7, 0xff, v7
	v_cmp_ne_u32_e32 vcc, 0, v7
	s_andn2_b64 s[6:7], s[6:7], exec
	s_and_b64 s[16:17], vcc, exec
	s_or_b64 s[6:7], s[6:7], s[16:17]
	s_or_b64 exec, exec, s[10:11]
	v_mov_b32_e32 v11, 0
	s_and_saveexec_b64 s[10:11], s[6:7]
	s_cbranch_execnz .LBB240_2709
	s_branch .LBB240_2710
.LBB240_3152:
	s_andn2_saveexec_b64 s[16:17], s[16:17]
	s_cbranch_execz .LBB240_2814
.LBB240_3153:
	s_mov_b32 s22, 0x46000000
	v_add_f32_e64 v6, |v7|, s22
	v_and_b32_e32 v6, 0xff, v6
	v_cmp_ne_u32_e32 vcc, 0, v6
	s_andn2_b64 s[10:11], s[10:11], exec
	s_and_b64 s[22:23], vcc, exec
	s_or_b64 s[10:11], s[10:11], s[22:23]
	s_or_b64 exec, exec, s[16:17]
	v_mov_b32_e32 v8, 0
	s_and_saveexec_b64 s[16:17], s[10:11]
	s_cbranch_execnz .LBB240_2815
	s_branch .LBB240_2816
.LBB240_3154:
	s_trap 2
	s_or_b64 s[4:5], s[4:5], exec
	s_cbranch_execz .LBB240_2862
	s_branch .LBB240_2863
.LBB240_3155:
	s_andn2_saveexec_b64 s[10:11], s[10:11]
	s_cbranch_execz .LBB240_2827
.LBB240_3156:
	s_mov_b32 s16, 0x42800000
	v_add_f32_e64 v6, |v7|, s16
	v_and_b32_e32 v6, 0xff, v6
	v_cmp_ne_u32_e32 vcc, 0, v6
	s_andn2_b64 s[6:7], s[6:7], exec
	s_and_b64 s[16:17], vcc, exec
	s_or_b64 s[6:7], s[6:7], s[16:17]
	s_or_b64 exec, exec, s[10:11]
	v_mov_b32_e32 v8, 0
	s_and_saveexec_b64 s[10:11], s[6:7]
	s_cbranch_execnz .LBB240_2828
	s_branch .LBB240_2829
.LBB240_3157:
	s_andn2_saveexec_b64 s[16:17], s[16:17]
	s_cbranch_execz .LBB240_2933
.LBB240_3158:
	s_mov_b32 s22, 0x46000000
	v_add_f32_e64 v5, |v6|, s22
	v_and_b32_e32 v5, 0xff, v5
	v_cmp_ne_u32_e32 vcc, 0, v5
	s_andn2_b64 s[10:11], s[10:11], exec
	s_and_b64 s[22:23], vcc, exec
	s_or_b64 s[10:11], s[10:11], s[22:23]
	s_or_b64 exec, exec, s[16:17]
	v_mov_b32_e32 v7, 0
	s_and_saveexec_b64 s[16:17], s[10:11]
	s_cbranch_execnz .LBB240_2934
	s_branch .LBB240_2935
.LBB240_3159:
	s_trap 2
	s_or_b64 s[4:5], s[4:5], exec
	s_cbranch_execz .LBB240_2981
	s_branch .LBB240_2982
.LBB240_3160:
	s_andn2_saveexec_b64 s[10:11], s[10:11]
	s_cbranch_execz .LBB240_2946
.LBB240_3161:
	s_mov_b32 s16, 0x42800000
	v_add_f32_e64 v5, |v6|, s16
	v_and_b32_e32 v5, 0xff, v5
	v_cmp_ne_u32_e32 vcc, 0, v5
	s_andn2_b64 s[6:7], s[6:7], exec
	s_and_b64 s[16:17], vcc, exec
	s_or_b64 s[6:7], s[6:7], s[16:17]
	s_or_b64 exec, exec, s[10:11]
	v_mov_b32_e32 v7, 0
	s_and_saveexec_b64 s[10:11], s[6:7]
	s_cbranch_execnz .LBB240_2947
	s_branch .LBB240_2948
.LBB240_3162:
	s_andn2_saveexec_b64 s[10:11], s[10:11]
	s_cbranch_execz .LBB240_3053
.LBB240_3163:
	s_mov_b32 s16, 0x46000000
	v_add_f32_e64 v4, |v5|, s16
	v_and_b32_e32 v4, 0xff, v4
	v_cmp_ne_u32_e32 vcc, 0, v4
	s_andn2_b64 s[8:9], s[8:9], exec
	s_and_b64 s[16:17], vcc, exec
	s_or_b64 s[8:9], s[8:9], s[16:17]
	s_or_b64 exec, exec, s[10:11]
	v_mov_b32_e32 v6, 0
	s_and_saveexec_b64 s[10:11], s[8:9]
	s_cbranch_execnz .LBB240_3054
	s_branch .LBB240_3055
.LBB240_3164:
	s_mov_b64 s[2:3], 0
	s_or_b64 s[4:5], s[4:5], exec
	s_trap 2
	s_branch .LBB240_3099
.LBB240_3165:
	s_andn2_saveexec_b64 s[8:9], s[8:9]
	s_cbranch_execz .LBB240_3065
.LBB240_3166:
	s_mov_b32 s10, 0x42800000
	v_add_f32_e64 v4, |v5|, s10
	v_and_b32_e32 v4, 0xff, v4
	v_cmp_ne_u32_e32 vcc, 0, v4
	s_andn2_b64 s[6:7], s[6:7], exec
	s_and_b64 s[10:11], vcc, exec
	s_or_b64 s[6:7], s[6:7], s[10:11]
	s_or_b64 exec, exec, s[8:9]
	v_mov_b32_e32 v6, 0
	s_and_saveexec_b64 s[8:9], s[6:7]
	s_cbranch_execnz .LBB240_3066
	s_branch .LBB240_3067
	.section	.rodata,"a",@progbits
	.p2align	6, 0x0
	.amdhsa_kernel _ZN2at6native32elementwise_kernel_manual_unrollILi128ELi4EZNS0_15gpu_kernel_implINS0_13BinaryFunctorIN3c108BFloat16ES5_S5_ZNS0_12_GLOBAL__N_121threshold_kernel_implIS5_EEvRNS_18TensorIteratorBaseET_SA_EUlS5_S5_E_EEEEvS9_RKSA_EUlibE0_EEviT1_
		.amdhsa_group_segment_fixed_size 0
		.amdhsa_private_segment_fixed_size 0
		.amdhsa_kernarg_size 432
		.amdhsa_user_sgpr_count 6
		.amdhsa_user_sgpr_private_segment_buffer 1
		.amdhsa_user_sgpr_dispatch_ptr 0
		.amdhsa_user_sgpr_queue_ptr 0
		.amdhsa_user_sgpr_kernarg_segment_ptr 1
		.amdhsa_user_sgpr_dispatch_id 0
		.amdhsa_user_sgpr_flat_scratch_init 0
		.amdhsa_user_sgpr_private_segment_size 0
		.amdhsa_uses_dynamic_stack 0
		.amdhsa_system_sgpr_private_segment_wavefront_offset 0
		.amdhsa_system_sgpr_workgroup_id_x 1
		.amdhsa_system_sgpr_workgroup_id_y 0
		.amdhsa_system_sgpr_workgroup_id_z 0
		.amdhsa_system_sgpr_workgroup_info 0
		.amdhsa_system_vgpr_workitem_id 0
		.amdhsa_next_free_vgpr 24
		.amdhsa_next_free_sgpr 82
		.amdhsa_reserve_vcc 1
		.amdhsa_reserve_flat_scratch 0
		.amdhsa_float_round_mode_32 0
		.amdhsa_float_round_mode_16_64 0
		.amdhsa_float_denorm_mode_32 3
		.amdhsa_float_denorm_mode_16_64 3
		.amdhsa_dx10_clamp 1
		.amdhsa_ieee_mode 1
		.amdhsa_fp16_overflow 0
		.amdhsa_exception_fp_ieee_invalid_op 0
		.amdhsa_exception_fp_denorm_src 0
		.amdhsa_exception_fp_ieee_div_zero 0
		.amdhsa_exception_fp_ieee_overflow 0
		.amdhsa_exception_fp_ieee_underflow 0
		.amdhsa_exception_fp_ieee_inexact 0
		.amdhsa_exception_int_div_zero 0
	.end_amdhsa_kernel
	.section	.text._ZN2at6native32elementwise_kernel_manual_unrollILi128ELi4EZNS0_15gpu_kernel_implINS0_13BinaryFunctorIN3c108BFloat16ES5_S5_ZNS0_12_GLOBAL__N_121threshold_kernel_implIS5_EEvRNS_18TensorIteratorBaseET_SA_EUlS5_S5_E_EEEEvS9_RKSA_EUlibE0_EEviT1_,"axG",@progbits,_ZN2at6native32elementwise_kernel_manual_unrollILi128ELi4EZNS0_15gpu_kernel_implINS0_13BinaryFunctorIN3c108BFloat16ES5_S5_ZNS0_12_GLOBAL__N_121threshold_kernel_implIS5_EEvRNS_18TensorIteratorBaseET_SA_EUlS5_S5_E_EEEEvS9_RKSA_EUlibE0_EEviT1_,comdat
.Lfunc_end240:
	.size	_ZN2at6native32elementwise_kernel_manual_unrollILi128ELi4EZNS0_15gpu_kernel_implINS0_13BinaryFunctorIN3c108BFloat16ES5_S5_ZNS0_12_GLOBAL__N_121threshold_kernel_implIS5_EEvRNS_18TensorIteratorBaseET_SA_EUlS5_S5_E_EEEEvS9_RKSA_EUlibE0_EEviT1_, .Lfunc_end240-_ZN2at6native32elementwise_kernel_manual_unrollILi128ELi4EZNS0_15gpu_kernel_implINS0_13BinaryFunctorIN3c108BFloat16ES5_S5_ZNS0_12_GLOBAL__N_121threshold_kernel_implIS5_EEvRNS_18TensorIteratorBaseET_SA_EUlS5_S5_E_EEEEvS9_RKSA_EUlibE0_EEviT1_
                                        ; -- End function
	.set _ZN2at6native32elementwise_kernel_manual_unrollILi128ELi4EZNS0_15gpu_kernel_implINS0_13BinaryFunctorIN3c108BFloat16ES5_S5_ZNS0_12_GLOBAL__N_121threshold_kernel_implIS5_EEvRNS_18TensorIteratorBaseET_SA_EUlS5_S5_E_EEEEvS9_RKSA_EUlibE0_EEviT1_.num_vgpr, 24
	.set _ZN2at6native32elementwise_kernel_manual_unrollILi128ELi4EZNS0_15gpu_kernel_implINS0_13BinaryFunctorIN3c108BFloat16ES5_S5_ZNS0_12_GLOBAL__N_121threshold_kernel_implIS5_EEvRNS_18TensorIteratorBaseET_SA_EUlS5_S5_E_EEEEvS9_RKSA_EUlibE0_EEviT1_.num_agpr, 0
	.set _ZN2at6native32elementwise_kernel_manual_unrollILi128ELi4EZNS0_15gpu_kernel_implINS0_13BinaryFunctorIN3c108BFloat16ES5_S5_ZNS0_12_GLOBAL__N_121threshold_kernel_implIS5_EEvRNS_18TensorIteratorBaseET_SA_EUlS5_S5_E_EEEEvS9_RKSA_EUlibE0_EEviT1_.numbered_sgpr, 82
	.set _ZN2at6native32elementwise_kernel_manual_unrollILi128ELi4EZNS0_15gpu_kernel_implINS0_13BinaryFunctorIN3c108BFloat16ES5_S5_ZNS0_12_GLOBAL__N_121threshold_kernel_implIS5_EEvRNS_18TensorIteratorBaseET_SA_EUlS5_S5_E_EEEEvS9_RKSA_EUlibE0_EEviT1_.num_named_barrier, 0
	.set _ZN2at6native32elementwise_kernel_manual_unrollILi128ELi4EZNS0_15gpu_kernel_implINS0_13BinaryFunctorIN3c108BFloat16ES5_S5_ZNS0_12_GLOBAL__N_121threshold_kernel_implIS5_EEvRNS_18TensorIteratorBaseET_SA_EUlS5_S5_E_EEEEvS9_RKSA_EUlibE0_EEviT1_.private_seg_size, 0
	.set _ZN2at6native32elementwise_kernel_manual_unrollILi128ELi4EZNS0_15gpu_kernel_implINS0_13BinaryFunctorIN3c108BFloat16ES5_S5_ZNS0_12_GLOBAL__N_121threshold_kernel_implIS5_EEvRNS_18TensorIteratorBaseET_SA_EUlS5_S5_E_EEEEvS9_RKSA_EUlibE0_EEviT1_.uses_vcc, 1
	.set _ZN2at6native32elementwise_kernel_manual_unrollILi128ELi4EZNS0_15gpu_kernel_implINS0_13BinaryFunctorIN3c108BFloat16ES5_S5_ZNS0_12_GLOBAL__N_121threshold_kernel_implIS5_EEvRNS_18TensorIteratorBaseET_SA_EUlS5_S5_E_EEEEvS9_RKSA_EUlibE0_EEviT1_.uses_flat_scratch, 0
	.set _ZN2at6native32elementwise_kernel_manual_unrollILi128ELi4EZNS0_15gpu_kernel_implINS0_13BinaryFunctorIN3c108BFloat16ES5_S5_ZNS0_12_GLOBAL__N_121threshold_kernel_implIS5_EEvRNS_18TensorIteratorBaseET_SA_EUlS5_S5_E_EEEEvS9_RKSA_EUlibE0_EEviT1_.has_dyn_sized_stack, 0
	.set _ZN2at6native32elementwise_kernel_manual_unrollILi128ELi4EZNS0_15gpu_kernel_implINS0_13BinaryFunctorIN3c108BFloat16ES5_S5_ZNS0_12_GLOBAL__N_121threshold_kernel_implIS5_EEvRNS_18TensorIteratorBaseET_SA_EUlS5_S5_E_EEEEvS9_RKSA_EUlibE0_EEviT1_.has_recursion, 0
	.set _ZN2at6native32elementwise_kernel_manual_unrollILi128ELi4EZNS0_15gpu_kernel_implINS0_13BinaryFunctorIN3c108BFloat16ES5_S5_ZNS0_12_GLOBAL__N_121threshold_kernel_implIS5_EEvRNS_18TensorIteratorBaseET_SA_EUlS5_S5_E_EEEEvS9_RKSA_EUlibE0_EEviT1_.has_indirect_call, 0
	.section	.AMDGPU.csdata,"",@progbits
; Kernel info:
; codeLenInByte = 62712
; TotalNumSgprs: 86
; NumVgprs: 24
; ScratchSize: 0
; MemoryBound: 0
; FloatMode: 240
; IeeeMode: 1
; LDSByteSize: 0 bytes/workgroup (compile time only)
; SGPRBlocks: 10
; VGPRBlocks: 5
; NumSGPRsForWavesPerEU: 86
; NumVGPRsForWavesPerEU: 24
; Occupancy: 9
; WaveLimiterHint : 1
; COMPUTE_PGM_RSRC2:SCRATCH_EN: 0
; COMPUTE_PGM_RSRC2:USER_SGPR: 6
; COMPUTE_PGM_RSRC2:TRAP_HANDLER: 0
; COMPUTE_PGM_RSRC2:TGID_X_EN: 1
; COMPUTE_PGM_RSRC2:TGID_Y_EN: 0
; COMPUTE_PGM_RSRC2:TGID_Z_EN: 0
; COMPUTE_PGM_RSRC2:TIDIG_COMP_CNT: 0
	.section	.AMDGPU.gpr_maximums,"",@progbits
	.set amdgpu.max_num_vgpr, 119
	.set amdgpu.max_num_agpr, 0
	.set amdgpu.max_num_sgpr, 98
	.section	.AMDGPU.csdata,"",@progbits
	.type	__hip_cuid_ae1cc89f4ef30470,@object ; @__hip_cuid_ae1cc89f4ef30470
	.section	.bss,"aw",@nobits
	.globl	__hip_cuid_ae1cc89f4ef30470
__hip_cuid_ae1cc89f4ef30470:
	.byte	0                               ; 0x0
	.size	__hip_cuid_ae1cc89f4ef30470, 1

	.ident	"AMD clang version 22.0.0git (https://github.com/RadeonOpenCompute/llvm-project roc-7.2.4 26084 f58b06dce1f9c15707c5f808fd002e18c2accf7e)"
	.section	".note.GNU-stack","",@progbits
	.addrsig
	.addrsig_sym __hip_cuid_ae1cc89f4ef30470
	.amdgpu_metadata
---
amdhsa.kernels:
  - .args:
      - .offset:         0
        .size:           4
        .value_kind:     by_value
      - .offset:         4
        .size:           3
        .value_kind:     by_value
      - .offset:         8
        .size:           16
        .value_kind:     by_value
    .group_segment_fixed_size: 0
    .kernarg_segment_align: 8
    .kernarg_segment_size: 24
    .language:       OpenCL C
    .language_version:
      - 2
      - 0
    .max_flat_workgroup_size: 256
    .name:           _ZN2at6native29vectorized_elementwise_kernelILi16ENS0_13AUnaryFunctorIhhhZNS0_12_GLOBAL__N_121threshold_kernel_implIhEEvRNS_18TensorIteratorBaseET_S7_EUlhhE_EESt5arrayIPcLm2EEEEviT0_T1_
    .private_segment_fixed_size: 0
    .sgpr_count:     45
    .sgpr_spill_count: 0
    .symbol:         _ZN2at6native29vectorized_elementwise_kernelILi16ENS0_13AUnaryFunctorIhhhZNS0_12_GLOBAL__N_121threshold_kernel_implIhEEvRNS_18TensorIteratorBaseET_S7_EUlhhE_EESt5arrayIPcLm2EEEEviT0_T1_.kd
    .uniform_work_group_size: 1
    .uses_dynamic_stack: false
    .vgpr_count:     22
    .vgpr_spill_count: 0
    .wavefront_size: 64
  - .args:
      - .offset:         0
        .size:           4
        .value_kind:     by_value
      - .offset:         4
        .size:           3
        .value_kind:     by_value
      - .offset:         8
        .size:           16
        .value_kind:     by_value
    .group_segment_fixed_size: 0
    .kernarg_segment_align: 8
    .kernarg_segment_size: 24
    .language:       OpenCL C
    .language_version:
      - 2
      - 0
    .max_flat_workgroup_size: 256
    .name:           _ZN2at6native29vectorized_elementwise_kernelILi8ENS0_13AUnaryFunctorIhhhZNS0_12_GLOBAL__N_121threshold_kernel_implIhEEvRNS_18TensorIteratorBaseET_S7_EUlhhE_EESt5arrayIPcLm2EEEEviT0_T1_
    .private_segment_fixed_size: 0
    .sgpr_count:     45
    .sgpr_spill_count: 0
    .symbol:         _ZN2at6native29vectorized_elementwise_kernelILi8ENS0_13AUnaryFunctorIhhhZNS0_12_GLOBAL__N_121threshold_kernel_implIhEEvRNS_18TensorIteratorBaseET_S7_EUlhhE_EESt5arrayIPcLm2EEEEviT0_T1_.kd
    .uniform_work_group_size: 1
    .uses_dynamic_stack: false
    .vgpr_count:     22
    .vgpr_spill_count: 0
    .wavefront_size: 64
  - .args:
      - .offset:         0
        .size:           4
        .value_kind:     by_value
      - .offset:         4
        .size:           3
        .value_kind:     by_value
      - .offset:         8
        .size:           16
        .value_kind:     by_value
    .group_segment_fixed_size: 0
    .kernarg_segment_align: 8
    .kernarg_segment_size: 24
    .language:       OpenCL C
    .language_version:
      - 2
      - 0
    .max_flat_workgroup_size: 256
    .name:           _ZN2at6native29vectorized_elementwise_kernelILi4ENS0_13AUnaryFunctorIhhhZNS0_12_GLOBAL__N_121threshold_kernel_implIhEEvRNS_18TensorIteratorBaseET_S7_EUlhhE_EESt5arrayIPcLm2EEEEviT0_T1_
    .private_segment_fixed_size: 0
    .sgpr_count:     45
    .sgpr_spill_count: 0
    .symbol:         _ZN2at6native29vectorized_elementwise_kernelILi4ENS0_13AUnaryFunctorIhhhZNS0_12_GLOBAL__N_121threshold_kernel_implIhEEvRNS_18TensorIteratorBaseET_S7_EUlhhE_EESt5arrayIPcLm2EEEEviT0_T1_.kd
    .uniform_work_group_size: 1
    .uses_dynamic_stack: false
    .vgpr_count:     22
    .vgpr_spill_count: 0
    .wavefront_size: 64
  - .args:
      - .offset:         0
        .size:           4
        .value_kind:     by_value
      - .offset:         4
        .size:           3
        .value_kind:     by_value
      - .offset:         8
        .size:           16
        .value_kind:     by_value
    .group_segment_fixed_size: 0
    .kernarg_segment_align: 8
    .kernarg_segment_size: 24
    .language:       OpenCL C
    .language_version:
      - 2
      - 0
    .max_flat_workgroup_size: 256
    .name:           _ZN2at6native29vectorized_elementwise_kernelILi2ENS0_13AUnaryFunctorIhhhZNS0_12_GLOBAL__N_121threshold_kernel_implIhEEvRNS_18TensorIteratorBaseET_S7_EUlhhE_EESt5arrayIPcLm2EEEEviT0_T1_
    .private_segment_fixed_size: 0
    .sgpr_count:     45
    .sgpr_spill_count: 0
    .symbol:         _ZN2at6native29vectorized_elementwise_kernelILi2ENS0_13AUnaryFunctorIhhhZNS0_12_GLOBAL__N_121threshold_kernel_implIhEEvRNS_18TensorIteratorBaseET_S7_EUlhhE_EESt5arrayIPcLm2EEEEviT0_T1_.kd
    .uniform_work_group_size: 1
    .uses_dynamic_stack: false
    .vgpr_count:     22
    .vgpr_spill_count: 0
    .wavefront_size: 64
  - .args:
      - .offset:         0
        .size:           4
        .value_kind:     by_value
      - .offset:         4
        .size:           3
        .value_kind:     by_value
      - .offset:         8
        .size:           16
        .value_kind:     by_value
      - .offset:         24
        .size:           1
        .value_kind:     by_value
      - .offset:         25
        .size:           1
        .value_kind:     by_value
      - .offset:         26
        .size:           1
        .value_kind:     by_value
      - .offset:         27
        .size:           1
        .value_kind:     by_value
    .group_segment_fixed_size: 0
    .kernarg_segment_align: 8
    .kernarg_segment_size: 28
    .language:       OpenCL C
    .language_version:
      - 2
      - 0
    .max_flat_workgroup_size: 256
    .name:           _ZN2at6native27unrolled_elementwise_kernelINS0_13AUnaryFunctorIhhhZNS0_12_GLOBAL__N_121threshold_kernel_implIhEEvRNS_18TensorIteratorBaseET_S7_EUlhhE_EESt5arrayIPcLm2EELi4E23TrivialOffsetCalculatorILi1EjESE_NS0_6memory15LoadWithoutCastENSF_16StoreWithoutCastEEEviS7_T0_T2_T3_T4_T5_
    .private_segment_fixed_size: 0
    .sgpr_count:     20
    .sgpr_spill_count: 0
    .symbol:         _ZN2at6native27unrolled_elementwise_kernelINS0_13AUnaryFunctorIhhhZNS0_12_GLOBAL__N_121threshold_kernel_implIhEEvRNS_18TensorIteratorBaseET_S7_EUlhhE_EESt5arrayIPcLm2EELi4E23TrivialOffsetCalculatorILi1EjESE_NS0_6memory15LoadWithoutCastENSF_16StoreWithoutCastEEEviS7_T0_T2_T3_T4_T5_.kd
    .uniform_work_group_size: 1
    .uses_dynamic_stack: false
    .vgpr_count:     10
    .vgpr_spill_count: 0
    .wavefront_size: 64
  - .args:
      - .offset:         0
        .size:           4
        .value_kind:     by_value
      - .offset:         8
        .size:           352
        .value_kind:     by_value
    .group_segment_fixed_size: 0
    .kernarg_segment_align: 8
    .kernarg_segment_size: 360
    .language:       OpenCL C
    .language_version:
      - 2
      - 0
    .max_flat_workgroup_size: 128
    .name:           _ZN2at6native32elementwise_kernel_manual_unrollILi128ELi8EZNS0_22gpu_kernel_impl_nocastINS0_13AUnaryFunctorIhhhZNS0_12_GLOBAL__N_121threshold_kernel_implIhEEvRNS_18TensorIteratorBaseET_S8_EUlhhE_EEEEvS7_RKS8_EUlibE_EEviT1_
    .private_segment_fixed_size: 0
    .sgpr_count:     67
    .sgpr_spill_count: 0
    .symbol:         _ZN2at6native32elementwise_kernel_manual_unrollILi128ELi8EZNS0_22gpu_kernel_impl_nocastINS0_13AUnaryFunctorIhhhZNS0_12_GLOBAL__N_121threshold_kernel_implIhEEvRNS_18TensorIteratorBaseET_S8_EUlhhE_EEEEvS7_RKS8_EUlibE_EEviT1_.kd
    .uniform_work_group_size: 1
    .uses_dynamic_stack: false
    .vgpr_count:     26
    .vgpr_spill_count: 0
    .wavefront_size: 64
  - .args:
      - .offset:         0
        .size:           4
        .value_kind:     by_value
      - .offset:         8
        .size:           32
        .value_kind:     by_value
    .group_segment_fixed_size: 0
    .kernarg_segment_align: 8
    .kernarg_segment_size: 40
    .language:       OpenCL C
    .language_version:
      - 2
      - 0
    .max_flat_workgroup_size: 128
    .name:           _ZN2at6native32elementwise_kernel_manual_unrollILi128ELi4EZNS0_15gpu_kernel_implINS0_13AUnaryFunctorIhhhZNS0_12_GLOBAL__N_121threshold_kernel_implIhEEvRNS_18TensorIteratorBaseET_S8_EUlhhE_EEEEvS7_RKS8_EUlibE_EEviT1_
    .private_segment_fixed_size: 0
    .sgpr_count:     56
    .sgpr_spill_count: 0
    .symbol:         _ZN2at6native32elementwise_kernel_manual_unrollILi128ELi4EZNS0_15gpu_kernel_implINS0_13AUnaryFunctorIhhhZNS0_12_GLOBAL__N_121threshold_kernel_implIhEEvRNS_18TensorIteratorBaseET_S8_EUlhhE_EEEEvS7_RKS8_EUlibE_EEviT1_.kd
    .uniform_work_group_size: 1
    .uses_dynamic_stack: false
    .vgpr_count:     12
    .vgpr_spill_count: 0
    .wavefront_size: 64
  - .args:
      - .offset:         0
        .size:           4
        .value_kind:     by_value
      - .offset:         8
        .size:           352
        .value_kind:     by_value
    .group_segment_fixed_size: 0
    .kernarg_segment_align: 8
    .kernarg_segment_size: 360
    .language:       OpenCL C
    .language_version:
      - 2
      - 0
    .max_flat_workgroup_size: 128
    .name:           _ZN2at6native32elementwise_kernel_manual_unrollILi128ELi4EZNS0_15gpu_kernel_implINS0_13AUnaryFunctorIhhhZNS0_12_GLOBAL__N_121threshold_kernel_implIhEEvRNS_18TensorIteratorBaseET_S8_EUlhhE_EEEEvS7_RKS8_EUlibE0_EEviT1_
    .private_segment_fixed_size: 0
    .sgpr_count:     85
    .sgpr_spill_count: 0
    .symbol:         _ZN2at6native32elementwise_kernel_manual_unrollILi128ELi4EZNS0_15gpu_kernel_implINS0_13AUnaryFunctorIhhhZNS0_12_GLOBAL__N_121threshold_kernel_implIhEEvRNS_18TensorIteratorBaseET_S8_EUlhhE_EEEEvS7_RKS8_EUlibE0_EEviT1_.kd
    .uniform_work_group_size: 1
    .uses_dynamic_stack: false
    .vgpr_count:     18
    .vgpr_spill_count: 0
    .wavefront_size: 64
  - .args:
      - .offset:         0
        .size:           4
        .value_kind:     by_value
      - .offset:         4
        .size:           3
        .value_kind:     by_value
      - .offset:         8
        .size:           16
        .value_kind:     by_value
    .group_segment_fixed_size: 0
    .kernarg_segment_align: 8
    .kernarg_segment_size: 24
    .language:       OpenCL C
    .language_version:
      - 2
      - 0
    .max_flat_workgroup_size: 256
    .name:           _ZN2at6native29vectorized_elementwise_kernelILi16ENS0_13BUnaryFunctorIhhhZNS0_12_GLOBAL__N_121threshold_kernel_implIhEEvRNS_18TensorIteratorBaseET_S7_EUlhhE_EESt5arrayIPcLm2EEEEviT0_T1_
    .private_segment_fixed_size: 0
    .sgpr_count:     62
    .sgpr_spill_count: 0
    .symbol:         _ZN2at6native29vectorized_elementwise_kernelILi16ENS0_13BUnaryFunctorIhhhZNS0_12_GLOBAL__N_121threshold_kernel_implIhEEvRNS_18TensorIteratorBaseET_S7_EUlhhE_EESt5arrayIPcLm2EEEEviT0_T1_.kd
    .uniform_work_group_size: 1
    .uses_dynamic_stack: false
    .vgpr_count:     23
    .vgpr_spill_count: 0
    .wavefront_size: 64
  - .args:
      - .offset:         0
        .size:           4
        .value_kind:     by_value
      - .offset:         4
        .size:           3
        .value_kind:     by_value
      - .offset:         8
        .size:           16
        .value_kind:     by_value
    .group_segment_fixed_size: 0
    .kernarg_segment_align: 8
    .kernarg_segment_size: 24
    .language:       OpenCL C
    .language_version:
      - 2
      - 0
    .max_flat_workgroup_size: 256
    .name:           _ZN2at6native29vectorized_elementwise_kernelILi8ENS0_13BUnaryFunctorIhhhZNS0_12_GLOBAL__N_121threshold_kernel_implIhEEvRNS_18TensorIteratorBaseET_S7_EUlhhE_EESt5arrayIPcLm2EEEEviT0_T1_
    .private_segment_fixed_size: 0
    .sgpr_count:     62
    .sgpr_spill_count: 0
    .symbol:         _ZN2at6native29vectorized_elementwise_kernelILi8ENS0_13BUnaryFunctorIhhhZNS0_12_GLOBAL__N_121threshold_kernel_implIhEEvRNS_18TensorIteratorBaseET_S7_EUlhhE_EESt5arrayIPcLm2EEEEviT0_T1_.kd
    .uniform_work_group_size: 1
    .uses_dynamic_stack: false
    .vgpr_count:     23
    .vgpr_spill_count: 0
    .wavefront_size: 64
  - .args:
      - .offset:         0
        .size:           4
        .value_kind:     by_value
      - .offset:         4
        .size:           3
        .value_kind:     by_value
      - .offset:         8
        .size:           16
        .value_kind:     by_value
    .group_segment_fixed_size: 0
    .kernarg_segment_align: 8
    .kernarg_segment_size: 24
    .language:       OpenCL C
    .language_version:
      - 2
      - 0
    .max_flat_workgroup_size: 256
    .name:           _ZN2at6native29vectorized_elementwise_kernelILi4ENS0_13BUnaryFunctorIhhhZNS0_12_GLOBAL__N_121threshold_kernel_implIhEEvRNS_18TensorIteratorBaseET_S7_EUlhhE_EESt5arrayIPcLm2EEEEviT0_T1_
    .private_segment_fixed_size: 0
    .sgpr_count:     62
    .sgpr_spill_count: 0
    .symbol:         _ZN2at6native29vectorized_elementwise_kernelILi4ENS0_13BUnaryFunctorIhhhZNS0_12_GLOBAL__N_121threshold_kernel_implIhEEvRNS_18TensorIteratorBaseET_S7_EUlhhE_EESt5arrayIPcLm2EEEEviT0_T1_.kd
    .uniform_work_group_size: 1
    .uses_dynamic_stack: false
    .vgpr_count:     23
    .vgpr_spill_count: 0
    .wavefront_size: 64
  - .args:
      - .offset:         0
        .size:           4
        .value_kind:     by_value
      - .offset:         4
        .size:           3
        .value_kind:     by_value
      - .offset:         8
        .size:           16
        .value_kind:     by_value
    .group_segment_fixed_size: 0
    .kernarg_segment_align: 8
    .kernarg_segment_size: 24
    .language:       OpenCL C
    .language_version:
      - 2
      - 0
    .max_flat_workgroup_size: 256
    .name:           _ZN2at6native29vectorized_elementwise_kernelILi2ENS0_13BUnaryFunctorIhhhZNS0_12_GLOBAL__N_121threshold_kernel_implIhEEvRNS_18TensorIteratorBaseET_S7_EUlhhE_EESt5arrayIPcLm2EEEEviT0_T1_
    .private_segment_fixed_size: 0
    .sgpr_count:     62
    .sgpr_spill_count: 0
    .symbol:         _ZN2at6native29vectorized_elementwise_kernelILi2ENS0_13BUnaryFunctorIhhhZNS0_12_GLOBAL__N_121threshold_kernel_implIhEEvRNS_18TensorIteratorBaseET_S7_EUlhhE_EESt5arrayIPcLm2EEEEviT0_T1_.kd
    .uniform_work_group_size: 1
    .uses_dynamic_stack: false
    .vgpr_count:     23
    .vgpr_spill_count: 0
    .wavefront_size: 64
  - .args:
      - .offset:         0
        .size:           4
        .value_kind:     by_value
      - .offset:         4
        .size:           3
        .value_kind:     by_value
      - .offset:         8
        .size:           16
        .value_kind:     by_value
      - .offset:         24
        .size:           1
        .value_kind:     by_value
      - .offset:         25
        .size:           1
        .value_kind:     by_value
      - .offset:         26
        .size:           1
        .value_kind:     by_value
      - .offset:         27
        .size:           1
        .value_kind:     by_value
    .group_segment_fixed_size: 0
    .kernarg_segment_align: 8
    .kernarg_segment_size: 28
    .language:       OpenCL C
    .language_version:
      - 2
      - 0
    .max_flat_workgroup_size: 256
    .name:           _ZN2at6native27unrolled_elementwise_kernelINS0_13BUnaryFunctorIhhhZNS0_12_GLOBAL__N_121threshold_kernel_implIhEEvRNS_18TensorIteratorBaseET_S7_EUlhhE_EESt5arrayIPcLm2EELi4E23TrivialOffsetCalculatorILi1EjESE_NS0_6memory15LoadWithoutCastENSF_16StoreWithoutCastEEEviS7_T0_T2_T3_T4_T5_
    .private_segment_fixed_size: 0
    .sgpr_count:     20
    .sgpr_spill_count: 0
    .symbol:         _ZN2at6native27unrolled_elementwise_kernelINS0_13BUnaryFunctorIhhhZNS0_12_GLOBAL__N_121threshold_kernel_implIhEEvRNS_18TensorIteratorBaseET_S7_EUlhhE_EESt5arrayIPcLm2EELi4E23TrivialOffsetCalculatorILi1EjESE_NS0_6memory15LoadWithoutCastENSF_16StoreWithoutCastEEEviS7_T0_T2_T3_T4_T5_.kd
    .uniform_work_group_size: 1
    .uses_dynamic_stack: false
    .vgpr_count:     10
    .vgpr_spill_count: 0
    .wavefront_size: 64
  - .args:
      - .offset:         0
        .size:           4
        .value_kind:     by_value
      - .offset:         8
        .size:           352
        .value_kind:     by_value
    .group_segment_fixed_size: 0
    .kernarg_segment_align: 8
    .kernarg_segment_size: 360
    .language:       OpenCL C
    .language_version:
      - 2
      - 0
    .max_flat_workgroup_size: 128
    .name:           _ZN2at6native32elementwise_kernel_manual_unrollILi128ELi8EZNS0_22gpu_kernel_impl_nocastINS0_13BUnaryFunctorIhhhZNS0_12_GLOBAL__N_121threshold_kernel_implIhEEvRNS_18TensorIteratorBaseET_S8_EUlhhE_EEEEvS7_RKS8_EUlibE_EEviT1_
    .private_segment_fixed_size: 0
    .sgpr_count:     67
    .sgpr_spill_count: 0
    .symbol:         _ZN2at6native32elementwise_kernel_manual_unrollILi128ELi8EZNS0_22gpu_kernel_impl_nocastINS0_13BUnaryFunctorIhhhZNS0_12_GLOBAL__N_121threshold_kernel_implIhEEvRNS_18TensorIteratorBaseET_S8_EUlhhE_EEEEvS7_RKS8_EUlibE_EEviT1_.kd
    .uniform_work_group_size: 1
    .uses_dynamic_stack: false
    .vgpr_count:     26
    .vgpr_spill_count: 0
    .wavefront_size: 64
  - .args:
      - .offset:         0
        .size:           4
        .value_kind:     by_value
      - .offset:         8
        .size:           32
        .value_kind:     by_value
    .group_segment_fixed_size: 0
    .kernarg_segment_align: 8
    .kernarg_segment_size: 40
    .language:       OpenCL C
    .language_version:
      - 2
      - 0
    .max_flat_workgroup_size: 128
    .name:           _ZN2at6native32elementwise_kernel_manual_unrollILi128ELi4EZNS0_15gpu_kernel_implINS0_13BUnaryFunctorIhhhZNS0_12_GLOBAL__N_121threshold_kernel_implIhEEvRNS_18TensorIteratorBaseET_S8_EUlhhE_EEEEvS7_RKS8_EUlibE_EEviT1_
    .private_segment_fixed_size: 0
    .sgpr_count:     54
    .sgpr_spill_count: 0
    .symbol:         _ZN2at6native32elementwise_kernel_manual_unrollILi128ELi4EZNS0_15gpu_kernel_implINS0_13BUnaryFunctorIhhhZNS0_12_GLOBAL__N_121threshold_kernel_implIhEEvRNS_18TensorIteratorBaseET_S8_EUlhhE_EEEEvS7_RKS8_EUlibE_EEviT1_.kd
    .uniform_work_group_size: 1
    .uses_dynamic_stack: false
    .vgpr_count:     12
    .vgpr_spill_count: 0
    .wavefront_size: 64
  - .args:
      - .offset:         0
        .size:           4
        .value_kind:     by_value
      - .offset:         8
        .size:           352
        .value_kind:     by_value
    .group_segment_fixed_size: 0
    .kernarg_segment_align: 8
    .kernarg_segment_size: 360
    .language:       OpenCL C
    .language_version:
      - 2
      - 0
    .max_flat_workgroup_size: 128
    .name:           _ZN2at6native32elementwise_kernel_manual_unrollILi128ELi4EZNS0_15gpu_kernel_implINS0_13BUnaryFunctorIhhhZNS0_12_GLOBAL__N_121threshold_kernel_implIhEEvRNS_18TensorIteratorBaseET_S8_EUlhhE_EEEEvS7_RKS8_EUlibE0_EEviT1_
    .private_segment_fixed_size: 0
    .sgpr_count:     85
    .sgpr_spill_count: 0
    .symbol:         _ZN2at6native32elementwise_kernel_manual_unrollILi128ELi4EZNS0_15gpu_kernel_implINS0_13BUnaryFunctorIhhhZNS0_12_GLOBAL__N_121threshold_kernel_implIhEEvRNS_18TensorIteratorBaseET_S8_EUlhhE_EEEEvS7_RKS8_EUlibE0_EEviT1_.kd
    .uniform_work_group_size: 1
    .uses_dynamic_stack: false
    .vgpr_count:     18
    .vgpr_spill_count: 0
    .wavefront_size: 64
  - .args:
      - .offset:         0
        .size:           4
        .value_kind:     by_value
      - .offset:         4
        .size:           2
        .value_kind:     by_value
      - .offset:         8
        .size:           24
        .value_kind:     by_value
    .group_segment_fixed_size: 0
    .kernarg_segment_align: 8
    .kernarg_segment_size: 32
    .language:       OpenCL C
    .language_version:
      - 2
      - 0
    .max_flat_workgroup_size: 256
    .name:           _ZN2at6native29vectorized_elementwise_kernelILi16ENS0_13BinaryFunctorIhhhZNS0_12_GLOBAL__N_121threshold_kernel_implIhEEvRNS_18TensorIteratorBaseET_S7_EUlhhE_EESt5arrayIPcLm3EEEEviT0_T1_
    .private_segment_fixed_size: 0
    .sgpr_count:     63
    .sgpr_spill_count: 0
    .symbol:         _ZN2at6native29vectorized_elementwise_kernelILi16ENS0_13BinaryFunctorIhhhZNS0_12_GLOBAL__N_121threshold_kernel_implIhEEvRNS_18TensorIteratorBaseET_S7_EUlhhE_EESt5arrayIPcLm3EEEEviT0_T1_.kd
    .uniform_work_group_size: 1
    .uses_dynamic_stack: false
    .vgpr_count:     39
    .vgpr_spill_count: 0
    .wavefront_size: 64
  - .args:
      - .offset:         0
        .size:           4
        .value_kind:     by_value
      - .offset:         4
        .size:           2
        .value_kind:     by_value
      - .offset:         8
        .size:           24
        .value_kind:     by_value
    .group_segment_fixed_size: 0
    .kernarg_segment_align: 8
    .kernarg_segment_size: 32
    .language:       OpenCL C
    .language_version:
      - 2
      - 0
    .max_flat_workgroup_size: 256
    .name:           _ZN2at6native29vectorized_elementwise_kernelILi8ENS0_13BinaryFunctorIhhhZNS0_12_GLOBAL__N_121threshold_kernel_implIhEEvRNS_18TensorIteratorBaseET_S7_EUlhhE_EESt5arrayIPcLm3EEEEviT0_T1_
    .private_segment_fixed_size: 0
    .sgpr_count:     63
    .sgpr_spill_count: 0
    .symbol:         _ZN2at6native29vectorized_elementwise_kernelILi8ENS0_13BinaryFunctorIhhhZNS0_12_GLOBAL__N_121threshold_kernel_implIhEEvRNS_18TensorIteratorBaseET_S7_EUlhhE_EESt5arrayIPcLm3EEEEviT0_T1_.kd
    .uniform_work_group_size: 1
    .uses_dynamic_stack: false
    .vgpr_count:     39
    .vgpr_spill_count: 0
    .wavefront_size: 64
  - .args:
      - .offset:         0
        .size:           4
        .value_kind:     by_value
      - .offset:         4
        .size:           2
        .value_kind:     by_value
      - .offset:         8
        .size:           24
        .value_kind:     by_value
    .group_segment_fixed_size: 0
    .kernarg_segment_align: 8
    .kernarg_segment_size: 32
    .language:       OpenCL C
    .language_version:
      - 2
      - 0
    .max_flat_workgroup_size: 256
    .name:           _ZN2at6native29vectorized_elementwise_kernelILi4ENS0_13BinaryFunctorIhhhZNS0_12_GLOBAL__N_121threshold_kernel_implIhEEvRNS_18TensorIteratorBaseET_S7_EUlhhE_EESt5arrayIPcLm3EEEEviT0_T1_
    .private_segment_fixed_size: 0
    .sgpr_count:     63
    .sgpr_spill_count: 0
    .symbol:         _ZN2at6native29vectorized_elementwise_kernelILi4ENS0_13BinaryFunctorIhhhZNS0_12_GLOBAL__N_121threshold_kernel_implIhEEvRNS_18TensorIteratorBaseET_S7_EUlhhE_EESt5arrayIPcLm3EEEEviT0_T1_.kd
    .uniform_work_group_size: 1
    .uses_dynamic_stack: false
    .vgpr_count:     39
    .vgpr_spill_count: 0
    .wavefront_size: 64
  - .args:
      - .offset:         0
        .size:           4
        .value_kind:     by_value
      - .offset:         4
        .size:           2
        .value_kind:     by_value
      - .offset:         8
        .size:           24
        .value_kind:     by_value
    .group_segment_fixed_size: 0
    .kernarg_segment_align: 8
    .kernarg_segment_size: 32
    .language:       OpenCL C
    .language_version:
      - 2
      - 0
    .max_flat_workgroup_size: 256
    .name:           _ZN2at6native29vectorized_elementwise_kernelILi2ENS0_13BinaryFunctorIhhhZNS0_12_GLOBAL__N_121threshold_kernel_implIhEEvRNS_18TensorIteratorBaseET_S7_EUlhhE_EESt5arrayIPcLm3EEEEviT0_T1_
    .private_segment_fixed_size: 0
    .sgpr_count:     63
    .sgpr_spill_count: 0
    .symbol:         _ZN2at6native29vectorized_elementwise_kernelILi2ENS0_13BinaryFunctorIhhhZNS0_12_GLOBAL__N_121threshold_kernel_implIhEEvRNS_18TensorIteratorBaseET_S7_EUlhhE_EESt5arrayIPcLm3EEEEviT0_T1_.kd
    .uniform_work_group_size: 1
    .uses_dynamic_stack: false
    .vgpr_count:     39
    .vgpr_spill_count: 0
    .wavefront_size: 64
  - .args:
      - .offset:         0
        .size:           4
        .value_kind:     by_value
      - .offset:         4
        .size:           2
        .value_kind:     by_value
      - .offset:         8
        .size:           24
        .value_kind:     by_value
      - .offset:         32
        .size:           1
        .value_kind:     by_value
      - .offset:         33
        .size:           1
        .value_kind:     by_value
      - .offset:         34
        .size:           1
        .value_kind:     by_value
      - .offset:         35
        .size:           1
        .value_kind:     by_value
    .group_segment_fixed_size: 0
    .kernarg_segment_align: 8
    .kernarg_segment_size: 36
    .language:       OpenCL C
    .language_version:
      - 2
      - 0
    .max_flat_workgroup_size: 256
    .name:           _ZN2at6native27unrolled_elementwise_kernelINS0_13BinaryFunctorIhhhZNS0_12_GLOBAL__N_121threshold_kernel_implIhEEvRNS_18TensorIteratorBaseET_S7_EUlhhE_EESt5arrayIPcLm3EELi4E23TrivialOffsetCalculatorILi2EjESD_ILi1EjENS0_6memory15LoadWithoutCastENSG_16StoreWithoutCastEEEviS7_T0_T2_T3_T4_T5_
    .private_segment_fixed_size: 0
    .sgpr_count:     24
    .sgpr_spill_count: 0
    .symbol:         _ZN2at6native27unrolled_elementwise_kernelINS0_13BinaryFunctorIhhhZNS0_12_GLOBAL__N_121threshold_kernel_implIhEEvRNS_18TensorIteratorBaseET_S7_EUlhhE_EESt5arrayIPcLm3EELi4E23TrivialOffsetCalculatorILi2EjESD_ILi1EjENS0_6memory15LoadWithoutCastENSG_16StoreWithoutCastEEEviS7_T0_T2_T3_T4_T5_.kd
    .uniform_work_group_size: 1
    .uses_dynamic_stack: false
    .vgpr_count:     12
    .vgpr_spill_count: 0
    .wavefront_size: 64
  - .args:
      - .offset:         0
        .size:           4
        .value_kind:     by_value
      - .offset:         8
        .size:           424
        .value_kind:     by_value
    .group_segment_fixed_size: 0
    .kernarg_segment_align: 8
    .kernarg_segment_size: 432
    .language:       OpenCL C
    .language_version:
      - 2
      - 0
    .max_flat_workgroup_size: 128
    .name:           _ZN2at6native32elementwise_kernel_manual_unrollILi128ELi8EZNS0_22gpu_kernel_impl_nocastINS0_13BinaryFunctorIhhhZNS0_12_GLOBAL__N_121threshold_kernel_implIhEEvRNS_18TensorIteratorBaseET_S8_EUlhhE_EEEEvS7_RKS8_EUlibE_EEviT1_
    .private_segment_fixed_size: 0
    .sgpr_count:     56
    .sgpr_spill_count: 0
    .symbol:         _ZN2at6native32elementwise_kernel_manual_unrollILi128ELi8EZNS0_22gpu_kernel_impl_nocastINS0_13BinaryFunctorIhhhZNS0_12_GLOBAL__N_121threshold_kernel_implIhEEvRNS_18TensorIteratorBaseET_S8_EUlhhE_EEEEvS7_RKS8_EUlibE_EEviT1_.kd
    .uniform_work_group_size: 1
    .uses_dynamic_stack: false
    .vgpr_count:     42
    .vgpr_spill_count: 0
    .wavefront_size: 64
  - .args:
      - .offset:         0
        .size:           4
        .value_kind:     by_value
      - .offset:         8
        .size:           48
        .value_kind:     by_value
    .group_segment_fixed_size: 0
    .kernarg_segment_align: 8
    .kernarg_segment_size: 56
    .language:       OpenCL C
    .language_version:
      - 2
      - 0
    .max_flat_workgroup_size: 128
    .name:           _ZN2at6native32elementwise_kernel_manual_unrollILi128ELi4EZNS0_15gpu_kernel_implINS0_13BinaryFunctorIhhhZNS0_12_GLOBAL__N_121threshold_kernel_implIhEEvRNS_18TensorIteratorBaseET_S8_EUlhhE_EEEEvS7_RKS8_EUlibE_EEviT1_
    .private_segment_fixed_size: 0
    .sgpr_count:     61
    .sgpr_spill_count: 0
    .symbol:         _ZN2at6native32elementwise_kernel_manual_unrollILi128ELi4EZNS0_15gpu_kernel_implINS0_13BinaryFunctorIhhhZNS0_12_GLOBAL__N_121threshold_kernel_implIhEEvRNS_18TensorIteratorBaseET_S8_EUlhhE_EEEEvS7_RKS8_EUlibE_EEviT1_.kd
    .uniform_work_group_size: 1
    .uses_dynamic_stack: false
    .vgpr_count:     16
    .vgpr_spill_count: 0
    .wavefront_size: 64
  - .args:
      - .offset:         0
        .size:           4
        .value_kind:     by_value
      - .offset:         8
        .size:           424
        .value_kind:     by_value
    .group_segment_fixed_size: 0
    .kernarg_segment_align: 8
    .kernarg_segment_size: 432
    .language:       OpenCL C
    .language_version:
      - 2
      - 0
    .max_flat_workgroup_size: 128
    .name:           _ZN2at6native32elementwise_kernel_manual_unrollILi128ELi4EZNS0_15gpu_kernel_implINS0_13BinaryFunctorIhhhZNS0_12_GLOBAL__N_121threshold_kernel_implIhEEvRNS_18TensorIteratorBaseET_S8_EUlhhE_EEEEvS7_RKS8_EUlibE0_EEviT1_
    .private_segment_fixed_size: 0
    .sgpr_count:     84
    .sgpr_spill_count: 0
    .symbol:         _ZN2at6native32elementwise_kernel_manual_unrollILi128ELi4EZNS0_15gpu_kernel_implINS0_13BinaryFunctorIhhhZNS0_12_GLOBAL__N_121threshold_kernel_implIhEEvRNS_18TensorIteratorBaseET_S8_EUlhhE_EEEEvS7_RKS8_EUlibE0_EEviT1_.kd
    .uniform_work_group_size: 1
    .uses_dynamic_stack: false
    .vgpr_count:     23
    .vgpr_spill_count: 0
    .wavefront_size: 64
  - .args:
      - .offset:         0
        .size:           4
        .value_kind:     by_value
      - .offset:         4
        .size:           3
        .value_kind:     by_value
      - .offset:         8
        .size:           16
        .value_kind:     by_value
    .group_segment_fixed_size: 0
    .kernarg_segment_align: 8
    .kernarg_segment_size: 24
    .language:       OpenCL C
    .language_version:
      - 2
      - 0
    .max_flat_workgroup_size: 256
    .name:           _ZN2at6native29vectorized_elementwise_kernelILi16ENS0_13AUnaryFunctorIaaaZNS0_12_GLOBAL__N_121threshold_kernel_implIaEEvRNS_18TensorIteratorBaseET_S7_EUlaaE_EESt5arrayIPcLm2EEEEviT0_T1_
    .private_segment_fixed_size: 0
    .sgpr_count:     43
    .sgpr_spill_count: 0
    .symbol:         _ZN2at6native29vectorized_elementwise_kernelILi16ENS0_13AUnaryFunctorIaaaZNS0_12_GLOBAL__N_121threshold_kernel_implIaEEvRNS_18TensorIteratorBaseET_S7_EUlaaE_EESt5arrayIPcLm2EEEEviT0_T1_.kd
    .uniform_work_group_size: 1
    .uses_dynamic_stack: false
    .vgpr_count:     23
    .vgpr_spill_count: 0
    .wavefront_size: 64
  - .args:
      - .offset:         0
        .size:           4
        .value_kind:     by_value
      - .offset:         4
        .size:           3
        .value_kind:     by_value
      - .offset:         8
        .size:           16
        .value_kind:     by_value
    .group_segment_fixed_size: 0
    .kernarg_segment_align: 8
    .kernarg_segment_size: 24
    .language:       OpenCL C
    .language_version:
      - 2
      - 0
    .max_flat_workgroup_size: 256
    .name:           _ZN2at6native29vectorized_elementwise_kernelILi8ENS0_13AUnaryFunctorIaaaZNS0_12_GLOBAL__N_121threshold_kernel_implIaEEvRNS_18TensorIteratorBaseET_S7_EUlaaE_EESt5arrayIPcLm2EEEEviT0_T1_
    .private_segment_fixed_size: 0
    .sgpr_count:     43
    .sgpr_spill_count: 0
    .symbol:         _ZN2at6native29vectorized_elementwise_kernelILi8ENS0_13AUnaryFunctorIaaaZNS0_12_GLOBAL__N_121threshold_kernel_implIaEEvRNS_18TensorIteratorBaseET_S7_EUlaaE_EESt5arrayIPcLm2EEEEviT0_T1_.kd
    .uniform_work_group_size: 1
    .uses_dynamic_stack: false
    .vgpr_count:     23
    .vgpr_spill_count: 0
    .wavefront_size: 64
  - .args:
      - .offset:         0
        .size:           4
        .value_kind:     by_value
      - .offset:         4
        .size:           3
        .value_kind:     by_value
      - .offset:         8
        .size:           16
        .value_kind:     by_value
    .group_segment_fixed_size: 0
    .kernarg_segment_align: 8
    .kernarg_segment_size: 24
    .language:       OpenCL C
    .language_version:
      - 2
      - 0
    .max_flat_workgroup_size: 256
    .name:           _ZN2at6native29vectorized_elementwise_kernelILi4ENS0_13AUnaryFunctorIaaaZNS0_12_GLOBAL__N_121threshold_kernel_implIaEEvRNS_18TensorIteratorBaseET_S7_EUlaaE_EESt5arrayIPcLm2EEEEviT0_T1_
    .private_segment_fixed_size: 0
    .sgpr_count:     43
    .sgpr_spill_count: 0
    .symbol:         _ZN2at6native29vectorized_elementwise_kernelILi4ENS0_13AUnaryFunctorIaaaZNS0_12_GLOBAL__N_121threshold_kernel_implIaEEvRNS_18TensorIteratorBaseET_S7_EUlaaE_EESt5arrayIPcLm2EEEEviT0_T1_.kd
    .uniform_work_group_size: 1
    .uses_dynamic_stack: false
    .vgpr_count:     23
    .vgpr_spill_count: 0
    .wavefront_size: 64
  - .args:
      - .offset:         0
        .size:           4
        .value_kind:     by_value
      - .offset:         4
        .size:           3
        .value_kind:     by_value
      - .offset:         8
        .size:           16
        .value_kind:     by_value
    .group_segment_fixed_size: 0
    .kernarg_segment_align: 8
    .kernarg_segment_size: 24
    .language:       OpenCL C
    .language_version:
      - 2
      - 0
    .max_flat_workgroup_size: 256
    .name:           _ZN2at6native29vectorized_elementwise_kernelILi2ENS0_13AUnaryFunctorIaaaZNS0_12_GLOBAL__N_121threshold_kernel_implIaEEvRNS_18TensorIteratorBaseET_S7_EUlaaE_EESt5arrayIPcLm2EEEEviT0_T1_
    .private_segment_fixed_size: 0
    .sgpr_count:     43
    .sgpr_spill_count: 0
    .symbol:         _ZN2at6native29vectorized_elementwise_kernelILi2ENS0_13AUnaryFunctorIaaaZNS0_12_GLOBAL__N_121threshold_kernel_implIaEEvRNS_18TensorIteratorBaseET_S7_EUlaaE_EESt5arrayIPcLm2EEEEviT0_T1_.kd
    .uniform_work_group_size: 1
    .uses_dynamic_stack: false
    .vgpr_count:     23
    .vgpr_spill_count: 0
    .wavefront_size: 64
  - .args:
      - .offset:         0
        .size:           4
        .value_kind:     by_value
      - .offset:         4
        .size:           3
        .value_kind:     by_value
      - .offset:         8
        .size:           16
        .value_kind:     by_value
      - .offset:         24
        .size:           1
        .value_kind:     by_value
      - .offset:         25
        .size:           1
        .value_kind:     by_value
      - .offset:         26
        .size:           1
        .value_kind:     by_value
      - .offset:         27
        .size:           1
        .value_kind:     by_value
    .group_segment_fixed_size: 0
    .kernarg_segment_align: 8
    .kernarg_segment_size: 28
    .language:       OpenCL C
    .language_version:
      - 2
      - 0
    .max_flat_workgroup_size: 256
    .name:           _ZN2at6native27unrolled_elementwise_kernelINS0_13AUnaryFunctorIaaaZNS0_12_GLOBAL__N_121threshold_kernel_implIaEEvRNS_18TensorIteratorBaseET_S7_EUlaaE_EESt5arrayIPcLm2EELi4E23TrivialOffsetCalculatorILi1EjESE_NS0_6memory15LoadWithoutCastENSF_16StoreWithoutCastEEEviS7_T0_T2_T3_T4_T5_
    .private_segment_fixed_size: 0
    .sgpr_count:     20
    .sgpr_spill_count: 0
    .symbol:         _ZN2at6native27unrolled_elementwise_kernelINS0_13AUnaryFunctorIaaaZNS0_12_GLOBAL__N_121threshold_kernel_implIaEEvRNS_18TensorIteratorBaseET_S7_EUlaaE_EESt5arrayIPcLm2EELi4E23TrivialOffsetCalculatorILi1EjESE_NS0_6memory15LoadWithoutCastENSF_16StoreWithoutCastEEEviS7_T0_T2_T3_T4_T5_.kd
    .uniform_work_group_size: 1
    .uses_dynamic_stack: false
    .vgpr_count:     9
    .vgpr_spill_count: 0
    .wavefront_size: 64
  - .args:
      - .offset:         0
        .size:           4
        .value_kind:     by_value
      - .offset:         8
        .size:           352
        .value_kind:     by_value
    .group_segment_fixed_size: 0
    .kernarg_segment_align: 8
    .kernarg_segment_size: 360
    .language:       OpenCL C
    .language_version:
      - 2
      - 0
    .max_flat_workgroup_size: 128
    .name:           _ZN2at6native32elementwise_kernel_manual_unrollILi128ELi8EZNS0_22gpu_kernel_impl_nocastINS0_13AUnaryFunctorIaaaZNS0_12_GLOBAL__N_121threshold_kernel_implIaEEvRNS_18TensorIteratorBaseET_S8_EUlaaE_EEEEvS7_RKS8_EUlibE_EEviT1_
    .private_segment_fixed_size: 0
    .sgpr_count:     67
    .sgpr_spill_count: 0
    .symbol:         _ZN2at6native32elementwise_kernel_manual_unrollILi128ELi8EZNS0_22gpu_kernel_impl_nocastINS0_13AUnaryFunctorIaaaZNS0_12_GLOBAL__N_121threshold_kernel_implIaEEvRNS_18TensorIteratorBaseET_S8_EUlaaE_EEEEvS7_RKS8_EUlibE_EEviT1_.kd
    .uniform_work_group_size: 1
    .uses_dynamic_stack: false
    .vgpr_count:     26
    .vgpr_spill_count: 0
    .wavefront_size: 64
  - .args:
      - .offset:         0
        .size:           4
        .value_kind:     by_value
      - .offset:         8
        .size:           32
        .value_kind:     by_value
    .group_segment_fixed_size: 0
    .kernarg_segment_align: 8
    .kernarg_segment_size: 40
    .language:       OpenCL C
    .language_version:
      - 2
      - 0
    .max_flat_workgroup_size: 128
    .name:           _ZN2at6native32elementwise_kernel_manual_unrollILi128ELi4EZNS0_15gpu_kernel_implINS0_13AUnaryFunctorIaaaZNS0_12_GLOBAL__N_121threshold_kernel_implIaEEvRNS_18TensorIteratorBaseET_S8_EUlaaE_EEEEvS7_RKS8_EUlibE_EEviT1_
    .private_segment_fixed_size: 0
    .sgpr_count:     54
    .sgpr_spill_count: 0
    .symbol:         _ZN2at6native32elementwise_kernel_manual_unrollILi128ELi4EZNS0_15gpu_kernel_implINS0_13AUnaryFunctorIaaaZNS0_12_GLOBAL__N_121threshold_kernel_implIaEEvRNS_18TensorIteratorBaseET_S8_EUlaaE_EEEEvS7_RKS8_EUlibE_EEviT1_.kd
    .uniform_work_group_size: 1
    .uses_dynamic_stack: false
    .vgpr_count:     12
    .vgpr_spill_count: 0
    .wavefront_size: 64
  - .args:
      - .offset:         0
        .size:           4
        .value_kind:     by_value
      - .offset:         8
        .size:           352
        .value_kind:     by_value
    .group_segment_fixed_size: 0
    .kernarg_segment_align: 8
    .kernarg_segment_size: 360
    .language:       OpenCL C
    .language_version:
      - 2
      - 0
    .max_flat_workgroup_size: 128
    .name:           _ZN2at6native32elementwise_kernel_manual_unrollILi128ELi4EZNS0_15gpu_kernel_implINS0_13AUnaryFunctorIaaaZNS0_12_GLOBAL__N_121threshold_kernel_implIaEEvRNS_18TensorIteratorBaseET_S8_EUlaaE_EEEEvS7_RKS8_EUlibE0_EEviT1_
    .private_segment_fixed_size: 0
    .sgpr_count:     85
    .sgpr_spill_count: 0
    .symbol:         _ZN2at6native32elementwise_kernel_manual_unrollILi128ELi4EZNS0_15gpu_kernel_implINS0_13AUnaryFunctorIaaaZNS0_12_GLOBAL__N_121threshold_kernel_implIaEEvRNS_18TensorIteratorBaseET_S8_EUlaaE_EEEEvS7_RKS8_EUlibE0_EEviT1_.kd
    .uniform_work_group_size: 1
    .uses_dynamic_stack: false
    .vgpr_count:     18
    .vgpr_spill_count: 0
    .wavefront_size: 64
  - .args:
      - .offset:         0
        .size:           4
        .value_kind:     by_value
      - .offset:         4
        .size:           3
        .value_kind:     by_value
      - .offset:         8
        .size:           16
        .value_kind:     by_value
    .group_segment_fixed_size: 0
    .kernarg_segment_align: 8
    .kernarg_segment_size: 24
    .language:       OpenCL C
    .language_version:
      - 2
      - 0
    .max_flat_workgroup_size: 256
    .name:           _ZN2at6native29vectorized_elementwise_kernelILi16ENS0_13BUnaryFunctorIaaaZNS0_12_GLOBAL__N_121threshold_kernel_implIaEEvRNS_18TensorIteratorBaseET_S7_EUlaaE_EESt5arrayIPcLm2EEEEviT0_T1_
    .private_segment_fixed_size: 0
    .sgpr_count:     43
    .sgpr_spill_count: 0
    .symbol:         _ZN2at6native29vectorized_elementwise_kernelILi16ENS0_13BUnaryFunctorIaaaZNS0_12_GLOBAL__N_121threshold_kernel_implIaEEvRNS_18TensorIteratorBaseET_S7_EUlaaE_EESt5arrayIPcLm2EEEEviT0_T1_.kd
    .uniform_work_group_size: 1
    .uses_dynamic_stack: false
    .vgpr_count:     23
    .vgpr_spill_count: 0
    .wavefront_size: 64
  - .args:
      - .offset:         0
        .size:           4
        .value_kind:     by_value
      - .offset:         4
        .size:           3
        .value_kind:     by_value
      - .offset:         8
        .size:           16
        .value_kind:     by_value
    .group_segment_fixed_size: 0
    .kernarg_segment_align: 8
    .kernarg_segment_size: 24
    .language:       OpenCL C
    .language_version:
      - 2
      - 0
    .max_flat_workgroup_size: 256
    .name:           _ZN2at6native29vectorized_elementwise_kernelILi8ENS0_13BUnaryFunctorIaaaZNS0_12_GLOBAL__N_121threshold_kernel_implIaEEvRNS_18TensorIteratorBaseET_S7_EUlaaE_EESt5arrayIPcLm2EEEEviT0_T1_
    .private_segment_fixed_size: 0
    .sgpr_count:     43
    .sgpr_spill_count: 0
    .symbol:         _ZN2at6native29vectorized_elementwise_kernelILi8ENS0_13BUnaryFunctorIaaaZNS0_12_GLOBAL__N_121threshold_kernel_implIaEEvRNS_18TensorIteratorBaseET_S7_EUlaaE_EESt5arrayIPcLm2EEEEviT0_T1_.kd
    .uniform_work_group_size: 1
    .uses_dynamic_stack: false
    .vgpr_count:     23
    .vgpr_spill_count: 0
    .wavefront_size: 64
  - .args:
      - .offset:         0
        .size:           4
        .value_kind:     by_value
      - .offset:         4
        .size:           3
        .value_kind:     by_value
      - .offset:         8
        .size:           16
        .value_kind:     by_value
    .group_segment_fixed_size: 0
    .kernarg_segment_align: 8
    .kernarg_segment_size: 24
    .language:       OpenCL C
    .language_version:
      - 2
      - 0
    .max_flat_workgroup_size: 256
    .name:           _ZN2at6native29vectorized_elementwise_kernelILi4ENS0_13BUnaryFunctorIaaaZNS0_12_GLOBAL__N_121threshold_kernel_implIaEEvRNS_18TensorIteratorBaseET_S7_EUlaaE_EESt5arrayIPcLm2EEEEviT0_T1_
    .private_segment_fixed_size: 0
    .sgpr_count:     43
    .sgpr_spill_count: 0
    .symbol:         _ZN2at6native29vectorized_elementwise_kernelILi4ENS0_13BUnaryFunctorIaaaZNS0_12_GLOBAL__N_121threshold_kernel_implIaEEvRNS_18TensorIteratorBaseET_S7_EUlaaE_EESt5arrayIPcLm2EEEEviT0_T1_.kd
    .uniform_work_group_size: 1
    .uses_dynamic_stack: false
    .vgpr_count:     23
    .vgpr_spill_count: 0
    .wavefront_size: 64
  - .args:
      - .offset:         0
        .size:           4
        .value_kind:     by_value
      - .offset:         4
        .size:           3
        .value_kind:     by_value
      - .offset:         8
        .size:           16
        .value_kind:     by_value
    .group_segment_fixed_size: 0
    .kernarg_segment_align: 8
    .kernarg_segment_size: 24
    .language:       OpenCL C
    .language_version:
      - 2
      - 0
    .max_flat_workgroup_size: 256
    .name:           _ZN2at6native29vectorized_elementwise_kernelILi2ENS0_13BUnaryFunctorIaaaZNS0_12_GLOBAL__N_121threshold_kernel_implIaEEvRNS_18TensorIteratorBaseET_S7_EUlaaE_EESt5arrayIPcLm2EEEEviT0_T1_
    .private_segment_fixed_size: 0
    .sgpr_count:     43
    .sgpr_spill_count: 0
    .symbol:         _ZN2at6native29vectorized_elementwise_kernelILi2ENS0_13BUnaryFunctorIaaaZNS0_12_GLOBAL__N_121threshold_kernel_implIaEEvRNS_18TensorIteratorBaseET_S7_EUlaaE_EESt5arrayIPcLm2EEEEviT0_T1_.kd
    .uniform_work_group_size: 1
    .uses_dynamic_stack: false
    .vgpr_count:     23
    .vgpr_spill_count: 0
    .wavefront_size: 64
  - .args:
      - .offset:         0
        .size:           4
        .value_kind:     by_value
      - .offset:         4
        .size:           3
        .value_kind:     by_value
      - .offset:         8
        .size:           16
        .value_kind:     by_value
      - .offset:         24
        .size:           1
        .value_kind:     by_value
      - .offset:         25
        .size:           1
        .value_kind:     by_value
      - .offset:         26
        .size:           1
        .value_kind:     by_value
      - .offset:         27
        .size:           1
        .value_kind:     by_value
    .group_segment_fixed_size: 0
    .kernarg_segment_align: 8
    .kernarg_segment_size: 28
    .language:       OpenCL C
    .language_version:
      - 2
      - 0
    .max_flat_workgroup_size: 256
    .name:           _ZN2at6native27unrolled_elementwise_kernelINS0_13BUnaryFunctorIaaaZNS0_12_GLOBAL__N_121threshold_kernel_implIaEEvRNS_18TensorIteratorBaseET_S7_EUlaaE_EESt5arrayIPcLm2EELi4E23TrivialOffsetCalculatorILi1EjESE_NS0_6memory15LoadWithoutCastENSF_16StoreWithoutCastEEEviS7_T0_T2_T3_T4_T5_
    .private_segment_fixed_size: 0
    .sgpr_count:     20
    .sgpr_spill_count: 0
    .symbol:         _ZN2at6native27unrolled_elementwise_kernelINS0_13BUnaryFunctorIaaaZNS0_12_GLOBAL__N_121threshold_kernel_implIaEEvRNS_18TensorIteratorBaseET_S7_EUlaaE_EESt5arrayIPcLm2EELi4E23TrivialOffsetCalculatorILi1EjESE_NS0_6memory15LoadWithoutCastENSF_16StoreWithoutCastEEEviS7_T0_T2_T3_T4_T5_.kd
    .uniform_work_group_size: 1
    .uses_dynamic_stack: false
    .vgpr_count:     9
    .vgpr_spill_count: 0
    .wavefront_size: 64
  - .args:
      - .offset:         0
        .size:           4
        .value_kind:     by_value
      - .offset:         8
        .size:           352
        .value_kind:     by_value
    .group_segment_fixed_size: 0
    .kernarg_segment_align: 8
    .kernarg_segment_size: 360
    .language:       OpenCL C
    .language_version:
      - 2
      - 0
    .max_flat_workgroup_size: 128
    .name:           _ZN2at6native32elementwise_kernel_manual_unrollILi128ELi8EZNS0_22gpu_kernel_impl_nocastINS0_13BUnaryFunctorIaaaZNS0_12_GLOBAL__N_121threshold_kernel_implIaEEvRNS_18TensorIteratorBaseET_S8_EUlaaE_EEEEvS7_RKS8_EUlibE_EEviT1_
    .private_segment_fixed_size: 0
    .sgpr_count:     67
    .sgpr_spill_count: 0
    .symbol:         _ZN2at6native32elementwise_kernel_manual_unrollILi128ELi8EZNS0_22gpu_kernel_impl_nocastINS0_13BUnaryFunctorIaaaZNS0_12_GLOBAL__N_121threshold_kernel_implIaEEvRNS_18TensorIteratorBaseET_S8_EUlaaE_EEEEvS7_RKS8_EUlibE_EEviT1_.kd
    .uniform_work_group_size: 1
    .uses_dynamic_stack: false
    .vgpr_count:     26
    .vgpr_spill_count: 0
    .wavefront_size: 64
  - .args:
      - .offset:         0
        .size:           4
        .value_kind:     by_value
      - .offset:         8
        .size:           32
        .value_kind:     by_value
    .group_segment_fixed_size: 0
    .kernarg_segment_align: 8
    .kernarg_segment_size: 40
    .language:       OpenCL C
    .language_version:
      - 2
      - 0
    .max_flat_workgroup_size: 128
    .name:           _ZN2at6native32elementwise_kernel_manual_unrollILi128ELi4EZNS0_15gpu_kernel_implINS0_13BUnaryFunctorIaaaZNS0_12_GLOBAL__N_121threshold_kernel_implIaEEvRNS_18TensorIteratorBaseET_S8_EUlaaE_EEEEvS7_RKS8_EUlibE_EEviT1_
    .private_segment_fixed_size: 0
    .sgpr_count:     52
    .sgpr_spill_count: 0
    .symbol:         _ZN2at6native32elementwise_kernel_manual_unrollILi128ELi4EZNS0_15gpu_kernel_implINS0_13BUnaryFunctorIaaaZNS0_12_GLOBAL__N_121threshold_kernel_implIaEEvRNS_18TensorIteratorBaseET_S8_EUlaaE_EEEEvS7_RKS8_EUlibE_EEviT1_.kd
    .uniform_work_group_size: 1
    .uses_dynamic_stack: false
    .vgpr_count:     12
    .vgpr_spill_count: 0
    .wavefront_size: 64
  - .args:
      - .offset:         0
        .size:           4
        .value_kind:     by_value
      - .offset:         8
        .size:           352
        .value_kind:     by_value
    .group_segment_fixed_size: 0
    .kernarg_segment_align: 8
    .kernarg_segment_size: 360
    .language:       OpenCL C
    .language_version:
      - 2
      - 0
    .max_flat_workgroup_size: 128
    .name:           _ZN2at6native32elementwise_kernel_manual_unrollILi128ELi4EZNS0_15gpu_kernel_implINS0_13BUnaryFunctorIaaaZNS0_12_GLOBAL__N_121threshold_kernel_implIaEEvRNS_18TensorIteratorBaseET_S8_EUlaaE_EEEEvS7_RKS8_EUlibE0_EEviT1_
    .private_segment_fixed_size: 0
    .sgpr_count:     85
    .sgpr_spill_count: 0
    .symbol:         _ZN2at6native32elementwise_kernel_manual_unrollILi128ELi4EZNS0_15gpu_kernel_implINS0_13BUnaryFunctorIaaaZNS0_12_GLOBAL__N_121threshold_kernel_implIaEEvRNS_18TensorIteratorBaseET_S8_EUlaaE_EEEEvS7_RKS8_EUlibE0_EEviT1_.kd
    .uniform_work_group_size: 1
    .uses_dynamic_stack: false
    .vgpr_count:     18
    .vgpr_spill_count: 0
    .wavefront_size: 64
  - .args:
      - .offset:         0
        .size:           4
        .value_kind:     by_value
      - .offset:         4
        .size:           2
        .value_kind:     by_value
      - .offset:         8
        .size:           24
        .value_kind:     by_value
    .group_segment_fixed_size: 0
    .kernarg_segment_align: 8
    .kernarg_segment_size: 32
    .language:       OpenCL C
    .language_version:
      - 2
      - 0
    .max_flat_workgroup_size: 256
    .name:           _ZN2at6native29vectorized_elementwise_kernelILi16ENS0_13BinaryFunctorIaaaZNS0_12_GLOBAL__N_121threshold_kernel_implIaEEvRNS_18TensorIteratorBaseET_S7_EUlaaE_EESt5arrayIPcLm3EEEEviT0_T1_
    .private_segment_fixed_size: 0
    .sgpr_count:     43
    .sgpr_spill_count: 0
    .symbol:         _ZN2at6native29vectorized_elementwise_kernelILi16ENS0_13BinaryFunctorIaaaZNS0_12_GLOBAL__N_121threshold_kernel_implIaEEvRNS_18TensorIteratorBaseET_S7_EUlaaE_EESt5arrayIPcLm3EEEEviT0_T1_.kd
    .uniform_work_group_size: 1
    .uses_dynamic_stack: false
    .vgpr_count:     40
    .vgpr_spill_count: 0
    .wavefront_size: 64
  - .args:
      - .offset:         0
        .size:           4
        .value_kind:     by_value
      - .offset:         4
        .size:           2
        .value_kind:     by_value
      - .offset:         8
        .size:           24
        .value_kind:     by_value
    .group_segment_fixed_size: 0
    .kernarg_segment_align: 8
    .kernarg_segment_size: 32
    .language:       OpenCL C
    .language_version:
      - 2
      - 0
    .max_flat_workgroup_size: 256
    .name:           _ZN2at6native29vectorized_elementwise_kernelILi8ENS0_13BinaryFunctorIaaaZNS0_12_GLOBAL__N_121threshold_kernel_implIaEEvRNS_18TensorIteratorBaseET_S7_EUlaaE_EESt5arrayIPcLm3EEEEviT0_T1_
    .private_segment_fixed_size: 0
    .sgpr_count:     43
    .sgpr_spill_count: 0
    .symbol:         _ZN2at6native29vectorized_elementwise_kernelILi8ENS0_13BinaryFunctorIaaaZNS0_12_GLOBAL__N_121threshold_kernel_implIaEEvRNS_18TensorIteratorBaseET_S7_EUlaaE_EESt5arrayIPcLm3EEEEviT0_T1_.kd
    .uniform_work_group_size: 1
    .uses_dynamic_stack: false
    .vgpr_count:     40
    .vgpr_spill_count: 0
    .wavefront_size: 64
  - .args:
      - .offset:         0
        .size:           4
        .value_kind:     by_value
      - .offset:         4
        .size:           2
        .value_kind:     by_value
      - .offset:         8
        .size:           24
        .value_kind:     by_value
    .group_segment_fixed_size: 0
    .kernarg_segment_align: 8
    .kernarg_segment_size: 32
    .language:       OpenCL C
    .language_version:
      - 2
      - 0
    .max_flat_workgroup_size: 256
    .name:           _ZN2at6native29vectorized_elementwise_kernelILi4ENS0_13BinaryFunctorIaaaZNS0_12_GLOBAL__N_121threshold_kernel_implIaEEvRNS_18TensorIteratorBaseET_S7_EUlaaE_EESt5arrayIPcLm3EEEEviT0_T1_
    .private_segment_fixed_size: 0
    .sgpr_count:     43
    .sgpr_spill_count: 0
    .symbol:         _ZN2at6native29vectorized_elementwise_kernelILi4ENS0_13BinaryFunctorIaaaZNS0_12_GLOBAL__N_121threshold_kernel_implIaEEvRNS_18TensorIteratorBaseET_S7_EUlaaE_EESt5arrayIPcLm3EEEEviT0_T1_.kd
    .uniform_work_group_size: 1
    .uses_dynamic_stack: false
    .vgpr_count:     40
    .vgpr_spill_count: 0
    .wavefront_size: 64
  - .args:
      - .offset:         0
        .size:           4
        .value_kind:     by_value
      - .offset:         4
        .size:           2
        .value_kind:     by_value
      - .offset:         8
        .size:           24
        .value_kind:     by_value
    .group_segment_fixed_size: 0
    .kernarg_segment_align: 8
    .kernarg_segment_size: 32
    .language:       OpenCL C
    .language_version:
      - 2
      - 0
    .max_flat_workgroup_size: 256
    .name:           _ZN2at6native29vectorized_elementwise_kernelILi2ENS0_13BinaryFunctorIaaaZNS0_12_GLOBAL__N_121threshold_kernel_implIaEEvRNS_18TensorIteratorBaseET_S7_EUlaaE_EESt5arrayIPcLm3EEEEviT0_T1_
    .private_segment_fixed_size: 0
    .sgpr_count:     43
    .sgpr_spill_count: 0
    .symbol:         _ZN2at6native29vectorized_elementwise_kernelILi2ENS0_13BinaryFunctorIaaaZNS0_12_GLOBAL__N_121threshold_kernel_implIaEEvRNS_18TensorIteratorBaseET_S7_EUlaaE_EESt5arrayIPcLm3EEEEviT0_T1_.kd
    .uniform_work_group_size: 1
    .uses_dynamic_stack: false
    .vgpr_count:     40
    .vgpr_spill_count: 0
    .wavefront_size: 64
  - .args:
      - .offset:         0
        .size:           4
        .value_kind:     by_value
      - .offset:         4
        .size:           2
        .value_kind:     by_value
      - .offset:         8
        .size:           24
        .value_kind:     by_value
      - .offset:         32
        .size:           1
        .value_kind:     by_value
      - .offset:         33
        .size:           1
        .value_kind:     by_value
      - .offset:         34
        .size:           1
        .value_kind:     by_value
      - .offset:         35
        .size:           1
        .value_kind:     by_value
    .group_segment_fixed_size: 0
    .kernarg_segment_align: 8
    .kernarg_segment_size: 36
    .language:       OpenCL C
    .language_version:
      - 2
      - 0
    .max_flat_workgroup_size: 256
    .name:           _ZN2at6native27unrolled_elementwise_kernelINS0_13BinaryFunctorIaaaZNS0_12_GLOBAL__N_121threshold_kernel_implIaEEvRNS_18TensorIteratorBaseET_S7_EUlaaE_EESt5arrayIPcLm3EELi4E23TrivialOffsetCalculatorILi2EjESD_ILi1EjENS0_6memory15LoadWithoutCastENSG_16StoreWithoutCastEEEviS7_T0_T2_T3_T4_T5_
    .private_segment_fixed_size: 0
    .sgpr_count:     22
    .sgpr_spill_count: 0
    .symbol:         _ZN2at6native27unrolled_elementwise_kernelINS0_13BinaryFunctorIaaaZNS0_12_GLOBAL__N_121threshold_kernel_implIaEEvRNS_18TensorIteratorBaseET_S7_EUlaaE_EESt5arrayIPcLm3EELi4E23TrivialOffsetCalculatorILi2EjESD_ILi1EjENS0_6memory15LoadWithoutCastENSG_16StoreWithoutCastEEEviS7_T0_T2_T3_T4_T5_.kd
    .uniform_work_group_size: 1
    .uses_dynamic_stack: false
    .vgpr_count:     13
    .vgpr_spill_count: 0
    .wavefront_size: 64
  - .args:
      - .offset:         0
        .size:           4
        .value_kind:     by_value
      - .offset:         8
        .size:           424
        .value_kind:     by_value
    .group_segment_fixed_size: 0
    .kernarg_segment_align: 8
    .kernarg_segment_size: 432
    .language:       OpenCL C
    .language_version:
      - 2
      - 0
    .max_flat_workgroup_size: 128
    .name:           _ZN2at6native32elementwise_kernel_manual_unrollILi128ELi8EZNS0_22gpu_kernel_impl_nocastINS0_13BinaryFunctorIaaaZNS0_12_GLOBAL__N_121threshold_kernel_implIaEEvRNS_18TensorIteratorBaseET_S8_EUlaaE_EEEEvS7_RKS8_EUlibE_EEviT1_
    .private_segment_fixed_size: 0
    .sgpr_count:     56
    .sgpr_spill_count: 0
    .symbol:         _ZN2at6native32elementwise_kernel_manual_unrollILi128ELi8EZNS0_22gpu_kernel_impl_nocastINS0_13BinaryFunctorIaaaZNS0_12_GLOBAL__N_121threshold_kernel_implIaEEvRNS_18TensorIteratorBaseET_S8_EUlaaE_EEEEvS7_RKS8_EUlibE_EEviT1_.kd
    .uniform_work_group_size: 1
    .uses_dynamic_stack: false
    .vgpr_count:     42
    .vgpr_spill_count: 0
    .wavefront_size: 64
  - .args:
      - .offset:         0
        .size:           4
        .value_kind:     by_value
      - .offset:         8
        .size:           48
        .value_kind:     by_value
    .group_segment_fixed_size: 0
    .kernarg_segment_align: 8
    .kernarg_segment_size: 56
    .language:       OpenCL C
    .language_version:
      - 2
      - 0
    .max_flat_workgroup_size: 128
    .name:           _ZN2at6native32elementwise_kernel_manual_unrollILi128ELi4EZNS0_15gpu_kernel_implINS0_13BinaryFunctorIaaaZNS0_12_GLOBAL__N_121threshold_kernel_implIaEEvRNS_18TensorIteratorBaseET_S8_EUlaaE_EEEEvS7_RKS8_EUlibE_EEviT1_
    .private_segment_fixed_size: 0
    .sgpr_count:     61
    .sgpr_spill_count: 0
    .symbol:         _ZN2at6native32elementwise_kernel_manual_unrollILi128ELi4EZNS0_15gpu_kernel_implINS0_13BinaryFunctorIaaaZNS0_12_GLOBAL__N_121threshold_kernel_implIaEEvRNS_18TensorIteratorBaseET_S8_EUlaaE_EEEEvS7_RKS8_EUlibE_EEviT1_.kd
    .uniform_work_group_size: 1
    .uses_dynamic_stack: false
    .vgpr_count:     16
    .vgpr_spill_count: 0
    .wavefront_size: 64
  - .args:
      - .offset:         0
        .size:           4
        .value_kind:     by_value
      - .offset:         8
        .size:           424
        .value_kind:     by_value
    .group_segment_fixed_size: 0
    .kernarg_segment_align: 8
    .kernarg_segment_size: 432
    .language:       OpenCL C
    .language_version:
      - 2
      - 0
    .max_flat_workgroup_size: 128
    .name:           _ZN2at6native32elementwise_kernel_manual_unrollILi128ELi4EZNS0_15gpu_kernel_implINS0_13BinaryFunctorIaaaZNS0_12_GLOBAL__N_121threshold_kernel_implIaEEvRNS_18TensorIteratorBaseET_S8_EUlaaE_EEEEvS7_RKS8_EUlibE0_EEviT1_
    .private_segment_fixed_size: 0
    .sgpr_count:     86
    .sgpr_spill_count: 0
    .symbol:         _ZN2at6native32elementwise_kernel_manual_unrollILi128ELi4EZNS0_15gpu_kernel_implINS0_13BinaryFunctorIaaaZNS0_12_GLOBAL__N_121threshold_kernel_implIaEEvRNS_18TensorIteratorBaseET_S8_EUlaaE_EEEEvS7_RKS8_EUlibE0_EEviT1_.kd
    .uniform_work_group_size: 1
    .uses_dynamic_stack: false
    .vgpr_count:     23
    .vgpr_spill_count: 0
    .wavefront_size: 64
  - .args:
      - .offset:         0
        .size:           4
        .value_kind:     by_value
      - .offset:         4
        .size:           12
        .value_kind:     by_value
      - .offset:         16
        .size:           16
        .value_kind:     by_value
    .group_segment_fixed_size: 0
    .kernarg_segment_align: 8
    .kernarg_segment_size: 32
    .language:       OpenCL C
    .language_version:
      - 2
      - 0
    .max_flat_workgroup_size: 256
    .name:           _ZN2at6native29vectorized_elementwise_kernelILi16ENS0_13AUnaryFunctorIiiiZNS0_12_GLOBAL__N_121threshold_kernel_implIiEEvRNS_18TensorIteratorBaseET_S7_EUliiE_EESt5arrayIPcLm2EEEEviT0_T1_
    .private_segment_fixed_size: 0
    .sgpr_count:     22
    .sgpr_spill_count: 0
    .symbol:         _ZN2at6native29vectorized_elementwise_kernelILi16ENS0_13AUnaryFunctorIiiiZNS0_12_GLOBAL__N_121threshold_kernel_implIiEEvRNS_18TensorIteratorBaseET_S7_EUliiE_EESt5arrayIPcLm2EEEEviT0_T1_.kd
    .uniform_work_group_size: 1
    .uses_dynamic_stack: false
    .vgpr_count:     10
    .vgpr_spill_count: 0
    .wavefront_size: 64
  - .args:
      - .offset:         0
        .size:           4
        .value_kind:     by_value
      - .offset:         4
        .size:           12
        .value_kind:     by_value
      - .offset:         16
        .size:           16
        .value_kind:     by_value
    .group_segment_fixed_size: 0
    .kernarg_segment_align: 8
    .kernarg_segment_size: 32
    .language:       OpenCL C
    .language_version:
      - 2
      - 0
    .max_flat_workgroup_size: 256
    .name:           _ZN2at6native29vectorized_elementwise_kernelILi8ENS0_13AUnaryFunctorIiiiZNS0_12_GLOBAL__N_121threshold_kernel_implIiEEvRNS_18TensorIteratorBaseET_S7_EUliiE_EESt5arrayIPcLm2EEEEviT0_T1_
    .private_segment_fixed_size: 0
    .sgpr_count:     22
    .sgpr_spill_count: 0
    .symbol:         _ZN2at6native29vectorized_elementwise_kernelILi8ENS0_13AUnaryFunctorIiiiZNS0_12_GLOBAL__N_121threshold_kernel_implIiEEvRNS_18TensorIteratorBaseET_S7_EUliiE_EESt5arrayIPcLm2EEEEviT0_T1_.kd
    .uniform_work_group_size: 1
    .uses_dynamic_stack: false
    .vgpr_count:     10
    .vgpr_spill_count: 0
    .wavefront_size: 64
  - .args:
      - .offset:         0
        .size:           4
        .value_kind:     by_value
      - .offset:         4
        .size:           12
        .value_kind:     by_value
      - .offset:         16
        .size:           16
        .value_kind:     by_value
    .group_segment_fixed_size: 0
    .kernarg_segment_align: 8
    .kernarg_segment_size: 32
    .language:       OpenCL C
    .language_version:
      - 2
      - 0
    .max_flat_workgroup_size: 256
    .name:           _ZN2at6native29vectorized_elementwise_kernelILi4ENS0_13AUnaryFunctorIiiiZNS0_12_GLOBAL__N_121threshold_kernel_implIiEEvRNS_18TensorIteratorBaseET_S7_EUliiE_EESt5arrayIPcLm2EEEEviT0_T1_
    .private_segment_fixed_size: 0
    .sgpr_count:     22
    .sgpr_spill_count: 0
    .symbol:         _ZN2at6native29vectorized_elementwise_kernelILi4ENS0_13AUnaryFunctorIiiiZNS0_12_GLOBAL__N_121threshold_kernel_implIiEEvRNS_18TensorIteratorBaseET_S7_EUliiE_EESt5arrayIPcLm2EEEEviT0_T1_.kd
    .uniform_work_group_size: 1
    .uses_dynamic_stack: false
    .vgpr_count:     10
    .vgpr_spill_count: 0
    .wavefront_size: 64
  - .args:
      - .offset:         0
        .size:           4
        .value_kind:     by_value
      - .offset:         4
        .size:           12
        .value_kind:     by_value
      - .offset:         16
        .size:           16
        .value_kind:     by_value
    .group_segment_fixed_size: 0
    .kernarg_segment_align: 8
    .kernarg_segment_size: 32
    .language:       OpenCL C
    .language_version:
      - 2
      - 0
    .max_flat_workgroup_size: 256
    .name:           _ZN2at6native29vectorized_elementwise_kernelILi2ENS0_13AUnaryFunctorIiiiZNS0_12_GLOBAL__N_121threshold_kernel_implIiEEvRNS_18TensorIteratorBaseET_S7_EUliiE_EESt5arrayIPcLm2EEEEviT0_T1_
    .private_segment_fixed_size: 0
    .sgpr_count:     22
    .sgpr_spill_count: 0
    .symbol:         _ZN2at6native29vectorized_elementwise_kernelILi2ENS0_13AUnaryFunctorIiiiZNS0_12_GLOBAL__N_121threshold_kernel_implIiEEvRNS_18TensorIteratorBaseET_S7_EUliiE_EESt5arrayIPcLm2EEEEviT0_T1_.kd
    .uniform_work_group_size: 1
    .uses_dynamic_stack: false
    .vgpr_count:     10
    .vgpr_spill_count: 0
    .wavefront_size: 64
  - .args:
      - .offset:         0
        .size:           4
        .value_kind:     by_value
      - .offset:         4
        .size:           12
        .value_kind:     by_value
      - .offset:         16
        .size:           16
        .value_kind:     by_value
      - .offset:         32
        .size:           1
        .value_kind:     by_value
      - .offset:         33
        .size:           1
        .value_kind:     by_value
      - .offset:         34
        .size:           1
        .value_kind:     by_value
      - .offset:         35
        .size:           1
        .value_kind:     by_value
    .group_segment_fixed_size: 0
    .kernarg_segment_align: 8
    .kernarg_segment_size: 36
    .language:       OpenCL C
    .language_version:
      - 2
      - 0
    .max_flat_workgroup_size: 256
    .name:           _ZN2at6native27unrolled_elementwise_kernelINS0_13AUnaryFunctorIiiiZNS0_12_GLOBAL__N_121threshold_kernel_implIiEEvRNS_18TensorIteratorBaseET_S7_EUliiE_EESt5arrayIPcLm2EELi4E23TrivialOffsetCalculatorILi1EjESE_NS0_6memory15LoadWithoutCastENSF_16StoreWithoutCastEEEviS7_T0_T2_T3_T4_T5_
    .private_segment_fixed_size: 0
    .sgpr_count:     23
    .sgpr_spill_count: 0
    .symbol:         _ZN2at6native27unrolled_elementwise_kernelINS0_13AUnaryFunctorIiiiZNS0_12_GLOBAL__N_121threshold_kernel_implIiEEvRNS_18TensorIteratorBaseET_S7_EUliiE_EESt5arrayIPcLm2EELi4E23TrivialOffsetCalculatorILi1EjESE_NS0_6memory15LoadWithoutCastENSF_16StoreWithoutCastEEEviS7_T0_T2_T3_T4_T5_.kd
    .uniform_work_group_size: 1
    .uses_dynamic_stack: false
    .vgpr_count:     10
    .vgpr_spill_count: 0
    .wavefront_size: 64
  - .args:
      - .offset:         0
        .size:           4
        .value_kind:     by_value
      - .offset:         8
        .size:           360
        .value_kind:     by_value
    .group_segment_fixed_size: 0
    .kernarg_segment_align: 8
    .kernarg_segment_size: 368
    .language:       OpenCL C
    .language_version:
      - 2
      - 0
    .max_flat_workgroup_size: 128
    .name:           _ZN2at6native32elementwise_kernel_manual_unrollILi128ELi4EZNS0_22gpu_kernel_impl_nocastINS0_13AUnaryFunctorIiiiZNS0_12_GLOBAL__N_121threshold_kernel_implIiEEvRNS_18TensorIteratorBaseET_S8_EUliiE_EEEEvS7_RKS8_EUlibE_EEviT1_
    .private_segment_fixed_size: 0
    .sgpr_count:     67
    .sgpr_spill_count: 0
    .symbol:         _ZN2at6native32elementwise_kernel_manual_unrollILi128ELi4EZNS0_22gpu_kernel_impl_nocastINS0_13AUnaryFunctorIiiiZNS0_12_GLOBAL__N_121threshold_kernel_implIiEEvRNS_18TensorIteratorBaseET_S8_EUliiE_EEEEvS7_RKS8_EUlibE_EEviT1_.kd
    .uniform_work_group_size: 1
    .uses_dynamic_stack: false
    .vgpr_count:     18
    .vgpr_spill_count: 0
    .wavefront_size: 64
  - .args:
      - .offset:         0
        .size:           4
        .value_kind:     by_value
      - .offset:         8
        .size:           40
        .value_kind:     by_value
    .group_segment_fixed_size: 0
    .kernarg_segment_align: 8
    .kernarg_segment_size: 48
    .language:       OpenCL C
    .language_version:
      - 2
      - 0
    .max_flat_workgroup_size: 128
    .name:           _ZN2at6native32elementwise_kernel_manual_unrollILi128ELi4EZNS0_15gpu_kernel_implINS0_13AUnaryFunctorIiiiZNS0_12_GLOBAL__N_121threshold_kernel_implIiEEvRNS_18TensorIteratorBaseET_S8_EUliiE_EEEEvS7_RKS8_EUlibE_EEviT1_
    .private_segment_fixed_size: 0
    .sgpr_count:     54
    .sgpr_spill_count: 0
    .symbol:         _ZN2at6native32elementwise_kernel_manual_unrollILi128ELi4EZNS0_15gpu_kernel_implINS0_13AUnaryFunctorIiiiZNS0_12_GLOBAL__N_121threshold_kernel_implIiEEvRNS_18TensorIteratorBaseET_S8_EUliiE_EEEEvS7_RKS8_EUlibE_EEviT1_.kd
    .uniform_work_group_size: 1
    .uses_dynamic_stack: false
    .vgpr_count:     12
    .vgpr_spill_count: 0
    .wavefront_size: 64
  - .args:
      - .offset:         0
        .size:           4
        .value_kind:     by_value
      - .offset:         8
        .size:           360
        .value_kind:     by_value
    .group_segment_fixed_size: 0
    .kernarg_segment_align: 8
    .kernarg_segment_size: 368
    .language:       OpenCL C
    .language_version:
      - 2
      - 0
    .max_flat_workgroup_size: 128
    .name:           _ZN2at6native32elementwise_kernel_manual_unrollILi128ELi4EZNS0_15gpu_kernel_implINS0_13AUnaryFunctorIiiiZNS0_12_GLOBAL__N_121threshold_kernel_implIiEEvRNS_18TensorIteratorBaseET_S8_EUliiE_EEEEvS7_RKS8_EUlibE0_EEviT1_
    .private_segment_fixed_size: 0
    .sgpr_count:     85
    .sgpr_spill_count: 0
    .symbol:         _ZN2at6native32elementwise_kernel_manual_unrollILi128ELi4EZNS0_15gpu_kernel_implINS0_13AUnaryFunctorIiiiZNS0_12_GLOBAL__N_121threshold_kernel_implIiEEvRNS_18TensorIteratorBaseET_S8_EUliiE_EEEEvS7_RKS8_EUlibE0_EEviT1_.kd
    .uniform_work_group_size: 1
    .uses_dynamic_stack: false
    .vgpr_count:     18
    .vgpr_spill_count: 0
    .wavefront_size: 64
  - .args:
      - .offset:         0
        .size:           4
        .value_kind:     by_value
      - .offset:         4
        .size:           12
        .value_kind:     by_value
      - .offset:         16
        .size:           16
        .value_kind:     by_value
    .group_segment_fixed_size: 0
    .kernarg_segment_align: 8
    .kernarg_segment_size: 32
    .language:       OpenCL C
    .language_version:
      - 2
      - 0
    .max_flat_workgroup_size: 256
    .name:           _ZN2at6native29vectorized_elementwise_kernelILi16ENS0_13BUnaryFunctorIiiiZNS0_12_GLOBAL__N_121threshold_kernel_implIiEEvRNS_18TensorIteratorBaseET_S7_EUliiE_EESt5arrayIPcLm2EEEEviT0_T1_
    .private_segment_fixed_size: 0
    .sgpr_count:     22
    .sgpr_spill_count: 0
    .symbol:         _ZN2at6native29vectorized_elementwise_kernelILi16ENS0_13BUnaryFunctorIiiiZNS0_12_GLOBAL__N_121threshold_kernel_implIiEEvRNS_18TensorIteratorBaseET_S7_EUliiE_EESt5arrayIPcLm2EEEEviT0_T1_.kd
    .uniform_work_group_size: 1
    .uses_dynamic_stack: false
    .vgpr_count:     11
    .vgpr_spill_count: 0
    .wavefront_size: 64
  - .args:
      - .offset:         0
        .size:           4
        .value_kind:     by_value
      - .offset:         4
        .size:           12
        .value_kind:     by_value
      - .offset:         16
        .size:           16
        .value_kind:     by_value
    .group_segment_fixed_size: 0
    .kernarg_segment_align: 8
    .kernarg_segment_size: 32
    .language:       OpenCL C
    .language_version:
      - 2
      - 0
    .max_flat_workgroup_size: 256
    .name:           _ZN2at6native29vectorized_elementwise_kernelILi8ENS0_13BUnaryFunctorIiiiZNS0_12_GLOBAL__N_121threshold_kernel_implIiEEvRNS_18TensorIteratorBaseET_S7_EUliiE_EESt5arrayIPcLm2EEEEviT0_T1_
    .private_segment_fixed_size: 0
    .sgpr_count:     22
    .sgpr_spill_count: 0
    .symbol:         _ZN2at6native29vectorized_elementwise_kernelILi8ENS0_13BUnaryFunctorIiiiZNS0_12_GLOBAL__N_121threshold_kernel_implIiEEvRNS_18TensorIteratorBaseET_S7_EUliiE_EESt5arrayIPcLm2EEEEviT0_T1_.kd
    .uniform_work_group_size: 1
    .uses_dynamic_stack: false
    .vgpr_count:     11
    .vgpr_spill_count: 0
    .wavefront_size: 64
  - .args:
      - .offset:         0
        .size:           4
        .value_kind:     by_value
      - .offset:         4
        .size:           12
        .value_kind:     by_value
      - .offset:         16
        .size:           16
        .value_kind:     by_value
    .group_segment_fixed_size: 0
    .kernarg_segment_align: 8
    .kernarg_segment_size: 32
    .language:       OpenCL C
    .language_version:
      - 2
      - 0
    .max_flat_workgroup_size: 256
    .name:           _ZN2at6native29vectorized_elementwise_kernelILi4ENS0_13BUnaryFunctorIiiiZNS0_12_GLOBAL__N_121threshold_kernel_implIiEEvRNS_18TensorIteratorBaseET_S7_EUliiE_EESt5arrayIPcLm2EEEEviT0_T1_
    .private_segment_fixed_size: 0
    .sgpr_count:     22
    .sgpr_spill_count: 0
    .symbol:         _ZN2at6native29vectorized_elementwise_kernelILi4ENS0_13BUnaryFunctorIiiiZNS0_12_GLOBAL__N_121threshold_kernel_implIiEEvRNS_18TensorIteratorBaseET_S7_EUliiE_EESt5arrayIPcLm2EEEEviT0_T1_.kd
    .uniform_work_group_size: 1
    .uses_dynamic_stack: false
    .vgpr_count:     11
    .vgpr_spill_count: 0
    .wavefront_size: 64
  - .args:
      - .offset:         0
        .size:           4
        .value_kind:     by_value
      - .offset:         4
        .size:           12
        .value_kind:     by_value
      - .offset:         16
        .size:           16
        .value_kind:     by_value
    .group_segment_fixed_size: 0
    .kernarg_segment_align: 8
    .kernarg_segment_size: 32
    .language:       OpenCL C
    .language_version:
      - 2
      - 0
    .max_flat_workgroup_size: 256
    .name:           _ZN2at6native29vectorized_elementwise_kernelILi2ENS0_13BUnaryFunctorIiiiZNS0_12_GLOBAL__N_121threshold_kernel_implIiEEvRNS_18TensorIteratorBaseET_S7_EUliiE_EESt5arrayIPcLm2EEEEviT0_T1_
    .private_segment_fixed_size: 0
    .sgpr_count:     22
    .sgpr_spill_count: 0
    .symbol:         _ZN2at6native29vectorized_elementwise_kernelILi2ENS0_13BUnaryFunctorIiiiZNS0_12_GLOBAL__N_121threshold_kernel_implIiEEvRNS_18TensorIteratorBaseET_S7_EUliiE_EESt5arrayIPcLm2EEEEviT0_T1_.kd
    .uniform_work_group_size: 1
    .uses_dynamic_stack: false
    .vgpr_count:     11
    .vgpr_spill_count: 0
    .wavefront_size: 64
  - .args:
      - .offset:         0
        .size:           4
        .value_kind:     by_value
      - .offset:         4
        .size:           12
        .value_kind:     by_value
      - .offset:         16
        .size:           16
        .value_kind:     by_value
      - .offset:         32
        .size:           1
        .value_kind:     by_value
      - .offset:         33
        .size:           1
        .value_kind:     by_value
      - .offset:         34
        .size:           1
        .value_kind:     by_value
      - .offset:         35
        .size:           1
        .value_kind:     by_value
    .group_segment_fixed_size: 0
    .kernarg_segment_align: 8
    .kernarg_segment_size: 36
    .language:       OpenCL C
    .language_version:
      - 2
      - 0
    .max_flat_workgroup_size: 256
    .name:           _ZN2at6native27unrolled_elementwise_kernelINS0_13BUnaryFunctorIiiiZNS0_12_GLOBAL__N_121threshold_kernel_implIiEEvRNS_18TensorIteratorBaseET_S7_EUliiE_EESt5arrayIPcLm2EELi4E23TrivialOffsetCalculatorILi1EjESE_NS0_6memory15LoadWithoutCastENSF_16StoreWithoutCastEEEviS7_T0_T2_T3_T4_T5_
    .private_segment_fixed_size: 0
    .sgpr_count:     23
    .sgpr_spill_count: 0
    .symbol:         _ZN2at6native27unrolled_elementwise_kernelINS0_13BUnaryFunctorIiiiZNS0_12_GLOBAL__N_121threshold_kernel_implIiEEvRNS_18TensorIteratorBaseET_S7_EUliiE_EESt5arrayIPcLm2EELi4E23TrivialOffsetCalculatorILi1EjESE_NS0_6memory15LoadWithoutCastENSF_16StoreWithoutCastEEEviS7_T0_T2_T3_T4_T5_.kd
    .uniform_work_group_size: 1
    .uses_dynamic_stack: false
    .vgpr_count:     11
    .vgpr_spill_count: 0
    .wavefront_size: 64
  - .args:
      - .offset:         0
        .size:           4
        .value_kind:     by_value
      - .offset:         8
        .size:           360
        .value_kind:     by_value
    .group_segment_fixed_size: 0
    .kernarg_segment_align: 8
    .kernarg_segment_size: 368
    .language:       OpenCL C
    .language_version:
      - 2
      - 0
    .max_flat_workgroup_size: 128
    .name:           _ZN2at6native32elementwise_kernel_manual_unrollILi128ELi4EZNS0_22gpu_kernel_impl_nocastINS0_13BUnaryFunctorIiiiZNS0_12_GLOBAL__N_121threshold_kernel_implIiEEvRNS_18TensorIteratorBaseET_S8_EUliiE_EEEEvS7_RKS8_EUlibE_EEviT1_
    .private_segment_fixed_size: 0
    .sgpr_count:     67
    .sgpr_spill_count: 0
    .symbol:         _ZN2at6native32elementwise_kernel_manual_unrollILi128ELi4EZNS0_22gpu_kernel_impl_nocastINS0_13BUnaryFunctorIiiiZNS0_12_GLOBAL__N_121threshold_kernel_implIiEEvRNS_18TensorIteratorBaseET_S8_EUliiE_EEEEvS7_RKS8_EUlibE_EEviT1_.kd
    .uniform_work_group_size: 1
    .uses_dynamic_stack: false
    .vgpr_count:     18
    .vgpr_spill_count: 0
    .wavefront_size: 64
  - .args:
      - .offset:         0
        .size:           4
        .value_kind:     by_value
      - .offset:         8
        .size:           40
        .value_kind:     by_value
    .group_segment_fixed_size: 0
    .kernarg_segment_align: 8
    .kernarg_segment_size: 48
    .language:       OpenCL C
    .language_version:
      - 2
      - 0
    .max_flat_workgroup_size: 128
    .name:           _ZN2at6native32elementwise_kernel_manual_unrollILi128ELi4EZNS0_15gpu_kernel_implINS0_13BUnaryFunctorIiiiZNS0_12_GLOBAL__N_121threshold_kernel_implIiEEvRNS_18TensorIteratorBaseET_S8_EUliiE_EEEEvS7_RKS8_EUlibE_EEviT1_
    .private_segment_fixed_size: 0
    .sgpr_count:     52
    .sgpr_spill_count: 0
    .symbol:         _ZN2at6native32elementwise_kernel_manual_unrollILi128ELi4EZNS0_15gpu_kernel_implINS0_13BUnaryFunctorIiiiZNS0_12_GLOBAL__N_121threshold_kernel_implIiEEvRNS_18TensorIteratorBaseET_S8_EUliiE_EEEEvS7_RKS8_EUlibE_EEviT1_.kd
    .uniform_work_group_size: 1
    .uses_dynamic_stack: false
    .vgpr_count:     12
    .vgpr_spill_count: 0
    .wavefront_size: 64
  - .args:
      - .offset:         0
        .size:           4
        .value_kind:     by_value
      - .offset:         8
        .size:           360
        .value_kind:     by_value
    .group_segment_fixed_size: 0
    .kernarg_segment_align: 8
    .kernarg_segment_size: 368
    .language:       OpenCL C
    .language_version:
      - 2
      - 0
    .max_flat_workgroup_size: 128
    .name:           _ZN2at6native32elementwise_kernel_manual_unrollILi128ELi4EZNS0_15gpu_kernel_implINS0_13BUnaryFunctorIiiiZNS0_12_GLOBAL__N_121threshold_kernel_implIiEEvRNS_18TensorIteratorBaseET_S8_EUliiE_EEEEvS7_RKS8_EUlibE0_EEviT1_
    .private_segment_fixed_size: 0
    .sgpr_count:     85
    .sgpr_spill_count: 0
    .symbol:         _ZN2at6native32elementwise_kernel_manual_unrollILi128ELi4EZNS0_15gpu_kernel_implINS0_13BUnaryFunctorIiiiZNS0_12_GLOBAL__N_121threshold_kernel_implIiEEvRNS_18TensorIteratorBaseET_S8_EUliiE_EEEEvS7_RKS8_EUlibE0_EEviT1_.kd
    .uniform_work_group_size: 1
    .uses_dynamic_stack: false
    .vgpr_count:     18
    .vgpr_spill_count: 0
    .wavefront_size: 64
  - .args:
      - .offset:         0
        .size:           4
        .value_kind:     by_value
      - .offset:         4
        .size:           8
        .value_kind:     by_value
      - .offset:         16
        .size:           24
        .value_kind:     by_value
    .group_segment_fixed_size: 0
    .kernarg_segment_align: 8
    .kernarg_segment_size: 40
    .language:       OpenCL C
    .language_version:
      - 2
      - 0
    .max_flat_workgroup_size: 256
    .name:           _ZN2at6native29vectorized_elementwise_kernelILi16ENS0_13BinaryFunctorIiiiZNS0_12_GLOBAL__N_121threshold_kernel_implIiEEvRNS_18TensorIteratorBaseET_S7_EUliiE_EESt5arrayIPcLm3EEEEviT0_T1_
    .private_segment_fixed_size: 0
    .sgpr_count:     22
    .sgpr_spill_count: 0
    .symbol:         _ZN2at6native29vectorized_elementwise_kernelILi16ENS0_13BinaryFunctorIiiiZNS0_12_GLOBAL__N_121threshold_kernel_implIiEEvRNS_18TensorIteratorBaseET_S7_EUliiE_EESt5arrayIPcLm3EEEEviT0_T1_.kd
    .uniform_work_group_size: 1
    .uses_dynamic_stack: false
    .vgpr_count:     15
    .vgpr_spill_count: 0
    .wavefront_size: 64
  - .args:
      - .offset:         0
        .size:           4
        .value_kind:     by_value
      - .offset:         4
        .size:           8
        .value_kind:     by_value
      - .offset:         16
        .size:           24
        .value_kind:     by_value
    .group_segment_fixed_size: 0
    .kernarg_segment_align: 8
    .kernarg_segment_size: 40
    .language:       OpenCL C
    .language_version:
      - 2
      - 0
    .max_flat_workgroup_size: 256
    .name:           _ZN2at6native29vectorized_elementwise_kernelILi8ENS0_13BinaryFunctorIiiiZNS0_12_GLOBAL__N_121threshold_kernel_implIiEEvRNS_18TensorIteratorBaseET_S7_EUliiE_EESt5arrayIPcLm3EEEEviT0_T1_
    .private_segment_fixed_size: 0
    .sgpr_count:     22
    .sgpr_spill_count: 0
    .symbol:         _ZN2at6native29vectorized_elementwise_kernelILi8ENS0_13BinaryFunctorIiiiZNS0_12_GLOBAL__N_121threshold_kernel_implIiEEvRNS_18TensorIteratorBaseET_S7_EUliiE_EESt5arrayIPcLm3EEEEviT0_T1_.kd
    .uniform_work_group_size: 1
    .uses_dynamic_stack: false
    .vgpr_count:     15
    .vgpr_spill_count: 0
    .wavefront_size: 64
  - .args:
      - .offset:         0
        .size:           4
        .value_kind:     by_value
      - .offset:         4
        .size:           8
        .value_kind:     by_value
      - .offset:         16
        .size:           24
        .value_kind:     by_value
    .group_segment_fixed_size: 0
    .kernarg_segment_align: 8
    .kernarg_segment_size: 40
    .language:       OpenCL C
    .language_version:
      - 2
      - 0
    .max_flat_workgroup_size: 256
    .name:           _ZN2at6native29vectorized_elementwise_kernelILi4ENS0_13BinaryFunctorIiiiZNS0_12_GLOBAL__N_121threshold_kernel_implIiEEvRNS_18TensorIteratorBaseET_S7_EUliiE_EESt5arrayIPcLm3EEEEviT0_T1_
    .private_segment_fixed_size: 0
    .sgpr_count:     22
    .sgpr_spill_count: 0
    .symbol:         _ZN2at6native29vectorized_elementwise_kernelILi4ENS0_13BinaryFunctorIiiiZNS0_12_GLOBAL__N_121threshold_kernel_implIiEEvRNS_18TensorIteratorBaseET_S7_EUliiE_EESt5arrayIPcLm3EEEEviT0_T1_.kd
    .uniform_work_group_size: 1
    .uses_dynamic_stack: false
    .vgpr_count:     15
    .vgpr_spill_count: 0
    .wavefront_size: 64
  - .args:
      - .offset:         0
        .size:           4
        .value_kind:     by_value
      - .offset:         4
        .size:           8
        .value_kind:     by_value
      - .offset:         16
        .size:           24
        .value_kind:     by_value
    .group_segment_fixed_size: 0
    .kernarg_segment_align: 8
    .kernarg_segment_size: 40
    .language:       OpenCL C
    .language_version:
      - 2
      - 0
    .max_flat_workgroup_size: 256
    .name:           _ZN2at6native29vectorized_elementwise_kernelILi2ENS0_13BinaryFunctorIiiiZNS0_12_GLOBAL__N_121threshold_kernel_implIiEEvRNS_18TensorIteratorBaseET_S7_EUliiE_EESt5arrayIPcLm3EEEEviT0_T1_
    .private_segment_fixed_size: 0
    .sgpr_count:     22
    .sgpr_spill_count: 0
    .symbol:         _ZN2at6native29vectorized_elementwise_kernelILi2ENS0_13BinaryFunctorIiiiZNS0_12_GLOBAL__N_121threshold_kernel_implIiEEvRNS_18TensorIteratorBaseET_S7_EUliiE_EESt5arrayIPcLm3EEEEviT0_T1_.kd
    .uniform_work_group_size: 1
    .uses_dynamic_stack: false
    .vgpr_count:     15
    .vgpr_spill_count: 0
    .wavefront_size: 64
  - .args:
      - .offset:         0
        .size:           4
        .value_kind:     by_value
      - .offset:         4
        .size:           8
        .value_kind:     by_value
      - .offset:         16
        .size:           24
        .value_kind:     by_value
      - .offset:         40
        .size:           1
        .value_kind:     by_value
      - .offset:         41
        .size:           1
        .value_kind:     by_value
      - .offset:         42
        .size:           1
        .value_kind:     by_value
      - .offset:         43
        .size:           1
        .value_kind:     by_value
    .group_segment_fixed_size: 0
    .kernarg_segment_align: 8
    .kernarg_segment_size: 44
    .language:       OpenCL C
    .language_version:
      - 2
      - 0
    .max_flat_workgroup_size: 256
    .name:           _ZN2at6native27unrolled_elementwise_kernelINS0_13BinaryFunctorIiiiZNS0_12_GLOBAL__N_121threshold_kernel_implIiEEvRNS_18TensorIteratorBaseET_S7_EUliiE_EESt5arrayIPcLm3EELi4E23TrivialOffsetCalculatorILi2EjESD_ILi1EjENS0_6memory15LoadWithoutCastENSG_16StoreWithoutCastEEEviS7_T0_T2_T3_T4_T5_
    .private_segment_fixed_size: 0
    .sgpr_count:     24
    .sgpr_spill_count: 0
    .symbol:         _ZN2at6native27unrolled_elementwise_kernelINS0_13BinaryFunctorIiiiZNS0_12_GLOBAL__N_121threshold_kernel_implIiEEvRNS_18TensorIteratorBaseET_S7_EUliiE_EESt5arrayIPcLm3EELi4E23TrivialOffsetCalculatorILi2EjESD_ILi1EjENS0_6memory15LoadWithoutCastENSG_16StoreWithoutCastEEEviS7_T0_T2_T3_T4_T5_.kd
    .uniform_work_group_size: 1
    .uses_dynamic_stack: false
    .vgpr_count:     16
    .vgpr_spill_count: 0
    .wavefront_size: 64
  - .args:
      - .offset:         0
        .size:           4
        .value_kind:     by_value
      - .offset:         8
        .size:           424
        .value_kind:     by_value
    .group_segment_fixed_size: 0
    .kernarg_segment_align: 8
    .kernarg_segment_size: 432
    .language:       OpenCL C
    .language_version:
      - 2
      - 0
    .max_flat_workgroup_size: 128
    .name:           _ZN2at6native32elementwise_kernel_manual_unrollILi128ELi4EZNS0_22gpu_kernel_impl_nocastINS0_13BinaryFunctorIiiiZNS0_12_GLOBAL__N_121threshold_kernel_implIiEEvRNS_18TensorIteratorBaseET_S8_EUliiE_EEEEvS7_RKS8_EUlibE_EEviT1_
    .private_segment_fixed_size: 0
    .sgpr_count:     56
    .sgpr_spill_count: 0
    .symbol:         _ZN2at6native32elementwise_kernel_manual_unrollILi128ELi4EZNS0_22gpu_kernel_impl_nocastINS0_13BinaryFunctorIiiiZNS0_12_GLOBAL__N_121threshold_kernel_implIiEEvRNS_18TensorIteratorBaseET_S8_EUliiE_EEEEvS7_RKS8_EUlibE_EEviT1_.kd
    .uniform_work_group_size: 1
    .uses_dynamic_stack: false
    .vgpr_count:     22
    .vgpr_spill_count: 0
    .wavefront_size: 64
  - .args:
      - .offset:         0
        .size:           4
        .value_kind:     by_value
      - .offset:         8
        .size:           48
        .value_kind:     by_value
    .group_segment_fixed_size: 0
    .kernarg_segment_align: 8
    .kernarg_segment_size: 56
    .language:       OpenCL C
    .language_version:
      - 2
      - 0
    .max_flat_workgroup_size: 128
    .name:           _ZN2at6native32elementwise_kernel_manual_unrollILi128ELi4EZNS0_15gpu_kernel_implINS0_13BinaryFunctorIiiiZNS0_12_GLOBAL__N_121threshold_kernel_implIiEEvRNS_18TensorIteratorBaseET_S8_EUliiE_EEEEvS7_RKS8_EUlibE_EEviT1_
    .private_segment_fixed_size: 0
    .sgpr_count:     62
    .sgpr_spill_count: 0
    .symbol:         _ZN2at6native32elementwise_kernel_manual_unrollILi128ELi4EZNS0_15gpu_kernel_implINS0_13BinaryFunctorIiiiZNS0_12_GLOBAL__N_121threshold_kernel_implIiEEvRNS_18TensorIteratorBaseET_S8_EUliiE_EEEEvS7_RKS8_EUlibE_EEviT1_.kd
    .uniform_work_group_size: 1
    .uses_dynamic_stack: false
    .vgpr_count:     16
    .vgpr_spill_count: 0
    .wavefront_size: 64
  - .args:
      - .offset:         0
        .size:           4
        .value_kind:     by_value
      - .offset:         8
        .size:           432
        .value_kind:     by_value
    .group_segment_fixed_size: 0
    .kernarg_segment_align: 8
    .kernarg_segment_size: 440
    .language:       OpenCL C
    .language_version:
      - 2
      - 0
    .max_flat_workgroup_size: 128
    .name:           _ZN2at6native32elementwise_kernel_manual_unrollILi128ELi4EZNS0_15gpu_kernel_implINS0_13BinaryFunctorIiiiZNS0_12_GLOBAL__N_121threshold_kernel_implIiEEvRNS_18TensorIteratorBaseET_S8_EUliiE_EEEEvS7_RKS8_EUlibE0_EEviT1_
    .private_segment_fixed_size: 0
    .sgpr_count:     86
    .sgpr_spill_count: 0
    .symbol:         _ZN2at6native32elementwise_kernel_manual_unrollILi128ELi4EZNS0_15gpu_kernel_implINS0_13BinaryFunctorIiiiZNS0_12_GLOBAL__N_121threshold_kernel_implIiEEvRNS_18TensorIteratorBaseET_S8_EUliiE_EEEEvS7_RKS8_EUlibE0_EEviT1_.kd
    .uniform_work_group_size: 1
    .uses_dynamic_stack: false
    .vgpr_count:     24
    .vgpr_spill_count: 0
    .wavefront_size: 64
  - .args:
      - .offset:         0
        .size:           4
        .value_kind:     by_value
      - .offset:         8
        .size:           24
        .value_kind:     by_value
      - .offset:         32
        .size:           16
        .value_kind:     by_value
    .group_segment_fixed_size: 0
    .kernarg_segment_align: 8
    .kernarg_segment_size: 48
    .language:       OpenCL C
    .language_version:
      - 2
      - 0
    .max_flat_workgroup_size: 256
    .name:           _ZN2at6native29vectorized_elementwise_kernelILi16ENS0_13AUnaryFunctorIlllZNS0_12_GLOBAL__N_121threshold_kernel_implIlEEvRNS_18TensorIteratorBaseET_S7_EUlllE_EESt5arrayIPcLm2EEEEviT0_T1_
    .private_segment_fixed_size: 0
    .sgpr_count:     21
    .sgpr_spill_count: 0
    .symbol:         _ZN2at6native29vectorized_elementwise_kernelILi16ENS0_13AUnaryFunctorIlllZNS0_12_GLOBAL__N_121threshold_kernel_implIlEEvRNS_18TensorIteratorBaseET_S7_EUlllE_EESt5arrayIPcLm2EEEEviT0_T1_.kd
    .uniform_work_group_size: 1
    .uses_dynamic_stack: false
    .vgpr_count:     17
    .vgpr_spill_count: 0
    .wavefront_size: 64
  - .args:
      - .offset:         0
        .size:           4
        .value_kind:     by_value
      - .offset:         8
        .size:           24
        .value_kind:     by_value
      - .offset:         32
        .size:           16
        .value_kind:     by_value
    .group_segment_fixed_size: 0
    .kernarg_segment_align: 8
    .kernarg_segment_size: 48
    .language:       OpenCL C
    .language_version:
      - 2
      - 0
    .max_flat_workgroup_size: 256
    .name:           _ZN2at6native29vectorized_elementwise_kernelILi8ENS0_13AUnaryFunctorIlllZNS0_12_GLOBAL__N_121threshold_kernel_implIlEEvRNS_18TensorIteratorBaseET_S7_EUlllE_EESt5arrayIPcLm2EEEEviT0_T1_
    .private_segment_fixed_size: 0
    .sgpr_count:     21
    .sgpr_spill_count: 0
    .symbol:         _ZN2at6native29vectorized_elementwise_kernelILi8ENS0_13AUnaryFunctorIlllZNS0_12_GLOBAL__N_121threshold_kernel_implIlEEvRNS_18TensorIteratorBaseET_S7_EUlllE_EESt5arrayIPcLm2EEEEviT0_T1_.kd
    .uniform_work_group_size: 1
    .uses_dynamic_stack: false
    .vgpr_count:     17
    .vgpr_spill_count: 0
    .wavefront_size: 64
  - .args:
      - .offset:         0
        .size:           4
        .value_kind:     by_value
      - .offset:         8
        .size:           24
        .value_kind:     by_value
      - .offset:         32
        .size:           16
        .value_kind:     by_value
    .group_segment_fixed_size: 0
    .kernarg_segment_align: 8
    .kernarg_segment_size: 48
    .language:       OpenCL C
    .language_version:
      - 2
      - 0
    .max_flat_workgroup_size: 256
    .name:           _ZN2at6native29vectorized_elementwise_kernelILi4ENS0_13AUnaryFunctorIlllZNS0_12_GLOBAL__N_121threshold_kernel_implIlEEvRNS_18TensorIteratorBaseET_S7_EUlllE_EESt5arrayIPcLm2EEEEviT0_T1_
    .private_segment_fixed_size: 0
    .sgpr_count:     21
    .sgpr_spill_count: 0
    .symbol:         _ZN2at6native29vectorized_elementwise_kernelILi4ENS0_13AUnaryFunctorIlllZNS0_12_GLOBAL__N_121threshold_kernel_implIlEEvRNS_18TensorIteratorBaseET_S7_EUlllE_EESt5arrayIPcLm2EEEEviT0_T1_.kd
    .uniform_work_group_size: 1
    .uses_dynamic_stack: false
    .vgpr_count:     17
    .vgpr_spill_count: 0
    .wavefront_size: 64
  - .args:
      - .offset:         0
        .size:           4
        .value_kind:     by_value
      - .offset:         8
        .size:           24
        .value_kind:     by_value
      - .offset:         32
        .size:           16
        .value_kind:     by_value
    .group_segment_fixed_size: 0
    .kernarg_segment_align: 8
    .kernarg_segment_size: 48
    .language:       OpenCL C
    .language_version:
      - 2
      - 0
    .max_flat_workgroup_size: 256
    .name:           _ZN2at6native29vectorized_elementwise_kernelILi2ENS0_13AUnaryFunctorIlllZNS0_12_GLOBAL__N_121threshold_kernel_implIlEEvRNS_18TensorIteratorBaseET_S7_EUlllE_EESt5arrayIPcLm2EEEEviT0_T1_
    .private_segment_fixed_size: 0
    .sgpr_count:     21
    .sgpr_spill_count: 0
    .symbol:         _ZN2at6native29vectorized_elementwise_kernelILi2ENS0_13AUnaryFunctorIlllZNS0_12_GLOBAL__N_121threshold_kernel_implIlEEvRNS_18TensorIteratorBaseET_S7_EUlllE_EESt5arrayIPcLm2EEEEviT0_T1_.kd
    .uniform_work_group_size: 1
    .uses_dynamic_stack: false
    .vgpr_count:     17
    .vgpr_spill_count: 0
    .wavefront_size: 64
  - .args:
      - .offset:         0
        .size:           4
        .value_kind:     by_value
      - .offset:         8
        .size:           24
        .value_kind:     by_value
      - .offset:         32
        .size:           16
        .value_kind:     by_value
      - .offset:         48
        .size:           1
        .value_kind:     by_value
      - .offset:         49
        .size:           1
        .value_kind:     by_value
      - .offset:         50
        .size:           1
        .value_kind:     by_value
      - .offset:         51
        .size:           1
        .value_kind:     by_value
    .group_segment_fixed_size: 0
    .kernarg_segment_align: 8
    .kernarg_segment_size: 52
    .language:       OpenCL C
    .language_version:
      - 2
      - 0
    .max_flat_workgroup_size: 256
    .name:           _ZN2at6native27unrolled_elementwise_kernelINS0_13AUnaryFunctorIlllZNS0_12_GLOBAL__N_121threshold_kernel_implIlEEvRNS_18TensorIteratorBaseET_S7_EUlllE_EESt5arrayIPcLm2EELi4E23TrivialOffsetCalculatorILi1EjESE_NS0_6memory15LoadWithoutCastENSF_16StoreWithoutCastEEEviS7_T0_T2_T3_T4_T5_
    .private_segment_fixed_size: 0
    .sgpr_count:     22
    .sgpr_spill_count: 0
    .symbol:         _ZN2at6native27unrolled_elementwise_kernelINS0_13AUnaryFunctorIlllZNS0_12_GLOBAL__N_121threshold_kernel_implIlEEvRNS_18TensorIteratorBaseET_S7_EUlllE_EESt5arrayIPcLm2EELi4E23TrivialOffsetCalculatorILi1EjESE_NS0_6memory15LoadWithoutCastENSF_16StoreWithoutCastEEEviS7_T0_T2_T3_T4_T5_.kd
    .uniform_work_group_size: 1
    .uses_dynamic_stack: false
    .vgpr_count:     17
    .vgpr_spill_count: 0
    .wavefront_size: 64
  - .args:
      - .offset:         0
        .size:           4
        .value_kind:     by_value
      - .offset:         8
        .size:           368
        .value_kind:     by_value
    .group_segment_fixed_size: 0
    .kernarg_segment_align: 8
    .kernarg_segment_size: 376
    .language:       OpenCL C
    .language_version:
      - 2
      - 0
    .max_flat_workgroup_size: 128
    .name:           _ZN2at6native32elementwise_kernel_manual_unrollILi128ELi4EZNS0_22gpu_kernel_impl_nocastINS0_13AUnaryFunctorIlllZNS0_12_GLOBAL__N_121threshold_kernel_implIlEEvRNS_18TensorIteratorBaseET_S8_EUlllE_EEEEvS7_RKS8_EUlibE_EEviT1_
    .private_segment_fixed_size: 0
    .sgpr_count:     68
    .sgpr_spill_count: 0
    .symbol:         _ZN2at6native32elementwise_kernel_manual_unrollILi128ELi4EZNS0_22gpu_kernel_impl_nocastINS0_13AUnaryFunctorIlllZNS0_12_GLOBAL__N_121threshold_kernel_implIlEEvRNS_18TensorIteratorBaseET_S8_EUlllE_EEEEvS7_RKS8_EUlibE_EEviT1_.kd
    .uniform_work_group_size: 1
    .uses_dynamic_stack: false
    .vgpr_count:     21
    .vgpr_spill_count: 0
    .wavefront_size: 64
  - .args:
      - .offset:         0
        .size:           4
        .value_kind:     by_value
      - .offset:         8
        .size:           56
        .value_kind:     by_value
    .group_segment_fixed_size: 0
    .kernarg_segment_align: 8
    .kernarg_segment_size: 64
    .language:       OpenCL C
    .language_version:
      - 2
      - 0
    .max_flat_workgroup_size: 128
    .name:           _ZN2at6native32elementwise_kernel_manual_unrollILi128ELi4EZNS0_15gpu_kernel_implINS0_13AUnaryFunctorIlllZNS0_12_GLOBAL__N_121threshold_kernel_implIlEEvRNS_18TensorIteratorBaseET_S8_EUlllE_EEEEvS7_RKS8_EUlibE_EEviT1_
    .private_segment_fixed_size: 0
    .sgpr_count:     58
    .sgpr_spill_count: 0
    .symbol:         _ZN2at6native32elementwise_kernel_manual_unrollILi128ELi4EZNS0_15gpu_kernel_implINS0_13AUnaryFunctorIlllZNS0_12_GLOBAL__N_121threshold_kernel_implIlEEvRNS_18TensorIteratorBaseET_S8_EUlllE_EEEEvS7_RKS8_EUlibE_EEviT1_.kd
    .uniform_work_group_size: 1
    .uses_dynamic_stack: false
    .vgpr_count:     15
    .vgpr_spill_count: 0
    .wavefront_size: 64
  - .args:
      - .offset:         0
        .size:           4
        .value_kind:     by_value
      - .offset:         8
        .size:           376
        .value_kind:     by_value
    .group_segment_fixed_size: 0
    .kernarg_segment_align: 8
    .kernarg_segment_size: 384
    .language:       OpenCL C
    .language_version:
      - 2
      - 0
    .max_flat_workgroup_size: 128
    .name:           _ZN2at6native32elementwise_kernel_manual_unrollILi128ELi4EZNS0_15gpu_kernel_implINS0_13AUnaryFunctorIlllZNS0_12_GLOBAL__N_121threshold_kernel_implIlEEvRNS_18TensorIteratorBaseET_S8_EUlllE_EEEEvS7_RKS8_EUlibE0_EEviT1_
    .private_segment_fixed_size: 0
    .sgpr_count:     86
    .sgpr_spill_count: 0
    .symbol:         _ZN2at6native32elementwise_kernel_manual_unrollILi128ELi4EZNS0_15gpu_kernel_implINS0_13AUnaryFunctorIlllZNS0_12_GLOBAL__N_121threshold_kernel_implIlEEvRNS_18TensorIteratorBaseET_S8_EUlllE_EEEEvS7_RKS8_EUlibE0_EEviT1_.kd
    .uniform_work_group_size: 1
    .uses_dynamic_stack: false
    .vgpr_count:     21
    .vgpr_spill_count: 0
    .wavefront_size: 64
  - .args:
      - .offset:         0
        .size:           4
        .value_kind:     by_value
      - .offset:         8
        .size:           24
        .value_kind:     by_value
      - .offset:         32
        .size:           16
        .value_kind:     by_value
    .group_segment_fixed_size: 0
    .kernarg_segment_align: 8
    .kernarg_segment_size: 48
    .language:       OpenCL C
    .language_version:
      - 2
      - 0
    .max_flat_workgroup_size: 256
    .name:           _ZN2at6native29vectorized_elementwise_kernelILi16ENS0_13BUnaryFunctorIlllZNS0_12_GLOBAL__N_121threshold_kernel_implIlEEvRNS_18TensorIteratorBaseET_S7_EUlllE_EESt5arrayIPcLm2EEEEviT0_T1_
    .private_segment_fixed_size: 0
    .sgpr_count:     26
    .sgpr_spill_count: 0
    .symbol:         _ZN2at6native29vectorized_elementwise_kernelILi16ENS0_13BUnaryFunctorIlllZNS0_12_GLOBAL__N_121threshold_kernel_implIlEEvRNS_18TensorIteratorBaseET_S7_EUlllE_EESt5arrayIPcLm2EEEEviT0_T1_.kd
    .uniform_work_group_size: 1
    .uses_dynamic_stack: false
    .vgpr_count:     19
    .vgpr_spill_count: 0
    .wavefront_size: 64
  - .args:
      - .offset:         0
        .size:           4
        .value_kind:     by_value
      - .offset:         8
        .size:           24
        .value_kind:     by_value
      - .offset:         32
        .size:           16
        .value_kind:     by_value
    .group_segment_fixed_size: 0
    .kernarg_segment_align: 8
    .kernarg_segment_size: 48
    .language:       OpenCL C
    .language_version:
      - 2
      - 0
    .max_flat_workgroup_size: 256
    .name:           _ZN2at6native29vectorized_elementwise_kernelILi8ENS0_13BUnaryFunctorIlllZNS0_12_GLOBAL__N_121threshold_kernel_implIlEEvRNS_18TensorIteratorBaseET_S7_EUlllE_EESt5arrayIPcLm2EEEEviT0_T1_
    .private_segment_fixed_size: 0
    .sgpr_count:     26
    .sgpr_spill_count: 0
    .symbol:         _ZN2at6native29vectorized_elementwise_kernelILi8ENS0_13BUnaryFunctorIlllZNS0_12_GLOBAL__N_121threshold_kernel_implIlEEvRNS_18TensorIteratorBaseET_S7_EUlllE_EESt5arrayIPcLm2EEEEviT0_T1_.kd
    .uniform_work_group_size: 1
    .uses_dynamic_stack: false
    .vgpr_count:     19
    .vgpr_spill_count: 0
    .wavefront_size: 64
  - .args:
      - .offset:         0
        .size:           4
        .value_kind:     by_value
      - .offset:         8
        .size:           24
        .value_kind:     by_value
      - .offset:         32
        .size:           16
        .value_kind:     by_value
    .group_segment_fixed_size: 0
    .kernarg_segment_align: 8
    .kernarg_segment_size: 48
    .language:       OpenCL C
    .language_version:
      - 2
      - 0
    .max_flat_workgroup_size: 256
    .name:           _ZN2at6native29vectorized_elementwise_kernelILi4ENS0_13BUnaryFunctorIlllZNS0_12_GLOBAL__N_121threshold_kernel_implIlEEvRNS_18TensorIteratorBaseET_S7_EUlllE_EESt5arrayIPcLm2EEEEviT0_T1_
    .private_segment_fixed_size: 0
    .sgpr_count:     26
    .sgpr_spill_count: 0
    .symbol:         _ZN2at6native29vectorized_elementwise_kernelILi4ENS0_13BUnaryFunctorIlllZNS0_12_GLOBAL__N_121threshold_kernel_implIlEEvRNS_18TensorIteratorBaseET_S7_EUlllE_EESt5arrayIPcLm2EEEEviT0_T1_.kd
    .uniform_work_group_size: 1
    .uses_dynamic_stack: false
    .vgpr_count:     19
    .vgpr_spill_count: 0
    .wavefront_size: 64
  - .args:
      - .offset:         0
        .size:           4
        .value_kind:     by_value
      - .offset:         8
        .size:           24
        .value_kind:     by_value
      - .offset:         32
        .size:           16
        .value_kind:     by_value
    .group_segment_fixed_size: 0
    .kernarg_segment_align: 8
    .kernarg_segment_size: 48
    .language:       OpenCL C
    .language_version:
      - 2
      - 0
    .max_flat_workgroup_size: 256
    .name:           _ZN2at6native29vectorized_elementwise_kernelILi2ENS0_13BUnaryFunctorIlllZNS0_12_GLOBAL__N_121threshold_kernel_implIlEEvRNS_18TensorIteratorBaseET_S7_EUlllE_EESt5arrayIPcLm2EEEEviT0_T1_
    .private_segment_fixed_size: 0
    .sgpr_count:     22
    .sgpr_spill_count: 0
    .symbol:         _ZN2at6native29vectorized_elementwise_kernelILi2ENS0_13BUnaryFunctorIlllZNS0_12_GLOBAL__N_121threshold_kernel_implIlEEvRNS_18TensorIteratorBaseET_S7_EUlllE_EESt5arrayIPcLm2EEEEviT0_T1_.kd
    .uniform_work_group_size: 1
    .uses_dynamic_stack: false
    .vgpr_count:     19
    .vgpr_spill_count: 0
    .wavefront_size: 64
  - .args:
      - .offset:         0
        .size:           4
        .value_kind:     by_value
      - .offset:         8
        .size:           24
        .value_kind:     by_value
      - .offset:         32
        .size:           16
        .value_kind:     by_value
      - .offset:         48
        .size:           1
        .value_kind:     by_value
      - .offset:         49
        .size:           1
        .value_kind:     by_value
      - .offset:         50
        .size:           1
        .value_kind:     by_value
      - .offset:         51
        .size:           1
        .value_kind:     by_value
    .group_segment_fixed_size: 0
    .kernarg_segment_align: 8
    .kernarg_segment_size: 52
    .language:       OpenCL C
    .language_version:
      - 2
      - 0
    .max_flat_workgroup_size: 256
    .name:           _ZN2at6native27unrolled_elementwise_kernelINS0_13BUnaryFunctorIlllZNS0_12_GLOBAL__N_121threshold_kernel_implIlEEvRNS_18TensorIteratorBaseET_S7_EUlllE_EESt5arrayIPcLm2EELi4E23TrivialOffsetCalculatorILi1EjESE_NS0_6memory15LoadWithoutCastENSF_16StoreWithoutCastEEEviS7_T0_T2_T3_T4_T5_
    .private_segment_fixed_size: 0
    .sgpr_count:     22
    .sgpr_spill_count: 0
    .symbol:         _ZN2at6native27unrolled_elementwise_kernelINS0_13BUnaryFunctorIlllZNS0_12_GLOBAL__N_121threshold_kernel_implIlEEvRNS_18TensorIteratorBaseET_S7_EUlllE_EESt5arrayIPcLm2EELi4E23TrivialOffsetCalculatorILi1EjESE_NS0_6memory15LoadWithoutCastENSF_16StoreWithoutCastEEEviS7_T0_T2_T3_T4_T5_.kd
    .uniform_work_group_size: 1
    .uses_dynamic_stack: false
    .vgpr_count:     19
    .vgpr_spill_count: 0
    .wavefront_size: 64
  - .args:
      - .offset:         0
        .size:           4
        .value_kind:     by_value
      - .offset:         8
        .size:           368
        .value_kind:     by_value
    .group_segment_fixed_size: 0
    .kernarg_segment_align: 8
    .kernarg_segment_size: 376
    .language:       OpenCL C
    .language_version:
      - 2
      - 0
    .max_flat_workgroup_size: 128
    .name:           _ZN2at6native32elementwise_kernel_manual_unrollILi128ELi4EZNS0_22gpu_kernel_impl_nocastINS0_13BUnaryFunctorIlllZNS0_12_GLOBAL__N_121threshold_kernel_implIlEEvRNS_18TensorIteratorBaseET_S8_EUlllE_EEEEvS7_RKS8_EUlibE_EEviT1_
    .private_segment_fixed_size: 0
    .sgpr_count:     70
    .sgpr_spill_count: 0
    .symbol:         _ZN2at6native32elementwise_kernel_manual_unrollILi128ELi4EZNS0_22gpu_kernel_impl_nocastINS0_13BUnaryFunctorIlllZNS0_12_GLOBAL__N_121threshold_kernel_implIlEEvRNS_18TensorIteratorBaseET_S8_EUlllE_EEEEvS7_RKS8_EUlibE_EEviT1_.kd
    .uniform_work_group_size: 1
    .uses_dynamic_stack: false
    .vgpr_count:     21
    .vgpr_spill_count: 0
    .wavefront_size: 64
  - .args:
      - .offset:         0
        .size:           4
        .value_kind:     by_value
      - .offset:         8
        .size:           56
        .value_kind:     by_value
    .group_segment_fixed_size: 0
    .kernarg_segment_align: 8
    .kernarg_segment_size: 64
    .language:       OpenCL C
    .language_version:
      - 2
      - 0
    .max_flat_workgroup_size: 128
    .name:           _ZN2at6native32elementwise_kernel_manual_unrollILi128ELi4EZNS0_15gpu_kernel_implINS0_13BUnaryFunctorIlllZNS0_12_GLOBAL__N_121threshold_kernel_implIlEEvRNS_18TensorIteratorBaseET_S8_EUlllE_EEEEvS7_RKS8_EUlibE_EEviT1_
    .private_segment_fixed_size: 0
    .sgpr_count:     56
    .sgpr_spill_count: 0
    .symbol:         _ZN2at6native32elementwise_kernel_manual_unrollILi128ELi4EZNS0_15gpu_kernel_implINS0_13BUnaryFunctorIlllZNS0_12_GLOBAL__N_121threshold_kernel_implIlEEvRNS_18TensorIteratorBaseET_S8_EUlllE_EEEEvS7_RKS8_EUlibE_EEviT1_.kd
    .uniform_work_group_size: 1
    .uses_dynamic_stack: false
    .vgpr_count:     15
    .vgpr_spill_count: 0
    .wavefront_size: 64
  - .args:
      - .offset:         0
        .size:           4
        .value_kind:     by_value
      - .offset:         8
        .size:           376
        .value_kind:     by_value
    .group_segment_fixed_size: 0
    .kernarg_segment_align: 8
    .kernarg_segment_size: 384
    .language:       OpenCL C
    .language_version:
      - 2
      - 0
    .max_flat_workgroup_size: 128
    .name:           _ZN2at6native32elementwise_kernel_manual_unrollILi128ELi4EZNS0_15gpu_kernel_implINS0_13BUnaryFunctorIlllZNS0_12_GLOBAL__N_121threshold_kernel_implIlEEvRNS_18TensorIteratorBaseET_S8_EUlllE_EEEEvS7_RKS8_EUlibE0_EEviT1_
    .private_segment_fixed_size: 0
    .sgpr_count:     88
    .sgpr_spill_count: 0
    .symbol:         _ZN2at6native32elementwise_kernel_manual_unrollILi128ELi4EZNS0_15gpu_kernel_implINS0_13BUnaryFunctorIlllZNS0_12_GLOBAL__N_121threshold_kernel_implIlEEvRNS_18TensorIteratorBaseET_S8_EUlllE_EEEEvS7_RKS8_EUlibE0_EEviT1_.kd
    .uniform_work_group_size: 1
    .uses_dynamic_stack: false
    .vgpr_count:     21
    .vgpr_spill_count: 0
    .wavefront_size: 64
  - .args:
      - .offset:         0
        .size:           4
        .value_kind:     by_value
      - .offset:         8
        .size:           16
        .value_kind:     by_value
      - .offset:         24
        .size:           24
        .value_kind:     by_value
    .group_segment_fixed_size: 0
    .kernarg_segment_align: 8
    .kernarg_segment_size: 48
    .language:       OpenCL C
    .language_version:
      - 2
      - 0
    .max_flat_workgroup_size: 256
    .name:           _ZN2at6native29vectorized_elementwise_kernelILi16ENS0_13BinaryFunctorIlllZNS0_12_GLOBAL__N_121threshold_kernel_implIlEEvRNS_18TensorIteratorBaseET_S7_EUlllE_EESt5arrayIPcLm3EEEEviT0_T1_
    .private_segment_fixed_size: 0
    .sgpr_count:     24
    .sgpr_spill_count: 0
    .symbol:         _ZN2at6native29vectorized_elementwise_kernelILi16ENS0_13BinaryFunctorIlllZNS0_12_GLOBAL__N_121threshold_kernel_implIlEEvRNS_18TensorIteratorBaseET_S7_EUlllE_EESt5arrayIPcLm3EEEEviT0_T1_.kd
    .uniform_work_group_size: 1
    .uses_dynamic_stack: false
    .vgpr_count:     23
    .vgpr_spill_count: 0
    .wavefront_size: 64
  - .args:
      - .offset:         0
        .size:           4
        .value_kind:     by_value
      - .offset:         8
        .size:           16
        .value_kind:     by_value
      - .offset:         24
        .size:           24
        .value_kind:     by_value
    .group_segment_fixed_size: 0
    .kernarg_segment_align: 8
    .kernarg_segment_size: 48
    .language:       OpenCL C
    .language_version:
      - 2
      - 0
    .max_flat_workgroup_size: 256
    .name:           _ZN2at6native29vectorized_elementwise_kernelILi8ENS0_13BinaryFunctorIlllZNS0_12_GLOBAL__N_121threshold_kernel_implIlEEvRNS_18TensorIteratorBaseET_S7_EUlllE_EESt5arrayIPcLm3EEEEviT0_T1_
    .private_segment_fixed_size: 0
    .sgpr_count:     24
    .sgpr_spill_count: 0
    .symbol:         _ZN2at6native29vectorized_elementwise_kernelILi8ENS0_13BinaryFunctorIlllZNS0_12_GLOBAL__N_121threshold_kernel_implIlEEvRNS_18TensorIteratorBaseET_S7_EUlllE_EESt5arrayIPcLm3EEEEviT0_T1_.kd
    .uniform_work_group_size: 1
    .uses_dynamic_stack: false
    .vgpr_count:     23
    .vgpr_spill_count: 0
    .wavefront_size: 64
  - .args:
      - .offset:         0
        .size:           4
        .value_kind:     by_value
      - .offset:         8
        .size:           16
        .value_kind:     by_value
      - .offset:         24
        .size:           24
        .value_kind:     by_value
    .group_segment_fixed_size: 0
    .kernarg_segment_align: 8
    .kernarg_segment_size: 48
    .language:       OpenCL C
    .language_version:
      - 2
      - 0
    .max_flat_workgroup_size: 256
    .name:           _ZN2at6native29vectorized_elementwise_kernelILi4ENS0_13BinaryFunctorIlllZNS0_12_GLOBAL__N_121threshold_kernel_implIlEEvRNS_18TensorIteratorBaseET_S7_EUlllE_EESt5arrayIPcLm3EEEEviT0_T1_
    .private_segment_fixed_size: 0
    .sgpr_count:     24
    .sgpr_spill_count: 0
    .symbol:         _ZN2at6native29vectorized_elementwise_kernelILi4ENS0_13BinaryFunctorIlllZNS0_12_GLOBAL__N_121threshold_kernel_implIlEEvRNS_18TensorIteratorBaseET_S7_EUlllE_EESt5arrayIPcLm3EEEEviT0_T1_.kd
    .uniform_work_group_size: 1
    .uses_dynamic_stack: false
    .vgpr_count:     23
    .vgpr_spill_count: 0
    .wavefront_size: 64
  - .args:
      - .offset:         0
        .size:           4
        .value_kind:     by_value
      - .offset:         8
        .size:           16
        .value_kind:     by_value
      - .offset:         24
        .size:           24
        .value_kind:     by_value
    .group_segment_fixed_size: 0
    .kernarg_segment_align: 8
    .kernarg_segment_size: 48
    .language:       OpenCL C
    .language_version:
      - 2
      - 0
    .max_flat_workgroup_size: 256
    .name:           _ZN2at6native29vectorized_elementwise_kernelILi2ENS0_13BinaryFunctorIlllZNS0_12_GLOBAL__N_121threshold_kernel_implIlEEvRNS_18TensorIteratorBaseET_S7_EUlllE_EESt5arrayIPcLm3EEEEviT0_T1_
    .private_segment_fixed_size: 0
    .sgpr_count:     24
    .sgpr_spill_count: 0
    .symbol:         _ZN2at6native29vectorized_elementwise_kernelILi2ENS0_13BinaryFunctorIlllZNS0_12_GLOBAL__N_121threshold_kernel_implIlEEvRNS_18TensorIteratorBaseET_S7_EUlllE_EESt5arrayIPcLm3EEEEviT0_T1_.kd
    .uniform_work_group_size: 1
    .uses_dynamic_stack: false
    .vgpr_count:     23
    .vgpr_spill_count: 0
    .wavefront_size: 64
  - .args:
      - .offset:         0
        .size:           4
        .value_kind:     by_value
      - .offset:         8
        .size:           16
        .value_kind:     by_value
      - .offset:         24
        .size:           24
        .value_kind:     by_value
      - .offset:         48
        .size:           1
        .value_kind:     by_value
      - .offset:         49
        .size:           1
        .value_kind:     by_value
      - .offset:         50
        .size:           1
        .value_kind:     by_value
      - .offset:         51
        .size:           1
        .value_kind:     by_value
    .group_segment_fixed_size: 0
    .kernarg_segment_align: 8
    .kernarg_segment_size: 52
    .language:       OpenCL C
    .language_version:
      - 2
      - 0
    .max_flat_workgroup_size: 256
    .name:           _ZN2at6native27unrolled_elementwise_kernelINS0_13BinaryFunctorIlllZNS0_12_GLOBAL__N_121threshold_kernel_implIlEEvRNS_18TensorIteratorBaseET_S7_EUlllE_EESt5arrayIPcLm3EELi4E23TrivialOffsetCalculatorILi2EjESD_ILi1EjENS0_6memory15LoadWithoutCastENSG_16StoreWithoutCastEEEviS7_T0_T2_T3_T4_T5_
    .private_segment_fixed_size: 0
    .sgpr_count:     20
    .sgpr_spill_count: 0
    .symbol:         _ZN2at6native27unrolled_elementwise_kernelINS0_13BinaryFunctorIlllZNS0_12_GLOBAL__N_121threshold_kernel_implIlEEvRNS_18TensorIteratorBaseET_S7_EUlllE_EESt5arrayIPcLm3EELi4E23TrivialOffsetCalculatorILi2EjESD_ILi1EjENS0_6memory15LoadWithoutCastENSG_16StoreWithoutCastEEEviS7_T0_T2_T3_T4_T5_.kd
    .uniform_work_group_size: 1
    .uses_dynamic_stack: false
    .vgpr_count:     23
    .vgpr_spill_count: 0
    .wavefront_size: 64
  - .args:
      - .offset:         0
        .size:           4
        .value_kind:     by_value
      - .offset:         8
        .size:           432
        .value_kind:     by_value
    .group_segment_fixed_size: 0
    .kernarg_segment_align: 8
    .kernarg_segment_size: 440
    .language:       OpenCL C
    .language_version:
      - 2
      - 0
    .max_flat_workgroup_size: 128
    .name:           _ZN2at6native32elementwise_kernel_manual_unrollILi128ELi4EZNS0_22gpu_kernel_impl_nocastINS0_13BinaryFunctorIlllZNS0_12_GLOBAL__N_121threshold_kernel_implIlEEvRNS_18TensorIteratorBaseET_S8_EUlllE_EEEEvS7_RKS8_EUlibE_EEviT1_
    .private_segment_fixed_size: 0
    .sgpr_count:     58
    .sgpr_spill_count: 0
    .symbol:         _ZN2at6native32elementwise_kernel_manual_unrollILi128ELi4EZNS0_22gpu_kernel_impl_nocastINS0_13BinaryFunctorIlllZNS0_12_GLOBAL__N_121threshold_kernel_implIlEEvRNS_18TensorIteratorBaseET_S8_EUlllE_EEEEvS7_RKS8_EUlibE_EEviT1_.kd
    .uniform_work_group_size: 1
    .uses_dynamic_stack: false
    .vgpr_count:     24
    .vgpr_spill_count: 0
    .wavefront_size: 64
  - .args:
      - .offset:         0
        .size:           4
        .value_kind:     by_value
      - .offset:         8
        .size:           64
        .value_kind:     by_value
    .group_segment_fixed_size: 0
    .kernarg_segment_align: 8
    .kernarg_segment_size: 72
    .language:       OpenCL C
    .language_version:
      - 2
      - 0
    .max_flat_workgroup_size: 128
    .name:           _ZN2at6native32elementwise_kernel_manual_unrollILi128ELi4EZNS0_15gpu_kernel_implINS0_13BinaryFunctorIlllZNS0_12_GLOBAL__N_121threshold_kernel_implIlEEvRNS_18TensorIteratorBaseET_S8_EUlllE_EEEEvS7_RKS8_EUlibE_EEviT1_
    .private_segment_fixed_size: 0
    .sgpr_count:     64
    .sgpr_spill_count: 0
    .symbol:         _ZN2at6native32elementwise_kernel_manual_unrollILi128ELi4EZNS0_15gpu_kernel_implINS0_13BinaryFunctorIlllZNS0_12_GLOBAL__N_121threshold_kernel_implIlEEvRNS_18TensorIteratorBaseET_S8_EUlllE_EEEEvS7_RKS8_EUlibE_EEviT1_.kd
    .uniform_work_group_size: 1
    .uses_dynamic_stack: false
    .vgpr_count:     23
    .vgpr_spill_count: 0
    .wavefront_size: 64
  - .args:
      - .offset:         0
        .size:           4
        .value_kind:     by_value
      - .offset:         8
        .size:           440
        .value_kind:     by_value
    .group_segment_fixed_size: 0
    .kernarg_segment_align: 8
    .kernarg_segment_size: 448
    .language:       OpenCL C
    .language_version:
      - 2
      - 0
    .max_flat_workgroup_size: 128
    .name:           _ZN2at6native32elementwise_kernel_manual_unrollILi128ELi4EZNS0_15gpu_kernel_implINS0_13BinaryFunctorIlllZNS0_12_GLOBAL__N_121threshold_kernel_implIlEEvRNS_18TensorIteratorBaseET_S8_EUlllE_EEEEvS7_RKS8_EUlibE0_EEviT1_
    .private_segment_fixed_size: 0
    .sgpr_count:     88
    .sgpr_spill_count: 0
    .symbol:         _ZN2at6native32elementwise_kernel_manual_unrollILi128ELi4EZNS0_15gpu_kernel_implINS0_13BinaryFunctorIlllZNS0_12_GLOBAL__N_121threshold_kernel_implIlEEvRNS_18TensorIteratorBaseET_S8_EUlllE_EEEEvS7_RKS8_EUlibE0_EEviT1_.kd
    .uniform_work_group_size: 1
    .uses_dynamic_stack: false
    .vgpr_count:     31
    .vgpr_spill_count: 0
    .wavefront_size: 64
  - .args:
      - .offset:         0
        .size:           4
        .value_kind:     by_value
      - .offset:         4
        .size:           6
        .value_kind:     by_value
      - .offset:         16
        .size:           16
        .value_kind:     by_value
    .group_segment_fixed_size: 0
    .kernarg_segment_align: 8
    .kernarg_segment_size: 32
    .language:       OpenCL C
    .language_version:
      - 2
      - 0
    .max_flat_workgroup_size: 256
    .name:           _ZN2at6native29vectorized_elementwise_kernelILi16ENS0_13AUnaryFunctorIsssZNS0_12_GLOBAL__N_121threshold_kernel_implIsEEvRNS_18TensorIteratorBaseET_S7_EUlssE_EESt5arrayIPcLm2EEEEviT0_T1_
    .private_segment_fixed_size: 0
    .sgpr_count:     19
    .sgpr_spill_count: 0
    .symbol:         _ZN2at6native29vectorized_elementwise_kernelILi16ENS0_13AUnaryFunctorIsssZNS0_12_GLOBAL__N_121threshold_kernel_implIsEEvRNS_18TensorIteratorBaseET_S7_EUlssE_EESt5arrayIPcLm2EEEEviT0_T1_.kd
    .uniform_work_group_size: 1
    .uses_dynamic_stack: false
    .vgpr_count:     14
    .vgpr_spill_count: 0
    .wavefront_size: 64
  - .args:
      - .offset:         0
        .size:           4
        .value_kind:     by_value
      - .offset:         4
        .size:           6
        .value_kind:     by_value
      - .offset:         16
        .size:           16
        .value_kind:     by_value
    .group_segment_fixed_size: 0
    .kernarg_segment_align: 8
    .kernarg_segment_size: 32
    .language:       OpenCL C
    .language_version:
      - 2
      - 0
    .max_flat_workgroup_size: 256
    .name:           _ZN2at6native29vectorized_elementwise_kernelILi8ENS0_13AUnaryFunctorIsssZNS0_12_GLOBAL__N_121threshold_kernel_implIsEEvRNS_18TensorIteratorBaseET_S7_EUlssE_EESt5arrayIPcLm2EEEEviT0_T1_
    .private_segment_fixed_size: 0
    .sgpr_count:     19
    .sgpr_spill_count: 0
    .symbol:         _ZN2at6native29vectorized_elementwise_kernelILi8ENS0_13AUnaryFunctorIsssZNS0_12_GLOBAL__N_121threshold_kernel_implIsEEvRNS_18TensorIteratorBaseET_S7_EUlssE_EESt5arrayIPcLm2EEEEviT0_T1_.kd
    .uniform_work_group_size: 1
    .uses_dynamic_stack: false
    .vgpr_count:     14
    .vgpr_spill_count: 0
    .wavefront_size: 64
  - .args:
      - .offset:         0
        .size:           4
        .value_kind:     by_value
      - .offset:         4
        .size:           6
        .value_kind:     by_value
      - .offset:         16
        .size:           16
        .value_kind:     by_value
    .group_segment_fixed_size: 0
    .kernarg_segment_align: 8
    .kernarg_segment_size: 32
    .language:       OpenCL C
    .language_version:
      - 2
      - 0
    .max_flat_workgroup_size: 256
    .name:           _ZN2at6native29vectorized_elementwise_kernelILi4ENS0_13AUnaryFunctorIsssZNS0_12_GLOBAL__N_121threshold_kernel_implIsEEvRNS_18TensorIteratorBaseET_S7_EUlssE_EESt5arrayIPcLm2EEEEviT0_T1_
    .private_segment_fixed_size: 0
    .sgpr_count:     19
    .sgpr_spill_count: 0
    .symbol:         _ZN2at6native29vectorized_elementwise_kernelILi4ENS0_13AUnaryFunctorIsssZNS0_12_GLOBAL__N_121threshold_kernel_implIsEEvRNS_18TensorIteratorBaseET_S7_EUlssE_EESt5arrayIPcLm2EEEEviT0_T1_.kd
    .uniform_work_group_size: 1
    .uses_dynamic_stack: false
    .vgpr_count:     14
    .vgpr_spill_count: 0
    .wavefront_size: 64
  - .args:
      - .offset:         0
        .size:           4
        .value_kind:     by_value
      - .offset:         4
        .size:           6
        .value_kind:     by_value
      - .offset:         16
        .size:           16
        .value_kind:     by_value
    .group_segment_fixed_size: 0
    .kernarg_segment_align: 8
    .kernarg_segment_size: 32
    .language:       OpenCL C
    .language_version:
      - 2
      - 0
    .max_flat_workgroup_size: 256
    .name:           _ZN2at6native29vectorized_elementwise_kernelILi2ENS0_13AUnaryFunctorIsssZNS0_12_GLOBAL__N_121threshold_kernel_implIsEEvRNS_18TensorIteratorBaseET_S7_EUlssE_EESt5arrayIPcLm2EEEEviT0_T1_
    .private_segment_fixed_size: 0
    .sgpr_count:     19
    .sgpr_spill_count: 0
    .symbol:         _ZN2at6native29vectorized_elementwise_kernelILi2ENS0_13AUnaryFunctorIsssZNS0_12_GLOBAL__N_121threshold_kernel_implIsEEvRNS_18TensorIteratorBaseET_S7_EUlssE_EESt5arrayIPcLm2EEEEviT0_T1_.kd
    .uniform_work_group_size: 1
    .uses_dynamic_stack: false
    .vgpr_count:     14
    .vgpr_spill_count: 0
    .wavefront_size: 64
  - .args:
      - .offset:         0
        .size:           4
        .value_kind:     by_value
      - .offset:         4
        .size:           6
        .value_kind:     by_value
      - .offset:         16
        .size:           16
        .value_kind:     by_value
      - .offset:         32
        .size:           1
        .value_kind:     by_value
      - .offset:         33
        .size:           1
        .value_kind:     by_value
      - .offset:         34
        .size:           1
        .value_kind:     by_value
      - .offset:         35
        .size:           1
        .value_kind:     by_value
    .group_segment_fixed_size: 0
    .kernarg_segment_align: 8
    .kernarg_segment_size: 36
    .language:       OpenCL C
    .language_version:
      - 2
      - 0
    .max_flat_workgroup_size: 256
    .name:           _ZN2at6native27unrolled_elementwise_kernelINS0_13AUnaryFunctorIsssZNS0_12_GLOBAL__N_121threshold_kernel_implIsEEvRNS_18TensorIteratorBaseET_S7_EUlssE_EESt5arrayIPcLm2EELi4E23TrivialOffsetCalculatorILi1EjESE_NS0_6memory15LoadWithoutCastENSF_16StoreWithoutCastEEEviS7_T0_T2_T3_T4_T5_
    .private_segment_fixed_size: 0
    .sgpr_count:     18
    .sgpr_spill_count: 0
    .symbol:         _ZN2at6native27unrolled_elementwise_kernelINS0_13AUnaryFunctorIsssZNS0_12_GLOBAL__N_121threshold_kernel_implIsEEvRNS_18TensorIteratorBaseET_S7_EUlssE_EESt5arrayIPcLm2EELi4E23TrivialOffsetCalculatorILi1EjESE_NS0_6memory15LoadWithoutCastENSF_16StoreWithoutCastEEEviS7_T0_T2_T3_T4_T5_.kd
    .uniform_work_group_size: 1
    .uses_dynamic_stack: false
    .vgpr_count:     9
    .vgpr_spill_count: 0
    .wavefront_size: 64
  - .args:
      - .offset:         0
        .size:           4
        .value_kind:     by_value
      - .offset:         8
        .size:           352
        .value_kind:     by_value
    .group_segment_fixed_size: 0
    .kernarg_segment_align: 8
    .kernarg_segment_size: 360
    .language:       OpenCL C
    .language_version:
      - 2
      - 0
    .max_flat_workgroup_size: 128
    .name:           _ZN2at6native32elementwise_kernel_manual_unrollILi128ELi8EZNS0_22gpu_kernel_impl_nocastINS0_13AUnaryFunctorIsssZNS0_12_GLOBAL__N_121threshold_kernel_implIsEEvRNS_18TensorIteratorBaseET_S8_EUlssE_EEEEvS7_RKS8_EUlibE_EEviT1_
    .private_segment_fixed_size: 0
    .sgpr_count:     67
    .sgpr_spill_count: 0
    .symbol:         _ZN2at6native32elementwise_kernel_manual_unrollILi128ELi8EZNS0_22gpu_kernel_impl_nocastINS0_13AUnaryFunctorIsssZNS0_12_GLOBAL__N_121threshold_kernel_implIsEEvRNS_18TensorIteratorBaseET_S8_EUlssE_EEEEvS7_RKS8_EUlibE_EEviT1_.kd
    .uniform_work_group_size: 1
    .uses_dynamic_stack: false
    .vgpr_count:     26
    .vgpr_spill_count: 0
    .wavefront_size: 64
  - .args:
      - .offset:         0
        .size:           4
        .value_kind:     by_value
      - .offset:         8
        .size:           32
        .value_kind:     by_value
    .group_segment_fixed_size: 0
    .kernarg_segment_align: 8
    .kernarg_segment_size: 40
    .language:       OpenCL C
    .language_version:
      - 2
      - 0
    .max_flat_workgroup_size: 128
    .name:           _ZN2at6native32elementwise_kernel_manual_unrollILi128ELi4EZNS0_15gpu_kernel_implINS0_13AUnaryFunctorIsssZNS0_12_GLOBAL__N_121threshold_kernel_implIsEEvRNS_18TensorIteratorBaseET_S8_EUlssE_EEEEvS7_RKS8_EUlibE_EEviT1_
    .private_segment_fixed_size: 0
    .sgpr_count:     54
    .sgpr_spill_count: 0
    .symbol:         _ZN2at6native32elementwise_kernel_manual_unrollILi128ELi4EZNS0_15gpu_kernel_implINS0_13AUnaryFunctorIsssZNS0_12_GLOBAL__N_121threshold_kernel_implIsEEvRNS_18TensorIteratorBaseET_S8_EUlssE_EEEEvS7_RKS8_EUlibE_EEviT1_.kd
    .uniform_work_group_size: 1
    .uses_dynamic_stack: false
    .vgpr_count:     12
    .vgpr_spill_count: 0
    .wavefront_size: 64
  - .args:
      - .offset:         0
        .size:           4
        .value_kind:     by_value
      - .offset:         8
        .size:           352
        .value_kind:     by_value
    .group_segment_fixed_size: 0
    .kernarg_segment_align: 8
    .kernarg_segment_size: 360
    .language:       OpenCL C
    .language_version:
      - 2
      - 0
    .max_flat_workgroup_size: 128
    .name:           _ZN2at6native32elementwise_kernel_manual_unrollILi128ELi4EZNS0_15gpu_kernel_implINS0_13AUnaryFunctorIsssZNS0_12_GLOBAL__N_121threshold_kernel_implIsEEvRNS_18TensorIteratorBaseET_S8_EUlssE_EEEEvS7_RKS8_EUlibE0_EEviT1_
    .private_segment_fixed_size: 0
    .sgpr_count:     85
    .sgpr_spill_count: 0
    .symbol:         _ZN2at6native32elementwise_kernel_manual_unrollILi128ELi4EZNS0_15gpu_kernel_implINS0_13AUnaryFunctorIsssZNS0_12_GLOBAL__N_121threshold_kernel_implIsEEvRNS_18TensorIteratorBaseET_S8_EUlssE_EEEEvS7_RKS8_EUlibE0_EEviT1_.kd
    .uniform_work_group_size: 1
    .uses_dynamic_stack: false
    .vgpr_count:     18
    .vgpr_spill_count: 0
    .wavefront_size: 64
  - .args:
      - .offset:         0
        .size:           4
        .value_kind:     by_value
      - .offset:         4
        .size:           6
        .value_kind:     by_value
      - .offset:         16
        .size:           16
        .value_kind:     by_value
    .group_segment_fixed_size: 0
    .kernarg_segment_align: 8
    .kernarg_segment_size: 32
    .language:       OpenCL C
    .language_version:
      - 2
      - 0
    .max_flat_workgroup_size: 256
    .name:           _ZN2at6native29vectorized_elementwise_kernelILi16ENS0_13BUnaryFunctorIsssZNS0_12_GLOBAL__N_121threshold_kernel_implIsEEvRNS_18TensorIteratorBaseET_S7_EUlssE_EESt5arrayIPcLm2EEEEviT0_T1_
    .private_segment_fixed_size: 0
    .sgpr_count:     18
    .sgpr_spill_count: 0
    .symbol:         _ZN2at6native29vectorized_elementwise_kernelILi16ENS0_13BUnaryFunctorIsssZNS0_12_GLOBAL__N_121threshold_kernel_implIsEEvRNS_18TensorIteratorBaseET_S7_EUlssE_EESt5arrayIPcLm2EEEEviT0_T1_.kd
    .uniform_work_group_size: 1
    .uses_dynamic_stack: false
    .vgpr_count:     15
    .vgpr_spill_count: 0
    .wavefront_size: 64
  - .args:
      - .offset:         0
        .size:           4
        .value_kind:     by_value
      - .offset:         4
        .size:           6
        .value_kind:     by_value
      - .offset:         16
        .size:           16
        .value_kind:     by_value
    .group_segment_fixed_size: 0
    .kernarg_segment_align: 8
    .kernarg_segment_size: 32
    .language:       OpenCL C
    .language_version:
      - 2
      - 0
    .max_flat_workgroup_size: 256
    .name:           _ZN2at6native29vectorized_elementwise_kernelILi8ENS0_13BUnaryFunctorIsssZNS0_12_GLOBAL__N_121threshold_kernel_implIsEEvRNS_18TensorIteratorBaseET_S7_EUlssE_EESt5arrayIPcLm2EEEEviT0_T1_
    .private_segment_fixed_size: 0
    .sgpr_count:     18
    .sgpr_spill_count: 0
    .symbol:         _ZN2at6native29vectorized_elementwise_kernelILi8ENS0_13BUnaryFunctorIsssZNS0_12_GLOBAL__N_121threshold_kernel_implIsEEvRNS_18TensorIteratorBaseET_S7_EUlssE_EESt5arrayIPcLm2EEEEviT0_T1_.kd
    .uniform_work_group_size: 1
    .uses_dynamic_stack: false
    .vgpr_count:     15
    .vgpr_spill_count: 0
    .wavefront_size: 64
  - .args:
      - .offset:         0
        .size:           4
        .value_kind:     by_value
      - .offset:         4
        .size:           6
        .value_kind:     by_value
      - .offset:         16
        .size:           16
        .value_kind:     by_value
    .group_segment_fixed_size: 0
    .kernarg_segment_align: 8
    .kernarg_segment_size: 32
    .language:       OpenCL C
    .language_version:
      - 2
      - 0
    .max_flat_workgroup_size: 256
    .name:           _ZN2at6native29vectorized_elementwise_kernelILi4ENS0_13BUnaryFunctorIsssZNS0_12_GLOBAL__N_121threshold_kernel_implIsEEvRNS_18TensorIteratorBaseET_S7_EUlssE_EESt5arrayIPcLm2EEEEviT0_T1_
    .private_segment_fixed_size: 0
    .sgpr_count:     18
    .sgpr_spill_count: 0
    .symbol:         _ZN2at6native29vectorized_elementwise_kernelILi4ENS0_13BUnaryFunctorIsssZNS0_12_GLOBAL__N_121threshold_kernel_implIsEEvRNS_18TensorIteratorBaseET_S7_EUlssE_EESt5arrayIPcLm2EEEEviT0_T1_.kd
    .uniform_work_group_size: 1
    .uses_dynamic_stack: false
    .vgpr_count:     15
    .vgpr_spill_count: 0
    .wavefront_size: 64
  - .args:
      - .offset:         0
        .size:           4
        .value_kind:     by_value
      - .offset:         4
        .size:           6
        .value_kind:     by_value
      - .offset:         16
        .size:           16
        .value_kind:     by_value
    .group_segment_fixed_size: 0
    .kernarg_segment_align: 8
    .kernarg_segment_size: 32
    .language:       OpenCL C
    .language_version:
      - 2
      - 0
    .max_flat_workgroup_size: 256
    .name:           _ZN2at6native29vectorized_elementwise_kernelILi2ENS0_13BUnaryFunctorIsssZNS0_12_GLOBAL__N_121threshold_kernel_implIsEEvRNS_18TensorIteratorBaseET_S7_EUlssE_EESt5arrayIPcLm2EEEEviT0_T1_
    .private_segment_fixed_size: 0
    .sgpr_count:     18
    .sgpr_spill_count: 0
    .symbol:         _ZN2at6native29vectorized_elementwise_kernelILi2ENS0_13BUnaryFunctorIsssZNS0_12_GLOBAL__N_121threshold_kernel_implIsEEvRNS_18TensorIteratorBaseET_S7_EUlssE_EESt5arrayIPcLm2EEEEviT0_T1_.kd
    .uniform_work_group_size: 1
    .uses_dynamic_stack: false
    .vgpr_count:     15
    .vgpr_spill_count: 0
    .wavefront_size: 64
  - .args:
      - .offset:         0
        .size:           4
        .value_kind:     by_value
      - .offset:         4
        .size:           6
        .value_kind:     by_value
      - .offset:         16
        .size:           16
        .value_kind:     by_value
      - .offset:         32
        .size:           1
        .value_kind:     by_value
      - .offset:         33
        .size:           1
        .value_kind:     by_value
      - .offset:         34
        .size:           1
        .value_kind:     by_value
      - .offset:         35
        .size:           1
        .value_kind:     by_value
    .group_segment_fixed_size: 0
    .kernarg_segment_align: 8
    .kernarg_segment_size: 36
    .language:       OpenCL C
    .language_version:
      - 2
      - 0
    .max_flat_workgroup_size: 256
    .name:           _ZN2at6native27unrolled_elementwise_kernelINS0_13BUnaryFunctorIsssZNS0_12_GLOBAL__N_121threshold_kernel_implIsEEvRNS_18TensorIteratorBaseET_S7_EUlssE_EESt5arrayIPcLm2EELi4E23TrivialOffsetCalculatorILi1EjESE_NS0_6memory15LoadWithoutCastENSF_16StoreWithoutCastEEEviS7_T0_T2_T3_T4_T5_
    .private_segment_fixed_size: 0
    .sgpr_count:     18
    .sgpr_spill_count: 0
    .symbol:         _ZN2at6native27unrolled_elementwise_kernelINS0_13BUnaryFunctorIsssZNS0_12_GLOBAL__N_121threshold_kernel_implIsEEvRNS_18TensorIteratorBaseET_S7_EUlssE_EESt5arrayIPcLm2EELi4E23TrivialOffsetCalculatorILi1EjESE_NS0_6memory15LoadWithoutCastENSF_16StoreWithoutCastEEEviS7_T0_T2_T3_T4_T5_.kd
    .uniform_work_group_size: 1
    .uses_dynamic_stack: false
    .vgpr_count:     10
    .vgpr_spill_count: 0
    .wavefront_size: 64
  - .args:
      - .offset:         0
        .size:           4
        .value_kind:     by_value
      - .offset:         8
        .size:           352
        .value_kind:     by_value
    .group_segment_fixed_size: 0
    .kernarg_segment_align: 8
    .kernarg_segment_size: 360
    .language:       OpenCL C
    .language_version:
      - 2
      - 0
    .max_flat_workgroup_size: 128
    .name:           _ZN2at6native32elementwise_kernel_manual_unrollILi128ELi8EZNS0_22gpu_kernel_impl_nocastINS0_13BUnaryFunctorIsssZNS0_12_GLOBAL__N_121threshold_kernel_implIsEEvRNS_18TensorIteratorBaseET_S8_EUlssE_EEEEvS7_RKS8_EUlibE_EEviT1_
    .private_segment_fixed_size: 0
    .sgpr_count:     67
    .sgpr_spill_count: 0
    .symbol:         _ZN2at6native32elementwise_kernel_manual_unrollILi128ELi8EZNS0_22gpu_kernel_impl_nocastINS0_13BUnaryFunctorIsssZNS0_12_GLOBAL__N_121threshold_kernel_implIsEEvRNS_18TensorIteratorBaseET_S8_EUlssE_EEEEvS7_RKS8_EUlibE_EEviT1_.kd
    .uniform_work_group_size: 1
    .uses_dynamic_stack: false
    .vgpr_count:     26
    .vgpr_spill_count: 0
    .wavefront_size: 64
  - .args:
      - .offset:         0
        .size:           4
        .value_kind:     by_value
      - .offset:         8
        .size:           32
        .value_kind:     by_value
    .group_segment_fixed_size: 0
    .kernarg_segment_align: 8
    .kernarg_segment_size: 40
    .language:       OpenCL C
    .language_version:
      - 2
      - 0
    .max_flat_workgroup_size: 128
    .name:           _ZN2at6native32elementwise_kernel_manual_unrollILi128ELi4EZNS0_15gpu_kernel_implINS0_13BUnaryFunctorIsssZNS0_12_GLOBAL__N_121threshold_kernel_implIsEEvRNS_18TensorIteratorBaseET_S8_EUlssE_EEEEvS7_RKS8_EUlibE_EEviT1_
    .private_segment_fixed_size: 0
    .sgpr_count:     52
    .sgpr_spill_count: 0
    .symbol:         _ZN2at6native32elementwise_kernel_manual_unrollILi128ELi4EZNS0_15gpu_kernel_implINS0_13BUnaryFunctorIsssZNS0_12_GLOBAL__N_121threshold_kernel_implIsEEvRNS_18TensorIteratorBaseET_S8_EUlssE_EEEEvS7_RKS8_EUlibE_EEviT1_.kd
    .uniform_work_group_size: 1
    .uses_dynamic_stack: false
    .vgpr_count:     12
    .vgpr_spill_count: 0
    .wavefront_size: 64
  - .args:
      - .offset:         0
        .size:           4
        .value_kind:     by_value
      - .offset:         8
        .size:           352
        .value_kind:     by_value
    .group_segment_fixed_size: 0
    .kernarg_segment_align: 8
    .kernarg_segment_size: 360
    .language:       OpenCL C
    .language_version:
      - 2
      - 0
    .max_flat_workgroup_size: 128
    .name:           _ZN2at6native32elementwise_kernel_manual_unrollILi128ELi4EZNS0_15gpu_kernel_implINS0_13BUnaryFunctorIsssZNS0_12_GLOBAL__N_121threshold_kernel_implIsEEvRNS_18TensorIteratorBaseET_S8_EUlssE_EEEEvS7_RKS8_EUlibE0_EEviT1_
    .private_segment_fixed_size: 0
    .sgpr_count:     85
    .sgpr_spill_count: 0
    .symbol:         _ZN2at6native32elementwise_kernel_manual_unrollILi128ELi4EZNS0_15gpu_kernel_implINS0_13BUnaryFunctorIsssZNS0_12_GLOBAL__N_121threshold_kernel_implIsEEvRNS_18TensorIteratorBaseET_S8_EUlssE_EEEEvS7_RKS8_EUlibE0_EEviT1_.kd
    .uniform_work_group_size: 1
    .uses_dynamic_stack: false
    .vgpr_count:     18
    .vgpr_spill_count: 0
    .wavefront_size: 64
  - .args:
      - .offset:         0
        .size:           4
        .value_kind:     by_value
      - .offset:         4
        .size:           4
        .value_kind:     by_value
      - .offset:         8
        .size:           24
        .value_kind:     by_value
    .group_segment_fixed_size: 0
    .kernarg_segment_align: 8
    .kernarg_segment_size: 32
    .language:       OpenCL C
    .language_version:
      - 2
      - 0
    .max_flat_workgroup_size: 256
    .name:           _ZN2at6native29vectorized_elementwise_kernelILi16ENS0_13BinaryFunctorIsssZNS0_12_GLOBAL__N_121threshold_kernel_implIsEEvRNS_18TensorIteratorBaseET_S7_EUlssE_EESt5arrayIPcLm3EEEEviT0_T1_
    .private_segment_fixed_size: 0
    .sgpr_count:     26
    .sgpr_spill_count: 0
    .symbol:         _ZN2at6native29vectorized_elementwise_kernelILi16ENS0_13BinaryFunctorIsssZNS0_12_GLOBAL__N_121threshold_kernel_implIsEEvRNS_18TensorIteratorBaseET_S7_EUlssE_EESt5arrayIPcLm3EEEEviT0_T1_.kd
    .uniform_work_group_size: 1
    .uses_dynamic_stack: false
    .vgpr_count:     24
    .vgpr_spill_count: 0
    .wavefront_size: 64
  - .args:
      - .offset:         0
        .size:           4
        .value_kind:     by_value
      - .offset:         4
        .size:           4
        .value_kind:     by_value
      - .offset:         8
        .size:           24
        .value_kind:     by_value
    .group_segment_fixed_size: 0
    .kernarg_segment_align: 8
    .kernarg_segment_size: 32
    .language:       OpenCL C
    .language_version:
      - 2
      - 0
    .max_flat_workgroup_size: 256
    .name:           _ZN2at6native29vectorized_elementwise_kernelILi8ENS0_13BinaryFunctorIsssZNS0_12_GLOBAL__N_121threshold_kernel_implIsEEvRNS_18TensorIteratorBaseET_S7_EUlssE_EESt5arrayIPcLm3EEEEviT0_T1_
    .private_segment_fixed_size: 0
    .sgpr_count:     26
    .sgpr_spill_count: 0
    .symbol:         _ZN2at6native29vectorized_elementwise_kernelILi8ENS0_13BinaryFunctorIsssZNS0_12_GLOBAL__N_121threshold_kernel_implIsEEvRNS_18TensorIteratorBaseET_S7_EUlssE_EESt5arrayIPcLm3EEEEviT0_T1_.kd
    .uniform_work_group_size: 1
    .uses_dynamic_stack: false
    .vgpr_count:     24
    .vgpr_spill_count: 0
    .wavefront_size: 64
  - .args:
      - .offset:         0
        .size:           4
        .value_kind:     by_value
      - .offset:         4
        .size:           4
        .value_kind:     by_value
      - .offset:         8
        .size:           24
        .value_kind:     by_value
    .group_segment_fixed_size: 0
    .kernarg_segment_align: 8
    .kernarg_segment_size: 32
    .language:       OpenCL C
    .language_version:
      - 2
      - 0
    .max_flat_workgroup_size: 256
    .name:           _ZN2at6native29vectorized_elementwise_kernelILi4ENS0_13BinaryFunctorIsssZNS0_12_GLOBAL__N_121threshold_kernel_implIsEEvRNS_18TensorIteratorBaseET_S7_EUlssE_EESt5arrayIPcLm3EEEEviT0_T1_
    .private_segment_fixed_size: 0
    .sgpr_count:     22
    .sgpr_spill_count: 0
    .symbol:         _ZN2at6native29vectorized_elementwise_kernelILi4ENS0_13BinaryFunctorIsssZNS0_12_GLOBAL__N_121threshold_kernel_implIsEEvRNS_18TensorIteratorBaseET_S7_EUlssE_EESt5arrayIPcLm3EEEEviT0_T1_.kd
    .uniform_work_group_size: 1
    .uses_dynamic_stack: false
    .vgpr_count:     24
    .vgpr_spill_count: 0
    .wavefront_size: 64
  - .args:
      - .offset:         0
        .size:           4
        .value_kind:     by_value
      - .offset:         4
        .size:           4
        .value_kind:     by_value
      - .offset:         8
        .size:           24
        .value_kind:     by_value
    .group_segment_fixed_size: 0
    .kernarg_segment_align: 8
    .kernarg_segment_size: 32
    .language:       OpenCL C
    .language_version:
      - 2
      - 0
    .max_flat_workgroup_size: 256
    .name:           _ZN2at6native29vectorized_elementwise_kernelILi2ENS0_13BinaryFunctorIsssZNS0_12_GLOBAL__N_121threshold_kernel_implIsEEvRNS_18TensorIteratorBaseET_S7_EUlssE_EESt5arrayIPcLm3EEEEviT0_T1_
    .private_segment_fixed_size: 0
    .sgpr_count:     22
    .sgpr_spill_count: 0
    .symbol:         _ZN2at6native29vectorized_elementwise_kernelILi2ENS0_13BinaryFunctorIsssZNS0_12_GLOBAL__N_121threshold_kernel_implIsEEvRNS_18TensorIteratorBaseET_S7_EUlssE_EESt5arrayIPcLm3EEEEviT0_T1_.kd
    .uniform_work_group_size: 1
    .uses_dynamic_stack: false
    .vgpr_count:     24
    .vgpr_spill_count: 0
    .wavefront_size: 64
  - .args:
      - .offset:         0
        .size:           4
        .value_kind:     by_value
      - .offset:         4
        .size:           4
        .value_kind:     by_value
      - .offset:         8
        .size:           24
        .value_kind:     by_value
      - .offset:         32
        .size:           1
        .value_kind:     by_value
      - .offset:         33
        .size:           1
        .value_kind:     by_value
      - .offset:         34
        .size:           1
        .value_kind:     by_value
      - .offset:         35
        .size:           1
        .value_kind:     by_value
    .group_segment_fixed_size: 0
    .kernarg_segment_align: 8
    .kernarg_segment_size: 36
    .language:       OpenCL C
    .language_version:
      - 2
      - 0
    .max_flat_workgroup_size: 256
    .name:           _ZN2at6native27unrolled_elementwise_kernelINS0_13BinaryFunctorIsssZNS0_12_GLOBAL__N_121threshold_kernel_implIsEEvRNS_18TensorIteratorBaseET_S7_EUlssE_EESt5arrayIPcLm3EELi4E23TrivialOffsetCalculatorILi2EjESD_ILi1EjENS0_6memory15LoadWithoutCastENSG_16StoreWithoutCastEEEviS7_T0_T2_T3_T4_T5_
    .private_segment_fixed_size: 0
    .sgpr_count:     18
    .sgpr_spill_count: 0
    .symbol:         _ZN2at6native27unrolled_elementwise_kernelINS0_13BinaryFunctorIsssZNS0_12_GLOBAL__N_121threshold_kernel_implIsEEvRNS_18TensorIteratorBaseET_S7_EUlssE_EESt5arrayIPcLm3EELi4E23TrivialOffsetCalculatorILi2EjESD_ILi1EjENS0_6memory15LoadWithoutCastENSG_16StoreWithoutCastEEEviS7_T0_T2_T3_T4_T5_.kd
    .uniform_work_group_size: 1
    .uses_dynamic_stack: false
    .vgpr_count:     15
    .vgpr_spill_count: 0
    .wavefront_size: 64
  - .args:
      - .offset:         0
        .size:           4
        .value_kind:     by_value
      - .offset:         8
        .size:           424
        .value_kind:     by_value
    .group_segment_fixed_size: 0
    .kernarg_segment_align: 8
    .kernarg_segment_size: 432
    .language:       OpenCL C
    .language_version:
      - 2
      - 0
    .max_flat_workgroup_size: 128
    .name:           _ZN2at6native32elementwise_kernel_manual_unrollILi128ELi8EZNS0_22gpu_kernel_impl_nocastINS0_13BinaryFunctorIsssZNS0_12_GLOBAL__N_121threshold_kernel_implIsEEvRNS_18TensorIteratorBaseET_S8_EUlssE_EEEEvS7_RKS8_EUlibE_EEviT1_
    .private_segment_fixed_size: 0
    .sgpr_count:     56
    .sgpr_spill_count: 0
    .symbol:         _ZN2at6native32elementwise_kernel_manual_unrollILi128ELi8EZNS0_22gpu_kernel_impl_nocastINS0_13BinaryFunctorIsssZNS0_12_GLOBAL__N_121threshold_kernel_implIsEEvRNS_18TensorIteratorBaseET_S8_EUlssE_EEEEvS7_RKS8_EUlibE_EEviT1_.kd
    .uniform_work_group_size: 1
    .uses_dynamic_stack: false
    .vgpr_count:     42
    .vgpr_spill_count: 0
    .wavefront_size: 64
  - .args:
      - .offset:         0
        .size:           4
        .value_kind:     by_value
      - .offset:         8
        .size:           48
        .value_kind:     by_value
    .group_segment_fixed_size: 0
    .kernarg_segment_align: 8
    .kernarg_segment_size: 56
    .language:       OpenCL C
    .language_version:
      - 2
      - 0
    .max_flat_workgroup_size: 128
    .name:           _ZN2at6native32elementwise_kernel_manual_unrollILi128ELi4EZNS0_15gpu_kernel_implINS0_13BinaryFunctorIsssZNS0_12_GLOBAL__N_121threshold_kernel_implIsEEvRNS_18TensorIteratorBaseET_S8_EUlssE_EEEEvS7_RKS8_EUlibE_EEviT1_
    .private_segment_fixed_size: 0
    .sgpr_count:     62
    .sgpr_spill_count: 0
    .symbol:         _ZN2at6native32elementwise_kernel_manual_unrollILi128ELi4EZNS0_15gpu_kernel_implINS0_13BinaryFunctorIsssZNS0_12_GLOBAL__N_121threshold_kernel_implIsEEvRNS_18TensorIteratorBaseET_S8_EUlssE_EEEEvS7_RKS8_EUlibE_EEviT1_.kd
    .uniform_work_group_size: 1
    .uses_dynamic_stack: false
    .vgpr_count:     16
    .vgpr_spill_count: 0
    .wavefront_size: 64
  - .args:
      - .offset:         0
        .size:           4
        .value_kind:     by_value
      - .offset:         8
        .size:           424
        .value_kind:     by_value
    .group_segment_fixed_size: 0
    .kernarg_segment_align: 8
    .kernarg_segment_size: 432
    .language:       OpenCL C
    .language_version:
      - 2
      - 0
    .max_flat_workgroup_size: 128
    .name:           _ZN2at6native32elementwise_kernel_manual_unrollILi128ELi4EZNS0_15gpu_kernel_implINS0_13BinaryFunctorIsssZNS0_12_GLOBAL__N_121threshold_kernel_implIsEEvRNS_18TensorIteratorBaseET_S8_EUlssE_EEEEvS7_RKS8_EUlibE0_EEviT1_
    .private_segment_fixed_size: 0
    .sgpr_count:     86
    .sgpr_spill_count: 0
    .symbol:         _ZN2at6native32elementwise_kernel_manual_unrollILi128ELi4EZNS0_15gpu_kernel_implINS0_13BinaryFunctorIsssZNS0_12_GLOBAL__N_121threshold_kernel_implIsEEvRNS_18TensorIteratorBaseET_S8_EUlssE_EEEEvS7_RKS8_EUlibE0_EEviT1_.kd
    .uniform_work_group_size: 1
    .uses_dynamic_stack: false
    .vgpr_count:     23
    .vgpr_spill_count: 0
    .wavefront_size: 64
  - .args:
      - .offset:         0
        .size:           4
        .value_kind:     by_value
      - .offset:         8
        .size:           24
        .value_kind:     by_value
      - .offset:         32
        .size:           16
        .value_kind:     by_value
    .group_segment_fixed_size: 0
    .kernarg_segment_align: 8
    .kernarg_segment_size: 48
    .language:       OpenCL C
    .language_version:
      - 2
      - 0
    .max_flat_workgroup_size: 256
    .name:           _ZN2at6native29vectorized_elementwise_kernelILi16ENS0_13AUnaryFunctorIdddZNS0_12_GLOBAL__N_121threshold_kernel_implIdEEvRNS_18TensorIteratorBaseET_S7_EUlddE_EESt5arrayIPcLm2EEEEviT0_T1_
    .private_segment_fixed_size: 0
    .sgpr_count:     21
    .sgpr_spill_count: 0
    .symbol:         _ZN2at6native29vectorized_elementwise_kernelILi16ENS0_13AUnaryFunctorIdddZNS0_12_GLOBAL__N_121threshold_kernel_implIdEEvRNS_18TensorIteratorBaseET_S7_EUlddE_EESt5arrayIPcLm2EEEEviT0_T1_.kd
    .uniform_work_group_size: 1
    .uses_dynamic_stack: false
    .vgpr_count:     17
    .vgpr_spill_count: 0
    .wavefront_size: 64
  - .args:
      - .offset:         0
        .size:           4
        .value_kind:     by_value
      - .offset:         8
        .size:           24
        .value_kind:     by_value
      - .offset:         32
        .size:           16
        .value_kind:     by_value
    .group_segment_fixed_size: 0
    .kernarg_segment_align: 8
    .kernarg_segment_size: 48
    .language:       OpenCL C
    .language_version:
      - 2
      - 0
    .max_flat_workgroup_size: 256
    .name:           _ZN2at6native29vectorized_elementwise_kernelILi8ENS0_13AUnaryFunctorIdddZNS0_12_GLOBAL__N_121threshold_kernel_implIdEEvRNS_18TensorIteratorBaseET_S7_EUlddE_EESt5arrayIPcLm2EEEEviT0_T1_
    .private_segment_fixed_size: 0
    .sgpr_count:     21
    .sgpr_spill_count: 0
    .symbol:         _ZN2at6native29vectorized_elementwise_kernelILi8ENS0_13AUnaryFunctorIdddZNS0_12_GLOBAL__N_121threshold_kernel_implIdEEvRNS_18TensorIteratorBaseET_S7_EUlddE_EESt5arrayIPcLm2EEEEviT0_T1_.kd
    .uniform_work_group_size: 1
    .uses_dynamic_stack: false
    .vgpr_count:     17
    .vgpr_spill_count: 0
    .wavefront_size: 64
  - .args:
      - .offset:         0
        .size:           4
        .value_kind:     by_value
      - .offset:         8
        .size:           24
        .value_kind:     by_value
      - .offset:         32
        .size:           16
        .value_kind:     by_value
    .group_segment_fixed_size: 0
    .kernarg_segment_align: 8
    .kernarg_segment_size: 48
    .language:       OpenCL C
    .language_version:
      - 2
      - 0
    .max_flat_workgroup_size: 256
    .name:           _ZN2at6native29vectorized_elementwise_kernelILi4ENS0_13AUnaryFunctorIdddZNS0_12_GLOBAL__N_121threshold_kernel_implIdEEvRNS_18TensorIteratorBaseET_S7_EUlddE_EESt5arrayIPcLm2EEEEviT0_T1_
    .private_segment_fixed_size: 0
    .sgpr_count:     21
    .sgpr_spill_count: 0
    .symbol:         _ZN2at6native29vectorized_elementwise_kernelILi4ENS0_13AUnaryFunctorIdddZNS0_12_GLOBAL__N_121threshold_kernel_implIdEEvRNS_18TensorIteratorBaseET_S7_EUlddE_EESt5arrayIPcLm2EEEEviT0_T1_.kd
    .uniform_work_group_size: 1
    .uses_dynamic_stack: false
    .vgpr_count:     17
    .vgpr_spill_count: 0
    .wavefront_size: 64
  - .args:
      - .offset:         0
        .size:           4
        .value_kind:     by_value
      - .offset:         8
        .size:           24
        .value_kind:     by_value
      - .offset:         32
        .size:           16
        .value_kind:     by_value
    .group_segment_fixed_size: 0
    .kernarg_segment_align: 8
    .kernarg_segment_size: 48
    .language:       OpenCL C
    .language_version:
      - 2
      - 0
    .max_flat_workgroup_size: 256
    .name:           _ZN2at6native29vectorized_elementwise_kernelILi2ENS0_13AUnaryFunctorIdddZNS0_12_GLOBAL__N_121threshold_kernel_implIdEEvRNS_18TensorIteratorBaseET_S7_EUlddE_EESt5arrayIPcLm2EEEEviT0_T1_
    .private_segment_fixed_size: 0
    .sgpr_count:     21
    .sgpr_spill_count: 0
    .symbol:         _ZN2at6native29vectorized_elementwise_kernelILi2ENS0_13AUnaryFunctorIdddZNS0_12_GLOBAL__N_121threshold_kernel_implIdEEvRNS_18TensorIteratorBaseET_S7_EUlddE_EESt5arrayIPcLm2EEEEviT0_T1_.kd
    .uniform_work_group_size: 1
    .uses_dynamic_stack: false
    .vgpr_count:     17
    .vgpr_spill_count: 0
    .wavefront_size: 64
  - .args:
      - .offset:         0
        .size:           4
        .value_kind:     by_value
      - .offset:         8
        .size:           24
        .value_kind:     by_value
      - .offset:         32
        .size:           16
        .value_kind:     by_value
      - .offset:         48
        .size:           1
        .value_kind:     by_value
      - .offset:         49
        .size:           1
        .value_kind:     by_value
      - .offset:         50
        .size:           1
        .value_kind:     by_value
      - .offset:         51
        .size:           1
        .value_kind:     by_value
    .group_segment_fixed_size: 0
    .kernarg_segment_align: 8
    .kernarg_segment_size: 52
    .language:       OpenCL C
    .language_version:
      - 2
      - 0
    .max_flat_workgroup_size: 256
    .name:           _ZN2at6native27unrolled_elementwise_kernelINS0_13AUnaryFunctorIdddZNS0_12_GLOBAL__N_121threshold_kernel_implIdEEvRNS_18TensorIteratorBaseET_S7_EUlddE_EESt5arrayIPcLm2EELi4E23TrivialOffsetCalculatorILi1EjESE_NS0_6memory15LoadWithoutCastENSF_16StoreWithoutCastEEEviS7_T0_T2_T3_T4_T5_
    .private_segment_fixed_size: 0
    .sgpr_count:     22
    .sgpr_spill_count: 0
    .symbol:         _ZN2at6native27unrolled_elementwise_kernelINS0_13AUnaryFunctorIdddZNS0_12_GLOBAL__N_121threshold_kernel_implIdEEvRNS_18TensorIteratorBaseET_S7_EUlddE_EESt5arrayIPcLm2EELi4E23TrivialOffsetCalculatorILi1EjESE_NS0_6memory15LoadWithoutCastENSF_16StoreWithoutCastEEEviS7_T0_T2_T3_T4_T5_.kd
    .uniform_work_group_size: 1
    .uses_dynamic_stack: false
    .vgpr_count:     17
    .vgpr_spill_count: 0
    .wavefront_size: 64
  - .args:
      - .offset:         0
        .size:           4
        .value_kind:     by_value
      - .offset:         8
        .size:           368
        .value_kind:     by_value
    .group_segment_fixed_size: 0
    .kernarg_segment_align: 8
    .kernarg_segment_size: 376
    .language:       OpenCL C
    .language_version:
      - 2
      - 0
    .max_flat_workgroup_size: 128
    .name:           _ZN2at6native32elementwise_kernel_manual_unrollILi128ELi4EZNS0_22gpu_kernel_impl_nocastINS0_13AUnaryFunctorIdddZNS0_12_GLOBAL__N_121threshold_kernel_implIdEEvRNS_18TensorIteratorBaseET_S8_EUlddE_EEEEvS7_RKS8_EUlibE_EEviT1_
    .private_segment_fixed_size: 0
    .sgpr_count:     68
    .sgpr_spill_count: 0
    .symbol:         _ZN2at6native32elementwise_kernel_manual_unrollILi128ELi4EZNS0_22gpu_kernel_impl_nocastINS0_13AUnaryFunctorIdddZNS0_12_GLOBAL__N_121threshold_kernel_implIdEEvRNS_18TensorIteratorBaseET_S8_EUlddE_EEEEvS7_RKS8_EUlibE_EEviT1_.kd
    .uniform_work_group_size: 1
    .uses_dynamic_stack: false
    .vgpr_count:     21
    .vgpr_spill_count: 0
    .wavefront_size: 64
  - .args:
      - .offset:         0
        .size:           4
        .value_kind:     by_value
      - .offset:         8
        .size:           56
        .value_kind:     by_value
    .group_segment_fixed_size: 0
    .kernarg_segment_align: 8
    .kernarg_segment_size: 64
    .language:       OpenCL C
    .language_version:
      - 2
      - 0
    .max_flat_workgroup_size: 128
    .name:           _ZN2at6native32elementwise_kernel_manual_unrollILi128ELi4EZNS0_15gpu_kernel_implINS0_13AUnaryFunctorIdddZNS0_12_GLOBAL__N_121threshold_kernel_implIdEEvRNS_18TensorIteratorBaseET_S8_EUlddE_EEEEvS7_RKS8_EUlibE_EEviT1_
    .private_segment_fixed_size: 0
    .sgpr_count:     56
    .sgpr_spill_count: 0
    .symbol:         _ZN2at6native32elementwise_kernel_manual_unrollILi128ELi4EZNS0_15gpu_kernel_implINS0_13AUnaryFunctorIdddZNS0_12_GLOBAL__N_121threshold_kernel_implIdEEvRNS_18TensorIteratorBaseET_S8_EUlddE_EEEEvS7_RKS8_EUlibE_EEviT1_.kd
    .uniform_work_group_size: 1
    .uses_dynamic_stack: false
    .vgpr_count:     16
    .vgpr_spill_count: 0
    .wavefront_size: 64
  - .args:
      - .offset:         0
        .size:           4
        .value_kind:     by_value
      - .offset:         8
        .size:           376
        .value_kind:     by_value
    .group_segment_fixed_size: 0
    .kernarg_segment_align: 8
    .kernarg_segment_size: 384
    .language:       OpenCL C
    .language_version:
      - 2
      - 0
    .max_flat_workgroup_size: 128
    .name:           _ZN2at6native32elementwise_kernel_manual_unrollILi128ELi4EZNS0_15gpu_kernel_implINS0_13AUnaryFunctorIdddZNS0_12_GLOBAL__N_121threshold_kernel_implIdEEvRNS_18TensorIteratorBaseET_S8_EUlddE_EEEEvS7_RKS8_EUlibE0_EEviT1_
    .private_segment_fixed_size: 0
    .sgpr_count:     86
    .sgpr_spill_count: 0
    .symbol:         _ZN2at6native32elementwise_kernel_manual_unrollILi128ELi4EZNS0_15gpu_kernel_implINS0_13AUnaryFunctorIdddZNS0_12_GLOBAL__N_121threshold_kernel_implIdEEvRNS_18TensorIteratorBaseET_S8_EUlddE_EEEEvS7_RKS8_EUlibE0_EEviT1_.kd
    .uniform_work_group_size: 1
    .uses_dynamic_stack: false
    .vgpr_count:     19
    .vgpr_spill_count: 0
    .wavefront_size: 64
  - .args:
      - .offset:         0
        .size:           4
        .value_kind:     by_value
      - .offset:         8
        .size:           24
        .value_kind:     by_value
      - .offset:         32
        .size:           16
        .value_kind:     by_value
    .group_segment_fixed_size: 0
    .kernarg_segment_align: 8
    .kernarg_segment_size: 48
    .language:       OpenCL C
    .language_version:
      - 2
      - 0
    .max_flat_workgroup_size: 256
    .name:           _ZN2at6native29vectorized_elementwise_kernelILi16ENS0_13BUnaryFunctorIdddZNS0_12_GLOBAL__N_121threshold_kernel_implIdEEvRNS_18TensorIteratorBaseET_S7_EUlddE_EESt5arrayIPcLm2EEEEviT0_T1_
    .private_segment_fixed_size: 0
    .sgpr_count:     26
    .sgpr_spill_count: 0
    .symbol:         _ZN2at6native29vectorized_elementwise_kernelILi16ENS0_13BUnaryFunctorIdddZNS0_12_GLOBAL__N_121threshold_kernel_implIdEEvRNS_18TensorIteratorBaseET_S7_EUlddE_EESt5arrayIPcLm2EEEEviT0_T1_.kd
    .uniform_work_group_size: 1
    .uses_dynamic_stack: false
    .vgpr_count:     17
    .vgpr_spill_count: 0
    .wavefront_size: 64
  - .args:
      - .offset:         0
        .size:           4
        .value_kind:     by_value
      - .offset:         8
        .size:           24
        .value_kind:     by_value
      - .offset:         32
        .size:           16
        .value_kind:     by_value
    .group_segment_fixed_size: 0
    .kernarg_segment_align: 8
    .kernarg_segment_size: 48
    .language:       OpenCL C
    .language_version:
      - 2
      - 0
    .max_flat_workgroup_size: 256
    .name:           _ZN2at6native29vectorized_elementwise_kernelILi8ENS0_13BUnaryFunctorIdddZNS0_12_GLOBAL__N_121threshold_kernel_implIdEEvRNS_18TensorIteratorBaseET_S7_EUlddE_EESt5arrayIPcLm2EEEEviT0_T1_
    .private_segment_fixed_size: 0
    .sgpr_count:     26
    .sgpr_spill_count: 0
    .symbol:         _ZN2at6native29vectorized_elementwise_kernelILi8ENS0_13BUnaryFunctorIdddZNS0_12_GLOBAL__N_121threshold_kernel_implIdEEvRNS_18TensorIteratorBaseET_S7_EUlddE_EESt5arrayIPcLm2EEEEviT0_T1_.kd
    .uniform_work_group_size: 1
    .uses_dynamic_stack: false
    .vgpr_count:     17
    .vgpr_spill_count: 0
    .wavefront_size: 64
  - .args:
      - .offset:         0
        .size:           4
        .value_kind:     by_value
      - .offset:         8
        .size:           24
        .value_kind:     by_value
      - .offset:         32
        .size:           16
        .value_kind:     by_value
    .group_segment_fixed_size: 0
    .kernarg_segment_align: 8
    .kernarg_segment_size: 48
    .language:       OpenCL C
    .language_version:
      - 2
      - 0
    .max_flat_workgroup_size: 256
    .name:           _ZN2at6native29vectorized_elementwise_kernelILi4ENS0_13BUnaryFunctorIdddZNS0_12_GLOBAL__N_121threshold_kernel_implIdEEvRNS_18TensorIteratorBaseET_S7_EUlddE_EESt5arrayIPcLm2EEEEviT0_T1_
    .private_segment_fixed_size: 0
    .sgpr_count:     26
    .sgpr_spill_count: 0
    .symbol:         _ZN2at6native29vectorized_elementwise_kernelILi4ENS0_13BUnaryFunctorIdddZNS0_12_GLOBAL__N_121threshold_kernel_implIdEEvRNS_18TensorIteratorBaseET_S7_EUlddE_EESt5arrayIPcLm2EEEEviT0_T1_.kd
    .uniform_work_group_size: 1
    .uses_dynamic_stack: false
    .vgpr_count:     17
    .vgpr_spill_count: 0
    .wavefront_size: 64
  - .args:
      - .offset:         0
        .size:           4
        .value_kind:     by_value
      - .offset:         8
        .size:           24
        .value_kind:     by_value
      - .offset:         32
        .size:           16
        .value_kind:     by_value
    .group_segment_fixed_size: 0
    .kernarg_segment_align: 8
    .kernarg_segment_size: 48
    .language:       OpenCL C
    .language_version:
      - 2
      - 0
    .max_flat_workgroup_size: 256
    .name:           _ZN2at6native29vectorized_elementwise_kernelILi2ENS0_13BUnaryFunctorIdddZNS0_12_GLOBAL__N_121threshold_kernel_implIdEEvRNS_18TensorIteratorBaseET_S7_EUlddE_EESt5arrayIPcLm2EEEEviT0_T1_
    .private_segment_fixed_size: 0
    .sgpr_count:     26
    .sgpr_spill_count: 0
    .symbol:         _ZN2at6native29vectorized_elementwise_kernelILi2ENS0_13BUnaryFunctorIdddZNS0_12_GLOBAL__N_121threshold_kernel_implIdEEvRNS_18TensorIteratorBaseET_S7_EUlddE_EESt5arrayIPcLm2EEEEviT0_T1_.kd
    .uniform_work_group_size: 1
    .uses_dynamic_stack: false
    .vgpr_count:     17
    .vgpr_spill_count: 0
    .wavefront_size: 64
  - .args:
      - .offset:         0
        .size:           4
        .value_kind:     by_value
      - .offset:         8
        .size:           24
        .value_kind:     by_value
      - .offset:         32
        .size:           16
        .value_kind:     by_value
      - .offset:         48
        .size:           1
        .value_kind:     by_value
      - .offset:         49
        .size:           1
        .value_kind:     by_value
      - .offset:         50
        .size:           1
        .value_kind:     by_value
      - .offset:         51
        .size:           1
        .value_kind:     by_value
    .group_segment_fixed_size: 0
    .kernarg_segment_align: 8
    .kernarg_segment_size: 52
    .language:       OpenCL C
    .language_version:
      - 2
      - 0
    .max_flat_workgroup_size: 256
    .name:           _ZN2at6native27unrolled_elementwise_kernelINS0_13BUnaryFunctorIdddZNS0_12_GLOBAL__N_121threshold_kernel_implIdEEvRNS_18TensorIteratorBaseET_S7_EUlddE_EESt5arrayIPcLm2EELi4E23TrivialOffsetCalculatorILi1EjESE_NS0_6memory15LoadWithoutCastENSF_16StoreWithoutCastEEEviS7_T0_T2_T3_T4_T5_
    .private_segment_fixed_size: 0
    .sgpr_count:     22
    .sgpr_spill_count: 0
    .symbol:         _ZN2at6native27unrolled_elementwise_kernelINS0_13BUnaryFunctorIdddZNS0_12_GLOBAL__N_121threshold_kernel_implIdEEvRNS_18TensorIteratorBaseET_S7_EUlddE_EESt5arrayIPcLm2EELi4E23TrivialOffsetCalculatorILi1EjESE_NS0_6memory15LoadWithoutCastENSF_16StoreWithoutCastEEEviS7_T0_T2_T3_T4_T5_.kd
    .uniform_work_group_size: 1
    .uses_dynamic_stack: false
    .vgpr_count:     17
    .vgpr_spill_count: 0
    .wavefront_size: 64
  - .args:
      - .offset:         0
        .size:           4
        .value_kind:     by_value
      - .offset:         8
        .size:           368
        .value_kind:     by_value
    .group_segment_fixed_size: 0
    .kernarg_segment_align: 8
    .kernarg_segment_size: 376
    .language:       OpenCL C
    .language_version:
      - 2
      - 0
    .max_flat_workgroup_size: 128
    .name:           _ZN2at6native32elementwise_kernel_manual_unrollILi128ELi4EZNS0_22gpu_kernel_impl_nocastINS0_13BUnaryFunctorIdddZNS0_12_GLOBAL__N_121threshold_kernel_implIdEEvRNS_18TensorIteratorBaseET_S8_EUlddE_EEEEvS7_RKS8_EUlibE_EEviT1_
    .private_segment_fixed_size: 0
    .sgpr_count:     70
    .sgpr_spill_count: 0
    .symbol:         _ZN2at6native32elementwise_kernel_manual_unrollILi128ELi4EZNS0_22gpu_kernel_impl_nocastINS0_13BUnaryFunctorIdddZNS0_12_GLOBAL__N_121threshold_kernel_implIdEEvRNS_18TensorIteratorBaseET_S8_EUlddE_EEEEvS7_RKS8_EUlibE_EEviT1_.kd
    .uniform_work_group_size: 1
    .uses_dynamic_stack: false
    .vgpr_count:     21
    .vgpr_spill_count: 0
    .wavefront_size: 64
  - .args:
      - .offset:         0
        .size:           4
        .value_kind:     by_value
      - .offset:         8
        .size:           56
        .value_kind:     by_value
    .group_segment_fixed_size: 0
    .kernarg_segment_align: 8
    .kernarg_segment_size: 64
    .language:       OpenCL C
    .language_version:
      - 2
      - 0
    .max_flat_workgroup_size: 128
    .name:           _ZN2at6native32elementwise_kernel_manual_unrollILi128ELi4EZNS0_15gpu_kernel_implINS0_13BUnaryFunctorIdddZNS0_12_GLOBAL__N_121threshold_kernel_implIdEEvRNS_18TensorIteratorBaseET_S8_EUlddE_EEEEvS7_RKS8_EUlibE_EEviT1_
    .private_segment_fixed_size: 0
    .sgpr_count:     54
    .sgpr_spill_count: 0
    .symbol:         _ZN2at6native32elementwise_kernel_manual_unrollILi128ELi4EZNS0_15gpu_kernel_implINS0_13BUnaryFunctorIdddZNS0_12_GLOBAL__N_121threshold_kernel_implIdEEvRNS_18TensorIteratorBaseET_S8_EUlddE_EEEEvS7_RKS8_EUlibE_EEviT1_.kd
    .uniform_work_group_size: 1
    .uses_dynamic_stack: false
    .vgpr_count:     16
    .vgpr_spill_count: 0
    .wavefront_size: 64
  - .args:
      - .offset:         0
        .size:           4
        .value_kind:     by_value
      - .offset:         8
        .size:           376
        .value_kind:     by_value
    .group_segment_fixed_size: 0
    .kernarg_segment_align: 8
    .kernarg_segment_size: 384
    .language:       OpenCL C
    .language_version:
      - 2
      - 0
    .max_flat_workgroup_size: 128
    .name:           _ZN2at6native32elementwise_kernel_manual_unrollILi128ELi4EZNS0_15gpu_kernel_implINS0_13BUnaryFunctorIdddZNS0_12_GLOBAL__N_121threshold_kernel_implIdEEvRNS_18TensorIteratorBaseET_S8_EUlddE_EEEEvS7_RKS8_EUlibE0_EEviT1_
    .private_segment_fixed_size: 0
    .sgpr_count:     88
    .sgpr_spill_count: 0
    .symbol:         _ZN2at6native32elementwise_kernel_manual_unrollILi128ELi4EZNS0_15gpu_kernel_implINS0_13BUnaryFunctorIdddZNS0_12_GLOBAL__N_121threshold_kernel_implIdEEvRNS_18TensorIteratorBaseET_S8_EUlddE_EEEEvS7_RKS8_EUlibE0_EEviT1_.kd
    .uniform_work_group_size: 1
    .uses_dynamic_stack: false
    .vgpr_count:     19
    .vgpr_spill_count: 0
    .wavefront_size: 64
  - .args:
      - .offset:         0
        .size:           4
        .value_kind:     by_value
      - .offset:         8
        .size:           16
        .value_kind:     by_value
      - .offset:         24
        .size:           24
        .value_kind:     by_value
    .group_segment_fixed_size: 0
    .kernarg_segment_align: 8
    .kernarg_segment_size: 48
    .language:       OpenCL C
    .language_version:
      - 2
      - 0
    .max_flat_workgroup_size: 256
    .name:           _ZN2at6native29vectorized_elementwise_kernelILi16ENS0_13BinaryFunctorIdddZNS0_12_GLOBAL__N_121threshold_kernel_implIdEEvRNS_18TensorIteratorBaseET_S7_EUlddE_EESt5arrayIPcLm3EEEEviT0_T1_
    .private_segment_fixed_size: 0
    .sgpr_count:     26
    .sgpr_spill_count: 0
    .symbol:         _ZN2at6native29vectorized_elementwise_kernelILi16ENS0_13BinaryFunctorIdddZNS0_12_GLOBAL__N_121threshold_kernel_implIdEEvRNS_18TensorIteratorBaseET_S7_EUlddE_EESt5arrayIPcLm3EEEEviT0_T1_.kd
    .uniform_work_group_size: 1
    .uses_dynamic_stack: false
    .vgpr_count:     23
    .vgpr_spill_count: 0
    .wavefront_size: 64
  - .args:
      - .offset:         0
        .size:           4
        .value_kind:     by_value
      - .offset:         8
        .size:           16
        .value_kind:     by_value
      - .offset:         24
        .size:           24
        .value_kind:     by_value
    .group_segment_fixed_size: 0
    .kernarg_segment_align: 8
    .kernarg_segment_size: 48
    .language:       OpenCL C
    .language_version:
      - 2
      - 0
    .max_flat_workgroup_size: 256
    .name:           _ZN2at6native29vectorized_elementwise_kernelILi8ENS0_13BinaryFunctorIdddZNS0_12_GLOBAL__N_121threshold_kernel_implIdEEvRNS_18TensorIteratorBaseET_S7_EUlddE_EESt5arrayIPcLm3EEEEviT0_T1_
    .private_segment_fixed_size: 0
    .sgpr_count:     26
    .sgpr_spill_count: 0
    .symbol:         _ZN2at6native29vectorized_elementwise_kernelILi8ENS0_13BinaryFunctorIdddZNS0_12_GLOBAL__N_121threshold_kernel_implIdEEvRNS_18TensorIteratorBaseET_S7_EUlddE_EESt5arrayIPcLm3EEEEviT0_T1_.kd
    .uniform_work_group_size: 1
    .uses_dynamic_stack: false
    .vgpr_count:     23
    .vgpr_spill_count: 0
    .wavefront_size: 64
  - .args:
      - .offset:         0
        .size:           4
        .value_kind:     by_value
      - .offset:         8
        .size:           16
        .value_kind:     by_value
      - .offset:         24
        .size:           24
        .value_kind:     by_value
    .group_segment_fixed_size: 0
    .kernarg_segment_align: 8
    .kernarg_segment_size: 48
    .language:       OpenCL C
    .language_version:
      - 2
      - 0
    .max_flat_workgroup_size: 256
    .name:           _ZN2at6native29vectorized_elementwise_kernelILi4ENS0_13BinaryFunctorIdddZNS0_12_GLOBAL__N_121threshold_kernel_implIdEEvRNS_18TensorIteratorBaseET_S7_EUlddE_EESt5arrayIPcLm3EEEEviT0_T1_
    .private_segment_fixed_size: 0
    .sgpr_count:     26
    .sgpr_spill_count: 0
    .symbol:         _ZN2at6native29vectorized_elementwise_kernelILi4ENS0_13BinaryFunctorIdddZNS0_12_GLOBAL__N_121threshold_kernel_implIdEEvRNS_18TensorIteratorBaseET_S7_EUlddE_EESt5arrayIPcLm3EEEEviT0_T1_.kd
    .uniform_work_group_size: 1
    .uses_dynamic_stack: false
    .vgpr_count:     23
    .vgpr_spill_count: 0
    .wavefront_size: 64
  - .args:
      - .offset:         0
        .size:           4
        .value_kind:     by_value
      - .offset:         8
        .size:           16
        .value_kind:     by_value
      - .offset:         24
        .size:           24
        .value_kind:     by_value
    .group_segment_fixed_size: 0
    .kernarg_segment_align: 8
    .kernarg_segment_size: 48
    .language:       OpenCL C
    .language_version:
      - 2
      - 0
    .max_flat_workgroup_size: 256
    .name:           _ZN2at6native29vectorized_elementwise_kernelILi2ENS0_13BinaryFunctorIdddZNS0_12_GLOBAL__N_121threshold_kernel_implIdEEvRNS_18TensorIteratorBaseET_S7_EUlddE_EESt5arrayIPcLm3EEEEviT0_T1_
    .private_segment_fixed_size: 0
    .sgpr_count:     26
    .sgpr_spill_count: 0
    .symbol:         _ZN2at6native29vectorized_elementwise_kernelILi2ENS0_13BinaryFunctorIdddZNS0_12_GLOBAL__N_121threshold_kernel_implIdEEvRNS_18TensorIteratorBaseET_S7_EUlddE_EESt5arrayIPcLm3EEEEviT0_T1_.kd
    .uniform_work_group_size: 1
    .uses_dynamic_stack: false
    .vgpr_count:     23
    .vgpr_spill_count: 0
    .wavefront_size: 64
  - .args:
      - .offset:         0
        .size:           4
        .value_kind:     by_value
      - .offset:         8
        .size:           16
        .value_kind:     by_value
      - .offset:         24
        .size:           24
        .value_kind:     by_value
      - .offset:         48
        .size:           1
        .value_kind:     by_value
      - .offset:         49
        .size:           1
        .value_kind:     by_value
      - .offset:         50
        .size:           1
        .value_kind:     by_value
      - .offset:         51
        .size:           1
        .value_kind:     by_value
    .group_segment_fixed_size: 0
    .kernarg_segment_align: 8
    .kernarg_segment_size: 52
    .language:       OpenCL C
    .language_version:
      - 2
      - 0
    .max_flat_workgroup_size: 256
    .name:           _ZN2at6native27unrolled_elementwise_kernelINS0_13BinaryFunctorIdddZNS0_12_GLOBAL__N_121threshold_kernel_implIdEEvRNS_18TensorIteratorBaseET_S7_EUlddE_EESt5arrayIPcLm3EELi4E23TrivialOffsetCalculatorILi2EjESD_ILi1EjENS0_6memory15LoadWithoutCastENSG_16StoreWithoutCastEEEviS7_T0_T2_T3_T4_T5_
    .private_segment_fixed_size: 0
    .sgpr_count:     20
    .sgpr_spill_count: 0
    .symbol:         _ZN2at6native27unrolled_elementwise_kernelINS0_13BinaryFunctorIdddZNS0_12_GLOBAL__N_121threshold_kernel_implIdEEvRNS_18TensorIteratorBaseET_S7_EUlddE_EESt5arrayIPcLm3EELi4E23TrivialOffsetCalculatorILi2EjESD_ILi1EjENS0_6memory15LoadWithoutCastENSG_16StoreWithoutCastEEEviS7_T0_T2_T3_T4_T5_.kd
    .uniform_work_group_size: 1
    .uses_dynamic_stack: false
    .vgpr_count:     23
    .vgpr_spill_count: 0
    .wavefront_size: 64
  - .args:
      - .offset:         0
        .size:           4
        .value_kind:     by_value
      - .offset:         8
        .size:           432
        .value_kind:     by_value
    .group_segment_fixed_size: 0
    .kernarg_segment_align: 8
    .kernarg_segment_size: 440
    .language:       OpenCL C
    .language_version:
      - 2
      - 0
    .max_flat_workgroup_size: 128
    .name:           _ZN2at6native32elementwise_kernel_manual_unrollILi128ELi4EZNS0_22gpu_kernel_impl_nocastINS0_13BinaryFunctorIdddZNS0_12_GLOBAL__N_121threshold_kernel_implIdEEvRNS_18TensorIteratorBaseET_S8_EUlddE_EEEEvS7_RKS8_EUlibE_EEviT1_
    .private_segment_fixed_size: 0
    .sgpr_count:     58
    .sgpr_spill_count: 0
    .symbol:         _ZN2at6native32elementwise_kernel_manual_unrollILi128ELi4EZNS0_22gpu_kernel_impl_nocastINS0_13BinaryFunctorIdddZNS0_12_GLOBAL__N_121threshold_kernel_implIdEEvRNS_18TensorIteratorBaseET_S8_EUlddE_EEEEvS7_RKS8_EUlibE_EEviT1_.kd
    .uniform_work_group_size: 1
    .uses_dynamic_stack: false
    .vgpr_count:     22
    .vgpr_spill_count: 0
    .wavefront_size: 64
  - .args:
      - .offset:         0
        .size:           4
        .value_kind:     by_value
      - .offset:         8
        .size:           64
        .value_kind:     by_value
    .group_segment_fixed_size: 0
    .kernarg_segment_align: 8
    .kernarg_segment_size: 72
    .language:       OpenCL C
    .language_version:
      - 2
      - 0
    .max_flat_workgroup_size: 128
    .name:           _ZN2at6native32elementwise_kernel_manual_unrollILi128ELi4EZNS0_15gpu_kernel_implINS0_13BinaryFunctorIdddZNS0_12_GLOBAL__N_121threshold_kernel_implIdEEvRNS_18TensorIteratorBaseET_S8_EUlddE_EEEEvS7_RKS8_EUlibE_EEviT1_
    .private_segment_fixed_size: 0
    .sgpr_count:     64
    .sgpr_spill_count: 0
    .symbol:         _ZN2at6native32elementwise_kernel_manual_unrollILi128ELi4EZNS0_15gpu_kernel_implINS0_13BinaryFunctorIdddZNS0_12_GLOBAL__N_121threshold_kernel_implIdEEvRNS_18TensorIteratorBaseET_S8_EUlddE_EEEEvS7_RKS8_EUlibE_EEviT1_.kd
    .uniform_work_group_size: 1
    .uses_dynamic_stack: false
    .vgpr_count:     23
    .vgpr_spill_count: 0
    .wavefront_size: 64
  - .args:
      - .offset:         0
        .size:           4
        .value_kind:     by_value
      - .offset:         8
        .size:           440
        .value_kind:     by_value
    .group_segment_fixed_size: 0
    .kernarg_segment_align: 8
    .kernarg_segment_size: 448
    .language:       OpenCL C
    .language_version:
      - 2
      - 0
    .max_flat_workgroup_size: 128
    .name:           _ZN2at6native32elementwise_kernel_manual_unrollILi128ELi4EZNS0_15gpu_kernel_implINS0_13BinaryFunctorIdddZNS0_12_GLOBAL__N_121threshold_kernel_implIdEEvRNS_18TensorIteratorBaseET_S8_EUlddE_EEEEvS7_RKS8_EUlibE0_EEviT1_
    .private_segment_fixed_size: 0
    .sgpr_count:     88
    .sgpr_spill_count: 0
    .symbol:         _ZN2at6native32elementwise_kernel_manual_unrollILi128ELi4EZNS0_15gpu_kernel_implINS0_13BinaryFunctorIdddZNS0_12_GLOBAL__N_121threshold_kernel_implIdEEvRNS_18TensorIteratorBaseET_S8_EUlddE_EEEEvS7_RKS8_EUlibE0_EEviT1_.kd
    .uniform_work_group_size: 1
    .uses_dynamic_stack: false
    .vgpr_count:     29
    .vgpr_spill_count: 0
    .wavefront_size: 64
  - .args:
      - .offset:         0
        .size:           4
        .value_kind:     by_value
      - .offset:         4
        .size:           12
        .value_kind:     by_value
      - .offset:         16
        .size:           16
        .value_kind:     by_value
    .group_segment_fixed_size: 0
    .kernarg_segment_align: 8
    .kernarg_segment_size: 32
    .language:       OpenCL C
    .language_version:
      - 2
      - 0
    .max_flat_workgroup_size: 256
    .name:           _ZN2at6native29vectorized_elementwise_kernelILi16ENS0_13AUnaryFunctorIfffZNS0_12_GLOBAL__N_121threshold_kernel_implIfEEvRNS_18TensorIteratorBaseET_S7_EUlffE_EESt5arrayIPcLm2EEEEviT0_T1_
    .private_segment_fixed_size: 0
    .sgpr_count:     20
    .sgpr_spill_count: 0
    .symbol:         _ZN2at6native29vectorized_elementwise_kernelILi16ENS0_13AUnaryFunctorIfffZNS0_12_GLOBAL__N_121threshold_kernel_implIfEEvRNS_18TensorIteratorBaseET_S7_EUlffE_EESt5arrayIPcLm2EEEEviT0_T1_.kd
    .uniform_work_group_size: 1
    .uses_dynamic_stack: false
    .vgpr_count:     11
    .vgpr_spill_count: 0
    .wavefront_size: 64
  - .args:
      - .offset:         0
        .size:           4
        .value_kind:     by_value
      - .offset:         4
        .size:           12
        .value_kind:     by_value
      - .offset:         16
        .size:           16
        .value_kind:     by_value
    .group_segment_fixed_size: 0
    .kernarg_segment_align: 8
    .kernarg_segment_size: 32
    .language:       OpenCL C
    .language_version:
      - 2
      - 0
    .max_flat_workgroup_size: 256
    .name:           _ZN2at6native29vectorized_elementwise_kernelILi8ENS0_13AUnaryFunctorIfffZNS0_12_GLOBAL__N_121threshold_kernel_implIfEEvRNS_18TensorIteratorBaseET_S7_EUlffE_EESt5arrayIPcLm2EEEEviT0_T1_
    .private_segment_fixed_size: 0
    .sgpr_count:     20
    .sgpr_spill_count: 0
    .symbol:         _ZN2at6native29vectorized_elementwise_kernelILi8ENS0_13AUnaryFunctorIfffZNS0_12_GLOBAL__N_121threshold_kernel_implIfEEvRNS_18TensorIteratorBaseET_S7_EUlffE_EESt5arrayIPcLm2EEEEviT0_T1_.kd
    .uniform_work_group_size: 1
    .uses_dynamic_stack: false
    .vgpr_count:     11
    .vgpr_spill_count: 0
    .wavefront_size: 64
  - .args:
      - .offset:         0
        .size:           4
        .value_kind:     by_value
      - .offset:         4
        .size:           12
        .value_kind:     by_value
      - .offset:         16
        .size:           16
        .value_kind:     by_value
    .group_segment_fixed_size: 0
    .kernarg_segment_align: 8
    .kernarg_segment_size: 32
    .language:       OpenCL C
    .language_version:
      - 2
      - 0
    .max_flat_workgroup_size: 256
    .name:           _ZN2at6native29vectorized_elementwise_kernelILi4ENS0_13AUnaryFunctorIfffZNS0_12_GLOBAL__N_121threshold_kernel_implIfEEvRNS_18TensorIteratorBaseET_S7_EUlffE_EESt5arrayIPcLm2EEEEviT0_T1_
    .private_segment_fixed_size: 0
    .sgpr_count:     20
    .sgpr_spill_count: 0
    .symbol:         _ZN2at6native29vectorized_elementwise_kernelILi4ENS0_13AUnaryFunctorIfffZNS0_12_GLOBAL__N_121threshold_kernel_implIfEEvRNS_18TensorIteratorBaseET_S7_EUlffE_EESt5arrayIPcLm2EEEEviT0_T1_.kd
    .uniform_work_group_size: 1
    .uses_dynamic_stack: false
    .vgpr_count:     11
    .vgpr_spill_count: 0
    .wavefront_size: 64
  - .args:
      - .offset:         0
        .size:           4
        .value_kind:     by_value
      - .offset:         4
        .size:           12
        .value_kind:     by_value
      - .offset:         16
        .size:           16
        .value_kind:     by_value
    .group_segment_fixed_size: 0
    .kernarg_segment_align: 8
    .kernarg_segment_size: 32
    .language:       OpenCL C
    .language_version:
      - 2
      - 0
    .max_flat_workgroup_size: 256
    .name:           _ZN2at6native29vectorized_elementwise_kernelILi2ENS0_13AUnaryFunctorIfffZNS0_12_GLOBAL__N_121threshold_kernel_implIfEEvRNS_18TensorIteratorBaseET_S7_EUlffE_EESt5arrayIPcLm2EEEEviT0_T1_
    .private_segment_fixed_size: 0
    .sgpr_count:     20
    .sgpr_spill_count: 0
    .symbol:         _ZN2at6native29vectorized_elementwise_kernelILi2ENS0_13AUnaryFunctorIfffZNS0_12_GLOBAL__N_121threshold_kernel_implIfEEvRNS_18TensorIteratorBaseET_S7_EUlffE_EESt5arrayIPcLm2EEEEviT0_T1_.kd
    .uniform_work_group_size: 1
    .uses_dynamic_stack: false
    .vgpr_count:     11
    .vgpr_spill_count: 0
    .wavefront_size: 64
  - .args:
      - .offset:         0
        .size:           4
        .value_kind:     by_value
      - .offset:         4
        .size:           12
        .value_kind:     by_value
      - .offset:         16
        .size:           16
        .value_kind:     by_value
      - .offset:         32
        .size:           1
        .value_kind:     by_value
      - .offset:         33
        .size:           1
        .value_kind:     by_value
      - .offset:         34
        .size:           1
        .value_kind:     by_value
      - .offset:         35
        .size:           1
        .value_kind:     by_value
    .group_segment_fixed_size: 0
    .kernarg_segment_align: 8
    .kernarg_segment_size: 36
    .language:       OpenCL C
    .language_version:
      - 2
      - 0
    .max_flat_workgroup_size: 256
    .name:           _ZN2at6native27unrolled_elementwise_kernelINS0_13AUnaryFunctorIfffZNS0_12_GLOBAL__N_121threshold_kernel_implIfEEvRNS_18TensorIteratorBaseET_S7_EUlffE_EESt5arrayIPcLm2EELi4E23TrivialOffsetCalculatorILi1EjESE_NS0_6memory15LoadWithoutCastENSF_16StoreWithoutCastEEEviS7_T0_T2_T3_T4_T5_
    .private_segment_fixed_size: 0
    .sgpr_count:     20
    .sgpr_spill_count: 0
    .symbol:         _ZN2at6native27unrolled_elementwise_kernelINS0_13AUnaryFunctorIfffZNS0_12_GLOBAL__N_121threshold_kernel_implIfEEvRNS_18TensorIteratorBaseET_S7_EUlffE_EESt5arrayIPcLm2EELi4E23TrivialOffsetCalculatorILi1EjESE_NS0_6memory15LoadWithoutCastENSF_16StoreWithoutCastEEEviS7_T0_T2_T3_T4_T5_.kd
    .uniform_work_group_size: 1
    .uses_dynamic_stack: false
    .vgpr_count:     11
    .vgpr_spill_count: 0
    .wavefront_size: 64
  - .args:
      - .offset:         0
        .size:           4
        .value_kind:     by_value
      - .offset:         8
        .size:           360
        .value_kind:     by_value
    .group_segment_fixed_size: 0
    .kernarg_segment_align: 8
    .kernarg_segment_size: 368
    .language:       OpenCL C
    .language_version:
      - 2
      - 0
    .max_flat_workgroup_size: 128
    .name:           _ZN2at6native32elementwise_kernel_manual_unrollILi128ELi4EZNS0_22gpu_kernel_impl_nocastINS0_13AUnaryFunctorIfffZNS0_12_GLOBAL__N_121threshold_kernel_implIfEEvRNS_18TensorIteratorBaseET_S8_EUlffE_EEEEvS7_RKS8_EUlibE_EEviT1_
    .private_segment_fixed_size: 0
    .sgpr_count:     67
    .sgpr_spill_count: 0
    .symbol:         _ZN2at6native32elementwise_kernel_manual_unrollILi128ELi4EZNS0_22gpu_kernel_impl_nocastINS0_13AUnaryFunctorIfffZNS0_12_GLOBAL__N_121threshold_kernel_implIfEEvRNS_18TensorIteratorBaseET_S8_EUlffE_EEEEvS7_RKS8_EUlibE_EEviT1_.kd
    .uniform_work_group_size: 1
    .uses_dynamic_stack: false
    .vgpr_count:     18
    .vgpr_spill_count: 0
    .wavefront_size: 64
  - .args:
      - .offset:         0
        .size:           4
        .value_kind:     by_value
      - .offset:         8
        .size:           40
        .value_kind:     by_value
    .group_segment_fixed_size: 0
    .kernarg_segment_align: 8
    .kernarg_segment_size: 48
    .language:       OpenCL C
    .language_version:
      - 2
      - 0
    .max_flat_workgroup_size: 128
    .name:           _ZN2at6native32elementwise_kernel_manual_unrollILi128ELi4EZNS0_15gpu_kernel_implINS0_13AUnaryFunctorIfffZNS0_12_GLOBAL__N_121threshold_kernel_implIfEEvRNS_18TensorIteratorBaseET_S8_EUlffE_EEEEvS7_RKS8_EUlibE_EEviT1_
    .private_segment_fixed_size: 0
    .sgpr_count:     53
    .sgpr_spill_count: 0
    .symbol:         _ZN2at6native32elementwise_kernel_manual_unrollILi128ELi4EZNS0_15gpu_kernel_implINS0_13AUnaryFunctorIfffZNS0_12_GLOBAL__N_121threshold_kernel_implIfEEvRNS_18TensorIteratorBaseET_S8_EUlffE_EEEEvS7_RKS8_EUlibE_EEviT1_.kd
    .uniform_work_group_size: 1
    .uses_dynamic_stack: false
    .vgpr_count:     12
    .vgpr_spill_count: 0
    .wavefront_size: 64
  - .args:
      - .offset:         0
        .size:           4
        .value_kind:     by_value
      - .offset:         8
        .size:           360
        .value_kind:     by_value
    .group_segment_fixed_size: 0
    .kernarg_segment_align: 8
    .kernarg_segment_size: 368
    .language:       OpenCL C
    .language_version:
      - 2
      - 0
    .max_flat_workgroup_size: 128
    .name:           _ZN2at6native32elementwise_kernel_manual_unrollILi128ELi4EZNS0_15gpu_kernel_implINS0_13AUnaryFunctorIfffZNS0_12_GLOBAL__N_121threshold_kernel_implIfEEvRNS_18TensorIteratorBaseET_S8_EUlffE_EEEEvS7_RKS8_EUlibE0_EEviT1_
    .private_segment_fixed_size: 0
    .sgpr_count:     85
    .sgpr_spill_count: 0
    .symbol:         _ZN2at6native32elementwise_kernel_manual_unrollILi128ELi4EZNS0_15gpu_kernel_implINS0_13AUnaryFunctorIfffZNS0_12_GLOBAL__N_121threshold_kernel_implIfEEvRNS_18TensorIteratorBaseET_S8_EUlffE_EEEEvS7_RKS8_EUlibE0_EEviT1_.kd
    .uniform_work_group_size: 1
    .uses_dynamic_stack: false
    .vgpr_count:     18
    .vgpr_spill_count: 0
    .wavefront_size: 64
  - .args:
      - .offset:         0
        .size:           4
        .value_kind:     by_value
      - .offset:         4
        .size:           12
        .value_kind:     by_value
      - .offset:         16
        .size:           16
        .value_kind:     by_value
    .group_segment_fixed_size: 0
    .kernarg_segment_align: 8
    .kernarg_segment_size: 32
    .language:       OpenCL C
    .language_version:
      - 2
      - 0
    .max_flat_workgroup_size: 256
    .name:           _ZN2at6native29vectorized_elementwise_kernelILi16ENS0_13BUnaryFunctorIfffZNS0_12_GLOBAL__N_121threshold_kernel_implIfEEvRNS_18TensorIteratorBaseET_S7_EUlffE_EESt5arrayIPcLm2EEEEviT0_T1_
    .private_segment_fixed_size: 0
    .sgpr_count:     20
    .sgpr_spill_count: 0
    .symbol:         _ZN2at6native29vectorized_elementwise_kernelILi16ENS0_13BUnaryFunctorIfffZNS0_12_GLOBAL__N_121threshold_kernel_implIfEEvRNS_18TensorIteratorBaseET_S7_EUlffE_EESt5arrayIPcLm2EEEEviT0_T1_.kd
    .uniform_work_group_size: 1
    .uses_dynamic_stack: false
    .vgpr_count:     12
    .vgpr_spill_count: 0
    .wavefront_size: 64
  - .args:
      - .offset:         0
        .size:           4
        .value_kind:     by_value
      - .offset:         4
        .size:           12
        .value_kind:     by_value
      - .offset:         16
        .size:           16
        .value_kind:     by_value
    .group_segment_fixed_size: 0
    .kernarg_segment_align: 8
    .kernarg_segment_size: 32
    .language:       OpenCL C
    .language_version:
      - 2
      - 0
    .max_flat_workgroup_size: 256
    .name:           _ZN2at6native29vectorized_elementwise_kernelILi8ENS0_13BUnaryFunctorIfffZNS0_12_GLOBAL__N_121threshold_kernel_implIfEEvRNS_18TensorIteratorBaseET_S7_EUlffE_EESt5arrayIPcLm2EEEEviT0_T1_
    .private_segment_fixed_size: 0
    .sgpr_count:     20
    .sgpr_spill_count: 0
    .symbol:         _ZN2at6native29vectorized_elementwise_kernelILi8ENS0_13BUnaryFunctorIfffZNS0_12_GLOBAL__N_121threshold_kernel_implIfEEvRNS_18TensorIteratorBaseET_S7_EUlffE_EESt5arrayIPcLm2EEEEviT0_T1_.kd
    .uniform_work_group_size: 1
    .uses_dynamic_stack: false
    .vgpr_count:     12
    .vgpr_spill_count: 0
    .wavefront_size: 64
  - .args:
      - .offset:         0
        .size:           4
        .value_kind:     by_value
      - .offset:         4
        .size:           12
        .value_kind:     by_value
      - .offset:         16
        .size:           16
        .value_kind:     by_value
    .group_segment_fixed_size: 0
    .kernarg_segment_align: 8
    .kernarg_segment_size: 32
    .language:       OpenCL C
    .language_version:
      - 2
      - 0
    .max_flat_workgroup_size: 256
    .name:           _ZN2at6native29vectorized_elementwise_kernelILi4ENS0_13BUnaryFunctorIfffZNS0_12_GLOBAL__N_121threshold_kernel_implIfEEvRNS_18TensorIteratorBaseET_S7_EUlffE_EESt5arrayIPcLm2EEEEviT0_T1_
    .private_segment_fixed_size: 0
    .sgpr_count:     20
    .sgpr_spill_count: 0
    .symbol:         _ZN2at6native29vectorized_elementwise_kernelILi4ENS0_13BUnaryFunctorIfffZNS0_12_GLOBAL__N_121threshold_kernel_implIfEEvRNS_18TensorIteratorBaseET_S7_EUlffE_EESt5arrayIPcLm2EEEEviT0_T1_.kd
    .uniform_work_group_size: 1
    .uses_dynamic_stack: false
    .vgpr_count:     12
    .vgpr_spill_count: 0
    .wavefront_size: 64
  - .args:
      - .offset:         0
        .size:           4
        .value_kind:     by_value
      - .offset:         4
        .size:           12
        .value_kind:     by_value
      - .offset:         16
        .size:           16
        .value_kind:     by_value
    .group_segment_fixed_size: 0
    .kernarg_segment_align: 8
    .kernarg_segment_size: 32
    .language:       OpenCL C
    .language_version:
      - 2
      - 0
    .max_flat_workgroup_size: 256
    .name:           _ZN2at6native29vectorized_elementwise_kernelILi2ENS0_13BUnaryFunctorIfffZNS0_12_GLOBAL__N_121threshold_kernel_implIfEEvRNS_18TensorIteratorBaseET_S7_EUlffE_EESt5arrayIPcLm2EEEEviT0_T1_
    .private_segment_fixed_size: 0
    .sgpr_count:     20
    .sgpr_spill_count: 0
    .symbol:         _ZN2at6native29vectorized_elementwise_kernelILi2ENS0_13BUnaryFunctorIfffZNS0_12_GLOBAL__N_121threshold_kernel_implIfEEvRNS_18TensorIteratorBaseET_S7_EUlffE_EESt5arrayIPcLm2EEEEviT0_T1_.kd
    .uniform_work_group_size: 1
    .uses_dynamic_stack: false
    .vgpr_count:     12
    .vgpr_spill_count: 0
    .wavefront_size: 64
  - .args:
      - .offset:         0
        .size:           4
        .value_kind:     by_value
      - .offset:         4
        .size:           12
        .value_kind:     by_value
      - .offset:         16
        .size:           16
        .value_kind:     by_value
      - .offset:         32
        .size:           1
        .value_kind:     by_value
      - .offset:         33
        .size:           1
        .value_kind:     by_value
      - .offset:         34
        .size:           1
        .value_kind:     by_value
      - .offset:         35
        .size:           1
        .value_kind:     by_value
    .group_segment_fixed_size: 0
    .kernarg_segment_align: 8
    .kernarg_segment_size: 36
    .language:       OpenCL C
    .language_version:
      - 2
      - 0
    .max_flat_workgroup_size: 256
    .name:           _ZN2at6native27unrolled_elementwise_kernelINS0_13BUnaryFunctorIfffZNS0_12_GLOBAL__N_121threshold_kernel_implIfEEvRNS_18TensorIteratorBaseET_S7_EUlffE_EESt5arrayIPcLm2EELi4E23TrivialOffsetCalculatorILi1EjESE_NS0_6memory15LoadWithoutCastENSF_16StoreWithoutCastEEEviS7_T0_T2_T3_T4_T5_
    .private_segment_fixed_size: 0
    .sgpr_count:     20
    .sgpr_spill_count: 0
    .symbol:         _ZN2at6native27unrolled_elementwise_kernelINS0_13BUnaryFunctorIfffZNS0_12_GLOBAL__N_121threshold_kernel_implIfEEvRNS_18TensorIteratorBaseET_S7_EUlffE_EESt5arrayIPcLm2EELi4E23TrivialOffsetCalculatorILi1EjESE_NS0_6memory15LoadWithoutCastENSF_16StoreWithoutCastEEEviS7_T0_T2_T3_T4_T5_.kd
    .uniform_work_group_size: 1
    .uses_dynamic_stack: false
    .vgpr_count:     12
    .vgpr_spill_count: 0
    .wavefront_size: 64
  - .args:
      - .offset:         0
        .size:           4
        .value_kind:     by_value
      - .offset:         8
        .size:           360
        .value_kind:     by_value
    .group_segment_fixed_size: 0
    .kernarg_segment_align: 8
    .kernarg_segment_size: 368
    .language:       OpenCL C
    .language_version:
      - 2
      - 0
    .max_flat_workgroup_size: 128
    .name:           _ZN2at6native32elementwise_kernel_manual_unrollILi128ELi4EZNS0_22gpu_kernel_impl_nocastINS0_13BUnaryFunctorIfffZNS0_12_GLOBAL__N_121threshold_kernel_implIfEEvRNS_18TensorIteratorBaseET_S8_EUlffE_EEEEvS7_RKS8_EUlibE_EEviT1_
    .private_segment_fixed_size: 0
    .sgpr_count:     67
    .sgpr_spill_count: 0
    .symbol:         _ZN2at6native32elementwise_kernel_manual_unrollILi128ELi4EZNS0_22gpu_kernel_impl_nocastINS0_13BUnaryFunctorIfffZNS0_12_GLOBAL__N_121threshold_kernel_implIfEEvRNS_18TensorIteratorBaseET_S8_EUlffE_EEEEvS7_RKS8_EUlibE_EEviT1_.kd
    .uniform_work_group_size: 1
    .uses_dynamic_stack: false
    .vgpr_count:     18
    .vgpr_spill_count: 0
    .wavefront_size: 64
  - .args:
      - .offset:         0
        .size:           4
        .value_kind:     by_value
      - .offset:         8
        .size:           40
        .value_kind:     by_value
    .group_segment_fixed_size: 0
    .kernarg_segment_align: 8
    .kernarg_segment_size: 48
    .language:       OpenCL C
    .language_version:
      - 2
      - 0
    .max_flat_workgroup_size: 128
    .name:           _ZN2at6native32elementwise_kernel_manual_unrollILi128ELi4EZNS0_15gpu_kernel_implINS0_13BUnaryFunctorIfffZNS0_12_GLOBAL__N_121threshold_kernel_implIfEEvRNS_18TensorIteratorBaseET_S8_EUlffE_EEEEvS7_RKS8_EUlibE_EEviT1_
    .private_segment_fixed_size: 0
    .sgpr_count:     51
    .sgpr_spill_count: 0
    .symbol:         _ZN2at6native32elementwise_kernel_manual_unrollILi128ELi4EZNS0_15gpu_kernel_implINS0_13BUnaryFunctorIfffZNS0_12_GLOBAL__N_121threshold_kernel_implIfEEvRNS_18TensorIteratorBaseET_S8_EUlffE_EEEEvS7_RKS8_EUlibE_EEviT1_.kd
    .uniform_work_group_size: 1
    .uses_dynamic_stack: false
    .vgpr_count:     12
    .vgpr_spill_count: 0
    .wavefront_size: 64
  - .args:
      - .offset:         0
        .size:           4
        .value_kind:     by_value
      - .offset:         8
        .size:           360
        .value_kind:     by_value
    .group_segment_fixed_size: 0
    .kernarg_segment_align: 8
    .kernarg_segment_size: 368
    .language:       OpenCL C
    .language_version:
      - 2
      - 0
    .max_flat_workgroup_size: 128
    .name:           _ZN2at6native32elementwise_kernel_manual_unrollILi128ELi4EZNS0_15gpu_kernel_implINS0_13BUnaryFunctorIfffZNS0_12_GLOBAL__N_121threshold_kernel_implIfEEvRNS_18TensorIteratorBaseET_S8_EUlffE_EEEEvS7_RKS8_EUlibE0_EEviT1_
    .private_segment_fixed_size: 0
    .sgpr_count:     85
    .sgpr_spill_count: 0
    .symbol:         _ZN2at6native32elementwise_kernel_manual_unrollILi128ELi4EZNS0_15gpu_kernel_implINS0_13BUnaryFunctorIfffZNS0_12_GLOBAL__N_121threshold_kernel_implIfEEvRNS_18TensorIteratorBaseET_S8_EUlffE_EEEEvS7_RKS8_EUlibE0_EEviT1_.kd
    .uniform_work_group_size: 1
    .uses_dynamic_stack: false
    .vgpr_count:     18
    .vgpr_spill_count: 0
    .wavefront_size: 64
  - .args:
      - .offset:         0
        .size:           4
        .value_kind:     by_value
      - .offset:         4
        .size:           8
        .value_kind:     by_value
      - .offset:         16
        .size:           24
        .value_kind:     by_value
    .group_segment_fixed_size: 0
    .kernarg_segment_align: 8
    .kernarg_segment_size: 40
    .language:       OpenCL C
    .language_version:
      - 2
      - 0
    .max_flat_workgroup_size: 256
    .name:           _ZN2at6native29vectorized_elementwise_kernelILi16ENS0_13BinaryFunctorIfffZNS0_12_GLOBAL__N_121threshold_kernel_implIfEEvRNS_18TensorIteratorBaseET_S7_EUlffE_EESt5arrayIPcLm3EEEEviT0_T1_
    .private_segment_fixed_size: 0
    .sgpr_count:     24
    .sgpr_spill_count: 0
    .symbol:         _ZN2at6native29vectorized_elementwise_kernelILi16ENS0_13BinaryFunctorIfffZNS0_12_GLOBAL__N_121threshold_kernel_implIfEEvRNS_18TensorIteratorBaseET_S7_EUlffE_EESt5arrayIPcLm3EEEEviT0_T1_.kd
    .uniform_work_group_size: 1
    .uses_dynamic_stack: false
    .vgpr_count:     16
    .vgpr_spill_count: 0
    .wavefront_size: 64
  - .args:
      - .offset:         0
        .size:           4
        .value_kind:     by_value
      - .offset:         4
        .size:           8
        .value_kind:     by_value
      - .offset:         16
        .size:           24
        .value_kind:     by_value
    .group_segment_fixed_size: 0
    .kernarg_segment_align: 8
    .kernarg_segment_size: 40
    .language:       OpenCL C
    .language_version:
      - 2
      - 0
    .max_flat_workgroup_size: 256
    .name:           _ZN2at6native29vectorized_elementwise_kernelILi8ENS0_13BinaryFunctorIfffZNS0_12_GLOBAL__N_121threshold_kernel_implIfEEvRNS_18TensorIteratorBaseET_S7_EUlffE_EESt5arrayIPcLm3EEEEviT0_T1_
    .private_segment_fixed_size: 0
    .sgpr_count:     24
    .sgpr_spill_count: 0
    .symbol:         _ZN2at6native29vectorized_elementwise_kernelILi8ENS0_13BinaryFunctorIfffZNS0_12_GLOBAL__N_121threshold_kernel_implIfEEvRNS_18TensorIteratorBaseET_S7_EUlffE_EESt5arrayIPcLm3EEEEviT0_T1_.kd
    .uniform_work_group_size: 1
    .uses_dynamic_stack: false
    .vgpr_count:     16
    .vgpr_spill_count: 0
    .wavefront_size: 64
  - .args:
      - .offset:         0
        .size:           4
        .value_kind:     by_value
      - .offset:         4
        .size:           8
        .value_kind:     by_value
      - .offset:         16
        .size:           24
        .value_kind:     by_value
    .group_segment_fixed_size: 0
    .kernarg_segment_align: 8
    .kernarg_segment_size: 40
    .language:       OpenCL C
    .language_version:
      - 2
      - 0
    .max_flat_workgroup_size: 256
    .name:           _ZN2at6native29vectorized_elementwise_kernelILi4ENS0_13BinaryFunctorIfffZNS0_12_GLOBAL__N_121threshold_kernel_implIfEEvRNS_18TensorIteratorBaseET_S7_EUlffE_EESt5arrayIPcLm3EEEEviT0_T1_
    .private_segment_fixed_size: 0
    .sgpr_count:     24
    .sgpr_spill_count: 0
    .symbol:         _ZN2at6native29vectorized_elementwise_kernelILi4ENS0_13BinaryFunctorIfffZNS0_12_GLOBAL__N_121threshold_kernel_implIfEEvRNS_18TensorIteratorBaseET_S7_EUlffE_EESt5arrayIPcLm3EEEEviT0_T1_.kd
    .uniform_work_group_size: 1
    .uses_dynamic_stack: false
    .vgpr_count:     16
    .vgpr_spill_count: 0
    .wavefront_size: 64
  - .args:
      - .offset:         0
        .size:           4
        .value_kind:     by_value
      - .offset:         4
        .size:           8
        .value_kind:     by_value
      - .offset:         16
        .size:           24
        .value_kind:     by_value
    .group_segment_fixed_size: 0
    .kernarg_segment_align: 8
    .kernarg_segment_size: 40
    .language:       OpenCL C
    .language_version:
      - 2
      - 0
    .max_flat_workgroup_size: 256
    .name:           _ZN2at6native29vectorized_elementwise_kernelILi2ENS0_13BinaryFunctorIfffZNS0_12_GLOBAL__N_121threshold_kernel_implIfEEvRNS_18TensorIteratorBaseET_S7_EUlffE_EESt5arrayIPcLm3EEEEviT0_T1_
    .private_segment_fixed_size: 0
    .sgpr_count:     24
    .sgpr_spill_count: 0
    .symbol:         _ZN2at6native29vectorized_elementwise_kernelILi2ENS0_13BinaryFunctorIfffZNS0_12_GLOBAL__N_121threshold_kernel_implIfEEvRNS_18TensorIteratorBaseET_S7_EUlffE_EESt5arrayIPcLm3EEEEviT0_T1_.kd
    .uniform_work_group_size: 1
    .uses_dynamic_stack: false
    .vgpr_count:     16
    .vgpr_spill_count: 0
    .wavefront_size: 64
  - .args:
      - .offset:         0
        .size:           4
        .value_kind:     by_value
      - .offset:         4
        .size:           8
        .value_kind:     by_value
      - .offset:         16
        .size:           24
        .value_kind:     by_value
      - .offset:         40
        .size:           1
        .value_kind:     by_value
      - .offset:         41
        .size:           1
        .value_kind:     by_value
      - .offset:         42
        .size:           1
        .value_kind:     by_value
      - .offset:         43
        .size:           1
        .value_kind:     by_value
    .group_segment_fixed_size: 0
    .kernarg_segment_align: 8
    .kernarg_segment_size: 44
    .language:       OpenCL C
    .language_version:
      - 2
      - 0
    .max_flat_workgroup_size: 256
    .name:           _ZN2at6native27unrolled_elementwise_kernelINS0_13BinaryFunctorIfffZNS0_12_GLOBAL__N_121threshold_kernel_implIfEEvRNS_18TensorIteratorBaseET_S7_EUlffE_EESt5arrayIPcLm3EELi4E23TrivialOffsetCalculatorILi2EjESD_ILi1EjENS0_6memory15LoadWithoutCastENSG_16StoreWithoutCastEEEviS7_T0_T2_T3_T4_T5_
    .private_segment_fixed_size: 0
    .sgpr_count:     20
    .sgpr_spill_count: 0
    .symbol:         _ZN2at6native27unrolled_elementwise_kernelINS0_13BinaryFunctorIfffZNS0_12_GLOBAL__N_121threshold_kernel_implIfEEvRNS_18TensorIteratorBaseET_S7_EUlffE_EESt5arrayIPcLm3EELi4E23TrivialOffsetCalculatorILi2EjESD_ILi1EjENS0_6memory15LoadWithoutCastENSG_16StoreWithoutCastEEEviS7_T0_T2_T3_T4_T5_.kd
    .uniform_work_group_size: 1
    .uses_dynamic_stack: false
    .vgpr_count:     15
    .vgpr_spill_count: 0
    .wavefront_size: 64
  - .args:
      - .offset:         0
        .size:           4
        .value_kind:     by_value
      - .offset:         8
        .size:           424
        .value_kind:     by_value
    .group_segment_fixed_size: 0
    .kernarg_segment_align: 8
    .kernarg_segment_size: 432
    .language:       OpenCL C
    .language_version:
      - 2
      - 0
    .max_flat_workgroup_size: 128
    .name:           _ZN2at6native32elementwise_kernel_manual_unrollILi128ELi4EZNS0_22gpu_kernel_impl_nocastINS0_13BinaryFunctorIfffZNS0_12_GLOBAL__N_121threshold_kernel_implIfEEvRNS_18TensorIteratorBaseET_S8_EUlffE_EEEEvS7_RKS8_EUlibE_EEviT1_
    .private_segment_fixed_size: 0
    .sgpr_count:     56
    .sgpr_spill_count: 0
    .symbol:         _ZN2at6native32elementwise_kernel_manual_unrollILi128ELi4EZNS0_22gpu_kernel_impl_nocastINS0_13BinaryFunctorIfffZNS0_12_GLOBAL__N_121threshold_kernel_implIfEEvRNS_18TensorIteratorBaseET_S8_EUlffE_EEEEvS7_RKS8_EUlibE_EEviT1_.kd
    .uniform_work_group_size: 1
    .uses_dynamic_stack: false
    .vgpr_count:     22
    .vgpr_spill_count: 0
    .wavefront_size: 64
  - .args:
      - .offset:         0
        .size:           4
        .value_kind:     by_value
      - .offset:         4
        .size:           8
        .value_kind:     by_value
      - .offset:         16
        .size:           24
        .value_kind:     by_value
      - .offset:         40
        .size:           1
        .value_kind:     by_value
      - .offset:         41
        .size:           1
        .value_kind:     by_value
      - .offset:         44
        .size:           12
        .value_kind:     by_value
      - .offset:         56
        .size:           8
        .value_kind:     by_value
      - .offset:         64
        .size:           4
        .value_kind:     hidden_block_count_x
      - .offset:         68
        .size:           4
        .value_kind:     hidden_block_count_y
      - .offset:         72
        .size:           4
        .value_kind:     hidden_block_count_z
      - .offset:         76
        .size:           2
        .value_kind:     hidden_group_size_x
      - .offset:         78
        .size:           2
        .value_kind:     hidden_group_size_y
      - .offset:         80
        .size:           2
        .value_kind:     hidden_group_size_z
      - .offset:         82
        .size:           2
        .value_kind:     hidden_remainder_x
      - .offset:         84
        .size:           2
        .value_kind:     hidden_remainder_y
      - .offset:         86
        .size:           2
        .value_kind:     hidden_remainder_z
      - .offset:         104
        .size:           8
        .value_kind:     hidden_global_offset_x
      - .offset:         112
        .size:           8
        .value_kind:     hidden_global_offset_y
      - .offset:         120
        .size:           8
        .value_kind:     hidden_global_offset_z
      - .offset:         128
        .size:           2
        .value_kind:     hidden_grid_dims
    .group_segment_fixed_size: 0
    .kernarg_segment_align: 8
    .kernarg_segment_size: 320
    .language:       OpenCL C
    .language_version:
      - 2
      - 0
    .max_flat_workgroup_size: 512
    .name:           _ZN2at6native39vectorized_templated_elementwise_kernelILi8ENS0_13BinaryFunctorIfffZNS0_12_GLOBAL__N_121threshold_kernel_implIfEEvRNS_18TensorIteratorBaseET_S7_EUlffE_EESt5arrayIPcLm3EE23TrivialOffsetCalculatorILi2EjESD_ILi1EjENS0_6memory12LoadWithCastILi2EEENSG_13StoreWithCastILi1EEEfJfN3c108BFloat16EEEEviT0_T1_T2_T3_T4_T5_
    .private_segment_fixed_size: 272
    .sgpr_count:     102
    .sgpr_spill_count: 0
    .symbol:         _ZN2at6native39vectorized_templated_elementwise_kernelILi8ENS0_13BinaryFunctorIfffZNS0_12_GLOBAL__N_121threshold_kernel_implIfEEvRNS_18TensorIteratorBaseET_S7_EUlffE_EESt5arrayIPcLm3EE23TrivialOffsetCalculatorILi2EjESD_ILi1EjENS0_6memory12LoadWithCastILi2EEENSG_13StoreWithCastILi1EEEfJfN3c108BFloat16EEEEviT0_T1_T2_T3_T4_T5_.kd
    .uniform_work_group_size: 1
    .uses_dynamic_stack: false
    .vgpr_count:     119
    .vgpr_spill_count: 0
    .wavefront_size: 64
  - .args:
      - .offset:         0
        .size:           4
        .value_kind:     by_value
      - .offset:         4
        .size:           8
        .value_kind:     by_value
      - .offset:         16
        .size:           24
        .value_kind:     by_value
      - .offset:         40
        .size:           1
        .value_kind:     by_value
      - .offset:         41
        .size:           1
        .value_kind:     by_value
      - .offset:         44
        .size:           12
        .value_kind:     by_value
      - .offset:         56
        .size:           8
        .value_kind:     by_value
      - .offset:         64
        .size:           4
        .value_kind:     hidden_block_count_x
      - .offset:         68
        .size:           4
        .value_kind:     hidden_block_count_y
      - .offset:         72
        .size:           4
        .value_kind:     hidden_block_count_z
      - .offset:         76
        .size:           2
        .value_kind:     hidden_group_size_x
      - .offset:         78
        .size:           2
        .value_kind:     hidden_group_size_y
      - .offset:         80
        .size:           2
        .value_kind:     hidden_group_size_z
      - .offset:         82
        .size:           2
        .value_kind:     hidden_remainder_x
      - .offset:         84
        .size:           2
        .value_kind:     hidden_remainder_y
      - .offset:         86
        .size:           2
        .value_kind:     hidden_remainder_z
      - .offset:         104
        .size:           8
        .value_kind:     hidden_global_offset_x
      - .offset:         112
        .size:           8
        .value_kind:     hidden_global_offset_y
      - .offset:         120
        .size:           8
        .value_kind:     hidden_global_offset_z
      - .offset:         128
        .size:           2
        .value_kind:     hidden_grid_dims
    .group_segment_fixed_size: 0
    .kernarg_segment_align: 8
    .kernarg_segment_size: 320
    .language:       OpenCL C
    .language_version:
      - 2
      - 0
    .max_flat_workgroup_size: 512
    .name:           _ZN2at6native39vectorized_templated_elementwise_kernelILi4ENS0_13BinaryFunctorIfffZNS0_12_GLOBAL__N_121threshold_kernel_implIfEEvRNS_18TensorIteratorBaseET_S7_EUlffE_EESt5arrayIPcLm3EE23TrivialOffsetCalculatorILi2EjESD_ILi1EjENS0_6memory12LoadWithCastILi2EEENSG_13StoreWithCastILi1EEEfJfN3c108BFloat16EEEEviT0_T1_T2_T3_T4_T5_
    .private_segment_fixed_size: 272
    .sgpr_count:     102
    .sgpr_spill_count: 0
    .symbol:         _ZN2at6native39vectorized_templated_elementwise_kernelILi4ENS0_13BinaryFunctorIfffZNS0_12_GLOBAL__N_121threshold_kernel_implIfEEvRNS_18TensorIteratorBaseET_S7_EUlffE_EESt5arrayIPcLm3EE23TrivialOffsetCalculatorILi2EjESD_ILi1EjENS0_6memory12LoadWithCastILi2EEENSG_13StoreWithCastILi1EEEfJfN3c108BFloat16EEEEviT0_T1_T2_T3_T4_T5_.kd
    .uniform_work_group_size: 1
    .uses_dynamic_stack: false
    .vgpr_count:     119
    .vgpr_spill_count: 0
    .wavefront_size: 64
  - .args:
      - .offset:         0
        .size:           4
        .value_kind:     by_value
      - .offset:         4
        .size:           8
        .value_kind:     by_value
      - .offset:         16
        .size:           24
        .value_kind:     by_value
      - .offset:         40
        .size:           1
        .value_kind:     by_value
      - .offset:         41
        .size:           1
        .value_kind:     by_value
      - .offset:         44
        .size:           12
        .value_kind:     by_value
      - .offset:         56
        .size:           8
        .value_kind:     by_value
      - .offset:         64
        .size:           4
        .value_kind:     hidden_block_count_x
      - .offset:         68
        .size:           4
        .value_kind:     hidden_block_count_y
      - .offset:         72
        .size:           4
        .value_kind:     hidden_block_count_z
      - .offset:         76
        .size:           2
        .value_kind:     hidden_group_size_x
      - .offset:         78
        .size:           2
        .value_kind:     hidden_group_size_y
      - .offset:         80
        .size:           2
        .value_kind:     hidden_group_size_z
      - .offset:         82
        .size:           2
        .value_kind:     hidden_remainder_x
      - .offset:         84
        .size:           2
        .value_kind:     hidden_remainder_y
      - .offset:         86
        .size:           2
        .value_kind:     hidden_remainder_z
      - .offset:         104
        .size:           8
        .value_kind:     hidden_global_offset_x
      - .offset:         112
        .size:           8
        .value_kind:     hidden_global_offset_y
      - .offset:         120
        .size:           8
        .value_kind:     hidden_global_offset_z
      - .offset:         128
        .size:           2
        .value_kind:     hidden_grid_dims
    .group_segment_fixed_size: 0
    .kernarg_segment_align: 8
    .kernarg_segment_size: 320
    .language:       OpenCL C
    .language_version:
      - 2
      - 0
    .max_flat_workgroup_size: 512
    .name:           _ZN2at6native39vectorized_templated_elementwise_kernelILi2ENS0_13BinaryFunctorIfffZNS0_12_GLOBAL__N_121threshold_kernel_implIfEEvRNS_18TensorIteratorBaseET_S7_EUlffE_EESt5arrayIPcLm3EE23TrivialOffsetCalculatorILi2EjESD_ILi1EjENS0_6memory12LoadWithCastILi2EEENSG_13StoreWithCastILi1EEEfJfN3c108BFloat16EEEEviT0_T1_T2_T3_T4_T5_
    .private_segment_fixed_size: 272
    .sgpr_count:     102
    .sgpr_spill_count: 0
    .symbol:         _ZN2at6native39vectorized_templated_elementwise_kernelILi2ENS0_13BinaryFunctorIfffZNS0_12_GLOBAL__N_121threshold_kernel_implIfEEvRNS_18TensorIteratorBaseET_S7_EUlffE_EESt5arrayIPcLm3EE23TrivialOffsetCalculatorILi2EjESD_ILi1EjENS0_6memory12LoadWithCastILi2EEENSG_13StoreWithCastILi1EEEfJfN3c108BFloat16EEEEviT0_T1_T2_T3_T4_T5_.kd
    .uniform_work_group_size: 1
    .uses_dynamic_stack: false
    .vgpr_count:     119
    .vgpr_spill_count: 0
    .wavefront_size: 64
  - .args:
      - .offset:         0
        .size:           4
        .value_kind:     by_value
      - .offset:         4
        .size:           8
        .value_kind:     by_value
      - .offset:         16
        .size:           24
        .value_kind:     by_value
      - .offset:         40
        .size:           1
        .value_kind:     by_value
      - .offset:         41
        .size:           1
        .value_kind:     by_value
      - .offset:         44
        .size:           12
        .value_kind:     by_value
      - .offset:         56
        .size:           8
        .value_kind:     by_value
      - .offset:         64
        .size:           4
        .value_kind:     hidden_block_count_x
      - .offset:         68
        .size:           4
        .value_kind:     hidden_block_count_y
      - .offset:         72
        .size:           4
        .value_kind:     hidden_block_count_z
      - .offset:         76
        .size:           2
        .value_kind:     hidden_group_size_x
      - .offset:         78
        .size:           2
        .value_kind:     hidden_group_size_y
      - .offset:         80
        .size:           2
        .value_kind:     hidden_group_size_z
      - .offset:         82
        .size:           2
        .value_kind:     hidden_remainder_x
      - .offset:         84
        .size:           2
        .value_kind:     hidden_remainder_y
      - .offset:         86
        .size:           2
        .value_kind:     hidden_remainder_z
      - .offset:         104
        .size:           8
        .value_kind:     hidden_global_offset_x
      - .offset:         112
        .size:           8
        .value_kind:     hidden_global_offset_y
      - .offset:         120
        .size:           8
        .value_kind:     hidden_global_offset_z
      - .offset:         128
        .size:           2
        .value_kind:     hidden_grid_dims
    .group_segment_fixed_size: 0
    .kernarg_segment_align: 8
    .kernarg_segment_size: 320
    .language:       OpenCL C
    .language_version:
      - 2
      - 0
    .max_flat_workgroup_size: 512
    .name:           _ZN2at6native39vectorized_templated_elementwise_kernelILi8ENS0_13BinaryFunctorIfffZNS0_12_GLOBAL__N_121threshold_kernel_implIfEEvRNS_18TensorIteratorBaseET_S7_EUlffE_EESt5arrayIPcLm3EE23TrivialOffsetCalculatorILi2EjESD_ILi1EjENS0_6memory12LoadWithCastILi2EEENSG_13StoreWithCastILi1EEEfJN3c108BFloat16EfEEEviT0_T1_T2_T3_T4_T5_
    .private_segment_fixed_size: 272
    .sgpr_count:     102
    .sgpr_spill_count: 0
    .symbol:         _ZN2at6native39vectorized_templated_elementwise_kernelILi8ENS0_13BinaryFunctorIfffZNS0_12_GLOBAL__N_121threshold_kernel_implIfEEvRNS_18TensorIteratorBaseET_S7_EUlffE_EESt5arrayIPcLm3EE23TrivialOffsetCalculatorILi2EjESD_ILi1EjENS0_6memory12LoadWithCastILi2EEENSG_13StoreWithCastILi1EEEfJN3c108BFloat16EfEEEviT0_T1_T2_T3_T4_T5_.kd
    .uniform_work_group_size: 1
    .uses_dynamic_stack: false
    .vgpr_count:     119
    .vgpr_spill_count: 0
    .wavefront_size: 64
  - .args:
      - .offset:         0
        .size:           4
        .value_kind:     by_value
      - .offset:         4
        .size:           8
        .value_kind:     by_value
      - .offset:         16
        .size:           24
        .value_kind:     by_value
      - .offset:         40
        .size:           1
        .value_kind:     by_value
      - .offset:         41
        .size:           1
        .value_kind:     by_value
      - .offset:         44
        .size:           12
        .value_kind:     by_value
      - .offset:         56
        .size:           8
        .value_kind:     by_value
      - .offset:         64
        .size:           4
        .value_kind:     hidden_block_count_x
      - .offset:         68
        .size:           4
        .value_kind:     hidden_block_count_y
      - .offset:         72
        .size:           4
        .value_kind:     hidden_block_count_z
      - .offset:         76
        .size:           2
        .value_kind:     hidden_group_size_x
      - .offset:         78
        .size:           2
        .value_kind:     hidden_group_size_y
      - .offset:         80
        .size:           2
        .value_kind:     hidden_group_size_z
      - .offset:         82
        .size:           2
        .value_kind:     hidden_remainder_x
      - .offset:         84
        .size:           2
        .value_kind:     hidden_remainder_y
      - .offset:         86
        .size:           2
        .value_kind:     hidden_remainder_z
      - .offset:         104
        .size:           8
        .value_kind:     hidden_global_offset_x
      - .offset:         112
        .size:           8
        .value_kind:     hidden_global_offset_y
      - .offset:         120
        .size:           8
        .value_kind:     hidden_global_offset_z
      - .offset:         128
        .size:           2
        .value_kind:     hidden_grid_dims
    .group_segment_fixed_size: 0
    .kernarg_segment_align: 8
    .kernarg_segment_size: 320
    .language:       OpenCL C
    .language_version:
      - 2
      - 0
    .max_flat_workgroup_size: 512
    .name:           _ZN2at6native39vectorized_templated_elementwise_kernelILi4ENS0_13BinaryFunctorIfffZNS0_12_GLOBAL__N_121threshold_kernel_implIfEEvRNS_18TensorIteratorBaseET_S7_EUlffE_EESt5arrayIPcLm3EE23TrivialOffsetCalculatorILi2EjESD_ILi1EjENS0_6memory12LoadWithCastILi2EEENSG_13StoreWithCastILi1EEEfJN3c108BFloat16EfEEEviT0_T1_T2_T3_T4_T5_
    .private_segment_fixed_size: 272
    .sgpr_count:     102
    .sgpr_spill_count: 0
    .symbol:         _ZN2at6native39vectorized_templated_elementwise_kernelILi4ENS0_13BinaryFunctorIfffZNS0_12_GLOBAL__N_121threshold_kernel_implIfEEvRNS_18TensorIteratorBaseET_S7_EUlffE_EESt5arrayIPcLm3EE23TrivialOffsetCalculatorILi2EjESD_ILi1EjENS0_6memory12LoadWithCastILi2EEENSG_13StoreWithCastILi1EEEfJN3c108BFloat16EfEEEviT0_T1_T2_T3_T4_T5_.kd
    .uniform_work_group_size: 1
    .uses_dynamic_stack: false
    .vgpr_count:     119
    .vgpr_spill_count: 0
    .wavefront_size: 64
  - .args:
      - .offset:         0
        .size:           4
        .value_kind:     by_value
      - .offset:         4
        .size:           8
        .value_kind:     by_value
      - .offset:         16
        .size:           24
        .value_kind:     by_value
      - .offset:         40
        .size:           1
        .value_kind:     by_value
      - .offset:         41
        .size:           1
        .value_kind:     by_value
      - .offset:         44
        .size:           12
        .value_kind:     by_value
      - .offset:         56
        .size:           8
        .value_kind:     by_value
      - .offset:         64
        .size:           4
        .value_kind:     hidden_block_count_x
      - .offset:         68
        .size:           4
        .value_kind:     hidden_block_count_y
      - .offset:         72
        .size:           4
        .value_kind:     hidden_block_count_z
      - .offset:         76
        .size:           2
        .value_kind:     hidden_group_size_x
      - .offset:         78
        .size:           2
        .value_kind:     hidden_group_size_y
      - .offset:         80
        .size:           2
        .value_kind:     hidden_group_size_z
      - .offset:         82
        .size:           2
        .value_kind:     hidden_remainder_x
      - .offset:         84
        .size:           2
        .value_kind:     hidden_remainder_y
      - .offset:         86
        .size:           2
        .value_kind:     hidden_remainder_z
      - .offset:         104
        .size:           8
        .value_kind:     hidden_global_offset_x
      - .offset:         112
        .size:           8
        .value_kind:     hidden_global_offset_y
      - .offset:         120
        .size:           8
        .value_kind:     hidden_global_offset_z
      - .offset:         128
        .size:           2
        .value_kind:     hidden_grid_dims
    .group_segment_fixed_size: 0
    .kernarg_segment_align: 8
    .kernarg_segment_size: 320
    .language:       OpenCL C
    .language_version:
      - 2
      - 0
    .max_flat_workgroup_size: 512
    .name:           _ZN2at6native39vectorized_templated_elementwise_kernelILi2ENS0_13BinaryFunctorIfffZNS0_12_GLOBAL__N_121threshold_kernel_implIfEEvRNS_18TensorIteratorBaseET_S7_EUlffE_EESt5arrayIPcLm3EE23TrivialOffsetCalculatorILi2EjESD_ILi1EjENS0_6memory12LoadWithCastILi2EEENSG_13StoreWithCastILi1EEEfJN3c108BFloat16EfEEEviT0_T1_T2_T3_T4_T5_
    .private_segment_fixed_size: 272
    .sgpr_count:     102
    .sgpr_spill_count: 0
    .symbol:         _ZN2at6native39vectorized_templated_elementwise_kernelILi2ENS0_13BinaryFunctorIfffZNS0_12_GLOBAL__N_121threshold_kernel_implIfEEvRNS_18TensorIteratorBaseET_S7_EUlffE_EESt5arrayIPcLm3EE23TrivialOffsetCalculatorILi2EjESD_ILi1EjENS0_6memory12LoadWithCastILi2EEENSG_13StoreWithCastILi1EEEfJN3c108BFloat16EfEEEviT0_T1_T2_T3_T4_T5_.kd
    .uniform_work_group_size: 1
    .uses_dynamic_stack: false
    .vgpr_count:     119
    .vgpr_spill_count: 0
    .wavefront_size: 64
  - .args:
      - .offset:         0
        .size:           4
        .value_kind:     by_value
      - .offset:         4
        .size:           8
        .value_kind:     by_value
      - .offset:         16
        .size:           24
        .value_kind:     by_value
      - .offset:         40
        .size:           1
        .value_kind:     by_value
      - .offset:         41
        .size:           1
        .value_kind:     by_value
      - .offset:         44
        .size:           12
        .value_kind:     by_value
      - .offset:         56
        .size:           8
        .value_kind:     by_value
      - .offset:         64
        .size:           4
        .value_kind:     hidden_block_count_x
      - .offset:         68
        .size:           4
        .value_kind:     hidden_block_count_y
      - .offset:         72
        .size:           4
        .value_kind:     hidden_block_count_z
      - .offset:         76
        .size:           2
        .value_kind:     hidden_group_size_x
      - .offset:         78
        .size:           2
        .value_kind:     hidden_group_size_y
      - .offset:         80
        .size:           2
        .value_kind:     hidden_group_size_z
      - .offset:         82
        .size:           2
        .value_kind:     hidden_remainder_x
      - .offset:         84
        .size:           2
        .value_kind:     hidden_remainder_y
      - .offset:         86
        .size:           2
        .value_kind:     hidden_remainder_z
      - .offset:         104
        .size:           8
        .value_kind:     hidden_global_offset_x
      - .offset:         112
        .size:           8
        .value_kind:     hidden_global_offset_y
      - .offset:         120
        .size:           8
        .value_kind:     hidden_global_offset_z
      - .offset:         128
        .size:           2
        .value_kind:     hidden_grid_dims
    .group_segment_fixed_size: 0
    .kernarg_segment_align: 8
    .kernarg_segment_size: 320
    .language:       OpenCL C
    .language_version:
      - 2
      - 0
    .max_flat_workgroup_size: 512
    .name:           _ZN2at6native39vectorized_templated_elementwise_kernelILi8ENS0_13BinaryFunctorIfffZNS0_12_GLOBAL__N_121threshold_kernel_implIfEEvRNS_18TensorIteratorBaseET_S7_EUlffE_EESt5arrayIPcLm3EE23TrivialOffsetCalculatorILi2EjESD_ILi1EjENS0_6memory12LoadWithCastILi2EEENSG_13StoreWithCastILi1EEEN3c108BFloat16EJSM_fEEEviT0_T1_T2_T3_T4_T5_
    .private_segment_fixed_size: 272
    .sgpr_count:     102
    .sgpr_spill_count: 0
    .symbol:         _ZN2at6native39vectorized_templated_elementwise_kernelILi8ENS0_13BinaryFunctorIfffZNS0_12_GLOBAL__N_121threshold_kernel_implIfEEvRNS_18TensorIteratorBaseET_S7_EUlffE_EESt5arrayIPcLm3EE23TrivialOffsetCalculatorILi2EjESD_ILi1EjENS0_6memory12LoadWithCastILi2EEENSG_13StoreWithCastILi1EEEN3c108BFloat16EJSM_fEEEviT0_T1_T2_T3_T4_T5_.kd
    .uniform_work_group_size: 1
    .uses_dynamic_stack: false
    .vgpr_count:     119
    .vgpr_spill_count: 0
    .wavefront_size: 64
  - .args:
      - .offset:         0
        .size:           4
        .value_kind:     by_value
      - .offset:         4
        .size:           8
        .value_kind:     by_value
      - .offset:         16
        .size:           24
        .value_kind:     by_value
      - .offset:         40
        .size:           1
        .value_kind:     by_value
      - .offset:         41
        .size:           1
        .value_kind:     by_value
      - .offset:         44
        .size:           12
        .value_kind:     by_value
      - .offset:         56
        .size:           8
        .value_kind:     by_value
      - .offset:         64
        .size:           4
        .value_kind:     hidden_block_count_x
      - .offset:         68
        .size:           4
        .value_kind:     hidden_block_count_y
      - .offset:         72
        .size:           4
        .value_kind:     hidden_block_count_z
      - .offset:         76
        .size:           2
        .value_kind:     hidden_group_size_x
      - .offset:         78
        .size:           2
        .value_kind:     hidden_group_size_y
      - .offset:         80
        .size:           2
        .value_kind:     hidden_group_size_z
      - .offset:         82
        .size:           2
        .value_kind:     hidden_remainder_x
      - .offset:         84
        .size:           2
        .value_kind:     hidden_remainder_y
      - .offset:         86
        .size:           2
        .value_kind:     hidden_remainder_z
      - .offset:         104
        .size:           8
        .value_kind:     hidden_global_offset_x
      - .offset:         112
        .size:           8
        .value_kind:     hidden_global_offset_y
      - .offset:         120
        .size:           8
        .value_kind:     hidden_global_offset_z
      - .offset:         128
        .size:           2
        .value_kind:     hidden_grid_dims
    .group_segment_fixed_size: 0
    .kernarg_segment_align: 8
    .kernarg_segment_size: 320
    .language:       OpenCL C
    .language_version:
      - 2
      - 0
    .max_flat_workgroup_size: 512
    .name:           _ZN2at6native39vectorized_templated_elementwise_kernelILi4ENS0_13BinaryFunctorIfffZNS0_12_GLOBAL__N_121threshold_kernel_implIfEEvRNS_18TensorIteratorBaseET_S7_EUlffE_EESt5arrayIPcLm3EE23TrivialOffsetCalculatorILi2EjESD_ILi1EjENS0_6memory12LoadWithCastILi2EEENSG_13StoreWithCastILi1EEEN3c108BFloat16EJSM_fEEEviT0_T1_T2_T3_T4_T5_
    .private_segment_fixed_size: 272
    .sgpr_count:     102
    .sgpr_spill_count: 0
    .symbol:         _ZN2at6native39vectorized_templated_elementwise_kernelILi4ENS0_13BinaryFunctorIfffZNS0_12_GLOBAL__N_121threshold_kernel_implIfEEvRNS_18TensorIteratorBaseET_S7_EUlffE_EESt5arrayIPcLm3EE23TrivialOffsetCalculatorILi2EjESD_ILi1EjENS0_6memory12LoadWithCastILi2EEENSG_13StoreWithCastILi1EEEN3c108BFloat16EJSM_fEEEviT0_T1_T2_T3_T4_T5_.kd
    .uniform_work_group_size: 1
    .uses_dynamic_stack: false
    .vgpr_count:     119
    .vgpr_spill_count: 0
    .wavefront_size: 64
  - .args:
      - .offset:         0
        .size:           4
        .value_kind:     by_value
      - .offset:         4
        .size:           8
        .value_kind:     by_value
      - .offset:         16
        .size:           24
        .value_kind:     by_value
      - .offset:         40
        .size:           1
        .value_kind:     by_value
      - .offset:         41
        .size:           1
        .value_kind:     by_value
      - .offset:         44
        .size:           12
        .value_kind:     by_value
      - .offset:         56
        .size:           8
        .value_kind:     by_value
      - .offset:         64
        .size:           4
        .value_kind:     hidden_block_count_x
      - .offset:         68
        .size:           4
        .value_kind:     hidden_block_count_y
      - .offset:         72
        .size:           4
        .value_kind:     hidden_block_count_z
      - .offset:         76
        .size:           2
        .value_kind:     hidden_group_size_x
      - .offset:         78
        .size:           2
        .value_kind:     hidden_group_size_y
      - .offset:         80
        .size:           2
        .value_kind:     hidden_group_size_z
      - .offset:         82
        .size:           2
        .value_kind:     hidden_remainder_x
      - .offset:         84
        .size:           2
        .value_kind:     hidden_remainder_y
      - .offset:         86
        .size:           2
        .value_kind:     hidden_remainder_z
      - .offset:         104
        .size:           8
        .value_kind:     hidden_global_offset_x
      - .offset:         112
        .size:           8
        .value_kind:     hidden_global_offset_y
      - .offset:         120
        .size:           8
        .value_kind:     hidden_global_offset_z
      - .offset:         128
        .size:           2
        .value_kind:     hidden_grid_dims
    .group_segment_fixed_size: 0
    .kernarg_segment_align: 8
    .kernarg_segment_size: 320
    .language:       OpenCL C
    .language_version:
      - 2
      - 0
    .max_flat_workgroup_size: 512
    .name:           _ZN2at6native39vectorized_templated_elementwise_kernelILi2ENS0_13BinaryFunctorIfffZNS0_12_GLOBAL__N_121threshold_kernel_implIfEEvRNS_18TensorIteratorBaseET_S7_EUlffE_EESt5arrayIPcLm3EE23TrivialOffsetCalculatorILi2EjESD_ILi1EjENS0_6memory12LoadWithCastILi2EEENSG_13StoreWithCastILi1EEEN3c108BFloat16EJSM_fEEEviT0_T1_T2_T3_T4_T5_
    .private_segment_fixed_size: 272
    .sgpr_count:     102
    .sgpr_spill_count: 0
    .symbol:         _ZN2at6native39vectorized_templated_elementwise_kernelILi2ENS0_13BinaryFunctorIfffZNS0_12_GLOBAL__N_121threshold_kernel_implIfEEvRNS_18TensorIteratorBaseET_S7_EUlffE_EESt5arrayIPcLm3EE23TrivialOffsetCalculatorILi2EjESD_ILi1EjENS0_6memory12LoadWithCastILi2EEENSG_13StoreWithCastILi1EEEN3c108BFloat16EJSM_fEEEviT0_T1_T2_T3_T4_T5_.kd
    .uniform_work_group_size: 1
    .uses_dynamic_stack: false
    .vgpr_count:     119
    .vgpr_spill_count: 0
    .wavefront_size: 64
  - .args:
      - .offset:         0
        .size:           4
        .value_kind:     by_value
      - .offset:         4
        .size:           8
        .value_kind:     by_value
      - .offset:         16
        .size:           24
        .value_kind:     by_value
      - .offset:         40
        .size:           1
        .value_kind:     by_value
      - .offset:         41
        .size:           1
        .value_kind:     by_value
      - .offset:         44
        .size:           12
        .value_kind:     by_value
      - .offset:         56
        .size:           8
        .value_kind:     by_value
      - .offset:         64
        .size:           4
        .value_kind:     hidden_block_count_x
      - .offset:         68
        .size:           4
        .value_kind:     hidden_block_count_y
      - .offset:         72
        .size:           4
        .value_kind:     hidden_block_count_z
      - .offset:         76
        .size:           2
        .value_kind:     hidden_group_size_x
      - .offset:         78
        .size:           2
        .value_kind:     hidden_group_size_y
      - .offset:         80
        .size:           2
        .value_kind:     hidden_group_size_z
      - .offset:         82
        .size:           2
        .value_kind:     hidden_remainder_x
      - .offset:         84
        .size:           2
        .value_kind:     hidden_remainder_y
      - .offset:         86
        .size:           2
        .value_kind:     hidden_remainder_z
      - .offset:         104
        .size:           8
        .value_kind:     hidden_global_offset_x
      - .offset:         112
        .size:           8
        .value_kind:     hidden_global_offset_y
      - .offset:         120
        .size:           8
        .value_kind:     hidden_global_offset_z
      - .offset:         128
        .size:           2
        .value_kind:     hidden_grid_dims
    .group_segment_fixed_size: 0
    .kernarg_segment_align: 8
    .kernarg_segment_size: 320
    .language:       OpenCL C
    .language_version:
      - 2
      - 0
    .max_flat_workgroup_size: 512
    .name:           _ZN2at6native39vectorized_templated_elementwise_kernelILi8ENS0_13BinaryFunctorIfffZNS0_12_GLOBAL__N_121threshold_kernel_implIfEEvRNS_18TensorIteratorBaseET_S7_EUlffE_EESt5arrayIPcLm3EE23TrivialOffsetCalculatorILi2EjESD_ILi1EjENS0_6memory12LoadWithCastILi2EEENSG_13StoreWithCastILi1EEEfJfN3c104HalfEEEEviT0_T1_T2_T3_T4_T5_
    .private_segment_fixed_size: 272
    .sgpr_count:     102
    .sgpr_spill_count: 0
    .symbol:         _ZN2at6native39vectorized_templated_elementwise_kernelILi8ENS0_13BinaryFunctorIfffZNS0_12_GLOBAL__N_121threshold_kernel_implIfEEvRNS_18TensorIteratorBaseET_S7_EUlffE_EESt5arrayIPcLm3EE23TrivialOffsetCalculatorILi2EjESD_ILi1EjENS0_6memory12LoadWithCastILi2EEENSG_13StoreWithCastILi1EEEfJfN3c104HalfEEEEviT0_T1_T2_T3_T4_T5_.kd
    .uniform_work_group_size: 1
    .uses_dynamic_stack: false
    .vgpr_count:     119
    .vgpr_spill_count: 0
    .wavefront_size: 64
  - .args:
      - .offset:         0
        .size:           4
        .value_kind:     by_value
      - .offset:         4
        .size:           8
        .value_kind:     by_value
      - .offset:         16
        .size:           24
        .value_kind:     by_value
      - .offset:         40
        .size:           1
        .value_kind:     by_value
      - .offset:         41
        .size:           1
        .value_kind:     by_value
      - .offset:         44
        .size:           12
        .value_kind:     by_value
      - .offset:         56
        .size:           8
        .value_kind:     by_value
      - .offset:         64
        .size:           4
        .value_kind:     hidden_block_count_x
      - .offset:         68
        .size:           4
        .value_kind:     hidden_block_count_y
      - .offset:         72
        .size:           4
        .value_kind:     hidden_block_count_z
      - .offset:         76
        .size:           2
        .value_kind:     hidden_group_size_x
      - .offset:         78
        .size:           2
        .value_kind:     hidden_group_size_y
      - .offset:         80
        .size:           2
        .value_kind:     hidden_group_size_z
      - .offset:         82
        .size:           2
        .value_kind:     hidden_remainder_x
      - .offset:         84
        .size:           2
        .value_kind:     hidden_remainder_y
      - .offset:         86
        .size:           2
        .value_kind:     hidden_remainder_z
      - .offset:         104
        .size:           8
        .value_kind:     hidden_global_offset_x
      - .offset:         112
        .size:           8
        .value_kind:     hidden_global_offset_y
      - .offset:         120
        .size:           8
        .value_kind:     hidden_global_offset_z
      - .offset:         128
        .size:           2
        .value_kind:     hidden_grid_dims
    .group_segment_fixed_size: 0
    .kernarg_segment_align: 8
    .kernarg_segment_size: 320
    .language:       OpenCL C
    .language_version:
      - 2
      - 0
    .max_flat_workgroup_size: 512
    .name:           _ZN2at6native39vectorized_templated_elementwise_kernelILi4ENS0_13BinaryFunctorIfffZNS0_12_GLOBAL__N_121threshold_kernel_implIfEEvRNS_18TensorIteratorBaseET_S7_EUlffE_EESt5arrayIPcLm3EE23TrivialOffsetCalculatorILi2EjESD_ILi1EjENS0_6memory12LoadWithCastILi2EEENSG_13StoreWithCastILi1EEEfJfN3c104HalfEEEEviT0_T1_T2_T3_T4_T5_
    .private_segment_fixed_size: 272
    .sgpr_count:     102
    .sgpr_spill_count: 0
    .symbol:         _ZN2at6native39vectorized_templated_elementwise_kernelILi4ENS0_13BinaryFunctorIfffZNS0_12_GLOBAL__N_121threshold_kernel_implIfEEvRNS_18TensorIteratorBaseET_S7_EUlffE_EESt5arrayIPcLm3EE23TrivialOffsetCalculatorILi2EjESD_ILi1EjENS0_6memory12LoadWithCastILi2EEENSG_13StoreWithCastILi1EEEfJfN3c104HalfEEEEviT0_T1_T2_T3_T4_T5_.kd
    .uniform_work_group_size: 1
    .uses_dynamic_stack: false
    .vgpr_count:     119
    .vgpr_spill_count: 0
    .wavefront_size: 64
  - .args:
      - .offset:         0
        .size:           4
        .value_kind:     by_value
      - .offset:         4
        .size:           8
        .value_kind:     by_value
      - .offset:         16
        .size:           24
        .value_kind:     by_value
      - .offset:         40
        .size:           1
        .value_kind:     by_value
      - .offset:         41
        .size:           1
        .value_kind:     by_value
      - .offset:         44
        .size:           12
        .value_kind:     by_value
      - .offset:         56
        .size:           8
        .value_kind:     by_value
      - .offset:         64
        .size:           4
        .value_kind:     hidden_block_count_x
      - .offset:         68
        .size:           4
        .value_kind:     hidden_block_count_y
      - .offset:         72
        .size:           4
        .value_kind:     hidden_block_count_z
      - .offset:         76
        .size:           2
        .value_kind:     hidden_group_size_x
      - .offset:         78
        .size:           2
        .value_kind:     hidden_group_size_y
      - .offset:         80
        .size:           2
        .value_kind:     hidden_group_size_z
      - .offset:         82
        .size:           2
        .value_kind:     hidden_remainder_x
      - .offset:         84
        .size:           2
        .value_kind:     hidden_remainder_y
      - .offset:         86
        .size:           2
        .value_kind:     hidden_remainder_z
      - .offset:         104
        .size:           8
        .value_kind:     hidden_global_offset_x
      - .offset:         112
        .size:           8
        .value_kind:     hidden_global_offset_y
      - .offset:         120
        .size:           8
        .value_kind:     hidden_global_offset_z
      - .offset:         128
        .size:           2
        .value_kind:     hidden_grid_dims
    .group_segment_fixed_size: 0
    .kernarg_segment_align: 8
    .kernarg_segment_size: 320
    .language:       OpenCL C
    .language_version:
      - 2
      - 0
    .max_flat_workgroup_size: 512
    .name:           _ZN2at6native39vectorized_templated_elementwise_kernelILi2ENS0_13BinaryFunctorIfffZNS0_12_GLOBAL__N_121threshold_kernel_implIfEEvRNS_18TensorIteratorBaseET_S7_EUlffE_EESt5arrayIPcLm3EE23TrivialOffsetCalculatorILi2EjESD_ILi1EjENS0_6memory12LoadWithCastILi2EEENSG_13StoreWithCastILi1EEEfJfN3c104HalfEEEEviT0_T1_T2_T3_T4_T5_
    .private_segment_fixed_size: 272
    .sgpr_count:     102
    .sgpr_spill_count: 0
    .symbol:         _ZN2at6native39vectorized_templated_elementwise_kernelILi2ENS0_13BinaryFunctorIfffZNS0_12_GLOBAL__N_121threshold_kernel_implIfEEvRNS_18TensorIteratorBaseET_S7_EUlffE_EESt5arrayIPcLm3EE23TrivialOffsetCalculatorILi2EjESD_ILi1EjENS0_6memory12LoadWithCastILi2EEENSG_13StoreWithCastILi1EEEfJfN3c104HalfEEEEviT0_T1_T2_T3_T4_T5_.kd
    .uniform_work_group_size: 1
    .uses_dynamic_stack: false
    .vgpr_count:     119
    .vgpr_spill_count: 0
    .wavefront_size: 64
  - .args:
      - .offset:         0
        .size:           4
        .value_kind:     by_value
      - .offset:         4
        .size:           8
        .value_kind:     by_value
      - .offset:         16
        .size:           24
        .value_kind:     by_value
      - .offset:         40
        .size:           1
        .value_kind:     by_value
      - .offset:         41
        .size:           1
        .value_kind:     by_value
      - .offset:         44
        .size:           12
        .value_kind:     by_value
      - .offset:         56
        .size:           8
        .value_kind:     by_value
      - .offset:         64
        .size:           4
        .value_kind:     hidden_block_count_x
      - .offset:         68
        .size:           4
        .value_kind:     hidden_block_count_y
      - .offset:         72
        .size:           4
        .value_kind:     hidden_block_count_z
      - .offset:         76
        .size:           2
        .value_kind:     hidden_group_size_x
      - .offset:         78
        .size:           2
        .value_kind:     hidden_group_size_y
      - .offset:         80
        .size:           2
        .value_kind:     hidden_group_size_z
      - .offset:         82
        .size:           2
        .value_kind:     hidden_remainder_x
      - .offset:         84
        .size:           2
        .value_kind:     hidden_remainder_y
      - .offset:         86
        .size:           2
        .value_kind:     hidden_remainder_z
      - .offset:         104
        .size:           8
        .value_kind:     hidden_global_offset_x
      - .offset:         112
        .size:           8
        .value_kind:     hidden_global_offset_y
      - .offset:         120
        .size:           8
        .value_kind:     hidden_global_offset_z
      - .offset:         128
        .size:           2
        .value_kind:     hidden_grid_dims
    .group_segment_fixed_size: 0
    .kernarg_segment_align: 8
    .kernarg_segment_size: 320
    .language:       OpenCL C
    .language_version:
      - 2
      - 0
    .max_flat_workgroup_size: 512
    .name:           _ZN2at6native39vectorized_templated_elementwise_kernelILi8ENS0_13BinaryFunctorIfffZNS0_12_GLOBAL__N_121threshold_kernel_implIfEEvRNS_18TensorIteratorBaseET_S7_EUlffE_EESt5arrayIPcLm3EE23TrivialOffsetCalculatorILi2EjESD_ILi1EjENS0_6memory12LoadWithCastILi2EEENSG_13StoreWithCastILi1EEEfJN3c104HalfEfEEEviT0_T1_T2_T3_T4_T5_
    .private_segment_fixed_size: 272
    .sgpr_count:     102
    .sgpr_spill_count: 0
    .symbol:         _ZN2at6native39vectorized_templated_elementwise_kernelILi8ENS0_13BinaryFunctorIfffZNS0_12_GLOBAL__N_121threshold_kernel_implIfEEvRNS_18TensorIteratorBaseET_S7_EUlffE_EESt5arrayIPcLm3EE23TrivialOffsetCalculatorILi2EjESD_ILi1EjENS0_6memory12LoadWithCastILi2EEENSG_13StoreWithCastILi1EEEfJN3c104HalfEfEEEviT0_T1_T2_T3_T4_T5_.kd
    .uniform_work_group_size: 1
    .uses_dynamic_stack: false
    .vgpr_count:     119
    .vgpr_spill_count: 0
    .wavefront_size: 64
  - .args:
      - .offset:         0
        .size:           4
        .value_kind:     by_value
      - .offset:         4
        .size:           8
        .value_kind:     by_value
      - .offset:         16
        .size:           24
        .value_kind:     by_value
      - .offset:         40
        .size:           1
        .value_kind:     by_value
      - .offset:         41
        .size:           1
        .value_kind:     by_value
      - .offset:         44
        .size:           12
        .value_kind:     by_value
      - .offset:         56
        .size:           8
        .value_kind:     by_value
      - .offset:         64
        .size:           4
        .value_kind:     hidden_block_count_x
      - .offset:         68
        .size:           4
        .value_kind:     hidden_block_count_y
      - .offset:         72
        .size:           4
        .value_kind:     hidden_block_count_z
      - .offset:         76
        .size:           2
        .value_kind:     hidden_group_size_x
      - .offset:         78
        .size:           2
        .value_kind:     hidden_group_size_y
      - .offset:         80
        .size:           2
        .value_kind:     hidden_group_size_z
      - .offset:         82
        .size:           2
        .value_kind:     hidden_remainder_x
      - .offset:         84
        .size:           2
        .value_kind:     hidden_remainder_y
      - .offset:         86
        .size:           2
        .value_kind:     hidden_remainder_z
      - .offset:         104
        .size:           8
        .value_kind:     hidden_global_offset_x
      - .offset:         112
        .size:           8
        .value_kind:     hidden_global_offset_y
      - .offset:         120
        .size:           8
        .value_kind:     hidden_global_offset_z
      - .offset:         128
        .size:           2
        .value_kind:     hidden_grid_dims
    .group_segment_fixed_size: 0
    .kernarg_segment_align: 8
    .kernarg_segment_size: 320
    .language:       OpenCL C
    .language_version:
      - 2
      - 0
    .max_flat_workgroup_size: 512
    .name:           _ZN2at6native39vectorized_templated_elementwise_kernelILi4ENS0_13BinaryFunctorIfffZNS0_12_GLOBAL__N_121threshold_kernel_implIfEEvRNS_18TensorIteratorBaseET_S7_EUlffE_EESt5arrayIPcLm3EE23TrivialOffsetCalculatorILi2EjESD_ILi1EjENS0_6memory12LoadWithCastILi2EEENSG_13StoreWithCastILi1EEEfJN3c104HalfEfEEEviT0_T1_T2_T3_T4_T5_
    .private_segment_fixed_size: 272
    .sgpr_count:     102
    .sgpr_spill_count: 0
    .symbol:         _ZN2at6native39vectorized_templated_elementwise_kernelILi4ENS0_13BinaryFunctorIfffZNS0_12_GLOBAL__N_121threshold_kernel_implIfEEvRNS_18TensorIteratorBaseET_S7_EUlffE_EESt5arrayIPcLm3EE23TrivialOffsetCalculatorILi2EjESD_ILi1EjENS0_6memory12LoadWithCastILi2EEENSG_13StoreWithCastILi1EEEfJN3c104HalfEfEEEviT0_T1_T2_T3_T4_T5_.kd
    .uniform_work_group_size: 1
    .uses_dynamic_stack: false
    .vgpr_count:     119
    .vgpr_spill_count: 0
    .wavefront_size: 64
  - .args:
      - .offset:         0
        .size:           4
        .value_kind:     by_value
      - .offset:         4
        .size:           8
        .value_kind:     by_value
      - .offset:         16
        .size:           24
        .value_kind:     by_value
      - .offset:         40
        .size:           1
        .value_kind:     by_value
      - .offset:         41
        .size:           1
        .value_kind:     by_value
      - .offset:         44
        .size:           12
        .value_kind:     by_value
      - .offset:         56
        .size:           8
        .value_kind:     by_value
      - .offset:         64
        .size:           4
        .value_kind:     hidden_block_count_x
      - .offset:         68
        .size:           4
        .value_kind:     hidden_block_count_y
      - .offset:         72
        .size:           4
        .value_kind:     hidden_block_count_z
      - .offset:         76
        .size:           2
        .value_kind:     hidden_group_size_x
      - .offset:         78
        .size:           2
        .value_kind:     hidden_group_size_y
      - .offset:         80
        .size:           2
        .value_kind:     hidden_group_size_z
      - .offset:         82
        .size:           2
        .value_kind:     hidden_remainder_x
      - .offset:         84
        .size:           2
        .value_kind:     hidden_remainder_y
      - .offset:         86
        .size:           2
        .value_kind:     hidden_remainder_z
      - .offset:         104
        .size:           8
        .value_kind:     hidden_global_offset_x
      - .offset:         112
        .size:           8
        .value_kind:     hidden_global_offset_y
      - .offset:         120
        .size:           8
        .value_kind:     hidden_global_offset_z
      - .offset:         128
        .size:           2
        .value_kind:     hidden_grid_dims
    .group_segment_fixed_size: 0
    .kernarg_segment_align: 8
    .kernarg_segment_size: 320
    .language:       OpenCL C
    .language_version:
      - 2
      - 0
    .max_flat_workgroup_size: 512
    .name:           _ZN2at6native39vectorized_templated_elementwise_kernelILi2ENS0_13BinaryFunctorIfffZNS0_12_GLOBAL__N_121threshold_kernel_implIfEEvRNS_18TensorIteratorBaseET_S7_EUlffE_EESt5arrayIPcLm3EE23TrivialOffsetCalculatorILi2EjESD_ILi1EjENS0_6memory12LoadWithCastILi2EEENSG_13StoreWithCastILi1EEEfJN3c104HalfEfEEEviT0_T1_T2_T3_T4_T5_
    .private_segment_fixed_size: 272
    .sgpr_count:     102
    .sgpr_spill_count: 0
    .symbol:         _ZN2at6native39vectorized_templated_elementwise_kernelILi2ENS0_13BinaryFunctorIfffZNS0_12_GLOBAL__N_121threshold_kernel_implIfEEvRNS_18TensorIteratorBaseET_S7_EUlffE_EESt5arrayIPcLm3EE23TrivialOffsetCalculatorILi2EjESD_ILi1EjENS0_6memory12LoadWithCastILi2EEENSG_13StoreWithCastILi1EEEfJN3c104HalfEfEEEviT0_T1_T2_T3_T4_T5_.kd
    .uniform_work_group_size: 1
    .uses_dynamic_stack: false
    .vgpr_count:     119
    .vgpr_spill_count: 0
    .wavefront_size: 64
  - .args:
      - .offset:         0
        .size:           4
        .value_kind:     by_value
      - .offset:         4
        .size:           8
        .value_kind:     by_value
      - .offset:         16
        .size:           24
        .value_kind:     by_value
      - .offset:         40
        .size:           1
        .value_kind:     by_value
      - .offset:         41
        .size:           1
        .value_kind:     by_value
      - .offset:         44
        .size:           12
        .value_kind:     by_value
      - .offset:         56
        .size:           8
        .value_kind:     by_value
      - .offset:         64
        .size:           4
        .value_kind:     hidden_block_count_x
      - .offset:         68
        .size:           4
        .value_kind:     hidden_block_count_y
      - .offset:         72
        .size:           4
        .value_kind:     hidden_block_count_z
      - .offset:         76
        .size:           2
        .value_kind:     hidden_group_size_x
      - .offset:         78
        .size:           2
        .value_kind:     hidden_group_size_y
      - .offset:         80
        .size:           2
        .value_kind:     hidden_group_size_z
      - .offset:         82
        .size:           2
        .value_kind:     hidden_remainder_x
      - .offset:         84
        .size:           2
        .value_kind:     hidden_remainder_y
      - .offset:         86
        .size:           2
        .value_kind:     hidden_remainder_z
      - .offset:         104
        .size:           8
        .value_kind:     hidden_global_offset_x
      - .offset:         112
        .size:           8
        .value_kind:     hidden_global_offset_y
      - .offset:         120
        .size:           8
        .value_kind:     hidden_global_offset_z
      - .offset:         128
        .size:           2
        .value_kind:     hidden_grid_dims
    .group_segment_fixed_size: 0
    .kernarg_segment_align: 8
    .kernarg_segment_size: 320
    .language:       OpenCL C
    .language_version:
      - 2
      - 0
    .max_flat_workgroup_size: 512
    .name:           _ZN2at6native39vectorized_templated_elementwise_kernelILi8ENS0_13BinaryFunctorIfffZNS0_12_GLOBAL__N_121threshold_kernel_implIfEEvRNS_18TensorIteratorBaseET_S7_EUlffE_EESt5arrayIPcLm3EE23TrivialOffsetCalculatorILi2EjESD_ILi1EjENS0_6memory12LoadWithCastILi2EEENSG_13StoreWithCastILi1EEEN3c104HalfEJSM_fEEEviT0_T1_T2_T3_T4_T5_
    .private_segment_fixed_size: 272
    .sgpr_count:     102
    .sgpr_spill_count: 0
    .symbol:         _ZN2at6native39vectorized_templated_elementwise_kernelILi8ENS0_13BinaryFunctorIfffZNS0_12_GLOBAL__N_121threshold_kernel_implIfEEvRNS_18TensorIteratorBaseET_S7_EUlffE_EESt5arrayIPcLm3EE23TrivialOffsetCalculatorILi2EjESD_ILi1EjENS0_6memory12LoadWithCastILi2EEENSG_13StoreWithCastILi1EEEN3c104HalfEJSM_fEEEviT0_T1_T2_T3_T4_T5_.kd
    .uniform_work_group_size: 1
    .uses_dynamic_stack: false
    .vgpr_count:     119
    .vgpr_spill_count: 0
    .wavefront_size: 64
  - .args:
      - .offset:         0
        .size:           4
        .value_kind:     by_value
      - .offset:         4
        .size:           8
        .value_kind:     by_value
      - .offset:         16
        .size:           24
        .value_kind:     by_value
      - .offset:         40
        .size:           1
        .value_kind:     by_value
      - .offset:         41
        .size:           1
        .value_kind:     by_value
      - .offset:         44
        .size:           12
        .value_kind:     by_value
      - .offset:         56
        .size:           8
        .value_kind:     by_value
      - .offset:         64
        .size:           4
        .value_kind:     hidden_block_count_x
      - .offset:         68
        .size:           4
        .value_kind:     hidden_block_count_y
      - .offset:         72
        .size:           4
        .value_kind:     hidden_block_count_z
      - .offset:         76
        .size:           2
        .value_kind:     hidden_group_size_x
      - .offset:         78
        .size:           2
        .value_kind:     hidden_group_size_y
      - .offset:         80
        .size:           2
        .value_kind:     hidden_group_size_z
      - .offset:         82
        .size:           2
        .value_kind:     hidden_remainder_x
      - .offset:         84
        .size:           2
        .value_kind:     hidden_remainder_y
      - .offset:         86
        .size:           2
        .value_kind:     hidden_remainder_z
      - .offset:         104
        .size:           8
        .value_kind:     hidden_global_offset_x
      - .offset:         112
        .size:           8
        .value_kind:     hidden_global_offset_y
      - .offset:         120
        .size:           8
        .value_kind:     hidden_global_offset_z
      - .offset:         128
        .size:           2
        .value_kind:     hidden_grid_dims
    .group_segment_fixed_size: 0
    .kernarg_segment_align: 8
    .kernarg_segment_size: 320
    .language:       OpenCL C
    .language_version:
      - 2
      - 0
    .max_flat_workgroup_size: 512
    .name:           _ZN2at6native39vectorized_templated_elementwise_kernelILi4ENS0_13BinaryFunctorIfffZNS0_12_GLOBAL__N_121threshold_kernel_implIfEEvRNS_18TensorIteratorBaseET_S7_EUlffE_EESt5arrayIPcLm3EE23TrivialOffsetCalculatorILi2EjESD_ILi1EjENS0_6memory12LoadWithCastILi2EEENSG_13StoreWithCastILi1EEEN3c104HalfEJSM_fEEEviT0_T1_T2_T3_T4_T5_
    .private_segment_fixed_size: 272
    .sgpr_count:     102
    .sgpr_spill_count: 0
    .symbol:         _ZN2at6native39vectorized_templated_elementwise_kernelILi4ENS0_13BinaryFunctorIfffZNS0_12_GLOBAL__N_121threshold_kernel_implIfEEvRNS_18TensorIteratorBaseET_S7_EUlffE_EESt5arrayIPcLm3EE23TrivialOffsetCalculatorILi2EjESD_ILi1EjENS0_6memory12LoadWithCastILi2EEENSG_13StoreWithCastILi1EEEN3c104HalfEJSM_fEEEviT0_T1_T2_T3_T4_T5_.kd
    .uniform_work_group_size: 1
    .uses_dynamic_stack: false
    .vgpr_count:     119
    .vgpr_spill_count: 0
    .wavefront_size: 64
  - .args:
      - .offset:         0
        .size:           4
        .value_kind:     by_value
      - .offset:         4
        .size:           8
        .value_kind:     by_value
      - .offset:         16
        .size:           24
        .value_kind:     by_value
      - .offset:         40
        .size:           1
        .value_kind:     by_value
      - .offset:         41
        .size:           1
        .value_kind:     by_value
      - .offset:         44
        .size:           12
        .value_kind:     by_value
      - .offset:         56
        .size:           8
        .value_kind:     by_value
      - .offset:         64
        .size:           4
        .value_kind:     hidden_block_count_x
      - .offset:         68
        .size:           4
        .value_kind:     hidden_block_count_y
      - .offset:         72
        .size:           4
        .value_kind:     hidden_block_count_z
      - .offset:         76
        .size:           2
        .value_kind:     hidden_group_size_x
      - .offset:         78
        .size:           2
        .value_kind:     hidden_group_size_y
      - .offset:         80
        .size:           2
        .value_kind:     hidden_group_size_z
      - .offset:         82
        .size:           2
        .value_kind:     hidden_remainder_x
      - .offset:         84
        .size:           2
        .value_kind:     hidden_remainder_y
      - .offset:         86
        .size:           2
        .value_kind:     hidden_remainder_z
      - .offset:         104
        .size:           8
        .value_kind:     hidden_global_offset_x
      - .offset:         112
        .size:           8
        .value_kind:     hidden_global_offset_y
      - .offset:         120
        .size:           8
        .value_kind:     hidden_global_offset_z
      - .offset:         128
        .size:           2
        .value_kind:     hidden_grid_dims
    .group_segment_fixed_size: 0
    .kernarg_segment_align: 8
    .kernarg_segment_size: 320
    .language:       OpenCL C
    .language_version:
      - 2
      - 0
    .max_flat_workgroup_size: 512
    .name:           _ZN2at6native39vectorized_templated_elementwise_kernelILi2ENS0_13BinaryFunctorIfffZNS0_12_GLOBAL__N_121threshold_kernel_implIfEEvRNS_18TensorIteratorBaseET_S7_EUlffE_EESt5arrayIPcLm3EE23TrivialOffsetCalculatorILi2EjESD_ILi1EjENS0_6memory12LoadWithCastILi2EEENSG_13StoreWithCastILi1EEEN3c104HalfEJSM_fEEEviT0_T1_T2_T3_T4_T5_
    .private_segment_fixed_size: 272
    .sgpr_count:     102
    .sgpr_spill_count: 0
    .symbol:         _ZN2at6native39vectorized_templated_elementwise_kernelILi2ENS0_13BinaryFunctorIfffZNS0_12_GLOBAL__N_121threshold_kernel_implIfEEvRNS_18TensorIteratorBaseET_S7_EUlffE_EESt5arrayIPcLm3EE23TrivialOffsetCalculatorILi2EjESD_ILi1EjENS0_6memory12LoadWithCastILi2EEENSG_13StoreWithCastILi1EEEN3c104HalfEJSM_fEEEviT0_T1_T2_T3_T4_T5_.kd
    .uniform_work_group_size: 1
    .uses_dynamic_stack: false
    .vgpr_count:     119
    .vgpr_spill_count: 0
    .wavefront_size: 64
  - .args:
      - .offset:         0
        .size:           4
        .value_kind:     by_value
      - .offset:         8
        .size:           48
        .value_kind:     by_value
    .group_segment_fixed_size: 0
    .kernarg_segment_align: 8
    .kernarg_segment_size: 56
    .language:       OpenCL C
    .language_version:
      - 2
      - 0
    .max_flat_workgroup_size: 128
    .name:           _ZN2at6native32elementwise_kernel_manual_unrollILi128ELi4EZNS0_15gpu_kernel_implINS0_13BinaryFunctorIfffZNS0_12_GLOBAL__N_121threshold_kernel_implIfEEvRNS_18TensorIteratorBaseET_S8_EUlffE_EEEEvS7_RKS8_EUlibE_EEviT1_
    .private_segment_fixed_size: 0
    .sgpr_count:     62
    .sgpr_spill_count: 0
    .symbol:         _ZN2at6native32elementwise_kernel_manual_unrollILi128ELi4EZNS0_15gpu_kernel_implINS0_13BinaryFunctorIfffZNS0_12_GLOBAL__N_121threshold_kernel_implIfEEvRNS_18TensorIteratorBaseET_S8_EUlffE_EEEEvS7_RKS8_EUlibE_EEviT1_.kd
    .uniform_work_group_size: 1
    .uses_dynamic_stack: false
    .vgpr_count:     16
    .vgpr_spill_count: 0
    .wavefront_size: 64
  - .args:
      - .offset:         0
        .size:           4
        .value_kind:     by_value
      - .offset:         8
        .size:           424
        .value_kind:     by_value
    .group_segment_fixed_size: 0
    .kernarg_segment_align: 8
    .kernarg_segment_size: 432
    .language:       OpenCL C
    .language_version:
      - 2
      - 0
    .max_flat_workgroup_size: 128
    .name:           _ZN2at6native32elementwise_kernel_manual_unrollILi128ELi4EZNS0_12_GLOBAL__N_142type_specialized_broadcast_kernel_launcherILi0EE5applyINS0_13BinaryFunctorIfffZNS2_21threshold_kernel_implIfEEvRNS_18TensorIteratorBaseET_SA_EUlffE_EESt5arrayIPcLm3EESD_IN3c1010ScalarTypeELm3EE16OffsetCalculatorILi3EjLb0EEEEvlSA_T0_T1_T2_EUlibE_EEviSM_
    .private_segment_fixed_size: 0
    .sgpr_count:     56
    .sgpr_spill_count: 0
    .symbol:         _ZN2at6native32elementwise_kernel_manual_unrollILi128ELi4EZNS0_12_GLOBAL__N_142type_specialized_broadcast_kernel_launcherILi0EE5applyINS0_13BinaryFunctorIfffZNS2_21threshold_kernel_implIfEEvRNS_18TensorIteratorBaseET_SA_EUlffE_EESt5arrayIPcLm3EESD_IN3c1010ScalarTypeELm3EE16OffsetCalculatorILi3EjLb0EEEEvlSA_T0_T1_T2_EUlibE_EEviSM_.kd
    .uniform_work_group_size: 1
    .uses_dynamic_stack: false
    .vgpr_count:     22
    .vgpr_spill_count: 0
    .wavefront_size: 64
  - .args:
      - .offset:         0
        .size:           4
        .value_kind:     by_value
      - .offset:         8
        .size:           424
        .value_kind:     by_value
    .group_segment_fixed_size: 0
    .kernarg_segment_align: 8
    .kernarg_segment_size: 432
    .language:       OpenCL C
    .language_version:
      - 2
      - 0
    .max_flat_workgroup_size: 128
    .name:           _ZN2at6native32elementwise_kernel_manual_unrollILi128ELi4EZNS0_12_GLOBAL__N_142type_specialized_broadcast_kernel_launcherILi1EE5applyINS0_13BinaryFunctorIfffZNS2_21threshold_kernel_implIfEEvRNS_18TensorIteratorBaseET_SA_EUlffE_EESt5arrayIPcLm3EESD_IN3c1010ScalarTypeELm3EE16OffsetCalculatorILi3EjLb0EEEEvlSA_T0_T1_T2_EUlibE_EEviSM_
    .private_segment_fixed_size: 0
    .sgpr_count:     56
    .sgpr_spill_count: 0
    .symbol:         _ZN2at6native32elementwise_kernel_manual_unrollILi128ELi4EZNS0_12_GLOBAL__N_142type_specialized_broadcast_kernel_launcherILi1EE5applyINS0_13BinaryFunctorIfffZNS2_21threshold_kernel_implIfEEvRNS_18TensorIteratorBaseET_SA_EUlffE_EESt5arrayIPcLm3EESD_IN3c1010ScalarTypeELm3EE16OffsetCalculatorILi3EjLb0EEEEvlSA_T0_T1_T2_EUlibE_EEviSM_.kd
    .uniform_work_group_size: 1
    .uses_dynamic_stack: false
    .vgpr_count:     22
    .vgpr_spill_count: 0
    .wavefront_size: 64
  - .args:
      - .offset:         0
        .size:           4
        .value_kind:     by_value
      - .offset:         8
        .size:           424
        .value_kind:     by_value
    .group_segment_fixed_size: 0
    .kernarg_segment_align: 8
    .kernarg_segment_size: 432
    .language:       OpenCL C
    .language_version:
      - 2
      - 0
    .max_flat_workgroup_size: 128
    .name:           _ZN2at6native32elementwise_kernel_manual_unrollILi128ELi4EZNS0_12_GLOBAL__N_142type_specialized_broadcast_kernel_launcherILi2EE5applyINS0_13BinaryFunctorIfffZNS2_21threshold_kernel_implIfEEvRNS_18TensorIteratorBaseET_SA_EUlffE_EESt5arrayIPcLm3EESD_IN3c1010ScalarTypeELm3EE16OffsetCalculatorILi3EjLb0EEEEvlSA_T0_T1_T2_EUlibE_EEviSM_
    .private_segment_fixed_size: 0
    .sgpr_count:     56
    .sgpr_spill_count: 0
    .symbol:         _ZN2at6native32elementwise_kernel_manual_unrollILi128ELi4EZNS0_12_GLOBAL__N_142type_specialized_broadcast_kernel_launcherILi2EE5applyINS0_13BinaryFunctorIfffZNS2_21threshold_kernel_implIfEEvRNS_18TensorIteratorBaseET_SA_EUlffE_EESt5arrayIPcLm3EESD_IN3c1010ScalarTypeELm3EE16OffsetCalculatorILi3EjLb0EEEEvlSA_T0_T1_T2_EUlibE_EEviSM_.kd
    .uniform_work_group_size: 1
    .uses_dynamic_stack: false
    .vgpr_count:     22
    .vgpr_spill_count: 0
    .wavefront_size: 64
  - .args:
      - .offset:         0
        .size:           4
        .value_kind:     by_value
      - .offset:         8
        .size:           424
        .value_kind:     by_value
    .group_segment_fixed_size: 0
    .kernarg_segment_align: 8
    .kernarg_segment_size: 432
    .language:       OpenCL C
    .language_version:
      - 2
      - 0
    .max_flat_workgroup_size: 128
    .name:           _ZN2at6native32elementwise_kernel_manual_unrollILi128ELi4EZNS0_12_GLOBAL__N_142type_specialized_broadcast_kernel_launcherILi3EE5applyINS0_13BinaryFunctorIfffZNS2_21threshold_kernel_implIfEEvRNS_18TensorIteratorBaseET_SA_EUlffE_EESt5arrayIPcLm3EESD_IN3c1010ScalarTypeELm3EE16OffsetCalculatorILi3EjLb0EEEEvlSA_T0_T1_T2_EUlibE_EEviSM_
    .private_segment_fixed_size: 0
    .sgpr_count:     56
    .sgpr_spill_count: 0
    .symbol:         _ZN2at6native32elementwise_kernel_manual_unrollILi128ELi4EZNS0_12_GLOBAL__N_142type_specialized_broadcast_kernel_launcherILi3EE5applyINS0_13BinaryFunctorIfffZNS2_21threshold_kernel_implIfEEvRNS_18TensorIteratorBaseET_SA_EUlffE_EESt5arrayIPcLm3EESD_IN3c1010ScalarTypeELm3EE16OffsetCalculatorILi3EjLb0EEEEvlSA_T0_T1_T2_EUlibE_EEviSM_.kd
    .uniform_work_group_size: 1
    .uses_dynamic_stack: false
    .vgpr_count:     22
    .vgpr_spill_count: 0
    .wavefront_size: 64
  - .args:
      - .offset:         0
        .size:           4
        .value_kind:     by_value
      - .offset:         8
        .size:           424
        .value_kind:     by_value
    .group_segment_fixed_size: 0
    .kernarg_segment_align: 8
    .kernarg_segment_size: 432
    .language:       OpenCL C
    .language_version:
      - 2
      - 0
    .max_flat_workgroup_size: 128
    .name:           _ZN2at6native32elementwise_kernel_manual_unrollILi128ELi4EZNS0_12_GLOBAL__N_142type_specialized_broadcast_kernel_launcherILi4EE5applyINS0_13BinaryFunctorIfffZNS2_21threshold_kernel_implIfEEvRNS_18TensorIteratorBaseET_SA_EUlffE_EESt5arrayIPcLm3EESD_IN3c1010ScalarTypeELm3EE16OffsetCalculatorILi3EjLb0EEEEvlSA_T0_T1_T2_EUlibE_EEviSM_
    .private_segment_fixed_size: 0
    .sgpr_count:     56
    .sgpr_spill_count: 0
    .symbol:         _ZN2at6native32elementwise_kernel_manual_unrollILi128ELi4EZNS0_12_GLOBAL__N_142type_specialized_broadcast_kernel_launcherILi4EE5applyINS0_13BinaryFunctorIfffZNS2_21threshold_kernel_implIfEEvRNS_18TensorIteratorBaseET_SA_EUlffE_EESt5arrayIPcLm3EESD_IN3c1010ScalarTypeELm3EE16OffsetCalculatorILi3EjLb0EEEEvlSA_T0_T1_T2_EUlibE_EEviSM_.kd
    .uniform_work_group_size: 1
    .uses_dynamic_stack: false
    .vgpr_count:     22
    .vgpr_spill_count: 0
    .wavefront_size: 64
  - .args:
      - .offset:         0
        .size:           4
        .value_kind:     by_value
      - .offset:         8
        .size:           424
        .value_kind:     by_value
    .group_segment_fixed_size: 0
    .kernarg_segment_align: 8
    .kernarg_segment_size: 432
    .language:       OpenCL C
    .language_version:
      - 2
      - 0
    .max_flat_workgroup_size: 128
    .name:           _ZN2at6native32elementwise_kernel_manual_unrollILi128ELi4EZNS0_12_GLOBAL__N_142type_specialized_broadcast_kernel_launcherILi5EE5applyINS0_13BinaryFunctorIfffZNS2_21threshold_kernel_implIfEEvRNS_18TensorIteratorBaseET_SA_EUlffE_EESt5arrayIPcLm3EESD_IN3c1010ScalarTypeELm3EE16OffsetCalculatorILi3EjLb0EEEEvlSA_T0_T1_T2_EUlibE_EEviSM_
    .private_segment_fixed_size: 0
    .sgpr_count:     56
    .sgpr_spill_count: 0
    .symbol:         _ZN2at6native32elementwise_kernel_manual_unrollILi128ELi4EZNS0_12_GLOBAL__N_142type_specialized_broadcast_kernel_launcherILi5EE5applyINS0_13BinaryFunctorIfffZNS2_21threshold_kernel_implIfEEvRNS_18TensorIteratorBaseET_SA_EUlffE_EESt5arrayIPcLm3EESD_IN3c1010ScalarTypeELm3EE16OffsetCalculatorILi3EjLb0EEEEvlSA_T0_T1_T2_EUlibE_EEviSM_.kd
    .uniform_work_group_size: 1
    .uses_dynamic_stack: false
    .vgpr_count:     22
    .vgpr_spill_count: 0
    .wavefront_size: 64
  - .args:
      - .offset:         0
        .size:           4
        .value_kind:     by_value
      - .offset:         8
        .size:           432
        .value_kind:     by_value
    .group_segment_fixed_size: 0
    .kernarg_segment_align: 8
    .kernarg_segment_size: 440
    .language:       OpenCL C
    .language_version:
      - 2
      - 0
    .max_flat_workgroup_size: 128
    .name:           _ZN2at6native32elementwise_kernel_manual_unrollILi128ELi4EZNS0_15gpu_kernel_implINS0_13BinaryFunctorIfffZNS0_12_GLOBAL__N_121threshold_kernel_implIfEEvRNS_18TensorIteratorBaseET_S8_EUlffE_EEEEvS7_RKS8_EUlibE0_EEviT1_
    .private_segment_fixed_size: 0
    .sgpr_count:     86
    .sgpr_spill_count: 0
    .symbol:         _ZN2at6native32elementwise_kernel_manual_unrollILi128ELi4EZNS0_15gpu_kernel_implINS0_13BinaryFunctorIfffZNS0_12_GLOBAL__N_121threshold_kernel_implIfEEvRNS_18TensorIteratorBaseET_S8_EUlffE_EEEEvS7_RKS8_EUlibE0_EEviT1_.kd
    .uniform_work_group_size: 1
    .uses_dynamic_stack: false
    .vgpr_count:     24
    .vgpr_spill_count: 0
    .wavefront_size: 64
  - .args:
      - .offset:         0
        .size:           4
        .value_kind:     by_value
      - .offset:         4
        .size:           6
        .value_kind:     by_value
      - .offset:         16
        .size:           16
        .value_kind:     by_value
    .group_segment_fixed_size: 0
    .kernarg_segment_align: 8
    .kernarg_segment_size: 32
    .language:       OpenCL C
    .language_version:
      - 2
      - 0
    .max_flat_workgroup_size: 256
    .name:           _ZN2at6native29vectorized_elementwise_kernelILi16ENS0_13AUnaryFunctorIN3c104HalfES4_S4_ZNS0_12_GLOBAL__N_121threshold_kernel_implIS4_EEvRNS_18TensorIteratorBaseET_S9_EUlS4_S4_E_EESt5arrayIPcLm2EEEEviT0_T1_
    .private_segment_fixed_size: 0
    .sgpr_count:     18
    .sgpr_spill_count: 0
    .symbol:         _ZN2at6native29vectorized_elementwise_kernelILi16ENS0_13AUnaryFunctorIN3c104HalfES4_S4_ZNS0_12_GLOBAL__N_121threshold_kernel_implIS4_EEvRNS_18TensorIteratorBaseET_S9_EUlS4_S4_E_EESt5arrayIPcLm2EEEEviT0_T1_.kd
    .uniform_work_group_size: 1
    .uses_dynamic_stack: false
    .vgpr_count:     13
    .vgpr_spill_count: 0
    .wavefront_size: 64
  - .args:
      - .offset:         0
        .size:           4
        .value_kind:     by_value
      - .offset:         4
        .size:           6
        .value_kind:     by_value
      - .offset:         16
        .size:           16
        .value_kind:     by_value
    .group_segment_fixed_size: 0
    .kernarg_segment_align: 8
    .kernarg_segment_size: 32
    .language:       OpenCL C
    .language_version:
      - 2
      - 0
    .max_flat_workgroup_size: 256
    .name:           _ZN2at6native29vectorized_elementwise_kernelILi8ENS0_13AUnaryFunctorIN3c104HalfES4_S4_ZNS0_12_GLOBAL__N_121threshold_kernel_implIS4_EEvRNS_18TensorIteratorBaseET_S9_EUlS4_S4_E_EESt5arrayIPcLm2EEEEviT0_T1_
    .private_segment_fixed_size: 0
    .sgpr_count:     18
    .sgpr_spill_count: 0
    .symbol:         _ZN2at6native29vectorized_elementwise_kernelILi8ENS0_13AUnaryFunctorIN3c104HalfES4_S4_ZNS0_12_GLOBAL__N_121threshold_kernel_implIS4_EEvRNS_18TensorIteratorBaseET_S9_EUlS4_S4_E_EESt5arrayIPcLm2EEEEviT0_T1_.kd
    .uniform_work_group_size: 1
    .uses_dynamic_stack: false
    .vgpr_count:     13
    .vgpr_spill_count: 0
    .wavefront_size: 64
  - .args:
      - .offset:         0
        .size:           4
        .value_kind:     by_value
      - .offset:         4
        .size:           6
        .value_kind:     by_value
      - .offset:         16
        .size:           16
        .value_kind:     by_value
    .group_segment_fixed_size: 0
    .kernarg_segment_align: 8
    .kernarg_segment_size: 32
    .language:       OpenCL C
    .language_version:
      - 2
      - 0
    .max_flat_workgroup_size: 256
    .name:           _ZN2at6native29vectorized_elementwise_kernelILi4ENS0_13AUnaryFunctorIN3c104HalfES4_S4_ZNS0_12_GLOBAL__N_121threshold_kernel_implIS4_EEvRNS_18TensorIteratorBaseET_S9_EUlS4_S4_E_EESt5arrayIPcLm2EEEEviT0_T1_
    .private_segment_fixed_size: 0
    .sgpr_count:     18
    .sgpr_spill_count: 0
    .symbol:         _ZN2at6native29vectorized_elementwise_kernelILi4ENS0_13AUnaryFunctorIN3c104HalfES4_S4_ZNS0_12_GLOBAL__N_121threshold_kernel_implIS4_EEvRNS_18TensorIteratorBaseET_S9_EUlS4_S4_E_EESt5arrayIPcLm2EEEEviT0_T1_.kd
    .uniform_work_group_size: 1
    .uses_dynamic_stack: false
    .vgpr_count:     13
    .vgpr_spill_count: 0
    .wavefront_size: 64
  - .args:
      - .offset:         0
        .size:           4
        .value_kind:     by_value
      - .offset:         4
        .size:           6
        .value_kind:     by_value
      - .offset:         16
        .size:           16
        .value_kind:     by_value
    .group_segment_fixed_size: 0
    .kernarg_segment_align: 8
    .kernarg_segment_size: 32
    .language:       OpenCL C
    .language_version:
      - 2
      - 0
    .max_flat_workgroup_size: 256
    .name:           _ZN2at6native29vectorized_elementwise_kernelILi2ENS0_13AUnaryFunctorIN3c104HalfES4_S4_ZNS0_12_GLOBAL__N_121threshold_kernel_implIS4_EEvRNS_18TensorIteratorBaseET_S9_EUlS4_S4_E_EESt5arrayIPcLm2EEEEviT0_T1_
    .private_segment_fixed_size: 0
    .sgpr_count:     18
    .sgpr_spill_count: 0
    .symbol:         _ZN2at6native29vectorized_elementwise_kernelILi2ENS0_13AUnaryFunctorIN3c104HalfES4_S4_ZNS0_12_GLOBAL__N_121threshold_kernel_implIS4_EEvRNS_18TensorIteratorBaseET_S9_EUlS4_S4_E_EESt5arrayIPcLm2EEEEviT0_T1_.kd
    .uniform_work_group_size: 1
    .uses_dynamic_stack: false
    .vgpr_count:     13
    .vgpr_spill_count: 0
    .wavefront_size: 64
  - .args:
      - .offset:         0
        .size:           4
        .value_kind:     by_value
      - .offset:         4
        .size:           6
        .value_kind:     by_value
      - .offset:         16
        .size:           16
        .value_kind:     by_value
      - .offset:         32
        .size:           1
        .value_kind:     by_value
      - .offset:         33
        .size:           1
        .value_kind:     by_value
      - .offset:         34
        .size:           1
        .value_kind:     by_value
      - .offset:         35
        .size:           1
        .value_kind:     by_value
    .group_segment_fixed_size: 0
    .kernarg_segment_align: 8
    .kernarg_segment_size: 36
    .language:       OpenCL C
    .language_version:
      - 2
      - 0
    .max_flat_workgroup_size: 256
    .name:           _ZN2at6native27unrolled_elementwise_kernelINS0_13AUnaryFunctorIN3c104HalfES4_S4_ZNS0_12_GLOBAL__N_121threshold_kernel_implIS4_EEvRNS_18TensorIteratorBaseET_S9_EUlS4_S4_E_EESt5arrayIPcLm2EELi4E23TrivialOffsetCalculatorILi1EjESG_NS0_6memory15LoadWithoutCastENSH_16StoreWithoutCastEEEviS9_T0_T2_T3_T4_T5_
    .private_segment_fixed_size: 0
    .sgpr_count:     18
    .sgpr_spill_count: 0
    .symbol:         _ZN2at6native27unrolled_elementwise_kernelINS0_13AUnaryFunctorIN3c104HalfES4_S4_ZNS0_12_GLOBAL__N_121threshold_kernel_implIS4_EEvRNS_18TensorIteratorBaseET_S9_EUlS4_S4_E_EESt5arrayIPcLm2EELi4E23TrivialOffsetCalculatorILi1EjESG_NS0_6memory15LoadWithoutCastENSH_16StoreWithoutCastEEEviS9_T0_T2_T3_T4_T5_.kd
    .uniform_work_group_size: 1
    .uses_dynamic_stack: false
    .vgpr_count:     9
    .vgpr_spill_count: 0
    .wavefront_size: 64
  - .args:
      - .offset:         0
        .size:           4
        .value_kind:     by_value
      - .offset:         8
        .size:           352
        .value_kind:     by_value
    .group_segment_fixed_size: 0
    .kernarg_segment_align: 8
    .kernarg_segment_size: 360
    .language:       OpenCL C
    .language_version:
      - 2
      - 0
    .max_flat_workgroup_size: 128
    .name:           _ZN2at6native32elementwise_kernel_manual_unrollILi128ELi8EZNS0_22gpu_kernel_impl_nocastINS0_13AUnaryFunctorIN3c104HalfES5_S5_ZNS0_12_GLOBAL__N_121threshold_kernel_implIS5_EEvRNS_18TensorIteratorBaseET_SA_EUlS5_S5_E_EEEEvS9_RKSA_EUlibE_EEviT1_
    .private_segment_fixed_size: 0
    .sgpr_count:     67
    .sgpr_spill_count: 0
    .symbol:         _ZN2at6native32elementwise_kernel_manual_unrollILi128ELi8EZNS0_22gpu_kernel_impl_nocastINS0_13AUnaryFunctorIN3c104HalfES5_S5_ZNS0_12_GLOBAL__N_121threshold_kernel_implIS5_EEvRNS_18TensorIteratorBaseET_SA_EUlS5_S5_E_EEEEvS9_RKSA_EUlibE_EEviT1_.kd
    .uniform_work_group_size: 1
    .uses_dynamic_stack: false
    .vgpr_count:     26
    .vgpr_spill_count: 0
    .wavefront_size: 64
  - .args:
      - .offset:         0
        .size:           4
        .value_kind:     by_value
      - .offset:         8
        .size:           32
        .value_kind:     by_value
    .group_segment_fixed_size: 0
    .kernarg_segment_align: 8
    .kernarg_segment_size: 40
    .language:       OpenCL C
    .language_version:
      - 2
      - 0
    .max_flat_workgroup_size: 128
    .name:           _ZN2at6native32elementwise_kernel_manual_unrollILi128ELi4EZNS0_15gpu_kernel_implINS0_13AUnaryFunctorIN3c104HalfES5_S5_ZNS0_12_GLOBAL__N_121threshold_kernel_implIS5_EEvRNS_18TensorIteratorBaseET_SA_EUlS5_S5_E_EEEEvS9_RKSA_EUlibE_EEviT1_
    .private_segment_fixed_size: 0
    .sgpr_count:     53
    .sgpr_spill_count: 0
    .symbol:         _ZN2at6native32elementwise_kernel_manual_unrollILi128ELi4EZNS0_15gpu_kernel_implINS0_13AUnaryFunctorIN3c104HalfES5_S5_ZNS0_12_GLOBAL__N_121threshold_kernel_implIS5_EEvRNS_18TensorIteratorBaseET_SA_EUlS5_S5_E_EEEEvS9_RKSA_EUlibE_EEviT1_.kd
    .uniform_work_group_size: 1
    .uses_dynamic_stack: false
    .vgpr_count:     14
    .vgpr_spill_count: 0
    .wavefront_size: 64
  - .args:
      - .offset:         0
        .size:           4
        .value_kind:     by_value
      - .offset:         8
        .size:           352
        .value_kind:     by_value
    .group_segment_fixed_size: 0
    .kernarg_segment_align: 8
    .kernarg_segment_size: 360
    .language:       OpenCL C
    .language_version:
      - 2
      - 0
    .max_flat_workgroup_size: 128
    .name:           _ZN2at6native32elementwise_kernel_manual_unrollILi128ELi4EZNS0_15gpu_kernel_implINS0_13AUnaryFunctorIN3c104HalfES5_S5_ZNS0_12_GLOBAL__N_121threshold_kernel_implIS5_EEvRNS_18TensorIteratorBaseET_SA_EUlS5_S5_E_EEEEvS9_RKSA_EUlibE0_EEviT1_
    .private_segment_fixed_size: 0
    .sgpr_count:     85
    .sgpr_spill_count: 0
    .symbol:         _ZN2at6native32elementwise_kernel_manual_unrollILi128ELi4EZNS0_15gpu_kernel_implINS0_13AUnaryFunctorIN3c104HalfES5_S5_ZNS0_12_GLOBAL__N_121threshold_kernel_implIS5_EEvRNS_18TensorIteratorBaseET_SA_EUlS5_S5_E_EEEEvS9_RKSA_EUlibE0_EEviT1_.kd
    .uniform_work_group_size: 1
    .uses_dynamic_stack: false
    .vgpr_count:     18
    .vgpr_spill_count: 0
    .wavefront_size: 64
  - .args:
      - .offset:         0
        .size:           4
        .value_kind:     by_value
      - .offset:         4
        .size:           6
        .value_kind:     by_value
      - .offset:         16
        .size:           16
        .value_kind:     by_value
    .group_segment_fixed_size: 0
    .kernarg_segment_align: 8
    .kernarg_segment_size: 32
    .language:       OpenCL C
    .language_version:
      - 2
      - 0
    .max_flat_workgroup_size: 256
    .name:           _ZN2at6native29vectorized_elementwise_kernelILi16ENS0_13BUnaryFunctorIN3c104HalfES4_S4_ZNS0_12_GLOBAL__N_121threshold_kernel_implIS4_EEvRNS_18TensorIteratorBaseET_S9_EUlS4_S4_E_EESt5arrayIPcLm2EEEEviT0_T1_
    .private_segment_fixed_size: 0
    .sgpr_count:     18
    .sgpr_spill_count: 0
    .symbol:         _ZN2at6native29vectorized_elementwise_kernelILi16ENS0_13BUnaryFunctorIN3c104HalfES4_S4_ZNS0_12_GLOBAL__N_121threshold_kernel_implIS4_EEvRNS_18TensorIteratorBaseET_S9_EUlS4_S4_E_EESt5arrayIPcLm2EEEEviT0_T1_.kd
    .uniform_work_group_size: 1
    .uses_dynamic_stack: false
    .vgpr_count:     13
    .vgpr_spill_count: 0
    .wavefront_size: 64
  - .args:
      - .offset:         0
        .size:           4
        .value_kind:     by_value
      - .offset:         4
        .size:           6
        .value_kind:     by_value
      - .offset:         16
        .size:           16
        .value_kind:     by_value
    .group_segment_fixed_size: 0
    .kernarg_segment_align: 8
    .kernarg_segment_size: 32
    .language:       OpenCL C
    .language_version:
      - 2
      - 0
    .max_flat_workgroup_size: 256
    .name:           _ZN2at6native29vectorized_elementwise_kernelILi8ENS0_13BUnaryFunctorIN3c104HalfES4_S4_ZNS0_12_GLOBAL__N_121threshold_kernel_implIS4_EEvRNS_18TensorIteratorBaseET_S9_EUlS4_S4_E_EESt5arrayIPcLm2EEEEviT0_T1_
    .private_segment_fixed_size: 0
    .sgpr_count:     18
    .sgpr_spill_count: 0
    .symbol:         _ZN2at6native29vectorized_elementwise_kernelILi8ENS0_13BUnaryFunctorIN3c104HalfES4_S4_ZNS0_12_GLOBAL__N_121threshold_kernel_implIS4_EEvRNS_18TensorIteratorBaseET_S9_EUlS4_S4_E_EESt5arrayIPcLm2EEEEviT0_T1_.kd
    .uniform_work_group_size: 1
    .uses_dynamic_stack: false
    .vgpr_count:     13
    .vgpr_spill_count: 0
    .wavefront_size: 64
  - .args:
      - .offset:         0
        .size:           4
        .value_kind:     by_value
      - .offset:         4
        .size:           6
        .value_kind:     by_value
      - .offset:         16
        .size:           16
        .value_kind:     by_value
    .group_segment_fixed_size: 0
    .kernarg_segment_align: 8
    .kernarg_segment_size: 32
    .language:       OpenCL C
    .language_version:
      - 2
      - 0
    .max_flat_workgroup_size: 256
    .name:           _ZN2at6native29vectorized_elementwise_kernelILi4ENS0_13BUnaryFunctorIN3c104HalfES4_S4_ZNS0_12_GLOBAL__N_121threshold_kernel_implIS4_EEvRNS_18TensorIteratorBaseET_S9_EUlS4_S4_E_EESt5arrayIPcLm2EEEEviT0_T1_
    .private_segment_fixed_size: 0
    .sgpr_count:     18
    .sgpr_spill_count: 0
    .symbol:         _ZN2at6native29vectorized_elementwise_kernelILi4ENS0_13BUnaryFunctorIN3c104HalfES4_S4_ZNS0_12_GLOBAL__N_121threshold_kernel_implIS4_EEvRNS_18TensorIteratorBaseET_S9_EUlS4_S4_E_EESt5arrayIPcLm2EEEEviT0_T1_.kd
    .uniform_work_group_size: 1
    .uses_dynamic_stack: false
    .vgpr_count:     13
    .vgpr_spill_count: 0
    .wavefront_size: 64
  - .args:
      - .offset:         0
        .size:           4
        .value_kind:     by_value
      - .offset:         4
        .size:           6
        .value_kind:     by_value
      - .offset:         16
        .size:           16
        .value_kind:     by_value
    .group_segment_fixed_size: 0
    .kernarg_segment_align: 8
    .kernarg_segment_size: 32
    .language:       OpenCL C
    .language_version:
      - 2
      - 0
    .max_flat_workgroup_size: 256
    .name:           _ZN2at6native29vectorized_elementwise_kernelILi2ENS0_13BUnaryFunctorIN3c104HalfES4_S4_ZNS0_12_GLOBAL__N_121threshold_kernel_implIS4_EEvRNS_18TensorIteratorBaseET_S9_EUlS4_S4_E_EESt5arrayIPcLm2EEEEviT0_T1_
    .private_segment_fixed_size: 0
    .sgpr_count:     18
    .sgpr_spill_count: 0
    .symbol:         _ZN2at6native29vectorized_elementwise_kernelILi2ENS0_13BUnaryFunctorIN3c104HalfES4_S4_ZNS0_12_GLOBAL__N_121threshold_kernel_implIS4_EEvRNS_18TensorIteratorBaseET_S9_EUlS4_S4_E_EESt5arrayIPcLm2EEEEviT0_T1_.kd
    .uniform_work_group_size: 1
    .uses_dynamic_stack: false
    .vgpr_count:     13
    .vgpr_spill_count: 0
    .wavefront_size: 64
  - .args:
      - .offset:         0
        .size:           4
        .value_kind:     by_value
      - .offset:         4
        .size:           6
        .value_kind:     by_value
      - .offset:         16
        .size:           16
        .value_kind:     by_value
      - .offset:         32
        .size:           1
        .value_kind:     by_value
      - .offset:         33
        .size:           1
        .value_kind:     by_value
      - .offset:         34
        .size:           1
        .value_kind:     by_value
      - .offset:         35
        .size:           1
        .value_kind:     by_value
    .group_segment_fixed_size: 0
    .kernarg_segment_align: 8
    .kernarg_segment_size: 36
    .language:       OpenCL C
    .language_version:
      - 2
      - 0
    .max_flat_workgroup_size: 256
    .name:           _ZN2at6native27unrolled_elementwise_kernelINS0_13BUnaryFunctorIN3c104HalfES4_S4_ZNS0_12_GLOBAL__N_121threshold_kernel_implIS4_EEvRNS_18TensorIteratorBaseET_S9_EUlS4_S4_E_EESt5arrayIPcLm2EELi4E23TrivialOffsetCalculatorILi1EjESG_NS0_6memory15LoadWithoutCastENSH_16StoreWithoutCastEEEviS9_T0_T2_T3_T4_T5_
    .private_segment_fixed_size: 0
    .sgpr_count:     17
    .sgpr_spill_count: 0
    .symbol:         _ZN2at6native27unrolled_elementwise_kernelINS0_13BUnaryFunctorIN3c104HalfES4_S4_ZNS0_12_GLOBAL__N_121threshold_kernel_implIS4_EEvRNS_18TensorIteratorBaseET_S9_EUlS4_S4_E_EESt5arrayIPcLm2EELi4E23TrivialOffsetCalculatorILi1EjESG_NS0_6memory15LoadWithoutCastENSH_16StoreWithoutCastEEEviS9_T0_T2_T3_T4_T5_.kd
    .uniform_work_group_size: 1
    .uses_dynamic_stack: false
    .vgpr_count:     9
    .vgpr_spill_count: 0
    .wavefront_size: 64
  - .args:
      - .offset:         0
        .size:           4
        .value_kind:     by_value
      - .offset:         8
        .size:           352
        .value_kind:     by_value
    .group_segment_fixed_size: 0
    .kernarg_segment_align: 8
    .kernarg_segment_size: 360
    .language:       OpenCL C
    .language_version:
      - 2
      - 0
    .max_flat_workgroup_size: 128
    .name:           _ZN2at6native32elementwise_kernel_manual_unrollILi128ELi8EZNS0_22gpu_kernel_impl_nocastINS0_13BUnaryFunctorIN3c104HalfES5_S5_ZNS0_12_GLOBAL__N_121threshold_kernel_implIS5_EEvRNS_18TensorIteratorBaseET_SA_EUlS5_S5_E_EEEEvS9_RKSA_EUlibE_EEviT1_
    .private_segment_fixed_size: 0
    .sgpr_count:     67
    .sgpr_spill_count: 0
    .symbol:         _ZN2at6native32elementwise_kernel_manual_unrollILi128ELi8EZNS0_22gpu_kernel_impl_nocastINS0_13BUnaryFunctorIN3c104HalfES5_S5_ZNS0_12_GLOBAL__N_121threshold_kernel_implIS5_EEvRNS_18TensorIteratorBaseET_SA_EUlS5_S5_E_EEEEvS9_RKSA_EUlibE_EEviT1_.kd
    .uniform_work_group_size: 1
    .uses_dynamic_stack: false
    .vgpr_count:     26
    .vgpr_spill_count: 0
    .wavefront_size: 64
  - .args:
      - .offset:         0
        .size:           4
        .value_kind:     by_value
      - .offset:         8
        .size:           32
        .value_kind:     by_value
    .group_segment_fixed_size: 0
    .kernarg_segment_align: 8
    .kernarg_segment_size: 40
    .language:       OpenCL C
    .language_version:
      - 2
      - 0
    .max_flat_workgroup_size: 128
    .name:           _ZN2at6native32elementwise_kernel_manual_unrollILi128ELi4EZNS0_15gpu_kernel_implINS0_13BUnaryFunctorIN3c104HalfES5_S5_ZNS0_12_GLOBAL__N_121threshold_kernel_implIS5_EEvRNS_18TensorIteratorBaseET_SA_EUlS5_S5_E_EEEEvS9_RKSA_EUlibE_EEviT1_
    .private_segment_fixed_size: 0
    .sgpr_count:     51
    .sgpr_spill_count: 0
    .symbol:         _ZN2at6native32elementwise_kernel_manual_unrollILi128ELi4EZNS0_15gpu_kernel_implINS0_13BUnaryFunctorIN3c104HalfES5_S5_ZNS0_12_GLOBAL__N_121threshold_kernel_implIS5_EEvRNS_18TensorIteratorBaseET_SA_EUlS5_S5_E_EEEEvS9_RKSA_EUlibE_EEviT1_.kd
    .uniform_work_group_size: 1
    .uses_dynamic_stack: false
    .vgpr_count:     14
    .vgpr_spill_count: 0
    .wavefront_size: 64
  - .args:
      - .offset:         0
        .size:           4
        .value_kind:     by_value
      - .offset:         8
        .size:           352
        .value_kind:     by_value
    .group_segment_fixed_size: 0
    .kernarg_segment_align: 8
    .kernarg_segment_size: 360
    .language:       OpenCL C
    .language_version:
      - 2
      - 0
    .max_flat_workgroup_size: 128
    .name:           _ZN2at6native32elementwise_kernel_manual_unrollILi128ELi4EZNS0_15gpu_kernel_implINS0_13BUnaryFunctorIN3c104HalfES5_S5_ZNS0_12_GLOBAL__N_121threshold_kernel_implIS5_EEvRNS_18TensorIteratorBaseET_SA_EUlS5_S5_E_EEEEvS9_RKSA_EUlibE0_EEviT1_
    .private_segment_fixed_size: 0
    .sgpr_count:     85
    .sgpr_spill_count: 0
    .symbol:         _ZN2at6native32elementwise_kernel_manual_unrollILi128ELi4EZNS0_15gpu_kernel_implINS0_13BUnaryFunctorIN3c104HalfES5_S5_ZNS0_12_GLOBAL__N_121threshold_kernel_implIS5_EEvRNS_18TensorIteratorBaseET_SA_EUlS5_S5_E_EEEEvS9_RKSA_EUlibE0_EEviT1_.kd
    .uniform_work_group_size: 1
    .uses_dynamic_stack: false
    .vgpr_count:     18
    .vgpr_spill_count: 0
    .wavefront_size: 64
  - .args:
      - .offset:         0
        .size:           4
        .value_kind:     by_value
      - .offset:         4
        .size:           4
        .value_kind:     by_value
      - .offset:         8
        .size:           24
        .value_kind:     by_value
    .group_segment_fixed_size: 0
    .kernarg_segment_align: 8
    .kernarg_segment_size: 32
    .language:       OpenCL C
    .language_version:
      - 2
      - 0
    .max_flat_workgroup_size: 256
    .name:           _ZN2at6native29vectorized_elementwise_kernelILi16ENS0_13BinaryFunctorIN3c104HalfES4_S4_ZNS0_12_GLOBAL__N_121threshold_kernel_implIS4_EEvRNS_18TensorIteratorBaseET_S9_EUlS4_S4_E_EESt5arrayIPcLm3EEEEviT0_T1_
    .private_segment_fixed_size: 0
    .sgpr_count:     26
    .sgpr_spill_count: 0
    .symbol:         _ZN2at6native29vectorized_elementwise_kernelILi16ENS0_13BinaryFunctorIN3c104HalfES4_S4_ZNS0_12_GLOBAL__N_121threshold_kernel_implIS4_EEvRNS_18TensorIteratorBaseET_S9_EUlS4_S4_E_EESt5arrayIPcLm3EEEEviT0_T1_.kd
    .uniform_work_group_size: 1
    .uses_dynamic_stack: false
    .vgpr_count:     24
    .vgpr_spill_count: 0
    .wavefront_size: 64
  - .args:
      - .offset:         0
        .size:           4
        .value_kind:     by_value
      - .offset:         4
        .size:           4
        .value_kind:     by_value
      - .offset:         8
        .size:           24
        .value_kind:     by_value
    .group_segment_fixed_size: 0
    .kernarg_segment_align: 8
    .kernarg_segment_size: 32
    .language:       OpenCL C
    .language_version:
      - 2
      - 0
    .max_flat_workgroup_size: 256
    .name:           _ZN2at6native29vectorized_elementwise_kernelILi8ENS0_13BinaryFunctorIN3c104HalfES4_S4_ZNS0_12_GLOBAL__N_121threshold_kernel_implIS4_EEvRNS_18TensorIteratorBaseET_S9_EUlS4_S4_E_EESt5arrayIPcLm3EEEEviT0_T1_
    .private_segment_fixed_size: 0
    .sgpr_count:     26
    .sgpr_spill_count: 0
    .symbol:         _ZN2at6native29vectorized_elementwise_kernelILi8ENS0_13BinaryFunctorIN3c104HalfES4_S4_ZNS0_12_GLOBAL__N_121threshold_kernel_implIS4_EEvRNS_18TensorIteratorBaseET_S9_EUlS4_S4_E_EESt5arrayIPcLm3EEEEviT0_T1_.kd
    .uniform_work_group_size: 1
    .uses_dynamic_stack: false
    .vgpr_count:     24
    .vgpr_spill_count: 0
    .wavefront_size: 64
  - .args:
      - .offset:         0
        .size:           4
        .value_kind:     by_value
      - .offset:         4
        .size:           4
        .value_kind:     by_value
      - .offset:         8
        .size:           24
        .value_kind:     by_value
    .group_segment_fixed_size: 0
    .kernarg_segment_align: 8
    .kernarg_segment_size: 32
    .language:       OpenCL C
    .language_version:
      - 2
      - 0
    .max_flat_workgroup_size: 256
    .name:           _ZN2at6native29vectorized_elementwise_kernelILi4ENS0_13BinaryFunctorIN3c104HalfES4_S4_ZNS0_12_GLOBAL__N_121threshold_kernel_implIS4_EEvRNS_18TensorIteratorBaseET_S9_EUlS4_S4_E_EESt5arrayIPcLm3EEEEviT0_T1_
    .private_segment_fixed_size: 0
    .sgpr_count:     22
    .sgpr_spill_count: 0
    .symbol:         _ZN2at6native29vectorized_elementwise_kernelILi4ENS0_13BinaryFunctorIN3c104HalfES4_S4_ZNS0_12_GLOBAL__N_121threshold_kernel_implIS4_EEvRNS_18TensorIteratorBaseET_S9_EUlS4_S4_E_EESt5arrayIPcLm3EEEEviT0_T1_.kd
    .uniform_work_group_size: 1
    .uses_dynamic_stack: false
    .vgpr_count:     24
    .vgpr_spill_count: 0
    .wavefront_size: 64
  - .args:
      - .offset:         0
        .size:           4
        .value_kind:     by_value
      - .offset:         4
        .size:           4
        .value_kind:     by_value
      - .offset:         8
        .size:           24
        .value_kind:     by_value
    .group_segment_fixed_size: 0
    .kernarg_segment_align: 8
    .kernarg_segment_size: 32
    .language:       OpenCL C
    .language_version:
      - 2
      - 0
    .max_flat_workgroup_size: 256
    .name:           _ZN2at6native29vectorized_elementwise_kernelILi2ENS0_13BinaryFunctorIN3c104HalfES4_S4_ZNS0_12_GLOBAL__N_121threshold_kernel_implIS4_EEvRNS_18TensorIteratorBaseET_S9_EUlS4_S4_E_EESt5arrayIPcLm3EEEEviT0_T1_
    .private_segment_fixed_size: 0
    .sgpr_count:     21
    .sgpr_spill_count: 0
    .symbol:         _ZN2at6native29vectorized_elementwise_kernelILi2ENS0_13BinaryFunctorIN3c104HalfES4_S4_ZNS0_12_GLOBAL__N_121threshold_kernel_implIS4_EEvRNS_18TensorIteratorBaseET_S9_EUlS4_S4_E_EESt5arrayIPcLm3EEEEviT0_T1_.kd
    .uniform_work_group_size: 1
    .uses_dynamic_stack: false
    .vgpr_count:     24
    .vgpr_spill_count: 0
    .wavefront_size: 64
  - .args:
      - .offset:         0
        .size:           4
        .value_kind:     by_value
      - .offset:         4
        .size:           4
        .value_kind:     by_value
      - .offset:         8
        .size:           24
        .value_kind:     by_value
      - .offset:         32
        .size:           1
        .value_kind:     by_value
      - .offset:         33
        .size:           1
        .value_kind:     by_value
      - .offset:         34
        .size:           1
        .value_kind:     by_value
      - .offset:         35
        .size:           1
        .value_kind:     by_value
    .group_segment_fixed_size: 0
    .kernarg_segment_align: 8
    .kernarg_segment_size: 36
    .language:       OpenCL C
    .language_version:
      - 2
      - 0
    .max_flat_workgroup_size: 256
    .name:           _ZN2at6native27unrolled_elementwise_kernelINS0_13BinaryFunctorIN3c104HalfES4_S4_ZNS0_12_GLOBAL__N_121threshold_kernel_implIS4_EEvRNS_18TensorIteratorBaseET_S9_EUlS4_S4_E_EESt5arrayIPcLm3EELi4E23TrivialOffsetCalculatorILi2EjESF_ILi1EjENS0_6memory15LoadWithoutCastENSI_16StoreWithoutCastEEEviS9_T0_T2_T3_T4_T5_
    .private_segment_fixed_size: 0
    .sgpr_count:     18
    .sgpr_spill_count: 0
    .symbol:         _ZN2at6native27unrolled_elementwise_kernelINS0_13BinaryFunctorIN3c104HalfES4_S4_ZNS0_12_GLOBAL__N_121threshold_kernel_implIS4_EEvRNS_18TensorIteratorBaseET_S9_EUlS4_S4_E_EESt5arrayIPcLm3EELi4E23TrivialOffsetCalculatorILi2EjESF_ILi1EjENS0_6memory15LoadWithoutCastENSI_16StoreWithoutCastEEEviS9_T0_T2_T3_T4_T5_.kd
    .uniform_work_group_size: 1
    .uses_dynamic_stack: false
    .vgpr_count:     16
    .vgpr_spill_count: 0
    .wavefront_size: 64
  - .args:
      - .offset:         0
        .size:           4
        .value_kind:     by_value
      - .offset:         8
        .size:           424
        .value_kind:     by_value
    .group_segment_fixed_size: 0
    .kernarg_segment_align: 8
    .kernarg_segment_size: 432
    .language:       OpenCL C
    .language_version:
      - 2
      - 0
    .max_flat_workgroup_size: 128
    .name:           _ZN2at6native32elementwise_kernel_manual_unrollILi128ELi8EZNS0_22gpu_kernel_impl_nocastINS0_13BinaryFunctorIN3c104HalfES5_S5_ZNS0_12_GLOBAL__N_121threshold_kernel_implIS5_EEvRNS_18TensorIteratorBaseET_SA_EUlS5_S5_E_EEEEvS9_RKSA_EUlibE_EEviT1_
    .private_segment_fixed_size: 0
    .sgpr_count:     56
    .sgpr_spill_count: 0
    .symbol:         _ZN2at6native32elementwise_kernel_manual_unrollILi128ELi8EZNS0_22gpu_kernel_impl_nocastINS0_13BinaryFunctorIN3c104HalfES5_S5_ZNS0_12_GLOBAL__N_121threshold_kernel_implIS5_EEvRNS_18TensorIteratorBaseET_SA_EUlS5_S5_E_EEEEvS9_RKSA_EUlibE_EEviT1_.kd
    .uniform_work_group_size: 1
    .uses_dynamic_stack: false
    .vgpr_count:     42
    .vgpr_spill_count: 0
    .wavefront_size: 64
  - .args:
      - .offset:         0
        .size:           4
        .value_kind:     by_value
      - .offset:         8
        .size:           48
        .value_kind:     by_value
    .group_segment_fixed_size: 0
    .kernarg_segment_align: 8
    .kernarg_segment_size: 56
    .language:       OpenCL C
    .language_version:
      - 2
      - 0
    .max_flat_workgroup_size: 128
    .name:           _ZN2at6native32elementwise_kernel_manual_unrollILi128ELi4EZNS0_15gpu_kernel_implINS0_13BinaryFunctorIN3c104HalfES5_S5_ZNS0_12_GLOBAL__N_121threshold_kernel_implIS5_EEvRNS_18TensorIteratorBaseET_SA_EUlS5_S5_E_EEEEvS9_RKSA_EUlibE_EEviT1_
    .private_segment_fixed_size: 0
    .sgpr_count:     62
    .sgpr_spill_count: 0
    .symbol:         _ZN2at6native32elementwise_kernel_manual_unrollILi128ELi4EZNS0_15gpu_kernel_implINS0_13BinaryFunctorIN3c104HalfES5_S5_ZNS0_12_GLOBAL__N_121threshold_kernel_implIS5_EEvRNS_18TensorIteratorBaseET_SA_EUlS5_S5_E_EEEEvS9_RKSA_EUlibE_EEviT1_.kd
    .uniform_work_group_size: 1
    .uses_dynamic_stack: false
    .vgpr_count:     18
    .vgpr_spill_count: 0
    .wavefront_size: 64
  - .args:
      - .offset:         0
        .size:           4
        .value_kind:     by_value
      - .offset:         8
        .size:           424
        .value_kind:     by_value
    .group_segment_fixed_size: 0
    .kernarg_segment_align: 8
    .kernarg_segment_size: 432
    .language:       OpenCL C
    .language_version:
      - 2
      - 0
    .max_flat_workgroup_size: 128
    .name:           _ZN2at6native32elementwise_kernel_manual_unrollILi128ELi4EZNS0_15gpu_kernel_implINS0_13BinaryFunctorIN3c104HalfES5_S5_ZNS0_12_GLOBAL__N_121threshold_kernel_implIS5_EEvRNS_18TensorIteratorBaseET_SA_EUlS5_S5_E_EEEEvS9_RKSA_EUlibE0_EEviT1_
    .private_segment_fixed_size: 0
    .sgpr_count:     86
    .sgpr_spill_count: 0
    .symbol:         _ZN2at6native32elementwise_kernel_manual_unrollILi128ELi4EZNS0_15gpu_kernel_implINS0_13BinaryFunctorIN3c104HalfES5_S5_ZNS0_12_GLOBAL__N_121threshold_kernel_implIS5_EEvRNS_18TensorIteratorBaseET_SA_EUlS5_S5_E_EEEEvS9_RKSA_EUlibE0_EEviT1_.kd
    .uniform_work_group_size: 1
    .uses_dynamic_stack: false
    .vgpr_count:     24
    .vgpr_spill_count: 0
    .wavefront_size: 64
  - .args:
      - .offset:         0
        .size:           4
        .value_kind:     by_value
      - .offset:         4
        .size:           6
        .value_kind:     by_value
      - .offset:         16
        .size:           16
        .value_kind:     by_value
    .group_segment_fixed_size: 0
    .kernarg_segment_align: 8
    .kernarg_segment_size: 32
    .language:       OpenCL C
    .language_version:
      - 2
      - 0
    .max_flat_workgroup_size: 256
    .name:           _ZN2at6native29vectorized_elementwise_kernelILi16ENS0_13AUnaryFunctorIN3c108BFloat16ES4_S4_ZNS0_12_GLOBAL__N_121threshold_kernel_implIS4_EEvRNS_18TensorIteratorBaseET_S9_EUlS4_S4_E_EESt5arrayIPcLm2EEEEviT0_T1_
    .private_segment_fixed_size: 0
    .sgpr_count:     19
    .sgpr_spill_count: 0
    .symbol:         _ZN2at6native29vectorized_elementwise_kernelILi16ENS0_13AUnaryFunctorIN3c108BFloat16ES4_S4_ZNS0_12_GLOBAL__N_121threshold_kernel_implIS4_EEvRNS_18TensorIteratorBaseET_S9_EUlS4_S4_E_EESt5arrayIPcLm2EEEEviT0_T1_.kd
    .uniform_work_group_size: 1
    .uses_dynamic_stack: false
    .vgpr_count:     13
    .vgpr_spill_count: 0
    .wavefront_size: 64
  - .args:
      - .offset:         0
        .size:           4
        .value_kind:     by_value
      - .offset:         4
        .size:           6
        .value_kind:     by_value
      - .offset:         16
        .size:           16
        .value_kind:     by_value
    .group_segment_fixed_size: 0
    .kernarg_segment_align: 8
    .kernarg_segment_size: 32
    .language:       OpenCL C
    .language_version:
      - 2
      - 0
    .max_flat_workgroup_size: 256
    .name:           _ZN2at6native29vectorized_elementwise_kernelILi8ENS0_13AUnaryFunctorIN3c108BFloat16ES4_S4_ZNS0_12_GLOBAL__N_121threshold_kernel_implIS4_EEvRNS_18TensorIteratorBaseET_S9_EUlS4_S4_E_EESt5arrayIPcLm2EEEEviT0_T1_
    .private_segment_fixed_size: 0
    .sgpr_count:     19
    .sgpr_spill_count: 0
    .symbol:         _ZN2at6native29vectorized_elementwise_kernelILi8ENS0_13AUnaryFunctorIN3c108BFloat16ES4_S4_ZNS0_12_GLOBAL__N_121threshold_kernel_implIS4_EEvRNS_18TensorIteratorBaseET_S9_EUlS4_S4_E_EESt5arrayIPcLm2EEEEviT0_T1_.kd
    .uniform_work_group_size: 1
    .uses_dynamic_stack: false
    .vgpr_count:     13
    .vgpr_spill_count: 0
    .wavefront_size: 64
  - .args:
      - .offset:         0
        .size:           4
        .value_kind:     by_value
      - .offset:         4
        .size:           6
        .value_kind:     by_value
      - .offset:         16
        .size:           16
        .value_kind:     by_value
    .group_segment_fixed_size: 0
    .kernarg_segment_align: 8
    .kernarg_segment_size: 32
    .language:       OpenCL C
    .language_version:
      - 2
      - 0
    .max_flat_workgroup_size: 256
    .name:           _ZN2at6native29vectorized_elementwise_kernelILi4ENS0_13AUnaryFunctorIN3c108BFloat16ES4_S4_ZNS0_12_GLOBAL__N_121threshold_kernel_implIS4_EEvRNS_18TensorIteratorBaseET_S9_EUlS4_S4_E_EESt5arrayIPcLm2EEEEviT0_T1_
    .private_segment_fixed_size: 0
    .sgpr_count:     19
    .sgpr_spill_count: 0
    .symbol:         _ZN2at6native29vectorized_elementwise_kernelILi4ENS0_13AUnaryFunctorIN3c108BFloat16ES4_S4_ZNS0_12_GLOBAL__N_121threshold_kernel_implIS4_EEvRNS_18TensorIteratorBaseET_S9_EUlS4_S4_E_EESt5arrayIPcLm2EEEEviT0_T1_.kd
    .uniform_work_group_size: 1
    .uses_dynamic_stack: false
    .vgpr_count:     13
    .vgpr_spill_count: 0
    .wavefront_size: 64
  - .args:
      - .offset:         0
        .size:           4
        .value_kind:     by_value
      - .offset:         4
        .size:           6
        .value_kind:     by_value
      - .offset:         16
        .size:           16
        .value_kind:     by_value
    .group_segment_fixed_size: 0
    .kernarg_segment_align: 8
    .kernarg_segment_size: 32
    .language:       OpenCL C
    .language_version:
      - 2
      - 0
    .max_flat_workgroup_size: 256
    .name:           _ZN2at6native29vectorized_elementwise_kernelILi2ENS0_13AUnaryFunctorIN3c108BFloat16ES4_S4_ZNS0_12_GLOBAL__N_121threshold_kernel_implIS4_EEvRNS_18TensorIteratorBaseET_S9_EUlS4_S4_E_EESt5arrayIPcLm2EEEEviT0_T1_
    .private_segment_fixed_size: 0
    .sgpr_count:     18
    .sgpr_spill_count: 0
    .symbol:         _ZN2at6native29vectorized_elementwise_kernelILi2ENS0_13AUnaryFunctorIN3c108BFloat16ES4_S4_ZNS0_12_GLOBAL__N_121threshold_kernel_implIS4_EEvRNS_18TensorIteratorBaseET_S9_EUlS4_S4_E_EESt5arrayIPcLm2EEEEviT0_T1_.kd
    .uniform_work_group_size: 1
    .uses_dynamic_stack: false
    .vgpr_count:     13
    .vgpr_spill_count: 0
    .wavefront_size: 64
  - .args:
      - .offset:         0
        .size:           4
        .value_kind:     by_value
      - .offset:         4
        .size:           6
        .value_kind:     by_value
      - .offset:         16
        .size:           16
        .value_kind:     by_value
      - .offset:         32
        .size:           1
        .value_kind:     by_value
      - .offset:         33
        .size:           1
        .value_kind:     by_value
      - .offset:         34
        .size:           1
        .value_kind:     by_value
      - .offset:         35
        .size:           1
        .value_kind:     by_value
    .group_segment_fixed_size: 0
    .kernarg_segment_align: 8
    .kernarg_segment_size: 36
    .language:       OpenCL C
    .language_version:
      - 2
      - 0
    .max_flat_workgroup_size: 256
    .name:           _ZN2at6native27unrolled_elementwise_kernelINS0_13AUnaryFunctorIN3c108BFloat16ES4_S4_ZNS0_12_GLOBAL__N_121threshold_kernel_implIS4_EEvRNS_18TensorIteratorBaseET_S9_EUlS4_S4_E_EESt5arrayIPcLm2EELi4E23TrivialOffsetCalculatorILi1EjESG_NS0_6memory15LoadWithoutCastENSH_16StoreWithoutCastEEEviS9_T0_T2_T3_T4_T5_
    .private_segment_fixed_size: 0
    .sgpr_count:     18
    .sgpr_spill_count: 0
    .symbol:         _ZN2at6native27unrolled_elementwise_kernelINS0_13AUnaryFunctorIN3c108BFloat16ES4_S4_ZNS0_12_GLOBAL__N_121threshold_kernel_implIS4_EEvRNS_18TensorIteratorBaseET_S9_EUlS4_S4_E_EESt5arrayIPcLm2EELi4E23TrivialOffsetCalculatorILi1EjESG_NS0_6memory15LoadWithoutCastENSH_16StoreWithoutCastEEEviS9_T0_T2_T3_T4_T5_.kd
    .uniform_work_group_size: 1
    .uses_dynamic_stack: false
    .vgpr_count:     9
    .vgpr_spill_count: 0
    .wavefront_size: 64
  - .args:
      - .offset:         0
        .size:           4
        .value_kind:     by_value
      - .offset:         8
        .size:           352
        .value_kind:     by_value
    .group_segment_fixed_size: 0
    .kernarg_segment_align: 8
    .kernarg_segment_size: 360
    .language:       OpenCL C
    .language_version:
      - 2
      - 0
    .max_flat_workgroup_size: 128
    .name:           _ZN2at6native32elementwise_kernel_manual_unrollILi128ELi8EZNS0_22gpu_kernel_impl_nocastINS0_13AUnaryFunctorIN3c108BFloat16ES5_S5_ZNS0_12_GLOBAL__N_121threshold_kernel_implIS5_EEvRNS_18TensorIteratorBaseET_SA_EUlS5_S5_E_EEEEvS9_RKSA_EUlibE_EEviT1_
    .private_segment_fixed_size: 0
    .sgpr_count:     67
    .sgpr_spill_count: 0
    .symbol:         _ZN2at6native32elementwise_kernel_manual_unrollILi128ELi8EZNS0_22gpu_kernel_impl_nocastINS0_13AUnaryFunctorIN3c108BFloat16ES5_S5_ZNS0_12_GLOBAL__N_121threshold_kernel_implIS5_EEvRNS_18TensorIteratorBaseET_SA_EUlS5_S5_E_EEEEvS9_RKSA_EUlibE_EEviT1_.kd
    .uniform_work_group_size: 1
    .uses_dynamic_stack: false
    .vgpr_count:     26
    .vgpr_spill_count: 0
    .wavefront_size: 64
  - .args:
      - .offset:         0
        .size:           4
        .value_kind:     by_value
      - .offset:         8
        .size:           32
        .value_kind:     by_value
    .group_segment_fixed_size: 0
    .kernarg_segment_align: 8
    .kernarg_segment_size: 40
    .language:       OpenCL C
    .language_version:
      - 2
      - 0
    .max_flat_workgroup_size: 128
    .name:           _ZN2at6native32elementwise_kernel_manual_unrollILi128ELi4EZNS0_15gpu_kernel_implINS0_13AUnaryFunctorIN3c108BFloat16ES5_S5_ZNS0_12_GLOBAL__N_121threshold_kernel_implIS5_EEvRNS_18TensorIteratorBaseET_SA_EUlS5_S5_E_EEEEvS9_RKSA_EUlibE_EEviT1_
    .private_segment_fixed_size: 0
    .sgpr_count:     53
    .sgpr_spill_count: 0
    .symbol:         _ZN2at6native32elementwise_kernel_manual_unrollILi128ELi4EZNS0_15gpu_kernel_implINS0_13AUnaryFunctorIN3c108BFloat16ES5_S5_ZNS0_12_GLOBAL__N_121threshold_kernel_implIS5_EEvRNS_18TensorIteratorBaseET_SA_EUlS5_S5_E_EEEEvS9_RKSA_EUlibE_EEviT1_.kd
    .uniform_work_group_size: 1
    .uses_dynamic_stack: false
    .vgpr_count:     12
    .vgpr_spill_count: 0
    .wavefront_size: 64
  - .args:
      - .offset:         0
        .size:           4
        .value_kind:     by_value
      - .offset:         8
        .size:           352
        .value_kind:     by_value
    .group_segment_fixed_size: 0
    .kernarg_segment_align: 8
    .kernarg_segment_size: 360
    .language:       OpenCL C
    .language_version:
      - 2
      - 0
    .max_flat_workgroup_size: 128
    .name:           _ZN2at6native32elementwise_kernel_manual_unrollILi128ELi4EZNS0_15gpu_kernel_implINS0_13AUnaryFunctorIN3c108BFloat16ES5_S5_ZNS0_12_GLOBAL__N_121threshold_kernel_implIS5_EEvRNS_18TensorIteratorBaseET_SA_EUlS5_S5_E_EEEEvS9_RKSA_EUlibE0_EEviT1_
    .private_segment_fixed_size: 0
    .sgpr_count:     85
    .sgpr_spill_count: 0
    .symbol:         _ZN2at6native32elementwise_kernel_manual_unrollILi128ELi4EZNS0_15gpu_kernel_implINS0_13AUnaryFunctorIN3c108BFloat16ES5_S5_ZNS0_12_GLOBAL__N_121threshold_kernel_implIS5_EEvRNS_18TensorIteratorBaseET_SA_EUlS5_S5_E_EEEEvS9_RKSA_EUlibE0_EEviT1_.kd
    .uniform_work_group_size: 1
    .uses_dynamic_stack: false
    .vgpr_count:     18
    .vgpr_spill_count: 0
    .wavefront_size: 64
  - .args:
      - .offset:         0
        .size:           4
        .value_kind:     by_value
      - .offset:         4
        .size:           6
        .value_kind:     by_value
      - .offset:         16
        .size:           16
        .value_kind:     by_value
    .group_segment_fixed_size: 0
    .kernarg_segment_align: 8
    .kernarg_segment_size: 32
    .language:       OpenCL C
    .language_version:
      - 2
      - 0
    .max_flat_workgroup_size: 256
    .name:           _ZN2at6native29vectorized_elementwise_kernelILi16ENS0_13BUnaryFunctorIN3c108BFloat16ES4_S4_ZNS0_12_GLOBAL__N_121threshold_kernel_implIS4_EEvRNS_18TensorIteratorBaseET_S9_EUlS4_S4_E_EESt5arrayIPcLm2EEEEviT0_T1_
    .private_segment_fixed_size: 0
    .sgpr_count:     18
    .sgpr_spill_count: 0
    .symbol:         _ZN2at6native29vectorized_elementwise_kernelILi16ENS0_13BUnaryFunctorIN3c108BFloat16ES4_S4_ZNS0_12_GLOBAL__N_121threshold_kernel_implIS4_EEvRNS_18TensorIteratorBaseET_S9_EUlS4_S4_E_EESt5arrayIPcLm2EEEEviT0_T1_.kd
    .uniform_work_group_size: 1
    .uses_dynamic_stack: false
    .vgpr_count:     13
    .vgpr_spill_count: 0
    .wavefront_size: 64
  - .args:
      - .offset:         0
        .size:           4
        .value_kind:     by_value
      - .offset:         4
        .size:           6
        .value_kind:     by_value
      - .offset:         16
        .size:           16
        .value_kind:     by_value
    .group_segment_fixed_size: 0
    .kernarg_segment_align: 8
    .kernarg_segment_size: 32
    .language:       OpenCL C
    .language_version:
      - 2
      - 0
    .max_flat_workgroup_size: 256
    .name:           _ZN2at6native29vectorized_elementwise_kernelILi8ENS0_13BUnaryFunctorIN3c108BFloat16ES4_S4_ZNS0_12_GLOBAL__N_121threshold_kernel_implIS4_EEvRNS_18TensorIteratorBaseET_S9_EUlS4_S4_E_EESt5arrayIPcLm2EEEEviT0_T1_
    .private_segment_fixed_size: 0
    .sgpr_count:     18
    .sgpr_spill_count: 0
    .symbol:         _ZN2at6native29vectorized_elementwise_kernelILi8ENS0_13BUnaryFunctorIN3c108BFloat16ES4_S4_ZNS0_12_GLOBAL__N_121threshold_kernel_implIS4_EEvRNS_18TensorIteratorBaseET_S9_EUlS4_S4_E_EESt5arrayIPcLm2EEEEviT0_T1_.kd
    .uniform_work_group_size: 1
    .uses_dynamic_stack: false
    .vgpr_count:     13
    .vgpr_spill_count: 0
    .wavefront_size: 64
  - .args:
      - .offset:         0
        .size:           4
        .value_kind:     by_value
      - .offset:         4
        .size:           6
        .value_kind:     by_value
      - .offset:         16
        .size:           16
        .value_kind:     by_value
    .group_segment_fixed_size: 0
    .kernarg_segment_align: 8
    .kernarg_segment_size: 32
    .language:       OpenCL C
    .language_version:
      - 2
      - 0
    .max_flat_workgroup_size: 256
    .name:           _ZN2at6native29vectorized_elementwise_kernelILi4ENS0_13BUnaryFunctorIN3c108BFloat16ES4_S4_ZNS0_12_GLOBAL__N_121threshold_kernel_implIS4_EEvRNS_18TensorIteratorBaseET_S9_EUlS4_S4_E_EESt5arrayIPcLm2EEEEviT0_T1_
    .private_segment_fixed_size: 0
    .sgpr_count:     18
    .sgpr_spill_count: 0
    .symbol:         _ZN2at6native29vectorized_elementwise_kernelILi4ENS0_13BUnaryFunctorIN3c108BFloat16ES4_S4_ZNS0_12_GLOBAL__N_121threshold_kernel_implIS4_EEvRNS_18TensorIteratorBaseET_S9_EUlS4_S4_E_EESt5arrayIPcLm2EEEEviT0_T1_.kd
    .uniform_work_group_size: 1
    .uses_dynamic_stack: false
    .vgpr_count:     13
    .vgpr_spill_count: 0
    .wavefront_size: 64
  - .args:
      - .offset:         0
        .size:           4
        .value_kind:     by_value
      - .offset:         4
        .size:           6
        .value_kind:     by_value
      - .offset:         16
        .size:           16
        .value_kind:     by_value
    .group_segment_fixed_size: 0
    .kernarg_segment_align: 8
    .kernarg_segment_size: 32
    .language:       OpenCL C
    .language_version:
      - 2
      - 0
    .max_flat_workgroup_size: 256
    .name:           _ZN2at6native29vectorized_elementwise_kernelILi2ENS0_13BUnaryFunctorIN3c108BFloat16ES4_S4_ZNS0_12_GLOBAL__N_121threshold_kernel_implIS4_EEvRNS_18TensorIteratorBaseET_S9_EUlS4_S4_E_EESt5arrayIPcLm2EEEEviT0_T1_
    .private_segment_fixed_size: 0
    .sgpr_count:     18
    .sgpr_spill_count: 0
    .symbol:         _ZN2at6native29vectorized_elementwise_kernelILi2ENS0_13BUnaryFunctorIN3c108BFloat16ES4_S4_ZNS0_12_GLOBAL__N_121threshold_kernel_implIS4_EEvRNS_18TensorIteratorBaseET_S9_EUlS4_S4_E_EESt5arrayIPcLm2EEEEviT0_T1_.kd
    .uniform_work_group_size: 1
    .uses_dynamic_stack: false
    .vgpr_count:     13
    .vgpr_spill_count: 0
    .wavefront_size: 64
  - .args:
      - .offset:         0
        .size:           4
        .value_kind:     by_value
      - .offset:         4
        .size:           6
        .value_kind:     by_value
      - .offset:         16
        .size:           16
        .value_kind:     by_value
      - .offset:         32
        .size:           1
        .value_kind:     by_value
      - .offset:         33
        .size:           1
        .value_kind:     by_value
      - .offset:         34
        .size:           1
        .value_kind:     by_value
      - .offset:         35
        .size:           1
        .value_kind:     by_value
    .group_segment_fixed_size: 0
    .kernarg_segment_align: 8
    .kernarg_segment_size: 36
    .language:       OpenCL C
    .language_version:
      - 2
      - 0
    .max_flat_workgroup_size: 256
    .name:           _ZN2at6native27unrolled_elementwise_kernelINS0_13BUnaryFunctorIN3c108BFloat16ES4_S4_ZNS0_12_GLOBAL__N_121threshold_kernel_implIS4_EEvRNS_18TensorIteratorBaseET_S9_EUlS4_S4_E_EESt5arrayIPcLm2EELi4E23TrivialOffsetCalculatorILi1EjESG_NS0_6memory15LoadWithoutCastENSH_16StoreWithoutCastEEEviS9_T0_T2_T3_T4_T5_
    .private_segment_fixed_size: 0
    .sgpr_count:     17
    .sgpr_spill_count: 0
    .symbol:         _ZN2at6native27unrolled_elementwise_kernelINS0_13BUnaryFunctorIN3c108BFloat16ES4_S4_ZNS0_12_GLOBAL__N_121threshold_kernel_implIS4_EEvRNS_18TensorIteratorBaseET_S9_EUlS4_S4_E_EESt5arrayIPcLm2EELi4E23TrivialOffsetCalculatorILi1EjESG_NS0_6memory15LoadWithoutCastENSH_16StoreWithoutCastEEEviS9_T0_T2_T3_T4_T5_.kd
    .uniform_work_group_size: 1
    .uses_dynamic_stack: false
    .vgpr_count:     9
    .vgpr_spill_count: 0
    .wavefront_size: 64
  - .args:
      - .offset:         0
        .size:           4
        .value_kind:     by_value
      - .offset:         8
        .size:           352
        .value_kind:     by_value
    .group_segment_fixed_size: 0
    .kernarg_segment_align: 8
    .kernarg_segment_size: 360
    .language:       OpenCL C
    .language_version:
      - 2
      - 0
    .max_flat_workgroup_size: 128
    .name:           _ZN2at6native32elementwise_kernel_manual_unrollILi128ELi8EZNS0_22gpu_kernel_impl_nocastINS0_13BUnaryFunctorIN3c108BFloat16ES5_S5_ZNS0_12_GLOBAL__N_121threshold_kernel_implIS5_EEvRNS_18TensorIteratorBaseET_SA_EUlS5_S5_E_EEEEvS9_RKSA_EUlibE_EEviT1_
    .private_segment_fixed_size: 0
    .sgpr_count:     67
    .sgpr_spill_count: 0
    .symbol:         _ZN2at6native32elementwise_kernel_manual_unrollILi128ELi8EZNS0_22gpu_kernel_impl_nocastINS0_13BUnaryFunctorIN3c108BFloat16ES5_S5_ZNS0_12_GLOBAL__N_121threshold_kernel_implIS5_EEvRNS_18TensorIteratorBaseET_SA_EUlS5_S5_E_EEEEvS9_RKSA_EUlibE_EEviT1_.kd
    .uniform_work_group_size: 1
    .uses_dynamic_stack: false
    .vgpr_count:     26
    .vgpr_spill_count: 0
    .wavefront_size: 64
  - .args:
      - .offset:         0
        .size:           4
        .value_kind:     by_value
      - .offset:         8
        .size:           32
        .value_kind:     by_value
    .group_segment_fixed_size: 0
    .kernarg_segment_align: 8
    .kernarg_segment_size: 40
    .language:       OpenCL C
    .language_version:
      - 2
      - 0
    .max_flat_workgroup_size: 128
    .name:           _ZN2at6native32elementwise_kernel_manual_unrollILi128ELi4EZNS0_15gpu_kernel_implINS0_13BUnaryFunctorIN3c108BFloat16ES5_S5_ZNS0_12_GLOBAL__N_121threshold_kernel_implIS5_EEvRNS_18TensorIteratorBaseET_SA_EUlS5_S5_E_EEEEvS9_RKSA_EUlibE_EEviT1_
    .private_segment_fixed_size: 0
    .sgpr_count:     52
    .sgpr_spill_count: 0
    .symbol:         _ZN2at6native32elementwise_kernel_manual_unrollILi128ELi4EZNS0_15gpu_kernel_implINS0_13BUnaryFunctorIN3c108BFloat16ES5_S5_ZNS0_12_GLOBAL__N_121threshold_kernel_implIS5_EEvRNS_18TensorIteratorBaseET_SA_EUlS5_S5_E_EEEEvS9_RKSA_EUlibE_EEviT1_.kd
    .uniform_work_group_size: 1
    .uses_dynamic_stack: false
    .vgpr_count:     12
    .vgpr_spill_count: 0
    .wavefront_size: 64
  - .args:
      - .offset:         0
        .size:           4
        .value_kind:     by_value
      - .offset:         8
        .size:           352
        .value_kind:     by_value
    .group_segment_fixed_size: 0
    .kernarg_segment_align: 8
    .kernarg_segment_size: 360
    .language:       OpenCL C
    .language_version:
      - 2
      - 0
    .max_flat_workgroup_size: 128
    .name:           _ZN2at6native32elementwise_kernel_manual_unrollILi128ELi4EZNS0_15gpu_kernel_implINS0_13BUnaryFunctorIN3c108BFloat16ES5_S5_ZNS0_12_GLOBAL__N_121threshold_kernel_implIS5_EEvRNS_18TensorIteratorBaseET_SA_EUlS5_S5_E_EEEEvS9_RKSA_EUlibE0_EEviT1_
    .private_segment_fixed_size: 0
    .sgpr_count:     85
    .sgpr_spill_count: 0
    .symbol:         _ZN2at6native32elementwise_kernel_manual_unrollILi128ELi4EZNS0_15gpu_kernel_implINS0_13BUnaryFunctorIN3c108BFloat16ES5_S5_ZNS0_12_GLOBAL__N_121threshold_kernel_implIS5_EEvRNS_18TensorIteratorBaseET_SA_EUlS5_S5_E_EEEEvS9_RKSA_EUlibE0_EEviT1_.kd
    .uniform_work_group_size: 1
    .uses_dynamic_stack: false
    .vgpr_count:     18
    .vgpr_spill_count: 0
    .wavefront_size: 64
  - .args:
      - .offset:         0
        .size:           4
        .value_kind:     by_value
      - .offset:         4
        .size:           4
        .value_kind:     by_value
      - .offset:         8
        .size:           24
        .value_kind:     by_value
    .group_segment_fixed_size: 0
    .kernarg_segment_align: 8
    .kernarg_segment_size: 32
    .language:       OpenCL C
    .language_version:
      - 2
      - 0
    .max_flat_workgroup_size: 256
    .name:           _ZN2at6native29vectorized_elementwise_kernelILi16ENS0_13BinaryFunctorIN3c108BFloat16ES4_S4_ZNS0_12_GLOBAL__N_121threshold_kernel_implIS4_EEvRNS_18TensorIteratorBaseET_S9_EUlS4_S4_E_EESt5arrayIPcLm3EEEEviT0_T1_
    .private_segment_fixed_size: 0
    .sgpr_count:     20
    .sgpr_spill_count: 0
    .symbol:         _ZN2at6native29vectorized_elementwise_kernelILi16ENS0_13BinaryFunctorIN3c108BFloat16ES4_S4_ZNS0_12_GLOBAL__N_121threshold_kernel_implIS4_EEvRNS_18TensorIteratorBaseET_S9_EUlS4_S4_E_EESt5arrayIPcLm3EEEEviT0_T1_.kd
    .uniform_work_group_size: 1
    .uses_dynamic_stack: false
    .vgpr_count:     24
    .vgpr_spill_count: 0
    .wavefront_size: 64
  - .args:
      - .offset:         0
        .size:           4
        .value_kind:     by_value
      - .offset:         4
        .size:           4
        .value_kind:     by_value
      - .offset:         8
        .size:           24
        .value_kind:     by_value
    .group_segment_fixed_size: 0
    .kernarg_segment_align: 8
    .kernarg_segment_size: 32
    .language:       OpenCL C
    .language_version:
      - 2
      - 0
    .max_flat_workgroup_size: 256
    .name:           _ZN2at6native29vectorized_elementwise_kernelILi8ENS0_13BinaryFunctorIN3c108BFloat16ES4_S4_ZNS0_12_GLOBAL__N_121threshold_kernel_implIS4_EEvRNS_18TensorIteratorBaseET_S9_EUlS4_S4_E_EESt5arrayIPcLm3EEEEviT0_T1_
    .private_segment_fixed_size: 0
    .sgpr_count:     20
    .sgpr_spill_count: 0
    .symbol:         _ZN2at6native29vectorized_elementwise_kernelILi8ENS0_13BinaryFunctorIN3c108BFloat16ES4_S4_ZNS0_12_GLOBAL__N_121threshold_kernel_implIS4_EEvRNS_18TensorIteratorBaseET_S9_EUlS4_S4_E_EESt5arrayIPcLm3EEEEviT0_T1_.kd
    .uniform_work_group_size: 1
    .uses_dynamic_stack: false
    .vgpr_count:     24
    .vgpr_spill_count: 0
    .wavefront_size: 64
  - .args:
      - .offset:         0
        .size:           4
        .value_kind:     by_value
      - .offset:         4
        .size:           4
        .value_kind:     by_value
      - .offset:         8
        .size:           24
        .value_kind:     by_value
    .group_segment_fixed_size: 0
    .kernarg_segment_align: 8
    .kernarg_segment_size: 32
    .language:       OpenCL C
    .language_version:
      - 2
      - 0
    .max_flat_workgroup_size: 256
    .name:           _ZN2at6native29vectorized_elementwise_kernelILi4ENS0_13BinaryFunctorIN3c108BFloat16ES4_S4_ZNS0_12_GLOBAL__N_121threshold_kernel_implIS4_EEvRNS_18TensorIteratorBaseET_S9_EUlS4_S4_E_EESt5arrayIPcLm3EEEEviT0_T1_
    .private_segment_fixed_size: 0
    .sgpr_count:     20
    .sgpr_spill_count: 0
    .symbol:         _ZN2at6native29vectorized_elementwise_kernelILi4ENS0_13BinaryFunctorIN3c108BFloat16ES4_S4_ZNS0_12_GLOBAL__N_121threshold_kernel_implIS4_EEvRNS_18TensorIteratorBaseET_S9_EUlS4_S4_E_EESt5arrayIPcLm3EEEEviT0_T1_.kd
    .uniform_work_group_size: 1
    .uses_dynamic_stack: false
    .vgpr_count:     24
    .vgpr_spill_count: 0
    .wavefront_size: 64
  - .args:
      - .offset:         0
        .size:           4
        .value_kind:     by_value
      - .offset:         4
        .size:           4
        .value_kind:     by_value
      - .offset:         8
        .size:           24
        .value_kind:     by_value
    .group_segment_fixed_size: 0
    .kernarg_segment_align: 8
    .kernarg_segment_size: 32
    .language:       OpenCL C
    .language_version:
      - 2
      - 0
    .max_flat_workgroup_size: 256
    .name:           _ZN2at6native29vectorized_elementwise_kernelILi2ENS0_13BinaryFunctorIN3c108BFloat16ES4_S4_ZNS0_12_GLOBAL__N_121threshold_kernel_implIS4_EEvRNS_18TensorIteratorBaseET_S9_EUlS4_S4_E_EESt5arrayIPcLm3EEEEviT0_T1_
    .private_segment_fixed_size: 0
    .sgpr_count:     20
    .sgpr_spill_count: 0
    .symbol:         _ZN2at6native29vectorized_elementwise_kernelILi2ENS0_13BinaryFunctorIN3c108BFloat16ES4_S4_ZNS0_12_GLOBAL__N_121threshold_kernel_implIS4_EEvRNS_18TensorIteratorBaseET_S9_EUlS4_S4_E_EESt5arrayIPcLm3EEEEviT0_T1_.kd
    .uniform_work_group_size: 1
    .uses_dynamic_stack: false
    .vgpr_count:     24
    .vgpr_spill_count: 0
    .wavefront_size: 64
  - .args:
      - .offset:         0
        .size:           4
        .value_kind:     by_value
      - .offset:         4
        .size:           4
        .value_kind:     by_value
      - .offset:         8
        .size:           24
        .value_kind:     by_value
      - .offset:         32
        .size:           1
        .value_kind:     by_value
      - .offset:         33
        .size:           1
        .value_kind:     by_value
      - .offset:         34
        .size:           1
        .value_kind:     by_value
      - .offset:         35
        .size:           1
        .value_kind:     by_value
    .group_segment_fixed_size: 0
    .kernarg_segment_align: 8
    .kernarg_segment_size: 36
    .language:       OpenCL C
    .language_version:
      - 2
      - 0
    .max_flat_workgroup_size: 256
    .name:           _ZN2at6native27unrolled_elementwise_kernelINS0_13BinaryFunctorIN3c108BFloat16ES4_S4_ZNS0_12_GLOBAL__N_121threshold_kernel_implIS4_EEvRNS_18TensorIteratorBaseET_S9_EUlS4_S4_E_EESt5arrayIPcLm3EELi4E23TrivialOffsetCalculatorILi2EjESF_ILi1EjENS0_6memory15LoadWithoutCastENSI_16StoreWithoutCastEEEviS9_T0_T2_T3_T4_T5_
    .private_segment_fixed_size: 0
    .sgpr_count:     18
    .sgpr_spill_count: 0
    .symbol:         _ZN2at6native27unrolled_elementwise_kernelINS0_13BinaryFunctorIN3c108BFloat16ES4_S4_ZNS0_12_GLOBAL__N_121threshold_kernel_implIS4_EEvRNS_18TensorIteratorBaseET_S9_EUlS4_S4_E_EESt5arrayIPcLm3EELi4E23TrivialOffsetCalculatorILi2EjESF_ILi1EjENS0_6memory15LoadWithoutCastENSI_16StoreWithoutCastEEEviS9_T0_T2_T3_T4_T5_.kd
    .uniform_work_group_size: 1
    .uses_dynamic_stack: false
    .vgpr_count:     16
    .vgpr_spill_count: 0
    .wavefront_size: 64
  - .args:
      - .offset:         0
        .size:           4
        .value_kind:     by_value
      - .offset:         8
        .size:           424
        .value_kind:     by_value
    .group_segment_fixed_size: 0
    .kernarg_segment_align: 8
    .kernarg_segment_size: 432
    .language:       OpenCL C
    .language_version:
      - 2
      - 0
    .max_flat_workgroup_size: 128
    .name:           _ZN2at6native32elementwise_kernel_manual_unrollILi128ELi8EZNS0_22gpu_kernel_impl_nocastINS0_13BinaryFunctorIN3c108BFloat16ES5_S5_ZNS0_12_GLOBAL__N_121threshold_kernel_implIS5_EEvRNS_18TensorIteratorBaseET_SA_EUlS5_S5_E_EEEEvS9_RKSA_EUlibE_EEviT1_
    .private_segment_fixed_size: 0
    .sgpr_count:     56
    .sgpr_spill_count: 0
    .symbol:         _ZN2at6native32elementwise_kernel_manual_unrollILi128ELi8EZNS0_22gpu_kernel_impl_nocastINS0_13BinaryFunctorIN3c108BFloat16ES5_S5_ZNS0_12_GLOBAL__N_121threshold_kernel_implIS5_EEvRNS_18TensorIteratorBaseET_SA_EUlS5_S5_E_EEEEvS9_RKSA_EUlibE_EEviT1_.kd
    .uniform_work_group_size: 1
    .uses_dynamic_stack: false
    .vgpr_count:     42
    .vgpr_spill_count: 0
    .wavefront_size: 64
  - .args:
      - .offset:         0
        .size:           4
        .value_kind:     by_value
      - .offset:         8
        .size:           48
        .value_kind:     by_value
    .group_segment_fixed_size: 0
    .kernarg_segment_align: 8
    .kernarg_segment_size: 56
    .language:       OpenCL C
    .language_version:
      - 2
      - 0
    .max_flat_workgroup_size: 128
    .name:           _ZN2at6native32elementwise_kernel_manual_unrollILi128ELi4EZNS0_15gpu_kernel_implINS0_13BinaryFunctorIN3c108BFloat16ES5_S5_ZNS0_12_GLOBAL__N_121threshold_kernel_implIS5_EEvRNS_18TensorIteratorBaseET_SA_EUlS5_S5_E_EEEEvS9_RKSA_EUlibE_EEviT1_
    .private_segment_fixed_size: 0
    .sgpr_count:     63
    .sgpr_spill_count: 0
    .symbol:         _ZN2at6native32elementwise_kernel_manual_unrollILi128ELi4EZNS0_15gpu_kernel_implINS0_13BinaryFunctorIN3c108BFloat16ES5_S5_ZNS0_12_GLOBAL__N_121threshold_kernel_implIS5_EEvRNS_18TensorIteratorBaseET_SA_EUlS5_S5_E_EEEEvS9_RKSA_EUlibE_EEviT1_.kd
    .uniform_work_group_size: 1
    .uses_dynamic_stack: false
    .vgpr_count:     16
    .vgpr_spill_count: 0
    .wavefront_size: 64
  - .args:
      - .offset:         0
        .size:           4
        .value_kind:     by_value
      - .offset:         8
        .size:           424
        .value_kind:     by_value
    .group_segment_fixed_size: 0
    .kernarg_segment_align: 8
    .kernarg_segment_size: 432
    .language:       OpenCL C
    .language_version:
      - 2
      - 0
    .max_flat_workgroup_size: 128
    .name:           _ZN2at6native32elementwise_kernel_manual_unrollILi128ELi4EZNS0_15gpu_kernel_implINS0_13BinaryFunctorIN3c108BFloat16ES5_S5_ZNS0_12_GLOBAL__N_121threshold_kernel_implIS5_EEvRNS_18TensorIteratorBaseET_SA_EUlS5_S5_E_EEEEvS9_RKSA_EUlibE0_EEviT1_
    .private_segment_fixed_size: 0
    .sgpr_count:     86
    .sgpr_spill_count: 0
    .symbol:         _ZN2at6native32elementwise_kernel_manual_unrollILi128ELi4EZNS0_15gpu_kernel_implINS0_13BinaryFunctorIN3c108BFloat16ES5_S5_ZNS0_12_GLOBAL__N_121threshold_kernel_implIS5_EEvRNS_18TensorIteratorBaseET_SA_EUlS5_S5_E_EEEEvS9_RKSA_EUlibE0_EEviT1_.kd
    .uniform_work_group_size: 1
    .uses_dynamic_stack: false
    .vgpr_count:     24
    .vgpr_spill_count: 0
    .wavefront_size: 64
amdhsa.target:   amdgcn-amd-amdhsa--gfx906
amdhsa.version:
  - 1
  - 2
...

	.end_amdgpu_metadata
